;; amdgpu-corpus repo=pytorch/pytorch kind=compiled arch=gfx950 opt=O3
	.amdgcn_target "amdgcn-amd-amdhsa--gfx950"
	.amdhsa_code_object_version 6
	.section	.text._ZN2at6native12_GLOBAL__N_114gatherKthValueIhiLi1EEEvNS_4cuda6detail10TensorInfoIKT_T0_EES8_S8_S8_S8_NS5_IS6_S8_EENS5_IlS8_EE,"axG",@progbits,_ZN2at6native12_GLOBAL__N_114gatherKthValueIhiLi1EEEvNS_4cuda6detail10TensorInfoIKT_T0_EES8_S8_S8_S8_NS5_IS6_S8_EENS5_IlS8_EE,comdat
	.globl	_ZN2at6native12_GLOBAL__N_114gatherKthValueIhiLi1EEEvNS_4cuda6detail10TensorInfoIKT_T0_EES8_S8_S8_S8_NS5_IS6_S8_EENS5_IlS8_EE ; -- Begin function _ZN2at6native12_GLOBAL__N_114gatherKthValueIhiLi1EEEvNS_4cuda6detail10TensorInfoIKT_T0_EES8_S8_S8_S8_NS5_IS6_S8_EENS5_IlS8_EE
	.p2align	8
	.type	_ZN2at6native12_GLOBAL__N_114gatherKthValueIhiLi1EEEvNS_4cuda6detail10TensorInfoIKT_T0_EES8_S8_S8_S8_NS5_IS6_S8_EENS5_IlS8_EE,@function
_ZN2at6native12_GLOBAL__N_114gatherKthValueIhiLi1EEEvNS_4cuda6detail10TensorInfoIKT_T0_EES8_S8_S8_S8_NS5_IS6_S8_EENS5_IlS8_EE: ; @_ZN2at6native12_GLOBAL__N_114gatherKthValueIhiLi1EEEvNS_4cuda6detail10TensorInfoIKT_T0_EES8_S8_S8_S8_NS5_IS6_S8_EENS5_IlS8_EE
; %bb.0:
	s_load_dwordx2 s[12:13], s[0:1], 0x298
	s_load_dwordx4 s[60:63], s[0:1], 0xd8
	s_add_u32 s10, s0, 0x298
	s_addc_u32 s11, s1, 0
	s_waitcnt lgkmcnt(0)
	s_mul_i32 s4, s13, s4
	s_add_i32 s3, s4, s3
	s_mul_i32 s3, s3, s12
	s_add_i32 s13, s3, s2
	s_cmp_ge_i32 s13, s62
	s_cbranch_scc1 .LBB0_237
; %bb.1:
	s_load_dwordx2 s[4:5], s[0:1], 0x1c0
                                        ; implicit-def: $vgpr50 : SGPR spill to VGPR lane
	v_cmp_eq_u32_e64 s[18:19], 0, v0
	s_waitcnt lgkmcnt(0)
	v_writelane_b32 v50, s4, 0
	s_nop 1
	v_writelane_b32 v50, s5, 1
	s_load_dwordx2 s[4:5], s[0:1], 0xe8
	s_waitcnt lgkmcnt(0)
	v_writelane_b32 v50, s4, 2
	s_nop 1
	v_writelane_b32 v50, s5, 3
	s_load_dword s3, s[0:1], 0x6c
	s_load_dwordx2 s[4:5], s[0:1], 0x0
	s_and_saveexec_b64 s[6:7], s[18:19]
; %bb.2:
	v_mov_b32_e32 v2, 0
	v_mov_b32_e32 v3, s60
	;; [unrolled: 1-line block ×3, first 2 shown]
	ds_write_b96 v2, v[2:4] offset:4096
; %bb.3:
	s_or_b64 exec, exec, s[6:7]
	s_load_dword s6, s[0:1], 0x22c
	s_waitcnt lgkmcnt(0)
	s_barrier
	s_mul_i32 s3, s3, s13
	v_writelane_b32 v50, s6, 4
	s_load_dword s6, s[0:1], 0x154
                                        ; kill: killed $sgpr0 killed $sgpr1
	s_ashr_i32 s0, s3, 31
	s_add_u32 s68, s4, s3
	v_mbcnt_lo_u32_b32 v1, -1, 0
	s_addc_u32 s69, s5, s0
	s_waitcnt lgkmcnt(0)
	v_writelane_b32 v50, s6, 5
	s_load_dword s6, s[10:11], 0xc
	v_mbcnt_hi_u32_b32 v18, -1, v1
	v_cmp_gt_u32_e32 vcc, 64, v0
	v_cmp_gt_i32_e64 s[4:5], 4, v18
	s_and_b64 s[72:73], vcc, s[4:5]
	s_waitcnt lgkmcnt(0)
	s_and_b32 s62, s6, 0xffff
	s_add_i32 s85, s62, -1
	s_lshl_b32 s33, s62, 2
	s_add_i32 s86, s85, s60
	s_cmpk_gt_i32 s60, 0xc00
	v_writelane_b32 v50, s13, 6
	s_cselect_b64 s[74:75], -1, 0
	v_cmp_gt_u32_e64 s[8:9], s60, v0
	s_cmp_gt_u32 s62, 63
	s_cselect_b64 s[76:77], -1, 0
	v_writelane_b32 v50, s8, 7
	s_cmp_lt_u32 s2, s12
	s_cselect_b32 s2, 12, 18
	v_writelane_b32 v50, s9, 8
	v_cmp_gt_i32_e64 s[8:9], s60, v0
	s_add_u32 s2, s10, s2
	s_addc_u32 s3, s11, 0
	v_writelane_b32 v50, s8, 9
	s_bfe_u32 s6, s6, 0xa0006
	v_lshlrev_b64 v[2:3], v18, -1
	v_writelane_b32 v50, s9, 10
	v_writelane_b32 v50, s2, 11
	v_not_b32_e32 v12, v2
	v_lshrrev_b32_e32 v2, 2, v0
	v_writelane_b32 v50, s3, 12
	s_add_i32 s2, s6, -2
	s_lshr_b32 s3, s2, 1
	s_add_i32 s3, s3, 1
	s_cmpk_gt_u32 s62, 0x7f
	v_and_b32_e32 v2, 0xf0, v2
	s_cselect_b64 s[8:9], -1, 0
	v_or_b32_e32 v19, 0xc00, v2
	v_writelane_b32 v50, s8, 13
	v_cvt_f32_u32_e32 v2, s33
	s_and_b32 s7, s6, 0x3fe
	v_writelane_b32 v50, s9, 14
	s_and_b32 s8, s3, 7
	s_cmp_gt_u32 s2, 13
	s_cselect_b64 s[10:11], -1, 0
	v_writelane_b32 v50, s10, 15
	v_rcp_iflag_f32_e32 v2, v2
	s_and_b32 s2, s3, -8
	v_writelane_b32 v50, s11, 16
	v_writelane_b32 v50, s2, 17
	s_cmp_lg_u32 s8, 0
	v_writelane_b32 v50, s8, 18
	s_cselect_b64 s[2:3], -1, 0
	v_writelane_b32 v50, s2, 19
	v_mul_f32_e32 v2, 0x4f7ffffe, v2
	v_cvt_u32_f32_e32 v2, v2
	v_writelane_b32 v50, s3, 20
	v_writelane_b32 v50, s6, 21
	s_cmp_lg_u32 s7, s6
	v_writelane_b32 v50, s7, 22
	s_cselect_b64 s[2:3], -1, 0
	v_writelane_b32 v50, s2, 23
	v_not_b32_e32 v1, v3
	v_cvt_f32_u32_e32 v3, s62
	v_writelane_b32 v50, s3, 24
	s_sub_i32 s2, 0, s33
	v_readfirstlane_b32 s3, v2
	s_mul_i32 s2, s2, s3
	s_mul_hi_u32 s2, s3, s2
	s_add_i32 s71, s3, s2
	s_mul_hi_u32 s2, s60, s71
	s_mul_i32 s2, s2, s33
	s_sub_i32 s2, s60, s2
	s_sub_i32 s3, s2, s33
	s_cmp_ge_u32 s2, s33
	s_cselect_b32 s2, s3, s2
	s_sub_i32 s3, s2, s33
	s_cmp_ge_u32 s2, s33
	s_cselect_b32 s2, s3, s2
	s_sub_i32 s87, s60, s2
	v_rcp_iflag_f32_e32 v5, v3
	v_add_u32_e32 v20, s87, v0
	v_mul_lo_u32 v2, v20, s63
	v_ashrrev_i32_e32 v3, 31, v2
	v_lshl_add_u64 v[14:15], s[68:69], 0, v[2:3]
	v_mul_f32_e32 v2, 0x4f7ffffe, v5
	v_cvt_u32_f32_e32 v2, v2
	s_sub_i32 s7, 0, s62
	s_abs_i32 s6, s86
	s_ashr_i32 s3, s86, 31
	v_readfirstlane_b32 s8, v2
	s_mul_i32 s7, s7, s8
	s_mul_hi_u32 s7, s8, s7
	s_add_i32 s70, s8, s7
	s_mul_hi_u32 s7, s6, s70
	s_mul_i32 s7, s7, s62
	s_sub_i32 s6, s6, s7
	s_sub_i32 s7, s6, s62
	s_cmp_ge_u32 s6, s62
	s_cselect_b32 s6, s7, s6
	s_sub_i32 s7, s6, s62
	s_cmp_ge_u32 s6, s62
	v_lshlrev_b32_e32 v13, 2, v0
	s_cselect_b32 s6, s7, s6
	s_xor_b32 s6, s6, s3
	v_mul_lo_u32 v2, s63, v13
	s_sub_i32 s3, s3, s6
	v_add_u32_e32 v21, s63, v2
	v_or_b32_e32 v2, 2, v13
	s_add_i32 s86, s86, s3
	v_mul_lo_u32 v22, s63, v2
	v_or_b32_e32 v2, 3, v13
	s_add_i32 s3, s62, s60
	v_mov_b32_e32 v8, 0
	v_mul_lo_u32 v23, s63, v2
	v_add_u32_e32 v2, s3, v0
	v_mul_lo_u32 v6, s63, v0
	v_mov_b32_e32 v7, v8
	v_lshlrev_b32_e32 v4, 2, v18
	s_mov_b32 s20, 0
	s_mov_b32 s21, 1
	s_mul_i32 s84, s63, s62
	v_subrev_u32_e32 v2, s2, v2
	v_cmp_eq_u32_e64 s[0:1], 0, v18
	v_cmp_gt_u32_e64 s[4:5], 2, v0
	v_lshl_add_u64 v[10:11], s[68:69], 0, v[6:7]
	v_and_b32_e32 v7, 0x100, v4
	v_cmp_gt_i32_e64 s[10:11], s87, v13
	v_cmp_gt_u32_e64 s[12:13], s60, v20
	v_cmp_gt_i32_e64 s[14:15], s60, v20
	v_cmp_gt_i32_e64 s[16:17], s86, v0
	s_lshl_b32 s6, s84, 2
	v_lshlrev_b32_e32 v24, 2, v6
	v_mul_lo_u32 v26, s63, v2
	v_or_b32_e32 v27, 0xc00, v4
	s_mov_b64 s[88:89], 0
	v_mov_b32_e32 v29, 6
	v_mov_b32_e32 v33, s61
	s_movk_i32 s7, 0xff
	v_mov_b32_e32 v35, s60
	v_mov_b32_e32 v28, 0xc00
	;; [unrolled: 1-line block ×4, first 2 shown]
	v_writelane_b32 v50, s20, 25
	s_mov_b32 s61, s20
	v_mov_b32_e32 v25, 0
	v_mov_b32_e32 v31, 0
                                        ; implicit-def: $sgpr90_sgpr91
                                        ; implicit-def: $sgpr94_sgpr95
                                        ; implicit-def: $sgpr92_sgpr93
                                        ; implicit-def: $sgpr98_sgpr99
                                        ; implicit-def: $sgpr64_sgpr65
                                        ; implicit-def: $sgpr96_sgpr97
	v_writelane_b32 v50, s21, 26
	s_branch .LBB0_7
.LBB0_4:                                ;   in Loop: Header=BB0_7 Depth=1
	s_or_b64 exec, exec, s[30:31]
	s_and_b64 s[30:31], s[28:29], exec
	s_andn2_b64 s[26:27], s[26:27], exec
	s_andn2_b64 s[24:25], s[24:25], exec
	s_orn2_b64 s[20:21], s[20:21], exec
.LBB0_5:                                ;   in Loop: Header=BB0_7 Depth=1
	s_or_b64 exec, exec, s[22:23]
	s_andn2_b64 s[8:9], s[96:97], exec
	s_and_b64 s[22:23], s[30:31], exec
	s_or_b64 s[96:97], s[8:9], s[22:23]
	s_andn2_b64 s[8:9], s[64:65], exec
	s_and_b64 s[22:23], s[26:27], exec
	s_or_b64 s[64:65], s[8:9], s[22:23]
	;; [unrolled: 3-line block ×3, first 2 shown]
	s_orn2_b64 s[20:21], s[20:21], exec
.LBB0_6:                                ;   in Loop: Header=BB0_7 Depth=1
	s_or_b64 exec, exec, s[2:3]
	s_and_b64 s[2:3], exec, s[20:21]
	s_or_b64 s[88:89], s[2:3], s[88:89]
	s_andn2_b64 s[2:3], s[92:93], exec
	s_and_b64 s[8:9], s[96:97], exec
	s_or_b64 s[92:93], s[2:3], s[8:9]
	s_andn2_b64 s[2:3], s[94:95], exec
	s_and_b64 s[8:9], s[64:65], exec
	;; [unrolled: 3-line block ×3, first 2 shown]
	s_or_b64 s[90:91], s[2:3], s[8:9]
	s_mov_b32 s61, s34
	v_mov_b32_e32 v33, v16
	s_andn2_b64 exec, exec, s[88:89]
	s_cbranch_execz .LBB0_233
.LBB0_7:                                ; =>This Loop Header: Depth=1
                                        ;     Child Loop BB0_12 Depth 2
                                        ;     Child Loop BB0_27 Depth 2
	;; [unrolled: 1-line block ×17, first 2 shown]
	ds_read_b64 v[2:3], v8 offset:4096
	s_waitcnt lgkmcnt(0)
	v_readfirstlane_b32 s8, v2
	s_cmp_gt_i32 s8, 0
	s_cbranch_scc1 .LBB0_34
; %bb.8:                                ;   in Loop: Header=BB0_7 Depth=1
	s_and_b64 vcc, exec, s[74:75]
	s_cbranch_vccz .LBB0_20
; %bb.9:                                ;   in Loop: Header=BB0_7 Depth=1
	s_movk_i32 s2, 0xc01
	v_cmp_gt_i32_e32 vcc, s2, v3
	s_mov_b64 s[20:21], 0
	s_mov_b64 s[2:3], 0
	s_cbranch_vccz .LBB0_21
; %bb.10:                               ;   in Loop: Header=BB0_7 Depth=1
	v_readlane_b32 s2, v50, 11
	v_readlane_b32 s3, v50, 12
	s_nop 4
	global_load_ushort v2, v8, s[2:3]
	global_load_ubyte v5, v[10:11], off
	s_mov_b64 s[22:23], 0
	v_mov_b32_e32 v9, v0
	s_waitcnt vmcnt(1)
	v_add_u32_e32 v4, v0, v2
	v_mul_lo_u32 v3, s63, v2
	v_mul_lo_u32 v4, s63, v4
	s_branch .LBB0_12
.LBB0_11:                               ;   in Loop: Header=BB0_12 Depth=2
	s_or_b64 exec, exec, s[2:3]
	v_cmp_le_i32_e32 vcc, s60, v9
	v_add_u32_e32 v4, v4, v3
	s_or_b64 s[22:23], vcc, s[22:23]
	v_mov_b32_e32 v5, v16
	s_andn2_b64 exec, exec, s[22:23]
	s_cbranch_execz .LBB0_66
.LBB0_12:                               ;   Parent Loop BB0_7 Depth=1
                                        ; =>  This Inner Loop Header: Depth=2
	v_add_u32_e32 v9, v9, v2
	v_cmp_gt_u32_e32 vcc, s60, v9
	s_waitcnt lgkmcnt(0)
	v_mov_b32_e32 v17, 0
	v_mov_b32_e32 v16, 0
	s_and_saveexec_b64 s[2:3], vcc
	s_cbranch_execz .LBB0_14
; %bb.13:                               ;   in Loop: Header=BB0_12 Depth=2
	global_load_ubyte v16, v4, s[68:69]
.LBB0_14:                               ;   in Loop: Header=BB0_12 Depth=2
	s_or_b64 exec, exec, s[2:3]
	s_waitcnt vmcnt(0)
	v_bitop3_b32 v34, v5, s7, v31 bitop3:0x80
	v_cmp_eq_u32_e32 vcc, v34, v25
	s_cmp_lg_u64 vcc, 0
	s_cselect_b64 s[2:3], -1, 0
	s_and_b64 s[2:3], s[0:1], s[2:3]
	s_and_saveexec_b64 s[24:25], s[2:3]
	s_cbranch_execz .LBB0_18
; %bb.15:                               ;   in Loop: Header=BB0_12 Depth=2
	s_mov_b64 s[28:29], exec
	v_mbcnt_lo_u32_b32 v17, s28, 0
	v_mbcnt_hi_u32_b32 v17, s29, v17
	s_bcnt1_i32_b64 s9, vcc
	v_cmp_eq_u32_e64 s[2:3], 0, v17
                                        ; implicit-def: $vgpr34
	s_and_saveexec_b64 s[26:27], s[2:3]
; %bb.16:                               ;   in Loop: Header=BB0_12 Depth=2
	s_bcnt1_i32_b64 s2, s[28:29]
	s_mul_i32 s2, s9, s2
	v_mov_b32_e32 v34, s2
	ds_add_rtn_u32 v34, v8, v34 offset:4104
; %bb.17:                               ;   in Loop: Header=BB0_12 Depth=2
	s_or_b64 exec, exec, s[26:27]
	s_waitcnt lgkmcnt(0)
	v_readfirstlane_b32 s2, v34
	s_nop 1
	v_mov_b32_e32 v34, s2
	v_mad_u32_u24 v17, s9, v17, v34
.LBB0_18:                               ;   in Loop: Header=BB0_12 Depth=2
	s_or_b64 exec, exec, s[24:25]
	ds_bpermute_b32 v17, v7, v17
	s_and_saveexec_b64 s[2:3], vcc
	s_cbranch_execz .LBB0_11
; %bb.19:                               ;   in Loop: Header=BB0_12 Depth=2
	v_and_b32_e32 v36, vcc_lo, v12
	v_and_b32_e32 v34, vcc_hi, v1
	v_bcnt_u32_b32 v36, v36, 0
	v_bcnt_u32_b32 v34, v34, v36
	s_waitcnt lgkmcnt(0)
	v_add_u32_e32 v17, v17, v34
	ds_write_b8 v17, v5
	s_branch .LBB0_11
.LBB0_20:                               ;   in Loop: Header=BB0_7 Depth=1
	s_mov_b64 s[20:21], -1
	s_mov_b64 s[2:3], 0
.LBB0_21:                               ;   in Loop: Header=BB0_7 Depth=1
	s_and_b64 vcc, exec, s[20:21]
	s_cbranch_vccz .LBB0_32
.LBB0_22:                               ;   in Loop: Header=BB0_7 Depth=1
	v_mov_b32_e32 v2, 0
	s_mov_b64 s[2:3], exec
	v_readlane_b32 s20, v50, 7
	v_readlane_b32 s21, v50, 8
	s_and_b64 s[20:21], s[2:3], s[20:21]
	s_mov_b64 exec, s[20:21]
	s_cbranch_execz .LBB0_24
; %bb.23:                               ;   in Loop: Header=BB0_7 Depth=1
	global_load_ubyte v2, v[10:11], off
.LBB0_24:                               ;   in Loop: Header=BB0_7 Depth=1
	s_or_b64 exec, exec, s[2:3]
	s_mov_b64 s[2:3], exec
	v_readlane_b32 s20, v50, 9
	v_readlane_b32 s21, v50, 10
	s_and_b64 s[20:21], s[2:3], s[20:21]
	s_mov_b64 exec, s[20:21]
	s_cbranch_execz .LBB0_29
; %bb.25:                               ;   in Loop: Header=BB0_7 Depth=1
	v_readlane_b32 s20, v50, 11
	v_readlane_b32 s21, v50, 12
	v_mov_b32_e32 v9, v0
	s_nop 3
	global_load_ushort v3, v8, s[20:21]
	s_mov_b64 s[20:21], 0
	s_waitcnt vmcnt(0)
	v_add_u32_e32 v5, v0, v3
	v_mul_lo_u32 v4, s63, v3
	v_mul_lo_u32 v5, s63, v5
	s_branch .LBB0_27
.LBB0_26:                               ;   in Loop: Header=BB0_27 Depth=2
	s_or_b64 exec, exec, s[22:23]
	v_cmp_le_i32_e32 vcc, s60, v16
	ds_write_b8 v9, v2
	v_add_u32_e32 v5, v5, v4
	s_or_b64 s[20:21], vcc, s[20:21]
	s_waitcnt vmcnt(0)
	v_mov_b32_e32 v2, v17
	v_mov_b32_e32 v9, v16
	s_andn2_b64 exec, exec, s[20:21]
	s_cbranch_execz .LBB0_29
.LBB0_27:                               ;   Parent Loop BB0_7 Depth=1
                                        ; =>  This Inner Loop Header: Depth=2
	v_add_u32_e32 v16, v9, v3
	v_cmp_gt_u32_e32 vcc, s60, v16
	v_mov_b32_e32 v17, 0
	s_and_saveexec_b64 s[22:23], vcc
	s_cbranch_execz .LBB0_26
; %bb.28:                               ;   in Loop: Header=BB0_27 Depth=2
	global_load_ubyte v17, v5, s[68:69]
	s_branch .LBB0_26
.LBB0_29:                               ;   in Loop: Header=BB0_7 Depth=1
	s_or_b64 exec, exec, s[2:3]
	s_waitcnt lgkmcnt(0)
	s_barrier
	s_and_saveexec_b64 s[2:3], s[18:19]
; %bb.30:                               ;   in Loop: Header=BB0_7 Depth=1
	ds_write_b32 v8, v35 offset:4096
; %bb.31:                               ;   in Loop: Header=BB0_7 Depth=1
	s_or_b64 exec, exec, s[2:3]
	s_mov_b64 s[2:3], -1
	s_waitcnt lgkmcnt(0)
	s_barrier
.LBB0_32:                               ;   in Loop: Header=BB0_7 Depth=1
	s_and_b64 vcc, exec, s[2:3]
	s_cbranch_vccz .LBB0_34
; %bb.33:                               ;   in Loop: Header=BB0_7 Depth=1
	s_waitcnt vmcnt(0)
	ds_read_b32 v2, v8 offset:4096
	s_waitcnt lgkmcnt(0)
	v_readfirstlane_b32 s8, v2
.LBB0_34:                               ;   in Loop: Header=BB0_7 Depth=1
	s_cmp_lt_i32 s8, 1
	s_mov_b64 s[2:3], -1
                                        ; implicit-def: $vgpr5
	s_cbranch_scc1 .LBB0_44
; %bb.35:                               ;   in Loop: Header=BB0_7 Depth=1
	s_and_b64 vcc, exec, s[2:3]
	s_cbranch_vccnz .LBB0_57
.LBB0_36:                               ;   in Loop: Header=BB0_7 Depth=1
	s_lshl_b32 s8, s61, 6
	s_and_saveexec_b64 s[2:3], s[0:1]
	s_cbranch_execz .LBB0_38
.LBB0_37:                               ;   in Loop: Header=BB0_7 Depth=1
	v_lshl_add_u32 v9, s8, 2, v19
	s_waitcnt vmcnt(0)
	ds_write_b128 v9, v[2:5]
.LBB0_38:                               ;   in Loop: Header=BB0_7 Depth=1
	s_or_b64 exec, exec, s[2:3]
	s_waitcnt lgkmcnt(0)
	s_barrier
	s_and_saveexec_b64 s[2:3], s[72:73]
	s_cbranch_execz .LBB0_77
; %bb.39:                               ;   in Loop: Header=BB0_7 Depth=1
	v_add_u32_e32 v4, s8, v18
	s_andn2_b64 vcc, exec, s[76:77]
	s_waitcnt vmcnt(0)
	v_mov_b32_e32 v2, 0
	s_cbranch_vccnz .LBB0_76
; %bb.40:                               ;   in Loop: Header=BB0_7 Depth=1
	v_readlane_b32 s20, v50, 13
	v_readlane_b32 s21, v50, 14
	s_andn2_b64 vcc, exec, s[20:21]
	s_cbranch_vccnz .LBB0_69
; %bb.41:                               ;   in Loop: Header=BB0_7 Depth=1
	v_readlane_b32 s20, v50, 15
	v_readlane_b32 s21, v50, 16
	s_andn2_b64 vcc, exec, s[20:21]
	v_lshl_add_u32 v5, v4, 2, v28
	s_cbranch_vccnz .LBB0_70
; %bb.42:                               ;   in Loop: Header=BB0_7 Depth=1
	s_mov_b32 s21, 1
	s_mov_b32 s20, 0
	v_mov_b32_e32 v2, 0
	v_mov_b32_e32 v3, 0
	v_readlane_b32 s9, v50, 17
.LBB0_43:                               ;   Parent Loop BB0_7 Depth=1
                                        ; =>  This Inner Loop Header: Depth=2
	v_lshl_add_u32 v9, s20, 4, v5
	v_lshl_add_u32 v34, s21, 4, v5
	ds_read2_b32 v[16:17], v9 offset1:8
	ds_read2_b32 v[36:37], v34 offset1:8
	ds_read2_b32 v[38:39], v9 offset0:16 offset1:24
	ds_read2_b32 v[40:41], v34 offset0:16 offset1:24
	;; [unrolled: 1-line block ×6, first 2 shown]
	s_waitcnt lgkmcnt(7)
	v_add3_u32 v2, v16, v2, v17
	s_waitcnt lgkmcnt(6)
	v_add3_u32 v3, v36, v3, v37
	;; [unrolled: 2-line block ×3, first 2 shown]
	v_add3_u32 v2, v38, v2, v39
	s_add_i32 s21, s21, 16
	s_add_i32 s20, s20, 16
	s_add_i32 s9, s9, -8
	s_waitcnt lgkmcnt(3)
	v_add3_u32 v2, v42, v2, v43
	s_waitcnt lgkmcnt(2)
	v_add3_u32 v3, v44, v3, v45
	s_cmp_lg_u32 s9, 0
	s_waitcnt lgkmcnt(0)
	v_add3_u32 v3, v48, v3, v49
	v_add3_u32 v2, v46, v2, v47
	s_cbranch_scc1 .LBB0_43
	s_branch .LBB0_71
.LBB0_44:                               ;   in Loop: Header=BB0_7 Depth=1
	s_waitcnt vmcnt(0)
	v_mov_b32_e32 v2, 0
	v_mov_b32_e32 v3, 0
	;; [unrolled: 1-line block ×4, first 2 shown]
	s_and_saveexec_b64 s[66:67], s[10:11]
	s_cbranch_execnz .LBB0_47
; %bb.45:                               ;   in Loop: Header=BB0_7 Depth=1
	s_or_b64 exec, exec, s[66:67]
	v_mov_b32_e32 v34, 0
	s_and_saveexec_b64 s[2:3], s[12:13]
	s_cbranch_execnz .LBB0_50
.LBB0_46:                               ;   in Loop: Header=BB0_7 Depth=1
	s_or_b64 exec, exec, s[2:3]
	s_and_saveexec_b64 s[20:21], s[14:15]
	s_cbranch_execnz .LBB0_51
	s_branch .LBB0_56
.LBB0_47:                               ;   in Loop: Header=BB0_7 Depth=1
	s_mov_b32 s9, 0
	s_mov_b64 s[82:83], 0
	s_mov_b32 s80, 0
	s_mov_b32 s81, 0
	s_mov_b32 s78, 0
	s_mov_b32 s79, 0
	v_mov_b32_e32 v9, v13
.LBB0_48:                               ;   Parent Loop BB0_7 Depth=1
                                        ; =>  This Inner Loop Header: Depth=2
	v_add_u32_e32 v2, s9, v24
	v_add_u32_e32 v4, s9, v21
	;; [unrolled: 1-line block ×4, first 2 shown]
	v_ashrrev_i32_e32 v3, 31, v2
	v_ashrrev_i32_e32 v5, 31, v4
	;; [unrolled: 1-line block ×4, first 2 shown]
	v_lshl_add_u64 v[2:3], s[68:69], 0, v[2:3]
	v_lshl_add_u64 v[4:5], s[68:69], 0, v[4:5]
	;; [unrolled: 1-line block ×4, first 2 shown]
	global_load_ubyte v2, v[2:3], off
	s_nop 0
	global_load_ubyte v3, v[4:5], off
	s_nop 0
	global_load_ubyte v4, v[16:17], off
	global_load_ubyte v5, v[36:37], off
	v_add_u32_e32 v9, s33, v9
	s_add_i32 s9, s9, s6
	v_cmp_le_i32_e32 vcc, s87, v9
	s_waitcnt vmcnt(3)
	v_and_b32_e32 v16, v31, v2
	v_bfe_u32 v2, v2, v29, 2
	s_waitcnt vmcnt(2)
	v_and_b32_e32 v17, v31, v3
	v_bfe_u32 v3, v3, v29, 2
	v_cmp_eq_u32_e64 s[2:3], v16, v25
	v_cmp_eq_u32_e64 s[26:27], 0, v2
	s_waitcnt vmcnt(1)
	v_and_b32_e32 v34, v31, v4
	v_bfe_u32 v4, v4, v29, 2
	v_cmp_eq_u32_e64 s[20:21], v17, v25
	v_cmp_eq_u32_e64 s[28:29], 0, v3
	s_and_b64 s[26:27], s[2:3], s[26:27]
	s_waitcnt vmcnt(0)
	v_and_b32_e32 v36, v31, v5
	v_bfe_u32 v5, v5, v29, 2
	v_cmp_eq_u32_e64 s[22:23], v34, v25
	v_cmp_eq_u32_e64 s[30:31], 0, v4
	;; [unrolled: 1-line block ×5, first 2 shown]
	v_cndmask_b32_e64 v2, 0, 1, s[26:27]
	s_and_b64 s[26:27], s[20:21], s[28:29]
	v_cmp_eq_u32_e64 s[24:25], v36, v25
	v_cmp_eq_u32_e64 s[34:35], 0, v5
	;; [unrolled: 1-line block ×5, first 2 shown]
	v_cndmask_b32_e64 v3, 0, 1, s[26:27]
	s_and_b64 s[26:27], s[22:23], s[30:31]
	v_cmp_eq_u32_e64 s[40:41], 1, v4
	v_cmp_eq_u32_e64 s[48:49], 2, v4
	;; [unrolled: 1-line block ×3, first 2 shown]
	v_cndmask_b32_e64 v4, 0, 1, s[26:27]
	s_and_b64 s[26:27], s[24:25], s[34:35]
	v_cmp_eq_u32_e64 s[42:43], 1, v5
	v_cmp_eq_u32_e64 s[50:51], 2, v5
	;; [unrolled: 1-line block ×3, first 2 shown]
	v_cndmask_b32_e64 v5, 0, 1, s[26:27]
	s_and_b64 s[26:27], s[2:3], s[36:37]
	v_cndmask_b32_e64 v16, 0, 1, s[26:27]
	s_and_b64 s[26:27], s[20:21], s[38:39]
	;; [unrolled: 2-line block ×5, first 2 shown]
	s_and_b64 s[2:3], s[2:3], s[52:53]
	v_cndmask_b32_e64 v37, 0, 1, s[26:27]
	s_and_b64 s[26:27], s[20:21], s[46:47]
	v_cndmask_b32_e64 v41, 0, 1, s[2:3]
	;; [unrolled: 2-line block ×7, first 2 shown]
	v_cndmask_b32_e64 v44, 0, 1, s[2:3]
	v_cmp_ne_u32_e64 s[2:3], 0, v2
	v_cmp_ne_u32_e64 s[20:21], 0, v3
	;; [unrolled: 1-line block ×11, first 2 shown]
	s_bcnt1_i32_b64 s2, s[2:3]
	s_bcnt1_i32_b64 s3, s[20:21]
	s_bcnt1_i32_b64 s20, s[22:23]
	s_bcnt1_i32_b64 s21, s[24:25]
	s_bcnt1_i32_b64 s22, s[26:27]
	s_bcnt1_i32_b64 s24, s[30:31]
	s_bcnt1_i32_b64 s26, s[36:37]
	s_bcnt1_i32_b64 s30, s[44:45]
	v_cmp_ne_u32_e64 s[34:35], 0, v36
	v_cmp_ne_u32_e64 s[40:41], 0, v39
	;; [unrolled: 1-line block ×3, first 2 shown]
	s_bcnt1_i32_b64 s23, s[28:29]
	s_bcnt1_i32_b64 s27, s[38:39]
	;; [unrolled: 1-line block ×3, first 2 shown]
	s_add_i32 s2, s79, s2
	s_add_i32 s22, s78, s22
	;; [unrolled: 1-line block ×4, first 2 shown]
	v_cmp_ne_u32_e64 s[42:43], 0, v40
	v_cmp_ne_u32_e64 s[50:51], 0, v44
	s_bcnt1_i32_b64 s25, s[34:35]
	s_bcnt1_i32_b64 s28, s[40:41]
	;; [unrolled: 1-line block ×3, first 2 shown]
	s_add_i32 s2, s2, s3
	s_add_i32 s3, s22, s23
	;; [unrolled: 1-line block ×4, first 2 shown]
	s_bcnt1_i32_b64 s29, s[42:43]
	s_bcnt1_i32_b64 s35, s[50:51]
	s_add_i32 s2, s2, s20
	s_add_i32 s3, s3, s24
	;; [unrolled: 1-line block ×8, first 2 shown]
	s_or_b64 s[82:83], vcc, s[82:83]
	v_mov_b32_e32 v2, s79
	v_mov_b32_e32 v3, s78
	;; [unrolled: 1-line block ×4, first 2 shown]
	s_andn2_b64 exec, exec, s[82:83]
	s_cbranch_execnz .LBB0_48
; %bb.49:                               ;   in Loop: Header=BB0_7 Depth=1
	s_or_b64 exec, exec, s[82:83]
	s_or_b64 exec, exec, s[66:67]
	v_mov_b32_e32 v34, 0
	s_and_saveexec_b64 s[2:3], s[12:13]
	s_cbranch_execz .LBB0_46
.LBB0_50:                               ;   in Loop: Header=BB0_7 Depth=1
	global_load_ubyte v34, v[14:15], off
	s_or_b64 exec, exec, s[2:3]
	s_and_saveexec_b64 s[20:21], s[14:15]
	s_cbranch_execz .LBB0_56
.LBB0_51:                               ;   in Loop: Header=BB0_7 Depth=1
	s_mov_b64 s[22:23], 0
	v_mov_b32_e32 v16, v26
	v_mov_b32_e32 v9, v20
	s_branch .LBB0_53
.LBB0_52:                               ;   in Loop: Header=BB0_53 Depth=2
	s_or_b64 exec, exec, s[2:3]
	s_waitcnt vmcnt(0)
	v_and_b32_e32 v36, 0xff, v34
	v_bitop3_b32 v34, v31, v34, s7 bitop3:0x80
	v_cmp_eq_u32_e32 vcc, v34, v25
	v_bfe_u32 v34, v36, v29, 2
	v_cmp_eq_u32_e64 s[2:3], 0, v34
	s_and_b64 s[2:3], vcc, s[2:3]
	v_add_u32_e32 v16, s84, v16
	v_cndmask_b32_e64 v36, 0, 1, s[2:3]
	v_cmp_ne_u32_e64 s[2:3], 0, v36
	s_bcnt1_i32_b64 s2, s[2:3]
	s_nop 0
	v_add_u32_e32 v2, s2, v2
	v_cmp_eq_u32_e64 s[2:3], 1, v34
	s_and_b64 s[2:3], vcc, s[2:3]
	s_nop 0
	v_cndmask_b32_e64 v36, 0, 1, s[2:3]
	v_cmp_ne_u32_e64 s[2:3], 0, v36
	s_bcnt1_i32_b64 s2, s[2:3]
	s_nop 0
	v_add_u32_e32 v3, s2, v3
	v_cmp_eq_u32_e64 s[2:3], 2, v34
	s_and_b64 s[2:3], vcc, s[2:3]
	s_nop 0
	;; [unrolled: 8-line block ×3, first 2 shown]
	v_cndmask_b32_e64 v34, 0, 1, s[2:3]
	v_cmp_ne_u32_e32 vcc, 0, v34
	s_bcnt1_i32_b64 s2, vcc
	v_cmp_le_i32_e32 vcc, s60, v9
	v_add_u32_e32 v5, s2, v5
	s_or_b64 s[22:23], vcc, s[22:23]
	v_mov_b32_e32 v34, v17
	s_andn2_b64 exec, exec, s[22:23]
	s_cbranch_execz .LBB0_55
.LBB0_53:                               ;   Parent Loop BB0_7 Depth=1
                                        ; =>  This Inner Loop Header: Depth=2
	v_add_u32_e32 v9, s62, v9
	v_cmp_gt_u32_e32 vcc, s60, v9
	v_mov_b32_e32 v17, 0
	s_and_saveexec_b64 s[2:3], vcc
	s_cbranch_execz .LBB0_52
; %bb.54:                               ;   in Loop: Header=BB0_53 Depth=2
	v_ashrrev_i32_e32 v17, 31, v16
	v_lshl_add_u64 v[36:37], s[68:69], 0, v[16:17]
	global_load_ubyte v17, v[36:37], off
	s_branch .LBB0_52
.LBB0_55:                               ;   in Loop: Header=BB0_7 Depth=1
	s_or_b64 exec, exec, s[22:23]
.LBB0_56:                               ;   in Loop: Header=BB0_7 Depth=1
	s_or_b64 exec, exec, s[20:21]
	s_branch .LBB0_36
.LBB0_57:                               ;   in Loop: Header=BB0_7 Depth=1
	s_mul_hi_u32 s2, s8, s71
	s_mul_i32 s2, s2, s33
	s_sub_i32 s2, s8, s2
	s_sub_i32 s3, s2, s33
	s_cmp_ge_u32 s2, s33
	s_cselect_b32 s2, s3, s2
	s_sub_i32 s3, s2, s33
	s_cmp_ge_u32 s2, s33
	s_cselect_b32 s2, s3, s2
	s_sub_i32 s9, s8, s2
	v_cmp_gt_u32_e32 vcc, s9, v13
	s_waitcnt vmcnt(0)
	v_mov_b32_e32 v2, 0
	v_mov_b32_e32 v3, 0
	;; [unrolled: 1-line block ×4, first 2 shown]
	s_and_saveexec_b64 s[66:67], vcc
	s_cbranch_execz .LBB0_61
; %bb.58:                               ;   in Loop: Header=BB0_7 Depth=1
	s_mov_b32 s78, 0
	s_mov_b64 s[82:83], 0
	s_mov_b32 s79, 0
	s_mov_b32 s80, 0
	s_mov_b32 s81, 0
	v_mov_b32_e32 v9, v13
.LBB0_59:                               ;   Parent Loop BB0_7 Depth=1
                                        ; =>  This Inner Loop Header: Depth=2
	ds_read_b32 v2, v9
	v_add_u32_e32 v9, s33, v9
	v_cmp_le_i32_e32 vcc, s9, v9
	s_waitcnt lgkmcnt(0)
	v_and_b32_e32 v16, 0xff, v2
	v_lshrrev_b32_e32 v3, 16, v2
	v_lshrrev_b32_e32 v4, 8, v2
	;; [unrolled: 1-line block ×3, first 2 shown]
	v_bfe_u32 v17, v2, 8, 8
	v_bfe_u32 v34, v2, 16, 8
	v_bitop3_b32 v2, v31, v2, s7 bitop3:0x80
	v_bfe_u32 v16, v16, v29, 2
	v_cmp_eq_u32_e64 s[2:3], v2, v25
	v_bitop3_b32 v2, v31, v4, s7 bitop3:0x80
	v_bfe_u32 v17, v17, v29, 2
	v_cmp_eq_u32_e64 s[26:27], 0, v16
	;; [unrolled: 3-line block ×3, first 2 shown]
	v_cmp_eq_u32_e64 s[28:29], 0, v17
	s_and_b64 s[26:27], s[2:3], s[26:27]
	v_and_b32_e32 v4, v31, v5
	v_bfe_u32 v5, v5, v29, 2
	v_cmp_eq_u32_e64 s[22:23], v3, v25
	v_cmp_eq_u32_e64 s[30:31], 0, v34
	v_cndmask_b32_e64 v2, 0, 1, s[26:27]
	s_and_b64 s[26:27], s[20:21], s[28:29]
	v_cmp_eq_u32_e64 s[24:25], v4, v25
	v_cmp_eq_u32_e64 s[34:35], 0, v5
	v_cndmask_b32_e64 v3, 0, 1, s[26:27]
	s_and_b64 s[26:27], s[22:23], s[30:31]
	v_cmp_eq_u32_e64 s[36:37], 1, v16
	v_cndmask_b32_e64 v4, 0, 1, s[26:27]
	s_and_b64 s[26:27], s[24:25], s[34:35]
	v_cmp_eq_u32_e64 s[38:39], 1, v17
	v_cmp_eq_u32_e64 s[42:43], 1, v5
	v_cmp_eq_u32_e64 s[50:51], 2, v5
	v_cmp_eq_u32_e64 s[58:59], 3, v5
	v_cndmask_b32_e64 v5, 0, 1, s[26:27]
	s_and_b64 s[26:27], s[2:3], s[36:37]
	v_cmp_eq_u32_e64 s[40:41], 1, v34
	v_cmp_eq_u32_e64 s[44:45], 2, v16
	;; [unrolled: 1-line block ×3, first 2 shown]
	v_cndmask_b32_e64 v16, 0, 1, s[26:27]
	s_and_b64 s[26:27], s[20:21], s[38:39]
	v_cmp_eq_u32_e64 s[46:47], 2, v17
	v_cmp_eq_u32_e64 s[54:55], 3, v17
	v_cndmask_b32_e64 v17, 0, 1, s[26:27]
	s_and_b64 s[26:27], s[22:23], s[40:41]
	v_cmp_eq_u32_e64 s[48:49], 2, v34
	v_cmp_eq_u32_e64 s[56:57], 3, v34
	v_cndmask_b32_e64 v34, 0, 1, s[26:27]
	s_and_b64 s[26:27], s[24:25], s[42:43]
	v_cndmask_b32_e64 v36, 0, 1, s[26:27]
	s_and_b64 s[26:27], s[2:3], s[44:45]
	s_and_b64 s[2:3], s[2:3], s[52:53]
	v_cndmask_b32_e64 v37, 0, 1, s[26:27]
	s_and_b64 s[26:27], s[20:21], s[46:47]
	v_cndmask_b32_e64 v41, 0, 1, s[2:3]
	s_and_b64 s[2:3], s[20:21], s[54:55]
	v_cndmask_b32_e64 v38, 0, 1, s[26:27]
	s_and_b64 s[26:27], s[22:23], s[48:49]
	v_cndmask_b32_e64 v42, 0, 1, s[2:3]
	s_and_b64 s[2:3], s[22:23], s[56:57]
	v_cndmask_b32_e64 v39, 0, 1, s[26:27]
	s_and_b64 s[26:27], s[24:25], s[50:51]
	v_cndmask_b32_e64 v43, 0, 1, s[2:3]
	s_and_b64 s[2:3], s[24:25], s[58:59]
	v_cndmask_b32_e64 v40, 0, 1, s[26:27]
	v_cndmask_b32_e64 v44, 0, 1, s[2:3]
	v_cmp_ne_u32_e64 s[2:3], 0, v2
	v_cmp_ne_u32_e64 s[20:21], 0, v3
	;; [unrolled: 1-line block ×11, first 2 shown]
	s_bcnt1_i32_b64 s2, s[2:3]
	s_bcnt1_i32_b64 s3, s[20:21]
	;; [unrolled: 1-line block ×8, first 2 shown]
	v_cmp_ne_u32_e64 s[34:35], 0, v36
	v_cmp_ne_u32_e64 s[40:41], 0, v39
	;; [unrolled: 1-line block ×3, first 2 shown]
	s_bcnt1_i32_b64 s23, s[28:29]
	s_bcnt1_i32_b64 s27, s[38:39]
	;; [unrolled: 1-line block ×3, first 2 shown]
	s_add_i32 s2, s81, s2
	s_add_i32 s22, s80, s22
	;; [unrolled: 1-line block ×4, first 2 shown]
	v_cmp_ne_u32_e64 s[42:43], 0, v40
	v_cmp_ne_u32_e64 s[50:51], 0, v44
	s_bcnt1_i32_b64 s25, s[34:35]
	s_bcnt1_i32_b64 s28, s[40:41]
	;; [unrolled: 1-line block ×3, first 2 shown]
	s_add_i32 s2, s2, s3
	s_add_i32 s3, s22, s23
	;; [unrolled: 1-line block ×4, first 2 shown]
	s_bcnt1_i32_b64 s29, s[42:43]
	s_bcnt1_i32_b64 s35, s[50:51]
	s_add_i32 s2, s2, s20
	s_add_i32 s3, s3, s24
	;; [unrolled: 1-line block ×8, first 2 shown]
	s_or_b64 s[82:83], vcc, s[82:83]
	v_mov_b32_e32 v2, s81
	v_mov_b32_e32 v3, s80
	;; [unrolled: 1-line block ×4, first 2 shown]
	s_andn2_b64 exec, exec, s[82:83]
	s_cbranch_execnz .LBB0_59
; %bb.60:                               ;   in Loop: Header=BB0_7 Depth=1
	s_or_b64 exec, exec, s[82:83]
.LBB0_61:                               ;   in Loop: Header=BB0_7 Depth=1
	s_or_b64 exec, exec, s[66:67]
	v_add_u32_e32 v9, s9, v0
	v_cmp_gt_i32_e32 vcc, s8, v9
	s_and_saveexec_b64 s[28:29], vcc
	s_cbranch_execz .LBB0_65
; %bb.62:                               ;   in Loop: Header=BB0_7 Depth=1
	s_mov_b64 s[30:31], 0
.LBB0_63:                               ;   Parent Loop BB0_7 Depth=1
                                        ; =>  This Inner Loop Header: Depth=2
	ds_read_u8 v16, v9
	v_add_u32_e32 v9, s62, v9
	v_cmp_le_i32_e32 vcc, s8, v9
	s_waitcnt lgkmcnt(0)
	v_and_b32_e32 v17, v31, v16
	v_bfe_u32 v16, v16, v29, 2
	v_cmp_eq_u32_e64 s[2:3], v17, v25
	v_cmp_eq_u32_e64 s[20:21], 0, v16
	;; [unrolled: 1-line block ×3, first 2 shown]
	s_and_b64 s[20:21], s[2:3], s[20:21]
	v_cmp_eq_u32_e64 s[24:25], 2, v16
	v_cmp_eq_u32_e64 s[26:27], 3, v16
	v_cndmask_b32_e64 v16, 0, 1, s[20:21]
	s_and_b64 s[20:21], s[2:3], s[22:23]
	v_cndmask_b32_e64 v17, 0, 1, s[20:21]
	s_and_b64 s[20:21], s[2:3], s[24:25]
	s_and_b64 s[2:3], s[2:3], s[26:27]
	v_cndmask_b32_e64 v34, 0, 1, s[20:21]
	v_cndmask_b32_e64 v36, 0, 1, s[2:3]
	v_cmp_ne_u32_e64 s[2:3], 0, v16
	v_cmp_ne_u32_e64 s[20:21], 0, v17
	;; [unrolled: 1-line block ×4, first 2 shown]
	s_bcnt1_i32_b64 s2, s[2:3]
	s_bcnt1_i32_b64 s3, s[20:21]
	;; [unrolled: 1-line block ×4, first 2 shown]
	v_add_u32_e32 v2, s2, v2
	v_add_u32_e32 v3, s3, v3
	;; [unrolled: 1-line block ×3, first 2 shown]
	s_or_b64 s[30:31], vcc, s[30:31]
	v_add_u32_e32 v5, s20, v5
	s_andn2_b64 exec, exec, s[30:31]
	s_cbranch_execnz .LBB0_63
; %bb.64:                               ;   in Loop: Header=BB0_7 Depth=1
	s_or_b64 exec, exec, s[30:31]
.LBB0_65:                               ;   in Loop: Header=BB0_7 Depth=1
	s_or_b64 exec, exec, s[28:29]
	s_lshl_b32 s8, s61, 6
	s_and_saveexec_b64 s[2:3], s[0:1]
	s_cbranch_execnz .LBB0_37
	s_branch .LBB0_38
.LBB0_66:                               ;   in Loop: Header=BB0_7 Depth=1
	s_or_b64 exec, exec, s[22:23]
	s_waitcnt lgkmcnt(0)
	s_barrier
	s_and_saveexec_b64 s[2:3], s[18:19]
	s_cbranch_execz .LBB0_68
; %bb.67:                               ;   in Loop: Header=BB0_7 Depth=1
	ds_read_b32 v2, v8 offset:4104
	s_waitcnt lgkmcnt(0)
	ds_write_b32 v8, v2 offset:4096
.LBB0_68:                               ;   in Loop: Header=BB0_7 Depth=1
	s_or_b64 exec, exec, s[2:3]
	s_waitcnt lgkmcnt(0)
	s_barrier
	s_mov_b64 s[2:3], -1
	s_and_b64 vcc, exec, s[20:21]
	s_cbranch_vccnz .LBB0_22
	s_branch .LBB0_32
.LBB0_69:                               ;   in Loop: Header=BB0_7 Depth=1
	v_mov_b32_e32 v2, 0
	s_mov_b32 s9, 0
	s_cbranch_execnz .LBB0_74
	s_branch .LBB0_76
.LBB0_70:                               ;   in Loop: Header=BB0_7 Depth=1
	v_mov_b32_e32 v9, v8
	v_readlane_b32 s20, v50, 25
	v_mov_b64_e32 v[2:3], v[8:9]
	v_readlane_b32 s21, v50, 26
.LBB0_71:                               ;   in Loop: Header=BB0_7 Depth=1
	v_readlane_b32 s22, v50, 19
	v_readlane_b32 s23, v50, 20
	s_andn2_b64 vcc, exec, s[22:23]
	v_readlane_b32 s9, v50, 18
	s_cbranch_vccnz .LBB0_73
.LBB0_72:                               ;   Parent Loop BB0_7 Depth=1
                                        ; =>  This Inner Loop Header: Depth=2
	v_lshl_add_u32 v9, s20, 4, v5
	v_lshl_add_u32 v16, s21, 4, v5
	ds_read_b32 v16, v16
	ds_read_b32 v9, v9
	s_add_i32 s21, s21, 2
	s_add_i32 s20, s20, 2
	s_add_i32 s9, s9, -1
	s_cmp_lg_u32 s9, 0
	s_waitcnt lgkmcnt(1)
	v_add_u32_e32 v3, v16, v3
	s_waitcnt lgkmcnt(0)
	v_add_u32_e32 v2, v9, v2
	s_cbranch_scc1 .LBB0_72
.LBB0_73:                               ;   in Loop: Header=BB0_7 Depth=1
	v_readlane_b32 s20, v50, 23
	v_add_u32_e32 v2, v2, v3
	v_readlane_b32 s9, v50, 22
	v_readlane_b32 s21, v50, 24
	s_and_b64 vcc, exec, s[20:21]
	s_cbranch_vccz .LBB0_76
.LBB0_74:                               ;   in Loop: Header=BB0_7 Depth=1
	s_lshl_b32 s20, s61, 8
	s_lshl_b32 s21, s9, 4
	s_add_i32 s20, s20, s21
	v_add_u32_e32 v3, s20, v27
	v_readlane_b32 s20, v50, 21
	s_sub_i32 s9, s20, s9
.LBB0_75:                               ;   Parent Loop BB0_7 Depth=1
                                        ; =>  This Inner Loop Header: Depth=2
	ds_read_b32 v5, v3
	s_add_i32 s9, s9, -1
	v_add_u32_e32 v3, 16, v3
	s_cmp_eq_u32 s9, 0
	s_waitcnt lgkmcnt(0)
	v_add_u32_e32 v2, v5, v2
	s_cbranch_scc0 .LBB0_75
.LBB0_76:                               ;   in Loop: Header=BB0_7 Depth=1
	v_lshlrev_b32_e32 v3, 2, v4
	ds_write_b32 v3, v2 offset:3072
.LBB0_77:                               ;   in Loop: Header=BB0_7 Depth=1
	s_or_b64 exec, exec, s[2:3]
	s_lshl_b32 s2, s8, 2
	s_waitcnt vmcnt(0)
	v_mov_b32_e32 v2, s2
	s_waitcnt lgkmcnt(0)
	s_barrier
	ds_read_b128 v[2:5], v2 offset:3072
	v_cmp_eq_u32_e32 vcc, 1, v33
	s_mov_b64 s[20:21], -1
	s_mov_b64 s[28:29], -1
                                        ; implicit-def: $sgpr26_sgpr27
                                        ; implicit-def: $sgpr24_sgpr25
	s_waitcnt lgkmcnt(0)
	v_readfirstlane_b32 s9, v2
	s_cmp_eq_u32 s9, 1
	v_readfirstlane_b32 s54, v4
	v_lshlrev_b32_e64 v4, v29, 3
	s_cselect_b64 s[2:3], -1, 0
	v_readfirstlane_b32 s8, v3
	v_readfirstlane_b32 s82, v5
	v_not_b32_e32 v9, v4
	s_and_b64 s[22:23], s[2:3], vcc
	s_and_saveexec_b64 s[2:3], s[22:23]
	s_cbranch_execz .LBB0_103
; %bb.78:                               ;   in Loop: Header=BB0_7 Depth=1
	ds_read_b32 v2, v8 offset:4096
	s_waitcnt lgkmcnt(0)
	s_barrier
	v_readfirstlane_b32 s42, v2
	s_and_saveexec_b64 s[24:25], s[4:5]
; %bb.79:                               ;   in Loop: Header=BB0_7 Depth=1
	ds_write_b8 v0, v8 offset:3072
; %bb.80:                               ;   in Loop: Header=BB0_7 Depth=1
	s_or_b64 exec, exec, s[24:25]
	v_and_b32_e32 v25, v25, v9
	v_or_b32_e32 v31, v31, v4
	s_mov_b64 s[24:25], -1
	s_mov_b64 s[26:27], 0
	s_cmp_lt_i32 s42, 1
	s_mov_b64 s[28:29], 0
	s_mov_b64 s[30:31], -1
	s_waitcnt lgkmcnt(0)
	s_barrier
                                        ; implicit-def: $vgpr32
	s_cbranch_scc0 .LBB0_91
; %bb.81:                               ;   in Loop: Header=BB0_7 Depth=1
	s_mov_b64 s[30:31], 0
                                        ; implicit-def: $vgpr32
	s_and_saveexec_b64 s[34:35], s[16:17]
	s_cbranch_execz .LBB0_90
; %bb.82:                               ;   in Loop: Header=BB0_7 Depth=1
	v_mov_b32_e32 v2, v6
	v_mov_b32_e32 v5, v0
                                        ; implicit-def: $sgpr36_sgpr37
	s_branch .LBB0_85
.LBB0_83:                               ;   in Loop: Header=BB0_85 Depth=2
	s_or_b64 exec, exec, s[38:39]
	s_waitcnt lgkmcnt(0)
	s_barrier
	ds_read_u16 v3, v8 offset:3072
	s_mov_b64 s[38:39], -1
	s_waitcnt lgkmcnt(0)
	s_barrier
	v_cmp_ne_u32_sdwa s[40:41], v3, v8 src0_sel:BYTE_0 src1_sel:DWORD
	s_and_b64 vcc, exec, s[40:41]
	s_mov_b64 s[40:41], -1
	s_cbranch_vccz .LBB0_88
.LBB0_84:                               ;   in Loop: Header=BB0_85 Depth=2
	s_and_b64 s[38:39], exec, s[38:39]
	s_or_b64 s[28:29], s[38:39], s[28:29]
	s_andn2_b64 s[36:37], s[36:37], exec
	s_and_b64 s[38:39], s[40:41], exec
	s_or_b64 s[36:37], s[36:37], s[38:39]
	s_andn2_b64 exec, exec, s[28:29]
	s_cbranch_execz .LBB0_89
.LBB0_85:                               ;   Parent Loop BB0_7 Depth=1
                                        ; =>  This Inner Loop Header: Depth=2
	v_cmp_gt_i32_e32 vcc, s60, v5
	s_and_saveexec_b64 s[38:39], vcc
	s_cbranch_execz .LBB0_83
; %bb.86:                               ;   in Loop: Header=BB0_85 Depth=2
	v_ashrrev_i32_e32 v3, 31, v2
	v_lshl_add_u64 v[16:17], s[68:69], 0, v[2:3]
	global_load_ubyte v3, v[16:17], off
	s_waitcnt vmcnt(0)
	v_bitop3_b32 v16, v3, s7, v31 bitop3:0x80
	v_cmp_eq_u32_e32 vcc, v16, v25
	s_and_b64 exec, exec, vcc
	s_cbranch_execz .LBB0_83
; %bb.87:                               ;   in Loop: Header=BB0_85 Depth=2
	v_lshlrev_b16_e32 v3, 8, v3
	v_or_b32_e32 v3, 1, v3
	ds_write_b16 v8, v3 offset:3072
	s_branch .LBB0_83
.LBB0_88:                               ;   in Loop: Header=BB0_85 Depth=2
	v_add_u32_e32 v5, s62, v5
	v_cmp_le_i32_e32 vcc, s86, v5
	v_add_u32_e32 v2, s84, v2
	s_mov_b64 s[40:41], 0
	s_orn2_b64 s[38:39], vcc, exec
	s_branch .LBB0_84
.LBB0_89:                               ;   in Loop: Header=BB0_7 Depth=1
	s_or_b64 exec, exec, s[28:29]
	v_lshrrev_b32_sdwa v32, v30, v3 dst_sel:DWORD dst_unused:UNUSED_PAD src0_sel:DWORD src1_sel:WORD_0
	s_and_b64 s[28:29], s[36:37], exec
.LBB0_90:                               ;   in Loop: Header=BB0_7 Depth=1
	s_or_b64 exec, exec, s[34:35]
.LBB0_91:                               ;   in Loop: Header=BB0_7 Depth=1
	s_and_b64 vcc, exec, s[30:31]
	s_cbranch_vccz .LBB0_102
; %bb.92:                               ;   in Loop: Header=BB0_7 Depth=1
	s_add_i32 s38, s42, s85
	s_abs_i32 s25, s38
	s_mul_hi_u32 s26, s25, s70
	s_mul_i32 s26, s26, s62
	s_sub_i32 s25, s25, s26
	s_ashr_i32 s24, s38, 31
	s_sub_i32 s26, s25, s62
	s_cmp_ge_u32 s25, s62
	s_cselect_b32 s25, s26, s25
	s_sub_i32 s26, s25, s62
	s_cmp_ge_u32 s25, s62
	s_cselect_b32 s25, s26, s25
	s_xor_b32 s25, s25, s24
	s_sub_i32 s24, s24, s25
	s_add_i32 s38, s38, s24
	v_cmp_gt_i32_e32 vcc, s38, v0
                                        ; implicit-def: $vgpr32
	s_and_saveexec_b64 s[24:25], vcc
	s_cbranch_execz .LBB0_101
; %bb.93:                               ;   in Loop: Header=BB0_7 Depth=1
	s_mov_b64 s[26:27], 0
	v_mov_b32_e32 v2, v0
                                        ; implicit-def: $sgpr30_sgpr31
	s_branch .LBB0_96
.LBB0_94:                               ;   in Loop: Header=BB0_96 Depth=2
	s_or_b64 exec, exec, s[34:35]
	s_waitcnt lgkmcnt(0)
	s_barrier
	ds_read_u16 v3, v8 offset:3072
	s_mov_b64 s[34:35], -1
	s_waitcnt lgkmcnt(0)
	s_barrier
	v_cmp_ne_u32_sdwa s[36:37], v3, v8 src0_sel:BYTE_0 src1_sel:DWORD
	s_and_b64 vcc, exec, s[36:37]
	s_mov_b64 s[36:37], -1
	s_cbranch_vccz .LBB0_99
.LBB0_95:                               ;   in Loop: Header=BB0_96 Depth=2
	s_and_b64 s[34:35], exec, s[34:35]
	s_or_b64 s[26:27], s[34:35], s[26:27]
	s_andn2_b64 s[30:31], s[30:31], exec
	s_and_b64 s[34:35], s[36:37], exec
	s_or_b64 s[30:31], s[30:31], s[34:35]
	s_andn2_b64 exec, exec, s[26:27]
	s_cbranch_execz .LBB0_100
.LBB0_96:                               ;   Parent Loop BB0_7 Depth=1
                                        ; =>  This Inner Loop Header: Depth=2
	v_cmp_gt_i32_e32 vcc, s42, v2
	s_and_saveexec_b64 s[34:35], vcc
	s_cbranch_execz .LBB0_94
; %bb.97:                               ;   in Loop: Header=BB0_96 Depth=2
	ds_read_u8 v3, v2
	s_waitcnt lgkmcnt(0)
	v_bitop3_b32 v5, v3, s7, v31 bitop3:0x80
	v_cmp_eq_u32_e32 vcc, v5, v25
	s_and_b64 exec, exec, vcc
	s_cbranch_execz .LBB0_94
; %bb.98:                               ;   in Loop: Header=BB0_96 Depth=2
	v_lshlrev_b16_e32 v3, 8, v3
	v_or_b32_e32 v3, 1, v3
	ds_write_b16 v8, v3 offset:3072
	s_branch .LBB0_94
.LBB0_99:                               ;   in Loop: Header=BB0_96 Depth=2
	v_add_u32_e32 v2, s62, v2
	v_cmp_le_i32_e32 vcc, s38, v2
	s_mov_b64 s[36:37], 0
	s_orn2_b64 s[34:35], vcc, exec
	s_branch .LBB0_95
.LBB0_100:                              ;   in Loop: Header=BB0_7 Depth=1
	s_or_b64 exec, exec, s[26:27]
	s_andn2_b64 s[26:27], s[28:29], exec
	s_and_b64 s[28:29], s[30:31], exec
	v_lshrrev_b32_sdwa v32, v30, v3 dst_sel:DWORD dst_unused:UNUSED_PAD src0_sel:DWORD src1_sel:WORD_0
	s_or_b64 s[28:29], s[26:27], s[28:29]
.LBB0_101:                              ;   in Loop: Header=BB0_7 Depth=1
	s_or_b64 exec, exec, s[24:25]
	s_mov_b64 s[24:25], 0
	s_mov_b64 s[26:27], -1
.LBB0_102:                              ;   in Loop: Header=BB0_7 Depth=1
	s_orn2_b64 s[28:29], s[28:29], exec
.LBB0_103:                              ;   in Loop: Header=BB0_7 Depth=1
	s_or_b64 exec, exec, s[2:3]
	s_andn2_b64 s[2:3], s[64:65], exec
	s_and_b64 s[26:27], s[26:27], exec
	s_or_b64 s[64:65], s[2:3], s[26:27]
	s_andn2_b64 s[2:3], s[98:99], exec
	s_and_b64 s[24:25], s[24:25], exec
	v_readfirstlane_b32 s34, v0
	s_andn2_b64 s[96:97], s[96:97], exec
	s_or_b64 s[98:99], s[2:3], s[24:25]
                                        ; implicit-def: $vgpr16
	s_and_saveexec_b64 s[2:3], s[28:29]
	s_cbranch_execz .LBB0_6
; %bb.104:                              ;   in Loop: Header=BB0_7 Depth=1
	s_xor_b64 s[24:25], s[22:23], -1
	s_mov_b64 s[22:23], 0
	v_mov_b32_e32 v16, 1
	v_mov_b32_e32 v5, 1
	s_and_saveexec_b64 s[20:21], s[24:25]
	s_cbranch_execz .LBB0_113
; %bb.105:                              ;   in Loop: Header=BB0_7 Depth=1
	v_cmp_ge_i32_e32 vcc, s9, v33
	s_and_saveexec_b64 s[22:23], vcc
	s_xor_b64 s[22:23], exec, s[22:23]
	s_cbranch_execz .LBB0_110
; %bb.106:                              ;   in Loop: Header=BB0_7 Depth=1
	ds_read_b32 v2, v8 offset:4096
	v_and_b32_e32 v25, v25, v9
	v_or_b32_e32 v31, v31, v4
	s_waitcnt lgkmcnt(0)
	v_cmp_ne_u32_e32 vcc, 0, v2
	s_cbranch_vccnz .LBB0_110
; %bb.107:                              ;   in Loop: Header=BB0_7 Depth=1
	s_and_saveexec_b64 s[24:25], s[18:19]
; %bb.108:                              ;   in Loop: Header=BB0_7 Depth=1
	v_mov_b32_e32 v2, s9
	ds_write_b32 v8, v2 offset:4100
; %bb.109:                              ;   in Loop: Header=BB0_7 Depth=1
	s_or_b64 exec, exec, s[24:25]
	s_waitcnt lgkmcnt(0)
	s_barrier
.LBB0_110:                              ;   in Loop: Header=BB0_7 Depth=1
	s_or_saveexec_b64 s[22:23], s[22:23]
	s_mov_b64 s[24:25], 0
	v_mov_b32_e32 v5, 8
	s_xor_b64 exec, exec, s[22:23]
; %bb.111:                              ;   in Loop: Header=BB0_7 Depth=1
	s_mov_b64 s[24:25], exec
	v_subrev_u32_e32 v33, s9, v33
	v_mov_b32_e32 v5, 0
; %bb.112:                              ;   in Loop: Header=BB0_7 Depth=1
	s_or_b64 exec, exec, s[22:23]
	s_and_b64 s[22:23], s[24:25], exec
	v_mov_b32_e32 v16, v33
.LBB0_113:                              ;   in Loop: Header=BB0_7 Depth=1
	s_or_b64 exec, exec, s[20:21]
	s_mov_b64 s[20:21], -1
	s_mov_b64 s[28:29], -1
                                        ; implicit-def: $sgpr24_sgpr25
                                        ; implicit-def: $sgpr26_sgpr27
	s_and_saveexec_b64 s[30:31], s[22:23]
	s_xor_b64 s[22:23], exec, s[30:31]
	s_cbranch_execz .LBB0_230
; %bb.114:                              ;   in Loop: Header=BB0_7 Depth=1
	s_cmp_eq_u32 s8, 1
	s_cselect_b64 s[24:25], -1, 0
	v_cmp_eq_u32_e32 vcc, 1, v16
	s_and_b64 s[30:31], s[24:25], vcc
	s_mov_b64 s[34:35], -1
                                        ; implicit-def: $sgpr26_sgpr27
                                        ; implicit-def: $sgpr24_sgpr25
	s_and_saveexec_b64 s[28:29], s[30:31]
	s_cbranch_execz .LBB0_140
; %bb.115:                              ;   in Loop: Header=BB0_7 Depth=1
	ds_read_b32 v2, v8 offset:4096
	s_waitcnt lgkmcnt(0)
	s_barrier
	v_readfirstlane_b32 s9, v2
	s_and_saveexec_b64 s[24:25], s[4:5]
; %bb.116:                              ;   in Loop: Header=BB0_7 Depth=1
	ds_write_b8 v0, v8 offset:3072
; %bb.117:                              ;   in Loop: Header=BB0_7 Depth=1
	s_or_b64 exec, exec, s[24:25]
	v_and_b32_e32 v2, v25, v9
	v_lshl_or_b32 v25, 1, v29, v2
	v_or_b32_e32 v31, v31, v4
	s_mov_b64 s[24:25], -1
	s_mov_b64 s[26:27], 0
	s_cmp_gt_i32 s9, 0
	s_mov_b64 s[34:35], 0
	s_mov_b64 s[36:37], -1
	s_waitcnt lgkmcnt(0)
	s_barrier
                                        ; implicit-def: $vgpr32
	s_cbranch_scc1 .LBB0_128
; %bb.118:                              ;   in Loop: Header=BB0_7 Depth=1
	s_mov_b64 s[36:37], 0
                                        ; implicit-def: $vgpr32
	s_and_saveexec_b64 s[38:39], s[16:17]
	s_cbranch_execz .LBB0_127
; %bb.119:                              ;   in Loop: Header=BB0_7 Depth=1
	v_mov_b32_e32 v2, v6
	v_mov_b32_e32 v17, v0
                                        ; implicit-def: $sgpr40_sgpr41
	s_branch .LBB0_122
.LBB0_120:                              ;   in Loop: Header=BB0_122 Depth=2
	s_or_b64 exec, exec, s[42:43]
	s_waitcnt lgkmcnt(0)
	s_barrier
	ds_read_u16 v3, v8 offset:3072
	s_mov_b64 s[42:43], -1
	s_waitcnt lgkmcnt(0)
	s_barrier
	v_cmp_ne_u32_sdwa s[44:45], v3, v8 src0_sel:BYTE_0 src1_sel:DWORD
	s_and_b64 vcc, exec, s[44:45]
	s_mov_b64 s[44:45], -1
	s_cbranch_vccz .LBB0_125
.LBB0_121:                              ;   in Loop: Header=BB0_122 Depth=2
	s_and_b64 s[42:43], exec, s[42:43]
	s_or_b64 s[34:35], s[42:43], s[34:35]
	s_andn2_b64 s[40:41], s[40:41], exec
	s_and_b64 s[42:43], s[44:45], exec
	s_or_b64 s[40:41], s[40:41], s[42:43]
	s_andn2_b64 exec, exec, s[34:35]
	s_cbranch_execz .LBB0_126
.LBB0_122:                              ;   Parent Loop BB0_7 Depth=1
                                        ; =>  This Inner Loop Header: Depth=2
	v_cmp_gt_i32_e32 vcc, s60, v17
	s_and_saveexec_b64 s[42:43], vcc
	s_cbranch_execz .LBB0_120
; %bb.123:                              ;   in Loop: Header=BB0_122 Depth=2
	v_ashrrev_i32_e32 v3, 31, v2
	v_lshl_add_u64 v[32:33], s[68:69], 0, v[2:3]
	global_load_ubyte v3, v[32:33], off
	s_waitcnt vmcnt(0)
	v_bitop3_b32 v32, v3, s7, v31 bitop3:0x80
	v_cmp_eq_u32_e32 vcc, v32, v25
	s_and_b64 exec, exec, vcc
	s_cbranch_execz .LBB0_120
; %bb.124:                              ;   in Loop: Header=BB0_122 Depth=2
	v_lshlrev_b16_e32 v3, 8, v3
	v_or_b32_e32 v3, 1, v3
	ds_write_b16 v8, v3 offset:3072
	s_branch .LBB0_120
.LBB0_125:                              ;   in Loop: Header=BB0_122 Depth=2
	v_add_u32_e32 v17, s62, v17
	v_cmp_le_i32_e32 vcc, s86, v17
	v_add_u32_e32 v2, s84, v2
	s_mov_b64 s[44:45], 0
	s_orn2_b64 s[42:43], vcc, exec
	s_branch .LBB0_121
.LBB0_126:                              ;   in Loop: Header=BB0_7 Depth=1
	s_or_b64 exec, exec, s[34:35]
	v_lshrrev_b32_sdwa v32, v30, v3 dst_sel:DWORD dst_unused:UNUSED_PAD src0_sel:DWORD src1_sel:WORD_0
	s_and_b64 s[34:35], s[40:41], exec
.LBB0_127:                              ;   in Loop: Header=BB0_7 Depth=1
	s_or_b64 exec, exec, s[38:39]
.LBB0_128:                              ;   in Loop: Header=BB0_7 Depth=1
	s_and_b64 vcc, exec, s[36:37]
	s_cbranch_vccz .LBB0_139
; %bb.129:                              ;   in Loop: Header=BB0_7 Depth=1
	s_add_i32 s42, s9, s85
	s_abs_i32 s25, s42
	s_mul_hi_u32 s26, s25, s70
	s_mul_i32 s26, s26, s62
	s_sub_i32 s25, s25, s26
	s_ashr_i32 s24, s42, 31
	s_sub_i32 s26, s25, s62
	s_cmp_ge_u32 s25, s62
	s_cselect_b32 s25, s26, s25
	s_sub_i32 s26, s25, s62
	s_cmp_ge_u32 s25, s62
	s_cselect_b32 s25, s26, s25
	s_xor_b32 s25, s25, s24
	s_sub_i32 s24, s24, s25
	s_add_i32 s42, s42, s24
	v_cmp_gt_i32_e32 vcc, s42, v0
                                        ; implicit-def: $vgpr32
	s_and_saveexec_b64 s[24:25], vcc
	s_cbranch_execz .LBB0_138
; %bb.130:                              ;   in Loop: Header=BB0_7 Depth=1
	s_mov_b64 s[26:27], 0
	v_mov_b32_e32 v2, v0
                                        ; implicit-def: $sgpr36_sgpr37
	s_branch .LBB0_133
.LBB0_131:                              ;   in Loop: Header=BB0_133 Depth=2
	s_or_b64 exec, exec, s[38:39]
	s_waitcnt lgkmcnt(0)
	s_barrier
	ds_read_u16 v3, v8 offset:3072
	s_mov_b64 s[38:39], -1
	s_waitcnt lgkmcnt(0)
	s_barrier
	v_cmp_eq_u32_sdwa s[40:41], v3, v8 src0_sel:BYTE_0 src1_sel:DWORD
	s_and_b64 vcc, exec, s[40:41]
	s_mov_b64 s[40:41], -1
	s_cbranch_vccnz .LBB0_136
.LBB0_132:                              ;   in Loop: Header=BB0_133 Depth=2
	s_and_b64 s[38:39], exec, s[38:39]
	s_or_b64 s[26:27], s[38:39], s[26:27]
	s_andn2_b64 s[36:37], s[36:37], exec
	s_and_b64 s[38:39], s[40:41], exec
	s_or_b64 s[36:37], s[36:37], s[38:39]
	s_andn2_b64 exec, exec, s[26:27]
	s_cbranch_execz .LBB0_137
.LBB0_133:                              ;   Parent Loop BB0_7 Depth=1
                                        ; =>  This Inner Loop Header: Depth=2
	v_cmp_gt_i32_e32 vcc, s9, v2
	s_and_saveexec_b64 s[38:39], vcc
	s_cbranch_execz .LBB0_131
; %bb.134:                              ;   in Loop: Header=BB0_133 Depth=2
	ds_read_u8 v3, v2
	s_waitcnt lgkmcnt(0)
	v_bitop3_b32 v17, v3, s7, v31 bitop3:0x80
	v_cmp_eq_u32_e32 vcc, v17, v25
	s_and_b64 exec, exec, vcc
	s_cbranch_execz .LBB0_131
; %bb.135:                              ;   in Loop: Header=BB0_133 Depth=2
	v_lshlrev_b16_e32 v3, 8, v3
	v_or_b32_e32 v3, 1, v3
	ds_write_b16 v8, v3 offset:3072
	s_branch .LBB0_131
.LBB0_136:                              ;   in Loop: Header=BB0_133 Depth=2
	v_add_u32_e32 v2, s62, v2
	v_cmp_le_i32_e32 vcc, s42, v2
	s_mov_b64 s[40:41], 0
	s_orn2_b64 s[38:39], vcc, exec
	s_branch .LBB0_132
.LBB0_137:                              ;   in Loop: Header=BB0_7 Depth=1
	s_or_b64 exec, exec, s[26:27]
	s_andn2_b64 s[26:27], s[34:35], exec
	s_and_b64 s[34:35], s[36:37], exec
	v_lshrrev_b32_sdwa v32, v30, v3 dst_sel:DWORD dst_unused:UNUSED_PAD src0_sel:DWORD src1_sel:WORD_0
	s_or_b64 s[34:35], s[26:27], s[34:35]
.LBB0_138:                              ;   in Loop: Header=BB0_7 Depth=1
	s_or_b64 exec, exec, s[24:25]
	s_mov_b64 s[24:25], 0
	s_mov_b64 s[26:27], -1
.LBB0_139:                              ;   in Loop: Header=BB0_7 Depth=1
	s_orn2_b64 s[34:35], s[34:35], exec
.LBB0_140:                              ;   in Loop: Header=BB0_7 Depth=1
	s_or_b64 exec, exec, s[28:29]
	s_mov_b64 s[36:37], 0
	s_and_saveexec_b64 s[28:29], s[34:35]
	s_cbranch_execz .LBB0_229
; %bb.141:                              ;   in Loop: Header=BB0_7 Depth=1
	s_xor_b64 s[34:35], s[30:31], -1
	s_mov_b64 s[40:41], 0
	v_mov_b32_e32 v17, 1
	v_mov_b32_e32 v5, 1
	s_and_saveexec_b64 s[30:31], s[34:35]
	s_cbranch_execz .LBB0_150
; %bb.142:                              ;   in Loop: Header=BB0_7 Depth=1
	v_cmp_ge_i32_e32 vcc, s8, v16
	s_and_saveexec_b64 s[34:35], vcc
	s_xor_b64 s[34:35], exec, s[34:35]
	s_cbranch_execz .LBB0_147
; %bb.143:                              ;   in Loop: Header=BB0_7 Depth=1
	ds_read_b32 v2, v8 offset:4096
	v_and_b32_e32 v3, v25, v9
	v_lshl_or_b32 v25, 1, v29, v3
	v_or_b32_e32 v31, v31, v4
	s_waitcnt lgkmcnt(0)
	v_cmp_ne_u32_e32 vcc, 0, v2
	s_cbranch_vccnz .LBB0_147
; %bb.144:                              ;   in Loop: Header=BB0_7 Depth=1
	s_and_saveexec_b64 s[36:37], s[18:19]
; %bb.145:                              ;   in Loop: Header=BB0_7 Depth=1
	v_mov_b32_e32 v2, s8
	ds_write_b32 v8, v2 offset:4100
; %bb.146:                              ;   in Loop: Header=BB0_7 Depth=1
	s_or_b64 exec, exec, s[36:37]
	s_waitcnt lgkmcnt(0)
	s_barrier
.LBB0_147:                              ;   in Loop: Header=BB0_7 Depth=1
	s_or_saveexec_b64 s[34:35], s[34:35]
	s_mov_b64 s[36:37], 0
	v_mov_b32_e32 v5, 8
	s_xor_b64 exec, exec, s[34:35]
; %bb.148:                              ;   in Loop: Header=BB0_7 Depth=1
	s_mov_b64 s[36:37], exec
	v_subrev_u32_e32 v16, s8, v16
	v_mov_b32_e32 v5, 0
; %bb.149:                              ;   in Loop: Header=BB0_7 Depth=1
	s_or_b64 exec, exec, s[34:35]
	s_and_b64 s[40:41], s[36:37], exec
	v_mov_b32_e32 v17, v16
.LBB0_150:                              ;   in Loop: Header=BB0_7 Depth=1
	s_or_b64 exec, exec, s[30:31]
	s_mov_b64 s[38:39], -1
                                        ; implicit-def: $sgpr34_sgpr35
                                        ; implicit-def: $sgpr36_sgpr37
	s_and_saveexec_b64 s[30:31], s[40:41]
	s_cbranch_execz .LBB0_228
; %bb.151:                              ;   in Loop: Header=BB0_7 Depth=1
	s_cmp_eq_u32 s54, 1
	s_cselect_b64 s[8:9], -1, 0
	v_cmp_eq_u32_e32 vcc, 1, v17
	s_and_b64 s[40:41], s[8:9], vcc
	s_mov_b64 s[42:43], -1
                                        ; implicit-def: $sgpr36_sgpr37
                                        ; implicit-def: $sgpr34_sgpr35
	s_and_saveexec_b64 s[38:39], s[40:41]
	s_cbranch_execz .LBB0_177
; %bb.152:                              ;   in Loop: Header=BB0_7 Depth=1
	ds_read_b32 v2, v8 offset:4096
	s_waitcnt lgkmcnt(0)
	s_barrier
	v_readfirstlane_b32 s8, v2
	s_and_saveexec_b64 s[34:35], s[4:5]
; %bb.153:                              ;   in Loop: Header=BB0_7 Depth=1
	ds_write_b8 v0, v8 offset:3072
; %bb.154:                              ;   in Loop: Header=BB0_7 Depth=1
	s_or_b64 exec, exec, s[34:35]
	v_and_b32_e32 v2, v25, v9
	v_lshl_or_b32 v25, 2, v29, v2
	v_or_b32_e32 v31, v31, v4
	s_mov_b64 s[34:35], -1
	s_mov_b64 s[36:37], 0
	s_cmp_gt_i32 s8, 0
	s_mov_b64 s[42:43], 0
	s_mov_b64 s[44:45], -1
	s_waitcnt lgkmcnt(0)
	s_barrier
                                        ; implicit-def: $vgpr32
	s_cbranch_scc1 .LBB0_165
; %bb.155:                              ;   in Loop: Header=BB0_7 Depth=1
	s_mov_b64 s[44:45], 0
                                        ; implicit-def: $vgpr32
	s_and_saveexec_b64 s[46:47], s[16:17]
	s_cbranch_execz .LBB0_164
; %bb.156:                              ;   in Loop: Header=BB0_7 Depth=1
	v_mov_b32_e32 v2, v6
	v_mov_b32_e32 v16, v0
                                        ; implicit-def: $sgpr48_sgpr49
	s_branch .LBB0_159
.LBB0_157:                              ;   in Loop: Header=BB0_159 Depth=2
	s_or_b64 exec, exec, s[50:51]
	s_waitcnt lgkmcnt(0)
	s_barrier
	ds_read_u16 v3, v8 offset:3072
	s_mov_b64 s[50:51], -1
	s_waitcnt lgkmcnt(0)
	s_barrier
	v_cmp_ne_u32_sdwa s[52:53], v3, v8 src0_sel:BYTE_0 src1_sel:DWORD
	s_and_b64 vcc, exec, s[52:53]
	s_mov_b64 s[52:53], -1
	s_cbranch_vccz .LBB0_162
.LBB0_158:                              ;   in Loop: Header=BB0_159 Depth=2
	s_and_b64 s[50:51], exec, s[50:51]
	s_or_b64 s[42:43], s[50:51], s[42:43]
	s_andn2_b64 s[48:49], s[48:49], exec
	s_and_b64 s[50:51], s[52:53], exec
	s_or_b64 s[48:49], s[48:49], s[50:51]
	s_andn2_b64 exec, exec, s[42:43]
	s_cbranch_execz .LBB0_163
.LBB0_159:                              ;   Parent Loop BB0_7 Depth=1
                                        ; =>  This Inner Loop Header: Depth=2
	v_cmp_gt_i32_e32 vcc, s60, v16
	s_and_saveexec_b64 s[50:51], vcc
	s_cbranch_execz .LBB0_157
; %bb.160:                              ;   in Loop: Header=BB0_159 Depth=2
	v_ashrrev_i32_e32 v3, 31, v2
	v_lshl_add_u64 v[32:33], s[68:69], 0, v[2:3]
	global_load_ubyte v3, v[32:33], off
	s_waitcnt vmcnt(0)
	v_bitop3_b32 v32, v3, s7, v31 bitop3:0x80
	v_cmp_eq_u32_e32 vcc, v32, v25
	s_and_b64 exec, exec, vcc
	s_cbranch_execz .LBB0_157
; %bb.161:                              ;   in Loop: Header=BB0_159 Depth=2
	v_lshlrev_b16_e32 v3, 8, v3
	v_or_b32_e32 v3, 1, v3
	ds_write_b16 v8, v3 offset:3072
	s_branch .LBB0_157
.LBB0_162:                              ;   in Loop: Header=BB0_159 Depth=2
	v_add_u32_e32 v16, s62, v16
	v_cmp_le_i32_e32 vcc, s86, v16
	v_add_u32_e32 v2, s84, v2
	s_mov_b64 s[52:53], 0
	s_orn2_b64 s[50:51], vcc, exec
	s_branch .LBB0_158
.LBB0_163:                              ;   in Loop: Header=BB0_7 Depth=1
	s_or_b64 exec, exec, s[42:43]
	v_lshrrev_b32_sdwa v32, v30, v3 dst_sel:DWORD dst_unused:UNUSED_PAD src0_sel:DWORD src1_sel:WORD_0
	s_and_b64 s[42:43], s[48:49], exec
.LBB0_164:                              ;   in Loop: Header=BB0_7 Depth=1
	s_or_b64 exec, exec, s[46:47]
.LBB0_165:                              ;   in Loop: Header=BB0_7 Depth=1
	s_and_b64 vcc, exec, s[44:45]
	s_cbranch_vccz .LBB0_176
; %bb.166:                              ;   in Loop: Header=BB0_7 Depth=1
	s_add_i32 s9, s8, s85
	s_abs_i32 s35, s9
	s_mul_hi_u32 s36, s35, s70
	s_mul_i32 s36, s36, s62
	s_sub_i32 s35, s35, s36
	s_ashr_i32 s34, s9, 31
	s_sub_i32 s36, s35, s62
	s_cmp_ge_u32 s35, s62
	s_cselect_b32 s35, s36, s35
	s_sub_i32 s36, s35, s62
	s_cmp_ge_u32 s35, s62
	s_cselect_b32 s35, s36, s35
	s_xor_b32 s35, s35, s34
	s_sub_i32 s34, s34, s35
	s_add_i32 s9, s9, s34
	v_cmp_gt_i32_e32 vcc, s9, v0
                                        ; implicit-def: $vgpr32
	s_and_saveexec_b64 s[34:35], vcc
	s_cbranch_execz .LBB0_175
; %bb.167:                              ;   in Loop: Header=BB0_7 Depth=1
	s_mov_b64 s[36:37], 0
	v_mov_b32_e32 v2, v0
                                        ; implicit-def: $sgpr44_sgpr45
	s_branch .LBB0_170
.LBB0_168:                              ;   in Loop: Header=BB0_170 Depth=2
	s_or_b64 exec, exec, s[46:47]
	s_waitcnt lgkmcnt(0)
	s_barrier
	ds_read_u16 v3, v8 offset:3072
	s_mov_b64 s[46:47], -1
	s_waitcnt lgkmcnt(0)
	s_barrier
	v_cmp_eq_u32_sdwa s[48:49], v3, v8 src0_sel:BYTE_0 src1_sel:DWORD
	s_and_b64 vcc, exec, s[48:49]
	s_mov_b64 s[48:49], -1
	s_cbranch_vccnz .LBB0_173
.LBB0_169:                              ;   in Loop: Header=BB0_170 Depth=2
	s_and_b64 s[46:47], exec, s[46:47]
	s_or_b64 s[36:37], s[46:47], s[36:37]
	s_andn2_b64 s[44:45], s[44:45], exec
	s_and_b64 s[46:47], s[48:49], exec
	s_or_b64 s[44:45], s[44:45], s[46:47]
	s_andn2_b64 exec, exec, s[36:37]
	s_cbranch_execz .LBB0_174
.LBB0_170:                              ;   Parent Loop BB0_7 Depth=1
                                        ; =>  This Inner Loop Header: Depth=2
	v_cmp_gt_i32_e32 vcc, s8, v2
	s_and_saveexec_b64 s[46:47], vcc
	s_cbranch_execz .LBB0_168
; %bb.171:                              ;   in Loop: Header=BB0_170 Depth=2
	ds_read_u8 v3, v2
	s_waitcnt lgkmcnt(0)
	v_bitop3_b32 v16, v3, s7, v31 bitop3:0x80
	v_cmp_eq_u32_e32 vcc, v16, v25
	s_and_b64 exec, exec, vcc
	s_cbranch_execz .LBB0_168
; %bb.172:                              ;   in Loop: Header=BB0_170 Depth=2
	v_lshlrev_b16_e32 v3, 8, v3
	v_or_b32_e32 v3, 1, v3
	ds_write_b16 v8, v3 offset:3072
	s_branch .LBB0_168
.LBB0_173:                              ;   in Loop: Header=BB0_170 Depth=2
	v_add_u32_e32 v2, s62, v2
	v_cmp_le_i32_e32 vcc, s9, v2
	s_mov_b64 s[48:49], 0
	s_orn2_b64 s[46:47], vcc, exec
	s_branch .LBB0_169
.LBB0_174:                              ;   in Loop: Header=BB0_7 Depth=1
	s_or_b64 exec, exec, s[36:37]
	s_andn2_b64 s[8:9], s[42:43], exec
	s_and_b64 s[36:37], s[44:45], exec
	v_lshrrev_b32_sdwa v32, v30, v3 dst_sel:DWORD dst_unused:UNUSED_PAD src0_sel:DWORD src1_sel:WORD_0
	s_or_b64 s[42:43], s[8:9], s[36:37]
.LBB0_175:                              ;   in Loop: Header=BB0_7 Depth=1
	s_or_b64 exec, exec, s[34:35]
	s_mov_b64 s[34:35], 0
	s_mov_b64 s[36:37], -1
.LBB0_176:                              ;   in Loop: Header=BB0_7 Depth=1
	s_orn2_b64 s[42:43], s[42:43], exec
.LBB0_177:                              ;   in Loop: Header=BB0_7 Depth=1
	s_or_b64 exec, exec, s[38:39]
	s_mov_b64 s[44:45], 0
	s_and_saveexec_b64 s[38:39], s[42:43]
	s_cbranch_execz .LBB0_227
; %bb.178:                              ;   in Loop: Header=BB0_7 Depth=1
	s_xor_b64 s[8:9], s[40:41], -1
	s_mov_b64 s[48:49], 0
	v_mov_b32_e32 v16, 1
	v_mov_b32_e32 v5, 1
	s_and_saveexec_b64 s[40:41], s[8:9]
	s_cbranch_execz .LBB0_187
; %bb.179:                              ;   in Loop: Header=BB0_7 Depth=1
	v_cmp_ge_i32_e32 vcc, s54, v17
	s_and_saveexec_b64 s[8:9], vcc
	s_xor_b64 s[42:43], exec, s[8:9]
	s_cbranch_execz .LBB0_184
; %bb.180:                              ;   in Loop: Header=BB0_7 Depth=1
	ds_read_b32 v2, v8 offset:4096
	v_and_b32_e32 v3, v25, v9
	v_lshl_or_b32 v25, 2, v29, v3
	v_or_b32_e32 v31, v31, v4
	s_waitcnt lgkmcnt(0)
	v_cmp_ne_u32_e32 vcc, 0, v2
	s_cbranch_vccnz .LBB0_184
; %bb.181:                              ;   in Loop: Header=BB0_7 Depth=1
	s_and_saveexec_b64 s[44:45], s[18:19]
; %bb.182:                              ;   in Loop: Header=BB0_7 Depth=1
	v_mov_b32_e32 v2, s54
	ds_write_b32 v8, v2 offset:4100
; %bb.183:                              ;   in Loop: Header=BB0_7 Depth=1
	s_or_b64 exec, exec, s[44:45]
	s_waitcnt lgkmcnt(0)
	s_barrier
.LBB0_184:                              ;   in Loop: Header=BB0_7 Depth=1
	s_or_saveexec_b64 s[42:43], s[42:43]
	s_mov_b64 s[44:45], 0
	v_mov_b32_e32 v5, 8
	s_xor_b64 exec, exec, s[42:43]
; %bb.185:                              ;   in Loop: Header=BB0_7 Depth=1
	s_mov_b64 s[44:45], exec
	v_subrev_u32_e32 v17, s54, v17
	v_mov_b32_e32 v5, 0
; %bb.186:                              ;   in Loop: Header=BB0_7 Depth=1
	s_or_b64 exec, exec, s[42:43]
	s_and_b64 s[48:49], s[44:45], exec
	v_mov_b32_e32 v16, v17
.LBB0_187:                              ;   in Loop: Header=BB0_7 Depth=1
	s_or_b64 exec, exec, s[40:41]
	s_mov_b64 s[46:47], -1
                                        ; implicit-def: $sgpr44_sgpr45
                                        ; implicit-def: $sgpr42_sgpr43
	s_and_saveexec_b64 s[40:41], s[48:49]
	s_cbranch_execz .LBB0_226
; %bb.188:                              ;   in Loop: Header=BB0_7 Depth=1
	s_cmp_eq_u32 s82, 1
	s_cselect_b64 s[8:9], -1, 0
	v_cmp_eq_u32_e32 vcc, 1, v16
	s_and_b64 s[46:47], s[8:9], vcc
	s_mov_b64 s[50:51], -1
                                        ; implicit-def: $sgpr44_sgpr45
                                        ; implicit-def: $sgpr42_sgpr43
	s_and_saveexec_b64 s[48:49], s[46:47]
	s_cbranch_execz .LBB0_214
; %bb.189:                              ;   in Loop: Header=BB0_7 Depth=1
	ds_read_b32 v2, v8 offset:4096
	s_waitcnt lgkmcnt(0)
	s_barrier
	v_readfirstlane_b32 s8, v2
	s_and_saveexec_b64 s[42:43], s[4:5]
; %bb.190:                              ;   in Loop: Header=BB0_7 Depth=1
	ds_write_b8 v0, v8 offset:3072
; %bb.191:                              ;   in Loop: Header=BB0_7 Depth=1
	s_or_b64 exec, exec, s[42:43]
	v_or_b32_e32 v25, v25, v4
	v_or_b32_e32 v31, v31, v4
	s_mov_b64 s[42:43], -1
	s_mov_b64 s[44:45], 0
	s_cmp_gt_i32 s8, 0
	s_mov_b64 s[50:51], 0
	s_mov_b64 s[52:53], -1
	s_waitcnt lgkmcnt(0)
	s_barrier
                                        ; implicit-def: $vgpr32
	s_cbranch_scc1 .LBB0_202
; %bb.192:                              ;   in Loop: Header=BB0_7 Depth=1
	s_mov_b64 s[52:53], 0
                                        ; implicit-def: $vgpr32
	s_and_saveexec_b64 s[54:55], s[16:17]
	s_cbranch_execz .LBB0_201
; %bb.193:                              ;   in Loop: Header=BB0_7 Depth=1
	v_mov_b32_e32 v2, v6
	v_mov_b32_e32 v9, v0
                                        ; implicit-def: $sgpr56_sgpr57
	s_branch .LBB0_196
.LBB0_194:                              ;   in Loop: Header=BB0_196 Depth=2
	s_or_b64 exec, exec, s[58:59]
	s_waitcnt lgkmcnt(0)
	s_barrier
	ds_read_u16 v3, v8 offset:3072
	s_mov_b64 s[58:59], -1
	s_waitcnt lgkmcnt(0)
	s_barrier
	v_cmp_ne_u32_sdwa s[66:67], v3, v8 src0_sel:BYTE_0 src1_sel:DWORD
	s_and_b64 vcc, exec, s[66:67]
	s_mov_b64 s[66:67], -1
	s_cbranch_vccz .LBB0_199
.LBB0_195:                              ;   in Loop: Header=BB0_196 Depth=2
	s_and_b64 s[58:59], exec, s[58:59]
	s_or_b64 s[50:51], s[58:59], s[50:51]
	s_andn2_b64 s[56:57], s[56:57], exec
	s_and_b64 s[58:59], s[66:67], exec
	s_or_b64 s[56:57], s[56:57], s[58:59]
	s_andn2_b64 exec, exec, s[50:51]
	s_cbranch_execz .LBB0_200
.LBB0_196:                              ;   Parent Loop BB0_7 Depth=1
                                        ; =>  This Inner Loop Header: Depth=2
	v_cmp_gt_i32_e32 vcc, s60, v9
	s_and_saveexec_b64 s[58:59], vcc
	s_cbranch_execz .LBB0_194
; %bb.197:                              ;   in Loop: Header=BB0_196 Depth=2
	v_ashrrev_i32_e32 v3, 31, v2
	v_lshl_add_u64 v[32:33], s[68:69], 0, v[2:3]
	global_load_ubyte v3, v[32:33], off
	s_waitcnt vmcnt(0)
	v_bitop3_b32 v17, v3, s7, v31 bitop3:0x80
	v_cmp_eq_u32_e32 vcc, v17, v25
	s_and_b64 exec, exec, vcc
	s_cbranch_execz .LBB0_194
; %bb.198:                              ;   in Loop: Header=BB0_196 Depth=2
	v_lshlrev_b16_e32 v3, 8, v3
	v_or_b32_e32 v3, 1, v3
	ds_write_b16 v8, v3 offset:3072
	s_branch .LBB0_194
.LBB0_199:                              ;   in Loop: Header=BB0_196 Depth=2
	v_add_u32_e32 v9, s62, v9
	v_cmp_le_i32_e32 vcc, s86, v9
	v_add_u32_e32 v2, s84, v2
	s_mov_b64 s[66:67], 0
	s_orn2_b64 s[58:59], vcc, exec
	s_branch .LBB0_195
.LBB0_200:                              ;   in Loop: Header=BB0_7 Depth=1
	s_or_b64 exec, exec, s[50:51]
	v_lshrrev_b32_sdwa v32, v30, v3 dst_sel:DWORD dst_unused:UNUSED_PAD src0_sel:DWORD src1_sel:WORD_0
	s_and_b64 s[50:51], s[56:57], exec
.LBB0_201:                              ;   in Loop: Header=BB0_7 Depth=1
	s_or_b64 exec, exec, s[54:55]
.LBB0_202:                              ;   in Loop: Header=BB0_7 Depth=1
	s_and_b64 vcc, exec, s[52:53]
	s_cbranch_vccz .LBB0_213
; %bb.203:                              ;   in Loop: Header=BB0_7 Depth=1
	s_add_i32 s9, s8, s85
	s_abs_i32 s43, s9
	s_mul_hi_u32 s44, s43, s70
	s_mul_i32 s44, s44, s62
	s_sub_i32 s43, s43, s44
	s_ashr_i32 s42, s9, 31
	s_sub_i32 s44, s43, s62
	s_cmp_ge_u32 s43, s62
	s_cselect_b32 s43, s44, s43
	s_sub_i32 s44, s43, s62
	s_cmp_ge_u32 s43, s62
	s_cselect_b32 s43, s44, s43
	s_xor_b32 s43, s43, s42
	s_sub_i32 s42, s42, s43
	s_add_i32 s9, s9, s42
	v_cmp_gt_i32_e32 vcc, s9, v0
                                        ; implicit-def: $vgpr32
	s_and_saveexec_b64 s[42:43], vcc
	s_cbranch_execz .LBB0_212
; %bb.204:                              ;   in Loop: Header=BB0_7 Depth=1
	s_mov_b64 s[44:45], 0
	v_mov_b32_e32 v2, v0
                                        ; implicit-def: $sgpr52_sgpr53
	s_branch .LBB0_207
.LBB0_205:                              ;   in Loop: Header=BB0_207 Depth=2
	s_or_b64 exec, exec, s[54:55]
	s_waitcnt lgkmcnt(0)
	s_barrier
	ds_read_u16 v3, v8 offset:3072
	s_mov_b64 s[54:55], -1
	s_waitcnt lgkmcnt(0)
	s_barrier
	v_cmp_eq_u32_sdwa s[56:57], v3, v8 src0_sel:BYTE_0 src1_sel:DWORD
	s_and_b64 vcc, exec, s[56:57]
	s_mov_b64 s[56:57], -1
	s_cbranch_vccnz .LBB0_210
.LBB0_206:                              ;   in Loop: Header=BB0_207 Depth=2
	s_and_b64 s[54:55], exec, s[54:55]
	s_or_b64 s[44:45], s[54:55], s[44:45]
	s_andn2_b64 s[52:53], s[52:53], exec
	s_and_b64 s[54:55], s[56:57], exec
	s_or_b64 s[52:53], s[52:53], s[54:55]
	s_andn2_b64 exec, exec, s[44:45]
	s_cbranch_execz .LBB0_211
.LBB0_207:                              ;   Parent Loop BB0_7 Depth=1
                                        ; =>  This Inner Loop Header: Depth=2
	v_cmp_gt_i32_e32 vcc, s8, v2
	s_and_saveexec_b64 s[54:55], vcc
	s_cbranch_execz .LBB0_205
; %bb.208:                              ;   in Loop: Header=BB0_207 Depth=2
	ds_read_u8 v3, v2
	s_waitcnt lgkmcnt(0)
	v_bitop3_b32 v9, v3, s7, v31 bitop3:0x80
	v_cmp_eq_u32_e32 vcc, v9, v25
	s_and_b64 exec, exec, vcc
	s_cbranch_execz .LBB0_205
; %bb.209:                              ;   in Loop: Header=BB0_207 Depth=2
	v_lshlrev_b16_e32 v3, 8, v3
	v_or_b32_e32 v3, 1, v3
	ds_write_b16 v8, v3 offset:3072
	s_branch .LBB0_205
.LBB0_210:                              ;   in Loop: Header=BB0_207 Depth=2
	v_add_u32_e32 v2, s62, v2
	v_cmp_le_i32_e32 vcc, s9, v2
	s_mov_b64 s[56:57], 0
	s_orn2_b64 s[54:55], vcc, exec
	s_branch .LBB0_206
.LBB0_211:                              ;   in Loop: Header=BB0_7 Depth=1
	s_or_b64 exec, exec, s[44:45]
	s_andn2_b64 s[8:9], s[50:51], exec
	s_and_b64 s[44:45], s[52:53], exec
	v_lshrrev_b32_sdwa v32, v30, v3 dst_sel:DWORD dst_unused:UNUSED_PAD src0_sel:DWORD src1_sel:WORD_0
	s_or_b64 s[50:51], s[8:9], s[44:45]
.LBB0_212:                              ;   in Loop: Header=BB0_7 Depth=1
	s_or_b64 exec, exec, s[42:43]
	s_mov_b64 s[42:43], 0
	s_mov_b64 s[44:45], -1
.LBB0_213:                              ;   in Loop: Header=BB0_7 Depth=1
	s_orn2_b64 s[50:51], s[50:51], exec
.LBB0_214:                              ;   in Loop: Header=BB0_7 Depth=1
	s_or_b64 exec, exec, s[48:49]
	s_mov_b64 s[52:53], 0
	s_and_saveexec_b64 s[48:49], s[50:51]
	s_cbranch_execz .LBB0_225
; %bb.215:                              ;   in Loop: Header=BB0_7 Depth=1
	s_xor_b64 s[8:9], s[46:47], -1
	v_mov_b32_e32 v5, 1
	v_mov_b32_e32 v2, 1
	s_and_saveexec_b64 s[46:47], s[8:9]
	s_cbranch_execz .LBB0_224
; %bb.216:                              ;   in Loop: Header=BB0_7 Depth=1
	v_cmp_ge_i32_e32 vcc, s82, v16
	s_and_saveexec_b64 s[8:9], vcc
	s_xor_b64 s[50:51], exec, s[8:9]
	s_cbranch_execz .LBB0_221
; %bb.217:                              ;   in Loop: Header=BB0_7 Depth=1
	ds_read_b32 v2, v8 offset:4096
	v_or_b32_e32 v25, v25, v4
	v_or_b32_e32 v31, v31, v4
	s_waitcnt lgkmcnt(0)
	v_cmp_ne_u32_e32 vcc, 0, v2
	s_cbranch_vccnz .LBB0_221
; %bb.218:                              ;   in Loop: Header=BB0_7 Depth=1
	s_and_saveexec_b64 s[52:53], s[18:19]
; %bb.219:                              ;   in Loop: Header=BB0_7 Depth=1
	v_mov_b32_e32 v2, s82
	ds_write_b32 v8, v2 offset:4100
; %bb.220:                              ;   in Loop: Header=BB0_7 Depth=1
	s_or_b64 exec, exec, s[52:53]
	s_waitcnt lgkmcnt(0)
	s_barrier
.LBB0_221:                              ;   in Loop: Header=BB0_7 Depth=1
	s_andn2_saveexec_b64 s[50:51], s[50:51]
; %bb.222:                              ;   in Loop: Header=BB0_7 Depth=1
	v_subrev_u32_e32 v16, s82, v16
; %bb.223:                              ;   in Loop: Header=BB0_7 Depth=1
	s_or_b64 exec, exec, s[50:51]
	v_mov_b32_e32 v5, 8
	v_mov_b32_e32 v2, v16
.LBB0_224:                              ;   in Loop: Header=BB0_7 Depth=1
	s_or_b64 exec, exec, s[46:47]
	s_mov_b64 s[52:53], exec
	v_mov_b32_e32 v16, v2
.LBB0_225:                              ;   in Loop: Header=BB0_7 Depth=1
	s_or_b64 exec, exec, s[48:49]
	s_orn2_b64 s[46:47], s[52:53], exec
.LBB0_226:                              ;   in Loop: Header=BB0_7 Depth=1
	s_or_b64 exec, exec, s[40:41]
	s_andn2_b64 s[8:9], s[36:37], exec
	s_and_b64 s[36:37], s[44:45], exec
	s_or_b64 s[36:37], s[8:9], s[36:37]
	s_andn2_b64 s[8:9], s[34:35], exec
	s_and_b64 s[34:35], s[42:43], exec
	s_or_b64 s[34:35], s[8:9], s[34:35]
	s_and_b64 s[44:45], s[46:47], exec
	v_mov_b32_e32 v17, v16
.LBB0_227:                              ;   in Loop: Header=BB0_7 Depth=1
	s_or_b64 exec, exec, s[38:39]
	s_orn2_b64 s[38:39], s[44:45], exec
.LBB0_228:                              ;   in Loop: Header=BB0_7 Depth=1
	s_or_b64 exec, exec, s[30:31]
	s_andn2_b64 s[8:9], s[26:27], exec
	s_and_b64 s[26:27], s[36:37], exec
	s_or_b64 s[26:27], s[8:9], s[26:27]
	s_andn2_b64 s[8:9], s[24:25], exec
	s_and_b64 s[24:25], s[34:35], exec
	s_or_b64 s[24:25], s[8:9], s[24:25]
	s_and_b64 s[36:37], s[38:39], exec
	v_mov_b32_e32 v16, v17
.LBB0_229:                              ;   in Loop: Header=BB0_7 Depth=1
	s_or_b64 exec, exec, s[28:29]
	s_orn2_b64 s[28:29], s[36:37], exec
.LBB0_230:                              ;   in Loop: Header=BB0_7 Depth=1
	s_or_b64 exec, exec, s[22:23]
	s_mov_b64 s[30:31], 0
                                        ; implicit-def: $sgpr34
	s_and_saveexec_b64 s[8:9], s[28:29]
	s_xor_b64 s[22:23], exec, s[8:9]
	s_cbranch_execz .LBB0_5
; %bb.231:                              ;   in Loop: Header=BB0_7 Depth=1
	v_and_b32_e32 v2, 7, v5
	v_cmp_eq_u32_e32 vcc, 0, v2
	s_mov_b64 s[20:21], -1
	s_mov_b64 s[28:29], -1
                                        ; implicit-def: $sgpr34
	s_and_saveexec_b64 s[30:31], vcc
	s_cbranch_execz .LBB0_4
; %bb.232:                              ;   in Loop: Header=BB0_7 Depth=1
	v_add_u32_e32 v2, -2, v29
	v_cmp_eq_u32_e32 vcc, 0, v29
	s_xor_b32 s34, s61, 1
	s_xor_b64 s[28:29], exec, -1
	s_orn2_b64 s[20:21], vcc, exec
	v_mov_b32_e32 v29, v2
	s_branch .LBB0_4
.LBB0_233:
	s_or_b64 exec, exec, s[88:89]
	s_xor_b64 s[6:7], s[94:95], -1
	s_xor_b64 s[0:1], s[90:91], -1
	;; [unrolled: 1-line block ×3, first 2 shown]
	s_mov_b64 s[2:3], 0
	s_and_saveexec_b64 s[8:9], s[0:1]
	s_xor_b64 s[0:1], exec, s[8:9]
	s_cbranch_execnz .LBB0_238
; %bb.234:
	s_andn2_saveexec_b64 s[0:1], s[0:1]
	s_cbranch_execnz .LBB0_258
.LBB0_235:
	s_or_b64 exec, exec, s[0:1]
	s_and_saveexec_b64 s[0:1], s[2:3]
.LBB0_236:
	; divergent unreachable
.LBB0_237:
	s_endpgm
.LBB0_238:
	s_and_saveexec_b64 s[2:3], s[6:7]
	s_xor_b64 s[2:3], exec, s[2:3]
	s_cbranch_execz .LBB0_256
; %bb.239:
	s_and_saveexec_b64 s[6:7], s[4:5]
	s_xor_b64 s[4:5], exec, s[6:7]
; %bb.240:
	v_mov_b32_e32 v32, v25
; %bb.241:
	s_or_b64 exec, exec, s[4:5]
	s_and_saveexec_b64 s[4:5], s[18:19]
	v_readlane_b32 s20, v50, 6
; %bb.242:
	v_mov_b32_e32 v1, 0
	v_mov_b32_e32 v2, s60
	ds_write_b32 v1, v2 offset:4108
; %bb.243:
	s_or_b64 exec, exec, s[4:5]
	v_mov_b32_e32 v1, 0
	s_waitcnt lgkmcnt(0)
	s_barrier
	ds_read_b32 v1, v1 offset:4108
	s_waitcnt lgkmcnt(0)
	v_min_i32_e32 v2, s60, v1
	v_cmp_lt_i32_e32 vcc, v0, v2
	s_and_saveexec_b64 s[4:5], vcc
	s_cbranch_execz .LBB0_253
; %bb.244:
	s_mov_b64 s[6:7], 0
                                        ; implicit-def: $sgpr8_sgpr9
                                        ; implicit-def: $sgpr12_sgpr13
                                        ; implicit-def: $sgpr10_sgpr11
	s_branch .LBB0_246
.LBB0_245:                              ;   in Loop: Header=BB0_246 Depth=1
	s_or_b64 exec, exec, s[14:15]
	s_and_b64 s[14:15], exec, s[12:13]
	s_or_b64 s[6:7], s[14:15], s[6:7]
	s_andn2_b64 s[8:9], s[8:9], exec
	s_and_b64 s[14:15], s[10:11], exec
	s_or_b64 s[8:9], s[8:9], s[14:15]
	s_andn2_b64 exec, exec, s[6:7]
	s_cbranch_execz .LBB0_248
.LBB0_246:                              ; =>This Inner Loop Header: Depth=1
	v_ashrrev_i32_e32 v7, 31, v6
	v_lshl_add_u64 v[4:5], s[68:69], 0, v[6:7]
	global_load_ubyte v3, v[4:5], off
	v_mov_b32_e32 v1, v0
	s_or_b64 s[10:11], s[10:11], exec
	s_or_b64 s[12:13], s[12:13], exec
                                        ; implicit-def: $vgpr0
	s_waitcnt vmcnt(0)
	v_cmp_ne_u16_sdwa s[16:17], v3, v32 src0_sel:DWORD src1_sel:BYTE_0
	s_and_saveexec_b64 s[14:15], s[16:17]
	s_cbranch_execz .LBB0_245
; %bb.247:                              ;   in Loop: Header=BB0_246 Depth=1
	v_add_u32_e32 v0, s62, v1
	v_cmp_ge_i32_e32 vcc, v0, v2
	s_andn2_b64 s[12:13], s[12:13], exec
	s_and_b64 s[16:17], vcc, exec
	v_add_u32_e32 v6, s84, v6
	s_andn2_b64 s[10:11], s[10:11], exec
	s_or_b64 s[12:13], s[12:13], s[16:17]
	s_branch .LBB0_245
.LBB0_248:
	s_or_b64 exec, exec, s[6:7]
	s_and_saveexec_b64 s[6:7], s[8:9]
	s_xor_b64 s[6:7], exec, s[6:7]
	s_cbranch_execz .LBB0_253
; %bb.249:
	s_mov_b64 s[6:7], exec
	s_brev_b32 s8, -2
.LBB0_250:                              ; =>This Inner Loop Header: Depth=1
	s_ff1_i32_b64 s9, s[6:7]
	v_readlane_b32 s12, v1, s9
	s_lshl_b64 s[10:11], 1, s9
	s_min_i32 s8, s8, s12
	s_andn2_b64 s[6:7], s[6:7], s[10:11]
	s_cmp_lg_u64 s[6:7], 0
	s_cbranch_scc1 .LBB0_250
; %bb.251:
	v_mbcnt_lo_u32_b32 v0, exec_lo, 0
	v_mbcnt_hi_u32_b32 v0, exec_hi, v0
	v_cmp_eq_u32_e32 vcc, 0, v0
	s_and_saveexec_b64 s[6:7], vcc
	s_xor_b64 s[6:7], exec, s[6:7]
; %bb.252:
	v_mov_b32_e32 v0, 0
	v_mov_b32_e32 v1, s8
	ds_min_i32 v0, v1 offset:4108
.LBB0_253:
	s_or_b64 exec, exec, s[4:5]
	s_waitcnt lgkmcnt(0)
	s_barrier
	s_and_saveexec_b64 s[4:5], s[18:19]
	s_cbranch_execz .LBB0_255
; %bb.254:
	v_readlane_b32 s6, v50, 5
	s_mul_i32 s7, s6, s20
	v_mov_b32_e32 v2, 0
	v_readlane_b32 s6, v50, 4
	s_ashr_i32 s9, s7, 31
	v_readlane_b32 s10, v50, 2
	ds_read_b32 v0, v2 offset:4108
	s_mul_i32 s6, s6, s20
	v_readlane_b32 s11, v50, 3
	s_add_u32 s8, s10, s7
	s_addc_u32 s9, s11, s9
	s_ashr_i32 s7, s6, 31
	s_lshl_b64 s[6:7], s[6:7], 3
	v_readlane_b32 s10, v50, 0
	v_readlane_b32 s11, v50, 1
	s_add_u32 s6, s10, s6
	s_addc_u32 s7, s11, s7
	s_waitcnt lgkmcnt(0)
	v_ashrrev_i32_e32 v1, 31, v0
	global_store_dwordx2 v2, v[0:1], s[6:7]
	global_store_byte v2, v32, s[8:9]
.LBB0_255:
	s_or_b64 exec, exec, s[4:5]
.LBB0_256:
	s_or_saveexec_b64 s[2:3], s[2:3]
	s_mov_b64 s[4:5], 0
	s_xor_b64 exec, exec, s[2:3]
	s_cbranch_execnz .LBB0_259
.LBB0_257:
	s_or_b64 exec, exec, s[2:3]
	s_and_b64 s[2:3], s[4:5], exec
	s_andn2_saveexec_b64 s[0:1], s[0:1]
	s_cbranch_execz .LBB0_235
.LBB0_258:
	s_or_b64 s[2:3], s[2:3], exec
	s_trap 2
	s_or_b64 exec, exec, s[0:1]
	s_and_saveexec_b64 s[0:1], s[2:3]
	s_cbranch_execnz .LBB0_236
	s_branch .LBB0_237
.LBB0_259:
	s_mov_b64 s[4:5], exec
	s_trap 2
	s_branch .LBB0_257
	.section	.rodata,"a",@progbits
	.p2align	6, 0x0
	.amdhsa_kernel _ZN2at6native12_GLOBAL__N_114gatherKthValueIhiLi1EEEvNS_4cuda6detail10TensorInfoIKT_T0_EES8_S8_S8_S8_NS5_IS6_S8_EENS5_IlS8_EE
		.amdhsa_group_segment_fixed_size 4112
		.amdhsa_private_segment_fixed_size 0
		.amdhsa_kernarg_size 920
		.amdhsa_user_sgpr_count 2
		.amdhsa_user_sgpr_dispatch_ptr 0
		.amdhsa_user_sgpr_queue_ptr 0
		.amdhsa_user_sgpr_kernarg_segment_ptr 1
		.amdhsa_user_sgpr_dispatch_id 0
		.amdhsa_user_sgpr_kernarg_preload_length 0
		.amdhsa_user_sgpr_kernarg_preload_offset 0
		.amdhsa_user_sgpr_private_segment_size 0
		.amdhsa_uses_dynamic_stack 0
		.amdhsa_enable_private_segment 0
		.amdhsa_system_sgpr_workgroup_id_x 1
		.amdhsa_system_sgpr_workgroup_id_y 1
		.amdhsa_system_sgpr_workgroup_id_z 1
		.amdhsa_system_sgpr_workgroup_info 0
		.amdhsa_system_vgpr_workitem_id 0
		.amdhsa_next_free_vgpr 51
		.amdhsa_next_free_sgpr 100
		.amdhsa_accum_offset 52
		.amdhsa_reserve_vcc 1
		.amdhsa_float_round_mode_32 0
		.amdhsa_float_round_mode_16_64 0
		.amdhsa_float_denorm_mode_32 3
		.amdhsa_float_denorm_mode_16_64 3
		.amdhsa_dx10_clamp 1
		.amdhsa_ieee_mode 1
		.amdhsa_fp16_overflow 0
		.amdhsa_tg_split 0
		.amdhsa_exception_fp_ieee_invalid_op 0
		.amdhsa_exception_fp_denorm_src 0
		.amdhsa_exception_fp_ieee_div_zero 0
		.amdhsa_exception_fp_ieee_overflow 0
		.amdhsa_exception_fp_ieee_underflow 0
		.amdhsa_exception_fp_ieee_inexact 0
		.amdhsa_exception_int_div_zero 0
	.end_amdhsa_kernel
	.section	.text._ZN2at6native12_GLOBAL__N_114gatherKthValueIhiLi1EEEvNS_4cuda6detail10TensorInfoIKT_T0_EES8_S8_S8_S8_NS5_IS6_S8_EENS5_IlS8_EE,"axG",@progbits,_ZN2at6native12_GLOBAL__N_114gatherKthValueIhiLi1EEEvNS_4cuda6detail10TensorInfoIKT_T0_EES8_S8_S8_S8_NS5_IS6_S8_EENS5_IlS8_EE,comdat
.Lfunc_end0:
	.size	_ZN2at6native12_GLOBAL__N_114gatherKthValueIhiLi1EEEvNS_4cuda6detail10TensorInfoIKT_T0_EES8_S8_S8_S8_NS5_IS6_S8_EENS5_IlS8_EE, .Lfunc_end0-_ZN2at6native12_GLOBAL__N_114gatherKthValueIhiLi1EEEvNS_4cuda6detail10TensorInfoIKT_T0_EES8_S8_S8_S8_NS5_IS6_S8_EENS5_IlS8_EE
                                        ; -- End function
	.set _ZN2at6native12_GLOBAL__N_114gatherKthValueIhiLi1EEEvNS_4cuda6detail10TensorInfoIKT_T0_EES8_S8_S8_S8_NS5_IS6_S8_EENS5_IlS8_EE.num_vgpr, 51
	.set _ZN2at6native12_GLOBAL__N_114gatherKthValueIhiLi1EEEvNS_4cuda6detail10TensorInfoIKT_T0_EES8_S8_S8_S8_NS5_IS6_S8_EENS5_IlS8_EE.num_agpr, 0
	.set _ZN2at6native12_GLOBAL__N_114gatherKthValueIhiLi1EEEvNS_4cuda6detail10TensorInfoIKT_T0_EES8_S8_S8_S8_NS5_IS6_S8_EENS5_IlS8_EE.numbered_sgpr, 100
	.set _ZN2at6native12_GLOBAL__N_114gatherKthValueIhiLi1EEEvNS_4cuda6detail10TensorInfoIKT_T0_EES8_S8_S8_S8_NS5_IS6_S8_EENS5_IlS8_EE.num_named_barrier, 0
	.set _ZN2at6native12_GLOBAL__N_114gatherKthValueIhiLi1EEEvNS_4cuda6detail10TensorInfoIKT_T0_EES8_S8_S8_S8_NS5_IS6_S8_EENS5_IlS8_EE.private_seg_size, 0
	.set _ZN2at6native12_GLOBAL__N_114gatherKthValueIhiLi1EEEvNS_4cuda6detail10TensorInfoIKT_T0_EES8_S8_S8_S8_NS5_IS6_S8_EENS5_IlS8_EE.uses_vcc, 1
	.set _ZN2at6native12_GLOBAL__N_114gatherKthValueIhiLi1EEEvNS_4cuda6detail10TensorInfoIKT_T0_EES8_S8_S8_S8_NS5_IS6_S8_EENS5_IlS8_EE.uses_flat_scratch, 0
	.set _ZN2at6native12_GLOBAL__N_114gatherKthValueIhiLi1EEEvNS_4cuda6detail10TensorInfoIKT_T0_EES8_S8_S8_S8_NS5_IS6_S8_EENS5_IlS8_EE.has_dyn_sized_stack, 0
	.set _ZN2at6native12_GLOBAL__N_114gatherKthValueIhiLi1EEEvNS_4cuda6detail10TensorInfoIKT_T0_EES8_S8_S8_S8_NS5_IS6_S8_EENS5_IlS8_EE.has_recursion, 0
	.set _ZN2at6native12_GLOBAL__N_114gatherKthValueIhiLi1EEEvNS_4cuda6detail10TensorInfoIKT_T0_EES8_S8_S8_S8_NS5_IS6_S8_EENS5_IlS8_EE.has_indirect_call, 0
	.section	.AMDGPU.csdata,"",@progbits
; Kernel info:
; codeLenInByte = 8896
; TotalNumSgprs: 106
; NumVgprs: 51
; NumAgprs: 0
; TotalNumVgprs: 51
; ScratchSize: 0
; MemoryBound: 0
; FloatMode: 240
; IeeeMode: 1
; LDSByteSize: 4112 bytes/workgroup (compile time only)
; SGPRBlocks: 13
; VGPRBlocks: 6
; NumSGPRsForWavesPerEU: 106
; NumVGPRsForWavesPerEU: 51
; AccumOffset: 52
; Occupancy: 7
; WaveLimiterHint : 1
; COMPUTE_PGM_RSRC2:SCRATCH_EN: 0
; COMPUTE_PGM_RSRC2:USER_SGPR: 2
; COMPUTE_PGM_RSRC2:TRAP_HANDLER: 0
; COMPUTE_PGM_RSRC2:TGID_X_EN: 1
; COMPUTE_PGM_RSRC2:TGID_Y_EN: 1
; COMPUTE_PGM_RSRC2:TGID_Z_EN: 1
; COMPUTE_PGM_RSRC2:TIDIG_COMP_CNT: 0
; COMPUTE_PGM_RSRC3_GFX90A:ACCUM_OFFSET: 12
; COMPUTE_PGM_RSRC3_GFX90A:TG_SPLIT: 0
	.section	.text._ZN2at6native12_GLOBAL__N_114gatherKthValueIhiLi2EEEvNS_4cuda6detail10TensorInfoIKT_T0_EES8_S8_S8_S8_NS5_IS6_S8_EENS5_IlS8_EE,"axG",@progbits,_ZN2at6native12_GLOBAL__N_114gatherKthValueIhiLi2EEEvNS_4cuda6detail10TensorInfoIKT_T0_EES8_S8_S8_S8_NS5_IS6_S8_EENS5_IlS8_EE,comdat
	.globl	_ZN2at6native12_GLOBAL__N_114gatherKthValueIhiLi2EEEvNS_4cuda6detail10TensorInfoIKT_T0_EES8_S8_S8_S8_NS5_IS6_S8_EENS5_IlS8_EE ; -- Begin function _ZN2at6native12_GLOBAL__N_114gatherKthValueIhiLi2EEEvNS_4cuda6detail10TensorInfoIKT_T0_EES8_S8_S8_S8_NS5_IS6_S8_EENS5_IlS8_EE
	.p2align	8
	.type	_ZN2at6native12_GLOBAL__N_114gatherKthValueIhiLi2EEEvNS_4cuda6detail10TensorInfoIKT_T0_EES8_S8_S8_S8_NS5_IS6_S8_EENS5_IlS8_EE,@function
_ZN2at6native12_GLOBAL__N_114gatherKthValueIhiLi2EEEvNS_4cuda6detail10TensorInfoIKT_T0_EES8_S8_S8_S8_NS5_IS6_S8_EENS5_IlS8_EE: ; @_ZN2at6native12_GLOBAL__N_114gatherKthValueIhiLi2EEEvNS_4cuda6detail10TensorInfoIKT_T0_EES8_S8_S8_S8_NS5_IS6_S8_EENS5_IlS8_EE
; %bb.0:
	s_load_dwordx2 s[12:13], s[0:1], 0x298
	s_load_dwordx4 s[60:63], s[0:1], 0xd8
	s_add_u32 s10, s0, 0x298
	s_addc_u32 s11, s1, 0
	s_waitcnt lgkmcnt(0)
	s_mul_i32 s4, s13, s4
	s_add_i32 s3, s4, s3
	s_mul_i32 s3, s3, s12
	s_add_i32 s18, s3, s2
	s_cmp_ge_i32 s18, s62
	s_cbranch_scc1 .LBB1_237
; %bb.1:
	s_load_dword s3, s[0:1], 0xc
	s_load_dwordx2 s[4:5], s[0:1], 0xe8
                                        ; implicit-def: $vgpr50 : SGPR spill to VGPR lane
                                        ; kill: killed $sgpr0 killed $sgpr1
	s_abs_i32 s21, s18
	s_ashr_i32 s20, s18, 31
	s_load_dword s22, s[0:1], 0xf4
	s_waitcnt lgkmcnt(0)
	s_abs_i32 s13, s3
	v_writelane_b32 v50, s4, 0
	v_cvt_f32_u32_e32 v1, s13
	s_ashr_i32 s14, s3, 31
	v_writelane_b32 v50, s5, 1
	s_load_dwordx2 s[6:7], s[0:1], 0x6c
	s_load_dwordx2 s[4:5], s[0:1], 0x0
	;; [unrolled: 1-line block ×3, first 2 shown]
	v_rcp_iflag_f32_e32 v1, v1
	s_waitcnt lgkmcnt(0)
	v_writelane_b32 v50, s8, 2
	s_nop 1
	v_writelane_b32 v50, s9, 3
	s_load_dword s19, s[0:1], 0x1cc
	s_load_dwordx2 s[8:9], s[0:1], 0x1c0
	v_mul_f32_e32 v1, 0x4f7ffffe, v1
	v_cvt_u32_f32_e32 v1, v1
	s_waitcnt lgkmcnt(0)
	v_writelane_b32 v50, s8, 4
	s_nop 1
	v_writelane_b32 v50, s9, 5
	s_load_dwordx2 s[8:9], s[0:1], 0x154
	v_readfirstlane_b32 s1, v1
	s_sub_i32 s0, 0, s13
	s_mul_i32 s0, s0, s1
	s_mul_hi_u32 s0, s1, s0
	s_waitcnt lgkmcnt(0)
	v_writelane_b32 v50, s8, 6
	s_add_i32 s1, s1, s0
	s_mul_hi_u32 s15, s21, s1
	v_writelane_b32 v50, s9, 7
	s_abs_i32 s9, s22
	v_cvt_f32_u32_e32 v2, s9
	s_abs_i32 s8, s19
	s_sub_i32 s0, 0, s9
	v_writelane_b32 v50, s9, 8
	v_rcp_iflag_f32_e32 v1, v2
	v_cvt_f32_u32_e32 v2, s8
	v_mul_f32_e32 v1, 0x4f7ffffe, v1
	v_cvt_u32_f32_e32 v1, v1
	v_rcp_iflag_f32_e32 v2, v2
	v_readfirstlane_b32 s1, v1
	v_mul_f32_e32 v1, 0x4f7ffffe, v2
	s_mul_i32 s0, s0, s1
	v_cvt_u32_f32_e32 v1, v1
	s_mul_hi_u32 s0, s1, s0
	s_add_i32 s1, s1, s0
	s_mul_hi_u32 s0, s21, s1
	v_writelane_b32 v50, s0, 9
	s_sub_i32 s0, 0, s8
	v_readfirstlane_b32 s1, v1
	s_mul_i32 s0, s0, s1
	s_mul_hi_u32 s0, s1, s0
	s_add_i32 s1, s1, s0
	v_writelane_b32 v50, s8, 10
	s_mul_hi_u32 s0, s21, s1
	v_writelane_b32 v50, s0, 11
	v_cmp_eq_u32_e64 s[0:1], 0, v0
	s_and_saveexec_b64 s[8:9], s[0:1]
; %bb.2:
	v_mov_b32_e32 v2, 0
	v_mov_b32_e32 v3, s60
	;; [unrolled: 1-line block ×3, first 2 shown]
	ds_write_b96 v2, v[2:4] offset:4096
; %bb.3:
	s_or_b64 exec, exec, s[8:9]
	v_writelane_b32 v50, s22, 12
	s_ashr_i32 s8, s22, 31
	v_writelane_b32 v50, s8, 13
	s_mul_i32 s9, s15, s13
	v_writelane_b32 v50, s19, 14
	s_ashr_i32 s8, s19, 31
	s_sub_i32 s9, s21, s9
	v_writelane_b32 v50, s8, 15
	s_xor_b32 s8, s20, s14
	s_add_i32 s14, s15, 1
	s_sub_i32 s16, s9, s13
	s_cmp_ge_u32 s9, s13
	s_cselect_b32 s14, s14, s15
	s_cselect_b32 s9, s16, s9
	s_add_i32 s15, s14, 1
	s_cmp_ge_u32 s9, s13
	s_cselect_b32 s9, s15, s14
	s_xor_b32 s9, s9, s8
	s_sub_i32 s8, s9, s8
	s_mul_i32 s3, s8, s3
	s_sub_i32 s3, s18, s3
	s_mul_i32 s3, s3, s7
	s_waitcnt lgkmcnt(0)
	s_barrier
	s_load_dword s7, s[10:11], 0xc
	s_mul_i32 s6, s8, s6
	s_add_i32 s6, s6, s3
	s_ashr_i32 s3, s6, 31
	s_add_u32 s72, s4, s6
	v_mbcnt_lo_u32_b32 v1, -1, 0
	s_addc_u32 s73, s5, s3
	s_waitcnt lgkmcnt(0)
	s_and_b32 s62, s7, 0xffff
	v_mbcnt_hi_u32_b32 v18, -1, v1
	v_cmp_gt_u32_e32 vcc, 64, v0
	v_cmp_gt_i32_e64 s[4:5], 4, v18
	s_add_i32 s90, s62, -1
	v_writelane_b32 v50, s20, 16
	s_lshl_b32 s89, s62, 2
	s_and_b64 s[76:77], vcc, s[4:5]
	s_add_i32 s91, s90, s60
	v_writelane_b32 v50, s21, 17
	s_cmpk_gt_i32 s60, 0xc00
	v_writelane_b32 v50, s18, 18
	s_cselect_b64 s[78:79], -1, 0
	v_cmp_gt_u32_e64 s[8:9], s60, v0
	s_cmp_gt_u32 s62, 63
	s_cselect_b64 s[80:81], -1, 0
	v_writelane_b32 v50, s8, 19
	s_cmp_lt_u32 s2, s12
	s_cselect_b32 s2, 12, 18
	v_writelane_b32 v50, s9, 20
	v_cmp_gt_i32_e64 s[8:9], s60, v0
	s_add_u32 s2, s10, s2
	s_addc_u32 s3, s11, 0
	v_writelane_b32 v50, s8, 21
	s_bfe_u32 s6, s7, 0xa0006
	v_lshlrev_b64 v[2:3], v18, -1
	v_writelane_b32 v50, s9, 22
	v_writelane_b32 v50, s2, 23
	v_not_b32_e32 v12, v2
	v_lshrrev_b32_e32 v2, 2, v0
	v_writelane_b32 v50, s3, 24
	s_add_i32 s2, s6, -2
	s_lshr_b32 s3, s2, 1
	s_add_i32 s3, s3, 1
	s_cmpk_gt_u32 s62, 0x7f
	v_and_b32_e32 v2, 0xf0, v2
	s_cselect_b64 s[8:9], -1, 0
	v_or_b32_e32 v19, 0xc00, v2
	v_writelane_b32 v50, s8, 25
	v_cvt_f32_u32_e32 v2, s89
	s_and_b32 s7, s6, 0x3fe
	v_writelane_b32 v50, s9, 26
	s_and_b32 s8, s3, 7
	s_cmp_gt_u32 s2, 13
	s_cselect_b64 s[10:11], -1, 0
	v_writelane_b32 v50, s10, 27
	v_rcp_iflag_f32_e32 v2, v2
	s_and_b32 s2, s3, -8
	v_writelane_b32 v50, s11, 28
	v_writelane_b32 v50, s2, 29
	s_cmp_lg_u32 s8, 0
	v_writelane_b32 v50, s8, 30
	s_cselect_b64 s[2:3], -1, 0
	v_writelane_b32 v50, s2, 31
	v_mul_f32_e32 v2, 0x4f7ffffe, v2
	v_cvt_u32_f32_e32 v2, v2
	v_writelane_b32 v50, s3, 32
	v_writelane_b32 v50, s6, 33
	s_cmp_lg_u32 s7, s6
	v_writelane_b32 v50, s7, 34
	s_cselect_b64 s[2:3], -1, 0
	v_writelane_b32 v50, s2, 35
	v_not_b32_e32 v1, v3
	v_cvt_f32_u32_e32 v3, s62
	v_writelane_b32 v50, s3, 36
	s_sub_i32 s2, 0, s89
	v_readfirstlane_b32 s3, v2
	s_mul_i32 s2, s2, s3
	s_mul_hi_u32 s2, s3, s2
	s_add_i32 s74, s3, s2
	s_mul_hi_u32 s2, s60, s74
	s_mul_i32 s2, s2, s89
	s_sub_i32 s2, s60, s2
	s_sub_i32 s3, s2, s89
	s_cmp_ge_u32 s2, s89
	s_cselect_b32 s2, s3, s2
	s_sub_i32 s3, s2, s89
	s_cmp_ge_u32 s2, s89
	s_cselect_b32 s2, s3, s2
	s_sub_i32 s75, s60, s2
	v_rcp_iflag_f32_e32 v5, v3
	v_add_u32_e32 v20, s75, v0
	v_mul_lo_u32 v2, v20, s63
	v_ashrrev_i32_e32 v3, 31, v2
	v_lshl_add_u64 v[14:15], s[72:73], 0, v[2:3]
	v_mul_f32_e32 v2, 0x4f7ffffe, v5
	v_cvt_u32_f32_e32 v2, v2
	s_sub_i32 s7, 0, s62
	s_abs_i32 s6, s91
	s_ashr_i32 s3, s91, 31
	v_readfirstlane_b32 s8, v2
	s_mul_i32 s7, s7, s8
	s_mul_hi_u32 s7, s8, s7
	s_add_i32 s33, s8, s7
	s_mul_hi_u32 s7, s6, s33
	s_mul_i32 s7, s7, s62
	s_sub_i32 s6, s6, s7
	s_sub_i32 s7, s6, s62
	s_cmp_ge_u32 s6, s62
	s_cselect_b32 s6, s7, s6
	s_sub_i32 s7, s6, s62
	s_cmp_ge_u32 s6, s62
	v_lshlrev_b32_e32 v13, 2, v0
	s_cselect_b32 s6, s7, s6
	s_xor_b32 s6, s6, s3
	v_mul_lo_u32 v2, s63, v13
	s_sub_i32 s3, s3, s6
	v_add_u32_e32 v21, s63, v2
	v_or_b32_e32 v2, 2, v13
	s_add_i32 s91, s91, s3
	v_mul_lo_u32 v22, s63, v2
	v_or_b32_e32 v2, 3, v13
	s_add_i32 s3, s62, s60
	v_mov_b32_e32 v8, 0
	v_mul_lo_u32 v24, s63, v2
	v_add_u32_e32 v2, s3, v0
	s_mov_b32 s20, 0
	s_mov_b32 s21, 1
	v_mul_lo_u32 v6, s63, v0
	v_mov_b32_e32 v7, v8
	v_lshlrev_b32_e32 v4, 2, v18
	s_mul_i32 s88, s63, s62
	v_subrev_u32_e32 v2, s2, v2
	v_cmp_eq_u32_e64 s[18:19], 0, v18
	v_cmp_gt_u32_e64 s[4:5], 2, v0
	v_lshl_add_u64 v[10:11], s[72:73], 0, v[6:7]
	v_and_b32_e32 v7, 0x100, v4
	v_cmp_gt_i32_e64 s[10:11], s75, v13
	v_cmp_gt_u32_e64 s[12:13], s60, v20
	v_cmp_gt_i32_e64 s[14:15], s60, v20
	v_cmp_gt_i32_e64 s[16:17], s91, v0
	s_lshl_b32 s6, s88, 2
	v_lshlrev_b32_e32 v25, 2, v6
	v_mul_lo_u32 v26, s63, v2
	v_or_b32_e32 v27, 0xc00, v4
	s_mov_b64 s[92:93], 0
	v_mov_b32_e32 v29, 6
	v_mov_b32_e32 v33, s61
	s_movk_i32 s7, 0xff
	v_mov_b32_e32 v35, s60
	v_mov_b32_e32 v28, 0xc00
	;; [unrolled: 1-line block ×6, first 2 shown]
	v_writelane_b32 v50, s20, 37
	s_mov_b32 s61, s20
                                        ; implicit-def: $sgpr94_sgpr95
                                        ; implicit-def: $sgpr98_sgpr99
                                        ; implicit-def: $sgpr96_sgpr97
                                        ; implicit-def: $sgpr66_sgpr67
                                        ; implicit-def: $sgpr68_sgpr69
                                        ; implicit-def: $sgpr64_sgpr65
	s_nop 0
	v_writelane_b32 v50, s21, 38
	s_branch .LBB1_7
.LBB1_4:                                ;   in Loop: Header=BB1_7 Depth=1
	s_or_b64 exec, exec, s[30:31]
	s_and_b64 s[30:31], s[28:29], exec
	s_andn2_b64 s[26:27], s[26:27], exec
	s_andn2_b64 s[24:25], s[24:25], exec
	s_orn2_b64 s[20:21], s[20:21], exec
.LBB1_5:                                ;   in Loop: Header=BB1_7 Depth=1
	s_or_b64 exec, exec, s[22:23]
	s_andn2_b64 s[8:9], s[64:65], exec
	s_and_b64 s[22:23], s[30:31], exec
	s_or_b64 s[64:65], s[8:9], s[22:23]
	s_andn2_b64 s[8:9], s[68:69], exec
	s_and_b64 s[22:23], s[26:27], exec
	s_or_b64 s[68:69], s[8:9], s[22:23]
	;; [unrolled: 3-line block ×3, first 2 shown]
	s_orn2_b64 s[20:21], s[20:21], exec
.LBB1_6:                                ;   in Loop: Header=BB1_7 Depth=1
	s_or_b64 exec, exec, s[2:3]
	s_and_b64 s[2:3], exec, s[20:21]
	s_or_b64 s[92:93], s[2:3], s[92:93]
	s_andn2_b64 s[2:3], s[96:97], exec
	s_and_b64 s[8:9], s[64:65], exec
	s_or_b64 s[96:97], s[2:3], s[8:9]
	s_andn2_b64 s[2:3], s[98:99], exec
	s_and_b64 s[8:9], s[68:69], exec
	;; [unrolled: 3-line block ×3, first 2 shown]
	s_or_b64 s[94:95], s[2:3], s[8:9]
	s_mov_b32 s61, s34
	v_mov_b32_e32 v33, v16
	s_andn2_b64 exec, exec, s[92:93]
	s_cbranch_execz .LBB1_233
.LBB1_7:                                ; =>This Loop Header: Depth=1
                                        ;     Child Loop BB1_12 Depth 2
                                        ;     Child Loop BB1_27 Depth 2
	;; [unrolled: 1-line block ×17, first 2 shown]
	ds_read_b64 v[2:3], v8 offset:4096
	s_waitcnt lgkmcnt(0)
	v_readfirstlane_b32 s8, v2
	s_cmp_gt_i32 s8, 0
	s_cbranch_scc1 .LBB1_34
; %bb.8:                                ;   in Loop: Header=BB1_7 Depth=1
	s_and_b64 vcc, exec, s[78:79]
	s_cbranch_vccz .LBB1_20
; %bb.9:                                ;   in Loop: Header=BB1_7 Depth=1
	s_movk_i32 s2, 0xc01
	v_cmp_gt_i32_e32 vcc, s2, v3
	s_mov_b64 s[20:21], 0
	s_mov_b64 s[2:3], 0
	s_cbranch_vccz .LBB1_21
; %bb.10:                               ;   in Loop: Header=BB1_7 Depth=1
	v_readlane_b32 s2, v50, 23
	v_readlane_b32 s3, v50, 24
	s_nop 4
	global_load_ushort v2, v8, s[2:3]
	global_load_ubyte v5, v[10:11], off
	s_mov_b64 s[22:23], 0
	v_mov_b32_e32 v9, v0
	s_waitcnt vmcnt(1)
	v_add_u32_e32 v4, v0, v2
	v_mul_lo_u32 v3, s63, v2
	v_mul_lo_u32 v4, s63, v4
	s_branch .LBB1_12
.LBB1_11:                               ;   in Loop: Header=BB1_12 Depth=2
	s_or_b64 exec, exec, s[2:3]
	v_cmp_le_i32_e32 vcc, s60, v9
	v_add_u32_e32 v4, v4, v3
	s_or_b64 s[22:23], vcc, s[22:23]
	v_mov_b32_e32 v5, v16
	s_andn2_b64 exec, exec, s[22:23]
	s_cbranch_execz .LBB1_66
.LBB1_12:                               ;   Parent Loop BB1_7 Depth=1
                                        ; =>  This Inner Loop Header: Depth=2
	v_add_u32_e32 v9, v9, v2
	v_cmp_gt_u32_e32 vcc, s60, v9
	s_waitcnt lgkmcnt(0)
	v_mov_b32_e32 v17, 0
	v_mov_b32_e32 v16, 0
	s_and_saveexec_b64 s[2:3], vcc
	s_cbranch_execz .LBB1_14
; %bb.13:                               ;   in Loop: Header=BB1_12 Depth=2
	global_load_ubyte v16, v4, s[72:73]
.LBB1_14:                               ;   in Loop: Header=BB1_12 Depth=2
	s_or_b64 exec, exec, s[2:3]
	s_waitcnt vmcnt(0)
	v_bitop3_b32 v34, v5, s7, v31 bitop3:0x80
	v_cmp_eq_u32_e32 vcc, v34, v23
	s_cmp_lg_u64 vcc, 0
	s_cselect_b64 s[2:3], -1, 0
	s_and_b64 s[2:3], s[18:19], s[2:3]
	s_and_saveexec_b64 s[24:25], s[2:3]
	s_cbranch_execz .LBB1_18
; %bb.15:                               ;   in Loop: Header=BB1_12 Depth=2
	s_mov_b64 s[28:29], exec
	v_mbcnt_lo_u32_b32 v17, s28, 0
	v_mbcnt_hi_u32_b32 v17, s29, v17
	s_bcnt1_i32_b64 s9, vcc
	v_cmp_eq_u32_e64 s[2:3], 0, v17
                                        ; implicit-def: $vgpr34
	s_and_saveexec_b64 s[26:27], s[2:3]
; %bb.16:                               ;   in Loop: Header=BB1_12 Depth=2
	s_bcnt1_i32_b64 s2, s[28:29]
	s_mul_i32 s2, s9, s2
	v_mov_b32_e32 v34, s2
	ds_add_rtn_u32 v34, v8, v34 offset:4104
; %bb.17:                               ;   in Loop: Header=BB1_12 Depth=2
	s_or_b64 exec, exec, s[26:27]
	s_waitcnt lgkmcnt(0)
	v_readfirstlane_b32 s2, v34
	s_nop 1
	v_mov_b32_e32 v34, s2
	v_mad_u32_u24 v17, s9, v17, v34
.LBB1_18:                               ;   in Loop: Header=BB1_12 Depth=2
	s_or_b64 exec, exec, s[24:25]
	ds_bpermute_b32 v17, v7, v17
	s_and_saveexec_b64 s[2:3], vcc
	s_cbranch_execz .LBB1_11
; %bb.19:                               ;   in Loop: Header=BB1_12 Depth=2
	v_and_b32_e32 v36, vcc_lo, v12
	v_and_b32_e32 v34, vcc_hi, v1
	v_bcnt_u32_b32 v36, v36, 0
	v_bcnt_u32_b32 v34, v34, v36
	s_waitcnt lgkmcnt(0)
	v_add_u32_e32 v17, v17, v34
	ds_write_b8 v17, v5
	s_branch .LBB1_11
.LBB1_20:                               ;   in Loop: Header=BB1_7 Depth=1
	s_mov_b64 s[20:21], -1
	s_mov_b64 s[2:3], 0
.LBB1_21:                               ;   in Loop: Header=BB1_7 Depth=1
	s_and_b64 vcc, exec, s[20:21]
	s_cbranch_vccz .LBB1_32
.LBB1_22:                               ;   in Loop: Header=BB1_7 Depth=1
	v_mov_b32_e32 v2, 0
	s_mov_b64 s[2:3], exec
	v_readlane_b32 s20, v50, 19
	v_readlane_b32 s21, v50, 20
	s_and_b64 s[20:21], s[2:3], s[20:21]
	s_mov_b64 exec, s[20:21]
	s_cbranch_execz .LBB1_24
; %bb.23:                               ;   in Loop: Header=BB1_7 Depth=1
	global_load_ubyte v2, v[10:11], off
.LBB1_24:                               ;   in Loop: Header=BB1_7 Depth=1
	s_or_b64 exec, exec, s[2:3]
	s_mov_b64 s[2:3], exec
	v_readlane_b32 s20, v50, 21
	v_readlane_b32 s21, v50, 22
	s_and_b64 s[20:21], s[2:3], s[20:21]
	s_mov_b64 exec, s[20:21]
	s_cbranch_execz .LBB1_29
; %bb.25:                               ;   in Loop: Header=BB1_7 Depth=1
	v_readlane_b32 s20, v50, 23
	v_readlane_b32 s21, v50, 24
	v_mov_b32_e32 v9, v0
	s_nop 3
	global_load_ushort v3, v8, s[20:21]
	s_mov_b64 s[20:21], 0
	s_waitcnt vmcnt(0)
	v_add_u32_e32 v5, v0, v3
	v_mul_lo_u32 v4, s63, v3
	v_mul_lo_u32 v5, s63, v5
	s_branch .LBB1_27
.LBB1_26:                               ;   in Loop: Header=BB1_27 Depth=2
	s_or_b64 exec, exec, s[22:23]
	v_cmp_le_i32_e32 vcc, s60, v16
	ds_write_b8 v9, v2
	v_add_u32_e32 v5, v5, v4
	s_or_b64 s[20:21], vcc, s[20:21]
	s_waitcnt vmcnt(0)
	v_mov_b32_e32 v2, v17
	v_mov_b32_e32 v9, v16
	s_andn2_b64 exec, exec, s[20:21]
	s_cbranch_execz .LBB1_29
.LBB1_27:                               ;   Parent Loop BB1_7 Depth=1
                                        ; =>  This Inner Loop Header: Depth=2
	v_add_u32_e32 v16, v9, v3
	v_cmp_gt_u32_e32 vcc, s60, v16
	v_mov_b32_e32 v17, 0
	s_and_saveexec_b64 s[22:23], vcc
	s_cbranch_execz .LBB1_26
; %bb.28:                               ;   in Loop: Header=BB1_27 Depth=2
	global_load_ubyte v17, v5, s[72:73]
	s_branch .LBB1_26
.LBB1_29:                               ;   in Loop: Header=BB1_7 Depth=1
	s_or_b64 exec, exec, s[2:3]
	s_waitcnt lgkmcnt(0)
	s_barrier
	s_and_saveexec_b64 s[2:3], s[0:1]
; %bb.30:                               ;   in Loop: Header=BB1_7 Depth=1
	ds_write_b32 v8, v35 offset:4096
; %bb.31:                               ;   in Loop: Header=BB1_7 Depth=1
	s_or_b64 exec, exec, s[2:3]
	s_mov_b64 s[2:3], -1
	s_waitcnt lgkmcnt(0)
	s_barrier
.LBB1_32:                               ;   in Loop: Header=BB1_7 Depth=1
	s_and_b64 vcc, exec, s[2:3]
	s_cbranch_vccz .LBB1_34
; %bb.33:                               ;   in Loop: Header=BB1_7 Depth=1
	s_waitcnt vmcnt(0)
	ds_read_b32 v2, v8 offset:4096
	s_waitcnt lgkmcnt(0)
	v_readfirstlane_b32 s8, v2
.LBB1_34:                               ;   in Loop: Header=BB1_7 Depth=1
	s_cmp_lt_i32 s8, 1
	s_mov_b64 s[2:3], -1
                                        ; implicit-def: $vgpr5
	s_cbranch_scc1 .LBB1_44
; %bb.35:                               ;   in Loop: Header=BB1_7 Depth=1
	s_and_b64 vcc, exec, s[2:3]
	s_cbranch_vccnz .LBB1_57
.LBB1_36:                               ;   in Loop: Header=BB1_7 Depth=1
	s_lshl_b32 s8, s61, 6
	s_and_saveexec_b64 s[2:3], s[18:19]
	s_cbranch_execz .LBB1_38
.LBB1_37:                               ;   in Loop: Header=BB1_7 Depth=1
	v_lshl_add_u32 v9, s8, 2, v19
	s_waitcnt vmcnt(0)
	ds_write_b128 v9, v[2:5]
.LBB1_38:                               ;   in Loop: Header=BB1_7 Depth=1
	s_or_b64 exec, exec, s[2:3]
	s_waitcnt lgkmcnt(0)
	s_barrier
	s_and_saveexec_b64 s[2:3], s[76:77]
	s_cbranch_execz .LBB1_77
; %bb.39:                               ;   in Loop: Header=BB1_7 Depth=1
	v_add_u32_e32 v4, s8, v18
	s_andn2_b64 vcc, exec, s[80:81]
	s_waitcnt vmcnt(0)
	v_mov_b32_e32 v2, 0
	s_cbranch_vccnz .LBB1_76
; %bb.40:                               ;   in Loop: Header=BB1_7 Depth=1
	v_readlane_b32 s20, v50, 25
	v_readlane_b32 s21, v50, 26
	s_andn2_b64 vcc, exec, s[20:21]
	s_cbranch_vccnz .LBB1_69
; %bb.41:                               ;   in Loop: Header=BB1_7 Depth=1
	v_readlane_b32 s20, v50, 27
	v_readlane_b32 s21, v50, 28
	s_andn2_b64 vcc, exec, s[20:21]
	v_lshl_add_u32 v5, v4, 2, v28
	s_cbranch_vccnz .LBB1_70
; %bb.42:                               ;   in Loop: Header=BB1_7 Depth=1
	s_mov_b32 s21, 1
	s_mov_b32 s20, 0
	v_mov_b32_e32 v2, 0
	v_mov_b32_e32 v3, 0
	v_readlane_b32 s9, v50, 29
.LBB1_43:                               ;   Parent Loop BB1_7 Depth=1
                                        ; =>  This Inner Loop Header: Depth=2
	v_lshl_add_u32 v9, s20, 4, v5
	v_lshl_add_u32 v34, s21, 4, v5
	ds_read2_b32 v[16:17], v9 offset1:8
	ds_read2_b32 v[36:37], v34 offset1:8
	ds_read2_b32 v[38:39], v9 offset0:16 offset1:24
	ds_read2_b32 v[40:41], v34 offset0:16 offset1:24
	ds_read2_b32 v[42:43], v9 offset0:32 offset1:40
	ds_read2_b32 v[44:45], v34 offset0:32 offset1:40
	ds_read2_b32 v[46:47], v9 offset0:48 offset1:56
	ds_read2_b32 v[48:49], v34 offset0:48 offset1:56
	s_waitcnt lgkmcnt(7)
	v_add3_u32 v2, v16, v2, v17
	s_waitcnt lgkmcnt(6)
	v_add3_u32 v3, v36, v3, v37
	;; [unrolled: 2-line block ×3, first 2 shown]
	v_add3_u32 v2, v38, v2, v39
	s_add_i32 s21, s21, 16
	s_add_i32 s20, s20, 16
	s_add_i32 s9, s9, -8
	s_waitcnt lgkmcnt(3)
	v_add3_u32 v2, v42, v2, v43
	s_waitcnt lgkmcnt(2)
	v_add3_u32 v3, v44, v3, v45
	s_cmp_lg_u32 s9, 0
	s_waitcnt lgkmcnt(0)
	v_add3_u32 v3, v48, v3, v49
	v_add3_u32 v2, v46, v2, v47
	s_cbranch_scc1 .LBB1_43
	s_branch .LBB1_71
.LBB1_44:                               ;   in Loop: Header=BB1_7 Depth=1
	s_waitcnt vmcnt(0)
	v_mov_b32_e32 v2, 0
	v_mov_b32_e32 v3, 0
	;; [unrolled: 1-line block ×4, first 2 shown]
	s_and_saveexec_b64 s[70:71], s[10:11]
	s_cbranch_execnz .LBB1_47
; %bb.45:                               ;   in Loop: Header=BB1_7 Depth=1
	s_or_b64 exec, exec, s[70:71]
	v_mov_b32_e32 v34, 0
	s_and_saveexec_b64 s[2:3], s[12:13]
	s_cbranch_execnz .LBB1_50
.LBB1_46:                               ;   in Loop: Header=BB1_7 Depth=1
	s_or_b64 exec, exec, s[2:3]
	s_and_saveexec_b64 s[20:21], s[14:15]
	s_cbranch_execnz .LBB1_51
	s_branch .LBB1_56
.LBB1_47:                               ;   in Loop: Header=BB1_7 Depth=1
	s_mov_b32 s9, 0
	s_mov_b64 s[86:87], 0
	s_mov_b32 s84, 0
	s_mov_b32 s85, 0
	;; [unrolled: 1-line block ×4, first 2 shown]
	v_mov_b32_e32 v9, v13
.LBB1_48:                               ;   Parent Loop BB1_7 Depth=1
                                        ; =>  This Inner Loop Header: Depth=2
	v_add_u32_e32 v2, s9, v25
	v_add_u32_e32 v4, s9, v21
	;; [unrolled: 1-line block ×4, first 2 shown]
	v_ashrrev_i32_e32 v3, 31, v2
	v_ashrrev_i32_e32 v5, 31, v4
	;; [unrolled: 1-line block ×4, first 2 shown]
	v_lshl_add_u64 v[2:3], s[72:73], 0, v[2:3]
	v_lshl_add_u64 v[4:5], s[72:73], 0, v[4:5]
	;; [unrolled: 1-line block ×4, first 2 shown]
	global_load_ubyte v2, v[2:3], off
	s_nop 0
	global_load_ubyte v3, v[4:5], off
	s_nop 0
	global_load_ubyte v4, v[16:17], off
	global_load_ubyte v5, v[36:37], off
	v_add_u32_e32 v9, s89, v9
	s_add_i32 s9, s9, s6
	v_cmp_le_i32_e32 vcc, s75, v9
	s_waitcnt vmcnt(3)
	v_and_b32_e32 v16, v31, v2
	v_bfe_u32 v2, v2, v29, 2
	s_waitcnt vmcnt(2)
	v_and_b32_e32 v17, v31, v3
	v_bfe_u32 v3, v3, v29, 2
	v_cmp_eq_u32_e64 s[2:3], v16, v23
	v_cmp_eq_u32_e64 s[26:27], 0, v2
	s_waitcnt vmcnt(1)
	v_and_b32_e32 v34, v31, v4
	v_bfe_u32 v4, v4, v29, 2
	v_cmp_eq_u32_e64 s[20:21], v17, v23
	v_cmp_eq_u32_e64 s[28:29], 0, v3
	s_and_b64 s[26:27], s[2:3], s[26:27]
	s_waitcnt vmcnt(0)
	v_and_b32_e32 v36, v31, v5
	v_bfe_u32 v5, v5, v29, 2
	v_cmp_eq_u32_e64 s[22:23], v34, v23
	v_cmp_eq_u32_e64 s[30:31], 0, v4
	;; [unrolled: 1-line block ×5, first 2 shown]
	v_cndmask_b32_e64 v2, 0, 1, s[26:27]
	s_and_b64 s[26:27], s[20:21], s[28:29]
	v_cmp_eq_u32_e64 s[24:25], v36, v23
	v_cmp_eq_u32_e64 s[34:35], 0, v5
	;; [unrolled: 1-line block ×5, first 2 shown]
	v_cndmask_b32_e64 v3, 0, 1, s[26:27]
	s_and_b64 s[26:27], s[22:23], s[30:31]
	v_cmp_eq_u32_e64 s[40:41], 1, v4
	v_cmp_eq_u32_e64 s[48:49], 2, v4
	;; [unrolled: 1-line block ×3, first 2 shown]
	v_cndmask_b32_e64 v4, 0, 1, s[26:27]
	s_and_b64 s[26:27], s[24:25], s[34:35]
	v_cmp_eq_u32_e64 s[42:43], 1, v5
	v_cmp_eq_u32_e64 s[50:51], 2, v5
	;; [unrolled: 1-line block ×3, first 2 shown]
	v_cndmask_b32_e64 v5, 0, 1, s[26:27]
	s_and_b64 s[26:27], s[2:3], s[36:37]
	v_cndmask_b32_e64 v16, 0, 1, s[26:27]
	s_and_b64 s[26:27], s[20:21], s[38:39]
	;; [unrolled: 2-line block ×5, first 2 shown]
	s_and_b64 s[2:3], s[2:3], s[52:53]
	v_cndmask_b32_e64 v37, 0, 1, s[26:27]
	s_and_b64 s[26:27], s[20:21], s[46:47]
	v_cndmask_b32_e64 v41, 0, 1, s[2:3]
	;; [unrolled: 2-line block ×7, first 2 shown]
	v_cndmask_b32_e64 v44, 0, 1, s[2:3]
	v_cmp_ne_u32_e64 s[2:3], 0, v2
	v_cmp_ne_u32_e64 s[20:21], 0, v3
	;; [unrolled: 1-line block ×11, first 2 shown]
	s_bcnt1_i32_b64 s2, s[2:3]
	s_bcnt1_i32_b64 s3, s[20:21]
	;; [unrolled: 1-line block ×8, first 2 shown]
	v_cmp_ne_u32_e64 s[34:35], 0, v36
	v_cmp_ne_u32_e64 s[40:41], 0, v39
	;; [unrolled: 1-line block ×3, first 2 shown]
	s_bcnt1_i32_b64 s23, s[28:29]
	s_bcnt1_i32_b64 s27, s[38:39]
	;; [unrolled: 1-line block ×3, first 2 shown]
	s_add_i32 s2, s83, s2
	s_add_i32 s22, s82, s22
	;; [unrolled: 1-line block ×4, first 2 shown]
	v_cmp_ne_u32_e64 s[42:43], 0, v40
	v_cmp_ne_u32_e64 s[50:51], 0, v44
	s_bcnt1_i32_b64 s25, s[34:35]
	s_bcnt1_i32_b64 s28, s[40:41]
	;; [unrolled: 1-line block ×3, first 2 shown]
	s_add_i32 s2, s2, s3
	s_add_i32 s3, s22, s23
	;; [unrolled: 1-line block ×4, first 2 shown]
	s_bcnt1_i32_b64 s29, s[42:43]
	s_bcnt1_i32_b64 s35, s[50:51]
	s_add_i32 s2, s2, s20
	s_add_i32 s3, s3, s24
	s_add_i32 s20, s22, s28
	s_add_i32 s22, s23, s34
	s_add_i32 s83, s2, s21
	s_add_i32 s82, s3, s25
	s_add_i32 s85, s20, s29
	s_add_i32 s84, s22, s35
	s_or_b64 s[86:87], vcc, s[86:87]
	v_mov_b32_e32 v2, s83
	v_mov_b32_e32 v3, s82
	v_mov_b32_e32 v4, s85
	v_mov_b32_e32 v5, s84
	s_andn2_b64 exec, exec, s[86:87]
	s_cbranch_execnz .LBB1_48
; %bb.49:                               ;   in Loop: Header=BB1_7 Depth=1
	s_or_b64 exec, exec, s[86:87]
	s_or_b64 exec, exec, s[70:71]
	v_mov_b32_e32 v34, 0
	s_and_saveexec_b64 s[2:3], s[12:13]
	s_cbranch_execz .LBB1_46
.LBB1_50:                               ;   in Loop: Header=BB1_7 Depth=1
	global_load_ubyte v34, v[14:15], off
	s_or_b64 exec, exec, s[2:3]
	s_and_saveexec_b64 s[20:21], s[14:15]
	s_cbranch_execz .LBB1_56
.LBB1_51:                               ;   in Loop: Header=BB1_7 Depth=1
	s_mov_b64 s[22:23], 0
	v_mov_b32_e32 v16, v26
	v_mov_b32_e32 v9, v20
	s_branch .LBB1_53
.LBB1_52:                               ;   in Loop: Header=BB1_53 Depth=2
	s_or_b64 exec, exec, s[2:3]
	s_waitcnt vmcnt(0)
	v_and_b32_e32 v36, 0xff, v34
	v_bitop3_b32 v34, v31, v34, s7 bitop3:0x80
	v_cmp_eq_u32_e32 vcc, v34, v23
	v_bfe_u32 v34, v36, v29, 2
	v_cmp_eq_u32_e64 s[2:3], 0, v34
	s_and_b64 s[2:3], vcc, s[2:3]
	v_add_u32_e32 v16, s88, v16
	v_cndmask_b32_e64 v36, 0, 1, s[2:3]
	v_cmp_ne_u32_e64 s[2:3], 0, v36
	s_bcnt1_i32_b64 s2, s[2:3]
	s_nop 0
	v_add_u32_e32 v2, s2, v2
	v_cmp_eq_u32_e64 s[2:3], 1, v34
	s_and_b64 s[2:3], vcc, s[2:3]
	s_nop 0
	v_cndmask_b32_e64 v36, 0, 1, s[2:3]
	v_cmp_ne_u32_e64 s[2:3], 0, v36
	s_bcnt1_i32_b64 s2, s[2:3]
	s_nop 0
	v_add_u32_e32 v3, s2, v3
	v_cmp_eq_u32_e64 s[2:3], 2, v34
	s_and_b64 s[2:3], vcc, s[2:3]
	s_nop 0
	;; [unrolled: 8-line block ×3, first 2 shown]
	v_cndmask_b32_e64 v34, 0, 1, s[2:3]
	v_cmp_ne_u32_e32 vcc, 0, v34
	s_bcnt1_i32_b64 s2, vcc
	v_cmp_le_i32_e32 vcc, s60, v9
	v_add_u32_e32 v5, s2, v5
	s_or_b64 s[22:23], vcc, s[22:23]
	v_mov_b32_e32 v34, v17
	s_andn2_b64 exec, exec, s[22:23]
	s_cbranch_execz .LBB1_55
.LBB1_53:                               ;   Parent Loop BB1_7 Depth=1
                                        ; =>  This Inner Loop Header: Depth=2
	v_add_u32_e32 v9, s62, v9
	v_cmp_gt_u32_e32 vcc, s60, v9
	v_mov_b32_e32 v17, 0
	s_and_saveexec_b64 s[2:3], vcc
	s_cbranch_execz .LBB1_52
; %bb.54:                               ;   in Loop: Header=BB1_53 Depth=2
	v_ashrrev_i32_e32 v17, 31, v16
	v_lshl_add_u64 v[36:37], s[72:73], 0, v[16:17]
	global_load_ubyte v17, v[36:37], off
	s_branch .LBB1_52
.LBB1_55:                               ;   in Loop: Header=BB1_7 Depth=1
	s_or_b64 exec, exec, s[22:23]
.LBB1_56:                               ;   in Loop: Header=BB1_7 Depth=1
	s_or_b64 exec, exec, s[20:21]
	s_branch .LBB1_36
.LBB1_57:                               ;   in Loop: Header=BB1_7 Depth=1
	s_mul_hi_u32 s2, s8, s74
	s_mul_i32 s2, s2, s89
	s_sub_i32 s2, s8, s2
	s_sub_i32 s3, s2, s89
	s_cmp_ge_u32 s2, s89
	s_cselect_b32 s2, s3, s2
	s_sub_i32 s3, s2, s89
	s_cmp_ge_u32 s2, s89
	s_cselect_b32 s2, s3, s2
	s_sub_i32 s9, s8, s2
	v_cmp_gt_u32_e32 vcc, s9, v13
	s_waitcnt vmcnt(0)
	v_mov_b32_e32 v2, 0
	v_mov_b32_e32 v3, 0
	;; [unrolled: 1-line block ×4, first 2 shown]
	s_and_saveexec_b64 s[70:71], vcc
	s_cbranch_execz .LBB1_61
; %bb.58:                               ;   in Loop: Header=BB1_7 Depth=1
	s_mov_b32 s82, 0
	s_mov_b64 s[86:87], 0
	s_mov_b32 s83, 0
	s_mov_b32 s84, 0
	;; [unrolled: 1-line block ×3, first 2 shown]
	v_mov_b32_e32 v9, v13
.LBB1_59:                               ;   Parent Loop BB1_7 Depth=1
                                        ; =>  This Inner Loop Header: Depth=2
	ds_read_b32 v2, v9
	v_add_u32_e32 v9, s89, v9
	v_cmp_le_i32_e32 vcc, s9, v9
	s_waitcnt lgkmcnt(0)
	v_and_b32_e32 v16, 0xff, v2
	v_lshrrev_b32_e32 v3, 16, v2
	v_lshrrev_b32_e32 v4, 8, v2
	;; [unrolled: 1-line block ×3, first 2 shown]
	v_bfe_u32 v17, v2, 8, 8
	v_bfe_u32 v34, v2, 16, 8
	v_bitop3_b32 v2, v31, v2, s7 bitop3:0x80
	v_bfe_u32 v16, v16, v29, 2
	v_cmp_eq_u32_e64 s[2:3], v2, v23
	v_bitop3_b32 v2, v31, v4, s7 bitop3:0x80
	v_bfe_u32 v17, v17, v29, 2
	v_cmp_eq_u32_e64 s[26:27], 0, v16
	;; [unrolled: 3-line block ×3, first 2 shown]
	v_cmp_eq_u32_e64 s[28:29], 0, v17
	s_and_b64 s[26:27], s[2:3], s[26:27]
	v_and_b32_e32 v4, v31, v5
	v_bfe_u32 v5, v5, v29, 2
	v_cmp_eq_u32_e64 s[22:23], v3, v23
	v_cmp_eq_u32_e64 s[30:31], 0, v34
	v_cndmask_b32_e64 v2, 0, 1, s[26:27]
	s_and_b64 s[26:27], s[20:21], s[28:29]
	v_cmp_eq_u32_e64 s[24:25], v4, v23
	v_cmp_eq_u32_e64 s[34:35], 0, v5
	v_cndmask_b32_e64 v3, 0, 1, s[26:27]
	s_and_b64 s[26:27], s[22:23], s[30:31]
	v_cmp_eq_u32_e64 s[36:37], 1, v16
	v_cndmask_b32_e64 v4, 0, 1, s[26:27]
	s_and_b64 s[26:27], s[24:25], s[34:35]
	v_cmp_eq_u32_e64 s[38:39], 1, v17
	v_cmp_eq_u32_e64 s[42:43], 1, v5
	;; [unrolled: 1-line block ×4, first 2 shown]
	v_cndmask_b32_e64 v5, 0, 1, s[26:27]
	s_and_b64 s[26:27], s[2:3], s[36:37]
	v_cmp_eq_u32_e64 s[40:41], 1, v34
	v_cmp_eq_u32_e64 s[44:45], 2, v16
	;; [unrolled: 1-line block ×3, first 2 shown]
	v_cndmask_b32_e64 v16, 0, 1, s[26:27]
	s_and_b64 s[26:27], s[20:21], s[38:39]
	v_cmp_eq_u32_e64 s[46:47], 2, v17
	v_cmp_eq_u32_e64 s[54:55], 3, v17
	v_cndmask_b32_e64 v17, 0, 1, s[26:27]
	s_and_b64 s[26:27], s[22:23], s[40:41]
	v_cmp_eq_u32_e64 s[48:49], 2, v34
	v_cmp_eq_u32_e64 s[56:57], 3, v34
	v_cndmask_b32_e64 v34, 0, 1, s[26:27]
	s_and_b64 s[26:27], s[24:25], s[42:43]
	v_cndmask_b32_e64 v36, 0, 1, s[26:27]
	s_and_b64 s[26:27], s[2:3], s[44:45]
	s_and_b64 s[2:3], s[2:3], s[52:53]
	v_cndmask_b32_e64 v37, 0, 1, s[26:27]
	s_and_b64 s[26:27], s[20:21], s[46:47]
	v_cndmask_b32_e64 v41, 0, 1, s[2:3]
	;; [unrolled: 2-line block ×7, first 2 shown]
	v_cndmask_b32_e64 v44, 0, 1, s[2:3]
	v_cmp_ne_u32_e64 s[2:3], 0, v2
	v_cmp_ne_u32_e64 s[20:21], 0, v3
	;; [unrolled: 1-line block ×11, first 2 shown]
	s_bcnt1_i32_b64 s2, s[2:3]
	s_bcnt1_i32_b64 s3, s[20:21]
	;; [unrolled: 1-line block ×8, first 2 shown]
	v_cmp_ne_u32_e64 s[34:35], 0, v36
	v_cmp_ne_u32_e64 s[40:41], 0, v39
	;; [unrolled: 1-line block ×3, first 2 shown]
	s_bcnt1_i32_b64 s23, s[28:29]
	s_bcnt1_i32_b64 s27, s[38:39]
	;; [unrolled: 1-line block ×3, first 2 shown]
	s_add_i32 s2, s85, s2
	s_add_i32 s22, s84, s22
	;; [unrolled: 1-line block ×4, first 2 shown]
	v_cmp_ne_u32_e64 s[42:43], 0, v40
	v_cmp_ne_u32_e64 s[50:51], 0, v44
	s_bcnt1_i32_b64 s25, s[34:35]
	s_bcnt1_i32_b64 s28, s[40:41]
	;; [unrolled: 1-line block ×3, first 2 shown]
	s_add_i32 s2, s2, s3
	s_add_i32 s3, s22, s23
	;; [unrolled: 1-line block ×4, first 2 shown]
	s_bcnt1_i32_b64 s29, s[42:43]
	s_bcnt1_i32_b64 s35, s[50:51]
	s_add_i32 s2, s2, s20
	s_add_i32 s3, s3, s24
	;; [unrolled: 1-line block ×8, first 2 shown]
	s_or_b64 s[86:87], vcc, s[86:87]
	v_mov_b32_e32 v2, s85
	v_mov_b32_e32 v3, s84
	;; [unrolled: 1-line block ×4, first 2 shown]
	s_andn2_b64 exec, exec, s[86:87]
	s_cbranch_execnz .LBB1_59
; %bb.60:                               ;   in Loop: Header=BB1_7 Depth=1
	s_or_b64 exec, exec, s[86:87]
.LBB1_61:                               ;   in Loop: Header=BB1_7 Depth=1
	s_or_b64 exec, exec, s[70:71]
	v_add_u32_e32 v9, s9, v0
	v_cmp_gt_i32_e32 vcc, s8, v9
	s_and_saveexec_b64 s[28:29], vcc
	s_cbranch_execz .LBB1_65
; %bb.62:                               ;   in Loop: Header=BB1_7 Depth=1
	s_mov_b64 s[30:31], 0
.LBB1_63:                               ;   Parent Loop BB1_7 Depth=1
                                        ; =>  This Inner Loop Header: Depth=2
	ds_read_u8 v16, v9
	v_add_u32_e32 v9, s62, v9
	v_cmp_le_i32_e32 vcc, s8, v9
	s_waitcnt lgkmcnt(0)
	v_and_b32_e32 v17, v31, v16
	v_bfe_u32 v16, v16, v29, 2
	v_cmp_eq_u32_e64 s[2:3], v17, v23
	v_cmp_eq_u32_e64 s[20:21], 0, v16
	;; [unrolled: 1-line block ×3, first 2 shown]
	s_and_b64 s[20:21], s[2:3], s[20:21]
	v_cmp_eq_u32_e64 s[24:25], 2, v16
	v_cmp_eq_u32_e64 s[26:27], 3, v16
	v_cndmask_b32_e64 v16, 0, 1, s[20:21]
	s_and_b64 s[20:21], s[2:3], s[22:23]
	v_cndmask_b32_e64 v17, 0, 1, s[20:21]
	s_and_b64 s[20:21], s[2:3], s[24:25]
	s_and_b64 s[2:3], s[2:3], s[26:27]
	v_cndmask_b32_e64 v34, 0, 1, s[20:21]
	v_cndmask_b32_e64 v36, 0, 1, s[2:3]
	v_cmp_ne_u32_e64 s[2:3], 0, v16
	v_cmp_ne_u32_e64 s[20:21], 0, v17
	;; [unrolled: 1-line block ×4, first 2 shown]
	s_bcnt1_i32_b64 s2, s[2:3]
	s_bcnt1_i32_b64 s3, s[20:21]
	;; [unrolled: 1-line block ×4, first 2 shown]
	v_add_u32_e32 v2, s2, v2
	v_add_u32_e32 v3, s3, v3
	;; [unrolled: 1-line block ×3, first 2 shown]
	s_or_b64 s[30:31], vcc, s[30:31]
	v_add_u32_e32 v5, s20, v5
	s_andn2_b64 exec, exec, s[30:31]
	s_cbranch_execnz .LBB1_63
; %bb.64:                               ;   in Loop: Header=BB1_7 Depth=1
	s_or_b64 exec, exec, s[30:31]
.LBB1_65:                               ;   in Loop: Header=BB1_7 Depth=1
	s_or_b64 exec, exec, s[28:29]
	s_lshl_b32 s8, s61, 6
	s_and_saveexec_b64 s[2:3], s[18:19]
	s_cbranch_execnz .LBB1_37
	s_branch .LBB1_38
.LBB1_66:                               ;   in Loop: Header=BB1_7 Depth=1
	s_or_b64 exec, exec, s[22:23]
	s_waitcnt lgkmcnt(0)
	s_barrier
	s_and_saveexec_b64 s[2:3], s[0:1]
	s_cbranch_execz .LBB1_68
; %bb.67:                               ;   in Loop: Header=BB1_7 Depth=1
	ds_read_b32 v2, v8 offset:4104
	s_waitcnt lgkmcnt(0)
	ds_write_b32 v8, v2 offset:4096
.LBB1_68:                               ;   in Loop: Header=BB1_7 Depth=1
	s_or_b64 exec, exec, s[2:3]
	s_waitcnt lgkmcnt(0)
	s_barrier
	s_mov_b64 s[2:3], -1
	s_and_b64 vcc, exec, s[20:21]
	s_cbranch_vccnz .LBB1_22
	s_branch .LBB1_32
.LBB1_69:                               ;   in Loop: Header=BB1_7 Depth=1
	v_mov_b32_e32 v2, 0
	s_mov_b32 s9, 0
	s_cbranch_execnz .LBB1_74
	s_branch .LBB1_76
.LBB1_70:                               ;   in Loop: Header=BB1_7 Depth=1
	v_mov_b32_e32 v9, v8
	v_readlane_b32 s20, v50, 37
	v_mov_b64_e32 v[2:3], v[8:9]
	v_readlane_b32 s21, v50, 38
.LBB1_71:                               ;   in Loop: Header=BB1_7 Depth=1
	v_readlane_b32 s22, v50, 31
	v_readlane_b32 s23, v50, 32
	s_andn2_b64 vcc, exec, s[22:23]
	v_readlane_b32 s9, v50, 30
	s_cbranch_vccnz .LBB1_73
.LBB1_72:                               ;   Parent Loop BB1_7 Depth=1
                                        ; =>  This Inner Loop Header: Depth=2
	v_lshl_add_u32 v9, s20, 4, v5
	v_lshl_add_u32 v16, s21, 4, v5
	ds_read_b32 v16, v16
	ds_read_b32 v9, v9
	s_add_i32 s21, s21, 2
	s_add_i32 s20, s20, 2
	s_add_i32 s9, s9, -1
	s_cmp_lg_u32 s9, 0
	s_waitcnt lgkmcnt(1)
	v_add_u32_e32 v3, v16, v3
	s_waitcnt lgkmcnt(0)
	v_add_u32_e32 v2, v9, v2
	s_cbranch_scc1 .LBB1_72
.LBB1_73:                               ;   in Loop: Header=BB1_7 Depth=1
	v_readlane_b32 s20, v50, 35
	v_add_u32_e32 v2, v2, v3
	v_readlane_b32 s9, v50, 34
	v_readlane_b32 s21, v50, 36
	s_and_b64 vcc, exec, s[20:21]
	s_cbranch_vccz .LBB1_76
.LBB1_74:                               ;   in Loop: Header=BB1_7 Depth=1
	s_lshl_b32 s20, s61, 8
	s_lshl_b32 s21, s9, 4
	s_add_i32 s20, s20, s21
	v_add_u32_e32 v3, s20, v27
	v_readlane_b32 s20, v50, 33
	s_sub_i32 s9, s20, s9
.LBB1_75:                               ;   Parent Loop BB1_7 Depth=1
                                        ; =>  This Inner Loop Header: Depth=2
	ds_read_b32 v5, v3
	s_add_i32 s9, s9, -1
	v_add_u32_e32 v3, 16, v3
	s_cmp_eq_u32 s9, 0
	s_waitcnt lgkmcnt(0)
	v_add_u32_e32 v2, v5, v2
	s_cbranch_scc0 .LBB1_75
.LBB1_76:                               ;   in Loop: Header=BB1_7 Depth=1
	v_lshlrev_b32_e32 v3, 2, v4
	ds_write_b32 v3, v2 offset:3072
.LBB1_77:                               ;   in Loop: Header=BB1_7 Depth=1
	s_or_b64 exec, exec, s[2:3]
	s_lshl_b32 s2, s8, 2
	s_waitcnt vmcnt(0)
	v_mov_b32_e32 v2, s2
	s_waitcnt lgkmcnt(0)
	s_barrier
	ds_read_b128 v[2:5], v2 offset:3072
	v_cmp_eq_u32_e32 vcc, 1, v33
	s_mov_b64 s[20:21], -1
	s_mov_b64 s[28:29], -1
                                        ; implicit-def: $sgpr26_sgpr27
                                        ; implicit-def: $sgpr24_sgpr25
	s_waitcnt lgkmcnt(0)
	v_readfirstlane_b32 s9, v2
	s_cmp_eq_u32 s9, 1
	v_readfirstlane_b32 s54, v4
	v_lshlrev_b32_e64 v4, v29, 3
	s_cselect_b64 s[2:3], -1, 0
	v_readfirstlane_b32 s8, v3
	v_readfirstlane_b32 s86, v5
	v_not_b32_e32 v9, v4
	s_and_b64 s[22:23], s[2:3], vcc
	s_and_saveexec_b64 s[2:3], s[22:23]
	s_cbranch_execz .LBB1_103
; %bb.78:                               ;   in Loop: Header=BB1_7 Depth=1
	ds_read_b32 v2, v8 offset:4096
	s_waitcnt lgkmcnt(0)
	s_barrier
	v_readfirstlane_b32 s42, v2
	s_and_saveexec_b64 s[24:25], s[4:5]
; %bb.79:                               ;   in Loop: Header=BB1_7 Depth=1
	ds_write_b8 v0, v8 offset:3072
; %bb.80:                               ;   in Loop: Header=BB1_7 Depth=1
	s_or_b64 exec, exec, s[24:25]
	v_and_b32_e32 v23, v23, v9
	v_or_b32_e32 v31, v31, v4
	s_mov_b64 s[24:25], -1
	s_mov_b64 s[26:27], 0
	s_cmp_lt_i32 s42, 1
	s_mov_b64 s[28:29], 0
	s_mov_b64 s[30:31], -1
	s_waitcnt lgkmcnt(0)
	s_barrier
                                        ; implicit-def: $vgpr32
	s_cbranch_scc0 .LBB1_91
; %bb.81:                               ;   in Loop: Header=BB1_7 Depth=1
	s_mov_b64 s[30:31], 0
                                        ; implicit-def: $vgpr32
	s_and_saveexec_b64 s[34:35], s[16:17]
	s_cbranch_execz .LBB1_90
; %bb.82:                               ;   in Loop: Header=BB1_7 Depth=1
	v_mov_b32_e32 v2, v6
	v_mov_b32_e32 v5, v0
                                        ; implicit-def: $sgpr36_sgpr37
	s_branch .LBB1_85
.LBB1_83:                               ;   in Loop: Header=BB1_85 Depth=2
	s_or_b64 exec, exec, s[38:39]
	s_waitcnt lgkmcnt(0)
	s_barrier
	ds_read_u16 v3, v8 offset:3072
	s_mov_b64 s[38:39], -1
	s_waitcnt lgkmcnt(0)
	s_barrier
	v_cmp_ne_u32_sdwa s[40:41], v3, v8 src0_sel:BYTE_0 src1_sel:DWORD
	s_and_b64 vcc, exec, s[40:41]
	s_mov_b64 s[40:41], -1
	s_cbranch_vccz .LBB1_88
.LBB1_84:                               ;   in Loop: Header=BB1_85 Depth=2
	s_and_b64 s[38:39], exec, s[38:39]
	s_or_b64 s[28:29], s[38:39], s[28:29]
	s_andn2_b64 s[36:37], s[36:37], exec
	s_and_b64 s[38:39], s[40:41], exec
	s_or_b64 s[36:37], s[36:37], s[38:39]
	s_andn2_b64 exec, exec, s[28:29]
	s_cbranch_execz .LBB1_89
.LBB1_85:                               ;   Parent Loop BB1_7 Depth=1
                                        ; =>  This Inner Loop Header: Depth=2
	v_cmp_gt_i32_e32 vcc, s60, v5
	s_and_saveexec_b64 s[38:39], vcc
	s_cbranch_execz .LBB1_83
; %bb.86:                               ;   in Loop: Header=BB1_85 Depth=2
	v_ashrrev_i32_e32 v3, 31, v2
	v_lshl_add_u64 v[16:17], s[72:73], 0, v[2:3]
	global_load_ubyte v3, v[16:17], off
	s_waitcnt vmcnt(0)
	v_bitop3_b32 v16, v3, s7, v31 bitop3:0x80
	v_cmp_eq_u32_e32 vcc, v16, v23
	s_and_b64 exec, exec, vcc
	s_cbranch_execz .LBB1_83
; %bb.87:                               ;   in Loop: Header=BB1_85 Depth=2
	v_lshlrev_b16_e32 v3, 8, v3
	v_or_b32_e32 v3, 1, v3
	ds_write_b16 v8, v3 offset:3072
	s_branch .LBB1_83
.LBB1_88:                               ;   in Loop: Header=BB1_85 Depth=2
	v_add_u32_e32 v5, s62, v5
	v_cmp_le_i32_e32 vcc, s91, v5
	v_add_u32_e32 v2, s88, v2
	s_mov_b64 s[40:41], 0
	s_orn2_b64 s[38:39], vcc, exec
	s_branch .LBB1_84
.LBB1_89:                               ;   in Loop: Header=BB1_7 Depth=1
	s_or_b64 exec, exec, s[28:29]
	v_lshrrev_b32_sdwa v32, v30, v3 dst_sel:DWORD dst_unused:UNUSED_PAD src0_sel:DWORD src1_sel:WORD_0
	s_and_b64 s[28:29], s[36:37], exec
.LBB1_90:                               ;   in Loop: Header=BB1_7 Depth=1
	s_or_b64 exec, exec, s[34:35]
.LBB1_91:                               ;   in Loop: Header=BB1_7 Depth=1
	s_and_b64 vcc, exec, s[30:31]
	s_cbranch_vccz .LBB1_102
; %bb.92:                               ;   in Loop: Header=BB1_7 Depth=1
	s_add_i32 s38, s42, s90
	s_abs_i32 s25, s38
	s_mul_hi_u32 s26, s25, s33
	s_mul_i32 s26, s26, s62
	s_sub_i32 s25, s25, s26
	s_ashr_i32 s24, s38, 31
	s_sub_i32 s26, s25, s62
	s_cmp_ge_u32 s25, s62
	s_cselect_b32 s25, s26, s25
	s_sub_i32 s26, s25, s62
	s_cmp_ge_u32 s25, s62
	s_cselect_b32 s25, s26, s25
	s_xor_b32 s25, s25, s24
	s_sub_i32 s24, s24, s25
	s_add_i32 s38, s38, s24
	v_cmp_gt_i32_e32 vcc, s38, v0
                                        ; implicit-def: $vgpr32
	s_and_saveexec_b64 s[24:25], vcc
	s_cbranch_execz .LBB1_101
; %bb.93:                               ;   in Loop: Header=BB1_7 Depth=1
	s_mov_b64 s[26:27], 0
	v_mov_b32_e32 v2, v0
                                        ; implicit-def: $sgpr30_sgpr31
	s_branch .LBB1_96
.LBB1_94:                               ;   in Loop: Header=BB1_96 Depth=2
	s_or_b64 exec, exec, s[34:35]
	s_waitcnt lgkmcnt(0)
	s_barrier
	ds_read_u16 v3, v8 offset:3072
	s_mov_b64 s[34:35], -1
	s_waitcnt lgkmcnt(0)
	s_barrier
	v_cmp_ne_u32_sdwa s[36:37], v3, v8 src0_sel:BYTE_0 src1_sel:DWORD
	s_and_b64 vcc, exec, s[36:37]
	s_mov_b64 s[36:37], -1
	s_cbranch_vccz .LBB1_99
.LBB1_95:                               ;   in Loop: Header=BB1_96 Depth=2
	s_and_b64 s[34:35], exec, s[34:35]
	s_or_b64 s[26:27], s[34:35], s[26:27]
	s_andn2_b64 s[30:31], s[30:31], exec
	s_and_b64 s[34:35], s[36:37], exec
	s_or_b64 s[30:31], s[30:31], s[34:35]
	s_andn2_b64 exec, exec, s[26:27]
	s_cbranch_execz .LBB1_100
.LBB1_96:                               ;   Parent Loop BB1_7 Depth=1
                                        ; =>  This Inner Loop Header: Depth=2
	v_cmp_gt_i32_e32 vcc, s42, v2
	s_and_saveexec_b64 s[34:35], vcc
	s_cbranch_execz .LBB1_94
; %bb.97:                               ;   in Loop: Header=BB1_96 Depth=2
	ds_read_u8 v3, v2
	s_waitcnt lgkmcnt(0)
	v_bitop3_b32 v5, v3, s7, v31 bitop3:0x80
	v_cmp_eq_u32_e32 vcc, v5, v23
	s_and_b64 exec, exec, vcc
	s_cbranch_execz .LBB1_94
; %bb.98:                               ;   in Loop: Header=BB1_96 Depth=2
	v_lshlrev_b16_e32 v3, 8, v3
	v_or_b32_e32 v3, 1, v3
	ds_write_b16 v8, v3 offset:3072
	s_branch .LBB1_94
.LBB1_99:                               ;   in Loop: Header=BB1_96 Depth=2
	v_add_u32_e32 v2, s62, v2
	v_cmp_le_i32_e32 vcc, s38, v2
	s_mov_b64 s[36:37], 0
	s_orn2_b64 s[34:35], vcc, exec
	s_branch .LBB1_95
.LBB1_100:                              ;   in Loop: Header=BB1_7 Depth=1
	s_or_b64 exec, exec, s[26:27]
	s_andn2_b64 s[26:27], s[28:29], exec
	s_and_b64 s[28:29], s[30:31], exec
	v_lshrrev_b32_sdwa v32, v30, v3 dst_sel:DWORD dst_unused:UNUSED_PAD src0_sel:DWORD src1_sel:WORD_0
	s_or_b64 s[28:29], s[26:27], s[28:29]
.LBB1_101:                              ;   in Loop: Header=BB1_7 Depth=1
	s_or_b64 exec, exec, s[24:25]
	s_mov_b64 s[24:25], 0
	s_mov_b64 s[26:27], -1
.LBB1_102:                              ;   in Loop: Header=BB1_7 Depth=1
	s_orn2_b64 s[28:29], s[28:29], exec
.LBB1_103:                              ;   in Loop: Header=BB1_7 Depth=1
	s_or_b64 exec, exec, s[2:3]
	s_andn2_b64 s[2:3], s[68:69], exec
	s_and_b64 s[26:27], s[26:27], exec
	s_or_b64 s[68:69], s[2:3], s[26:27]
	s_andn2_b64 s[2:3], s[66:67], exec
	s_and_b64 s[24:25], s[24:25], exec
	v_readfirstlane_b32 s34, v0
	s_andn2_b64 s[64:65], s[64:65], exec
	s_or_b64 s[66:67], s[2:3], s[24:25]
                                        ; implicit-def: $vgpr16
	s_and_saveexec_b64 s[2:3], s[28:29]
	s_cbranch_execz .LBB1_6
; %bb.104:                              ;   in Loop: Header=BB1_7 Depth=1
	s_xor_b64 s[24:25], s[22:23], -1
	s_mov_b64 s[22:23], 0
	v_mov_b32_e32 v16, 1
	v_mov_b32_e32 v5, 1
	s_and_saveexec_b64 s[20:21], s[24:25]
	s_cbranch_execz .LBB1_113
; %bb.105:                              ;   in Loop: Header=BB1_7 Depth=1
	v_cmp_ge_i32_e32 vcc, s9, v33
	s_and_saveexec_b64 s[22:23], vcc
	s_xor_b64 s[22:23], exec, s[22:23]
	s_cbranch_execz .LBB1_110
; %bb.106:                              ;   in Loop: Header=BB1_7 Depth=1
	ds_read_b32 v2, v8 offset:4096
	v_and_b32_e32 v23, v23, v9
	v_or_b32_e32 v31, v31, v4
	s_waitcnt lgkmcnt(0)
	v_cmp_ne_u32_e32 vcc, 0, v2
	s_cbranch_vccnz .LBB1_110
; %bb.107:                              ;   in Loop: Header=BB1_7 Depth=1
	s_and_saveexec_b64 s[24:25], s[0:1]
; %bb.108:                              ;   in Loop: Header=BB1_7 Depth=1
	v_mov_b32_e32 v2, s9
	ds_write_b32 v8, v2 offset:4100
; %bb.109:                              ;   in Loop: Header=BB1_7 Depth=1
	s_or_b64 exec, exec, s[24:25]
	s_waitcnt lgkmcnt(0)
	s_barrier
.LBB1_110:                              ;   in Loop: Header=BB1_7 Depth=1
	s_or_saveexec_b64 s[22:23], s[22:23]
	s_mov_b64 s[24:25], 0
	v_mov_b32_e32 v5, 8
	s_xor_b64 exec, exec, s[22:23]
; %bb.111:                              ;   in Loop: Header=BB1_7 Depth=1
	s_mov_b64 s[24:25], exec
	v_subrev_u32_e32 v33, s9, v33
	v_mov_b32_e32 v5, 0
; %bb.112:                              ;   in Loop: Header=BB1_7 Depth=1
	s_or_b64 exec, exec, s[22:23]
	s_and_b64 s[22:23], s[24:25], exec
	v_mov_b32_e32 v16, v33
.LBB1_113:                              ;   in Loop: Header=BB1_7 Depth=1
	s_or_b64 exec, exec, s[20:21]
	s_mov_b64 s[20:21], -1
	s_mov_b64 s[28:29], -1
                                        ; implicit-def: $sgpr24_sgpr25
                                        ; implicit-def: $sgpr26_sgpr27
	s_and_saveexec_b64 s[30:31], s[22:23]
	s_xor_b64 s[22:23], exec, s[30:31]
	s_cbranch_execz .LBB1_230
; %bb.114:                              ;   in Loop: Header=BB1_7 Depth=1
	s_cmp_eq_u32 s8, 1
	s_cselect_b64 s[24:25], -1, 0
	v_cmp_eq_u32_e32 vcc, 1, v16
	s_and_b64 s[30:31], s[24:25], vcc
	s_mov_b64 s[34:35], -1
                                        ; implicit-def: $sgpr26_sgpr27
                                        ; implicit-def: $sgpr24_sgpr25
	s_and_saveexec_b64 s[28:29], s[30:31]
	s_cbranch_execz .LBB1_140
; %bb.115:                              ;   in Loop: Header=BB1_7 Depth=1
	ds_read_b32 v2, v8 offset:4096
	s_waitcnt lgkmcnt(0)
	s_barrier
	v_readfirstlane_b32 s9, v2
	s_and_saveexec_b64 s[24:25], s[4:5]
; %bb.116:                              ;   in Loop: Header=BB1_7 Depth=1
	ds_write_b8 v0, v8 offset:3072
; %bb.117:                              ;   in Loop: Header=BB1_7 Depth=1
	s_or_b64 exec, exec, s[24:25]
	v_and_b32_e32 v2, v23, v9
	v_lshl_or_b32 v23, 1, v29, v2
	v_or_b32_e32 v31, v31, v4
	s_mov_b64 s[24:25], -1
	s_mov_b64 s[26:27], 0
	s_cmp_gt_i32 s9, 0
	s_mov_b64 s[34:35], 0
	s_mov_b64 s[36:37], -1
	s_waitcnt lgkmcnt(0)
	s_barrier
                                        ; implicit-def: $vgpr32
	s_cbranch_scc1 .LBB1_128
; %bb.118:                              ;   in Loop: Header=BB1_7 Depth=1
	s_mov_b64 s[36:37], 0
                                        ; implicit-def: $vgpr32
	s_and_saveexec_b64 s[38:39], s[16:17]
	s_cbranch_execz .LBB1_127
; %bb.119:                              ;   in Loop: Header=BB1_7 Depth=1
	v_mov_b32_e32 v2, v6
	v_mov_b32_e32 v17, v0
                                        ; implicit-def: $sgpr40_sgpr41
	s_branch .LBB1_122
.LBB1_120:                              ;   in Loop: Header=BB1_122 Depth=2
	s_or_b64 exec, exec, s[42:43]
	s_waitcnt lgkmcnt(0)
	s_barrier
	ds_read_u16 v3, v8 offset:3072
	s_mov_b64 s[42:43], -1
	s_waitcnt lgkmcnt(0)
	s_barrier
	v_cmp_ne_u32_sdwa s[44:45], v3, v8 src0_sel:BYTE_0 src1_sel:DWORD
	s_and_b64 vcc, exec, s[44:45]
	s_mov_b64 s[44:45], -1
	s_cbranch_vccz .LBB1_125
.LBB1_121:                              ;   in Loop: Header=BB1_122 Depth=2
	s_and_b64 s[42:43], exec, s[42:43]
	s_or_b64 s[34:35], s[42:43], s[34:35]
	s_andn2_b64 s[40:41], s[40:41], exec
	s_and_b64 s[42:43], s[44:45], exec
	s_or_b64 s[40:41], s[40:41], s[42:43]
	s_andn2_b64 exec, exec, s[34:35]
	s_cbranch_execz .LBB1_126
.LBB1_122:                              ;   Parent Loop BB1_7 Depth=1
                                        ; =>  This Inner Loop Header: Depth=2
	v_cmp_gt_i32_e32 vcc, s60, v17
	s_and_saveexec_b64 s[42:43], vcc
	s_cbranch_execz .LBB1_120
; %bb.123:                              ;   in Loop: Header=BB1_122 Depth=2
	v_ashrrev_i32_e32 v3, 31, v2
	v_lshl_add_u64 v[32:33], s[72:73], 0, v[2:3]
	global_load_ubyte v3, v[32:33], off
	s_waitcnt vmcnt(0)
	v_bitop3_b32 v32, v3, s7, v31 bitop3:0x80
	v_cmp_eq_u32_e32 vcc, v32, v23
	s_and_b64 exec, exec, vcc
	s_cbranch_execz .LBB1_120
; %bb.124:                              ;   in Loop: Header=BB1_122 Depth=2
	v_lshlrev_b16_e32 v3, 8, v3
	v_or_b32_e32 v3, 1, v3
	ds_write_b16 v8, v3 offset:3072
	s_branch .LBB1_120
.LBB1_125:                              ;   in Loop: Header=BB1_122 Depth=2
	v_add_u32_e32 v17, s62, v17
	v_cmp_le_i32_e32 vcc, s91, v17
	v_add_u32_e32 v2, s88, v2
	s_mov_b64 s[44:45], 0
	s_orn2_b64 s[42:43], vcc, exec
	s_branch .LBB1_121
.LBB1_126:                              ;   in Loop: Header=BB1_7 Depth=1
	s_or_b64 exec, exec, s[34:35]
	v_lshrrev_b32_sdwa v32, v30, v3 dst_sel:DWORD dst_unused:UNUSED_PAD src0_sel:DWORD src1_sel:WORD_0
	s_and_b64 s[34:35], s[40:41], exec
.LBB1_127:                              ;   in Loop: Header=BB1_7 Depth=1
	s_or_b64 exec, exec, s[38:39]
.LBB1_128:                              ;   in Loop: Header=BB1_7 Depth=1
	s_and_b64 vcc, exec, s[36:37]
	s_cbranch_vccz .LBB1_139
; %bb.129:                              ;   in Loop: Header=BB1_7 Depth=1
	s_add_i32 s42, s9, s90
	s_abs_i32 s25, s42
	s_mul_hi_u32 s26, s25, s33
	s_mul_i32 s26, s26, s62
	s_sub_i32 s25, s25, s26
	s_ashr_i32 s24, s42, 31
	s_sub_i32 s26, s25, s62
	s_cmp_ge_u32 s25, s62
	s_cselect_b32 s25, s26, s25
	s_sub_i32 s26, s25, s62
	s_cmp_ge_u32 s25, s62
	s_cselect_b32 s25, s26, s25
	s_xor_b32 s25, s25, s24
	s_sub_i32 s24, s24, s25
	s_add_i32 s42, s42, s24
	v_cmp_gt_i32_e32 vcc, s42, v0
                                        ; implicit-def: $vgpr32
	s_and_saveexec_b64 s[24:25], vcc
	s_cbranch_execz .LBB1_138
; %bb.130:                              ;   in Loop: Header=BB1_7 Depth=1
	s_mov_b64 s[26:27], 0
	v_mov_b32_e32 v2, v0
                                        ; implicit-def: $sgpr36_sgpr37
	s_branch .LBB1_133
.LBB1_131:                              ;   in Loop: Header=BB1_133 Depth=2
	s_or_b64 exec, exec, s[38:39]
	s_waitcnt lgkmcnt(0)
	s_barrier
	ds_read_u16 v3, v8 offset:3072
	s_mov_b64 s[38:39], -1
	s_waitcnt lgkmcnt(0)
	s_barrier
	v_cmp_eq_u32_sdwa s[40:41], v3, v8 src0_sel:BYTE_0 src1_sel:DWORD
	s_and_b64 vcc, exec, s[40:41]
	s_mov_b64 s[40:41], -1
	s_cbranch_vccnz .LBB1_136
.LBB1_132:                              ;   in Loop: Header=BB1_133 Depth=2
	s_and_b64 s[38:39], exec, s[38:39]
	s_or_b64 s[26:27], s[38:39], s[26:27]
	s_andn2_b64 s[36:37], s[36:37], exec
	s_and_b64 s[38:39], s[40:41], exec
	s_or_b64 s[36:37], s[36:37], s[38:39]
	s_andn2_b64 exec, exec, s[26:27]
	s_cbranch_execz .LBB1_137
.LBB1_133:                              ;   Parent Loop BB1_7 Depth=1
                                        ; =>  This Inner Loop Header: Depth=2
	v_cmp_gt_i32_e32 vcc, s9, v2
	s_and_saveexec_b64 s[38:39], vcc
	s_cbranch_execz .LBB1_131
; %bb.134:                              ;   in Loop: Header=BB1_133 Depth=2
	ds_read_u8 v3, v2
	s_waitcnt lgkmcnt(0)
	v_bitop3_b32 v17, v3, s7, v31 bitop3:0x80
	v_cmp_eq_u32_e32 vcc, v17, v23
	s_and_b64 exec, exec, vcc
	s_cbranch_execz .LBB1_131
; %bb.135:                              ;   in Loop: Header=BB1_133 Depth=2
	v_lshlrev_b16_e32 v3, 8, v3
	v_or_b32_e32 v3, 1, v3
	ds_write_b16 v8, v3 offset:3072
	s_branch .LBB1_131
.LBB1_136:                              ;   in Loop: Header=BB1_133 Depth=2
	v_add_u32_e32 v2, s62, v2
	v_cmp_le_i32_e32 vcc, s42, v2
	s_mov_b64 s[40:41], 0
	s_orn2_b64 s[38:39], vcc, exec
	s_branch .LBB1_132
.LBB1_137:                              ;   in Loop: Header=BB1_7 Depth=1
	s_or_b64 exec, exec, s[26:27]
	s_andn2_b64 s[26:27], s[34:35], exec
	s_and_b64 s[34:35], s[36:37], exec
	v_lshrrev_b32_sdwa v32, v30, v3 dst_sel:DWORD dst_unused:UNUSED_PAD src0_sel:DWORD src1_sel:WORD_0
	s_or_b64 s[34:35], s[26:27], s[34:35]
.LBB1_138:                              ;   in Loop: Header=BB1_7 Depth=1
	s_or_b64 exec, exec, s[24:25]
	s_mov_b64 s[24:25], 0
	s_mov_b64 s[26:27], -1
.LBB1_139:                              ;   in Loop: Header=BB1_7 Depth=1
	s_orn2_b64 s[34:35], s[34:35], exec
.LBB1_140:                              ;   in Loop: Header=BB1_7 Depth=1
	s_or_b64 exec, exec, s[28:29]
	s_mov_b64 s[36:37], 0
	s_and_saveexec_b64 s[28:29], s[34:35]
	s_cbranch_execz .LBB1_229
; %bb.141:                              ;   in Loop: Header=BB1_7 Depth=1
	s_xor_b64 s[34:35], s[30:31], -1
	s_mov_b64 s[40:41], 0
	v_mov_b32_e32 v17, 1
	v_mov_b32_e32 v5, 1
	s_and_saveexec_b64 s[30:31], s[34:35]
	s_cbranch_execz .LBB1_150
; %bb.142:                              ;   in Loop: Header=BB1_7 Depth=1
	v_cmp_ge_i32_e32 vcc, s8, v16
	s_and_saveexec_b64 s[34:35], vcc
	s_xor_b64 s[34:35], exec, s[34:35]
	s_cbranch_execz .LBB1_147
; %bb.143:                              ;   in Loop: Header=BB1_7 Depth=1
	ds_read_b32 v2, v8 offset:4096
	v_and_b32_e32 v3, v23, v9
	v_lshl_or_b32 v23, 1, v29, v3
	v_or_b32_e32 v31, v31, v4
	s_waitcnt lgkmcnt(0)
	v_cmp_ne_u32_e32 vcc, 0, v2
	s_cbranch_vccnz .LBB1_147
; %bb.144:                              ;   in Loop: Header=BB1_7 Depth=1
	s_and_saveexec_b64 s[36:37], s[0:1]
; %bb.145:                              ;   in Loop: Header=BB1_7 Depth=1
	v_mov_b32_e32 v2, s8
	ds_write_b32 v8, v2 offset:4100
; %bb.146:                              ;   in Loop: Header=BB1_7 Depth=1
	s_or_b64 exec, exec, s[36:37]
	s_waitcnt lgkmcnt(0)
	s_barrier
.LBB1_147:                              ;   in Loop: Header=BB1_7 Depth=1
	s_or_saveexec_b64 s[34:35], s[34:35]
	s_mov_b64 s[36:37], 0
	v_mov_b32_e32 v5, 8
	s_xor_b64 exec, exec, s[34:35]
; %bb.148:                              ;   in Loop: Header=BB1_7 Depth=1
	s_mov_b64 s[36:37], exec
	v_subrev_u32_e32 v16, s8, v16
	v_mov_b32_e32 v5, 0
; %bb.149:                              ;   in Loop: Header=BB1_7 Depth=1
	s_or_b64 exec, exec, s[34:35]
	s_and_b64 s[40:41], s[36:37], exec
	v_mov_b32_e32 v17, v16
.LBB1_150:                              ;   in Loop: Header=BB1_7 Depth=1
	s_or_b64 exec, exec, s[30:31]
	s_mov_b64 s[38:39], -1
                                        ; implicit-def: $sgpr34_sgpr35
                                        ; implicit-def: $sgpr36_sgpr37
	s_and_saveexec_b64 s[30:31], s[40:41]
	s_cbranch_execz .LBB1_228
; %bb.151:                              ;   in Loop: Header=BB1_7 Depth=1
	s_cmp_eq_u32 s54, 1
	s_cselect_b64 s[8:9], -1, 0
	v_cmp_eq_u32_e32 vcc, 1, v17
	s_and_b64 s[40:41], s[8:9], vcc
	s_mov_b64 s[42:43], -1
                                        ; implicit-def: $sgpr36_sgpr37
                                        ; implicit-def: $sgpr34_sgpr35
	s_and_saveexec_b64 s[38:39], s[40:41]
	s_cbranch_execz .LBB1_177
; %bb.152:                              ;   in Loop: Header=BB1_7 Depth=1
	ds_read_b32 v2, v8 offset:4096
	s_waitcnt lgkmcnt(0)
	s_barrier
	v_readfirstlane_b32 s8, v2
	s_and_saveexec_b64 s[34:35], s[4:5]
; %bb.153:                              ;   in Loop: Header=BB1_7 Depth=1
	ds_write_b8 v0, v8 offset:3072
; %bb.154:                              ;   in Loop: Header=BB1_7 Depth=1
	s_or_b64 exec, exec, s[34:35]
	v_and_b32_e32 v2, v23, v9
	v_lshl_or_b32 v23, 2, v29, v2
	v_or_b32_e32 v31, v31, v4
	s_mov_b64 s[34:35], -1
	s_mov_b64 s[36:37], 0
	s_cmp_gt_i32 s8, 0
	s_mov_b64 s[42:43], 0
	s_mov_b64 s[44:45], -1
	s_waitcnt lgkmcnt(0)
	s_barrier
                                        ; implicit-def: $vgpr32
	s_cbranch_scc1 .LBB1_165
; %bb.155:                              ;   in Loop: Header=BB1_7 Depth=1
	s_mov_b64 s[44:45], 0
                                        ; implicit-def: $vgpr32
	s_and_saveexec_b64 s[46:47], s[16:17]
	s_cbranch_execz .LBB1_164
; %bb.156:                              ;   in Loop: Header=BB1_7 Depth=1
	v_mov_b32_e32 v2, v6
	v_mov_b32_e32 v16, v0
                                        ; implicit-def: $sgpr48_sgpr49
	s_branch .LBB1_159
.LBB1_157:                              ;   in Loop: Header=BB1_159 Depth=2
	s_or_b64 exec, exec, s[50:51]
	s_waitcnt lgkmcnt(0)
	s_barrier
	ds_read_u16 v3, v8 offset:3072
	s_mov_b64 s[50:51], -1
	s_waitcnt lgkmcnt(0)
	s_barrier
	v_cmp_ne_u32_sdwa s[52:53], v3, v8 src0_sel:BYTE_0 src1_sel:DWORD
	s_and_b64 vcc, exec, s[52:53]
	s_mov_b64 s[52:53], -1
	s_cbranch_vccz .LBB1_162
.LBB1_158:                              ;   in Loop: Header=BB1_159 Depth=2
	s_and_b64 s[50:51], exec, s[50:51]
	s_or_b64 s[42:43], s[50:51], s[42:43]
	s_andn2_b64 s[48:49], s[48:49], exec
	s_and_b64 s[50:51], s[52:53], exec
	s_or_b64 s[48:49], s[48:49], s[50:51]
	s_andn2_b64 exec, exec, s[42:43]
	s_cbranch_execz .LBB1_163
.LBB1_159:                              ;   Parent Loop BB1_7 Depth=1
                                        ; =>  This Inner Loop Header: Depth=2
	v_cmp_gt_i32_e32 vcc, s60, v16
	s_and_saveexec_b64 s[50:51], vcc
	s_cbranch_execz .LBB1_157
; %bb.160:                              ;   in Loop: Header=BB1_159 Depth=2
	v_ashrrev_i32_e32 v3, 31, v2
	v_lshl_add_u64 v[32:33], s[72:73], 0, v[2:3]
	global_load_ubyte v3, v[32:33], off
	s_waitcnt vmcnt(0)
	v_bitop3_b32 v32, v3, s7, v31 bitop3:0x80
	v_cmp_eq_u32_e32 vcc, v32, v23
	s_and_b64 exec, exec, vcc
	s_cbranch_execz .LBB1_157
; %bb.161:                              ;   in Loop: Header=BB1_159 Depth=2
	v_lshlrev_b16_e32 v3, 8, v3
	v_or_b32_e32 v3, 1, v3
	ds_write_b16 v8, v3 offset:3072
	s_branch .LBB1_157
.LBB1_162:                              ;   in Loop: Header=BB1_159 Depth=2
	v_add_u32_e32 v16, s62, v16
	v_cmp_le_i32_e32 vcc, s91, v16
	v_add_u32_e32 v2, s88, v2
	s_mov_b64 s[52:53], 0
	s_orn2_b64 s[50:51], vcc, exec
	s_branch .LBB1_158
.LBB1_163:                              ;   in Loop: Header=BB1_7 Depth=1
	s_or_b64 exec, exec, s[42:43]
	v_lshrrev_b32_sdwa v32, v30, v3 dst_sel:DWORD dst_unused:UNUSED_PAD src0_sel:DWORD src1_sel:WORD_0
	s_and_b64 s[42:43], s[48:49], exec
.LBB1_164:                              ;   in Loop: Header=BB1_7 Depth=1
	s_or_b64 exec, exec, s[46:47]
.LBB1_165:                              ;   in Loop: Header=BB1_7 Depth=1
	s_and_b64 vcc, exec, s[44:45]
	s_cbranch_vccz .LBB1_176
; %bb.166:                              ;   in Loop: Header=BB1_7 Depth=1
	s_add_i32 s9, s8, s90
	s_abs_i32 s35, s9
	s_mul_hi_u32 s36, s35, s33
	s_mul_i32 s36, s36, s62
	s_sub_i32 s35, s35, s36
	s_ashr_i32 s34, s9, 31
	s_sub_i32 s36, s35, s62
	s_cmp_ge_u32 s35, s62
	s_cselect_b32 s35, s36, s35
	s_sub_i32 s36, s35, s62
	s_cmp_ge_u32 s35, s62
	s_cselect_b32 s35, s36, s35
	s_xor_b32 s35, s35, s34
	s_sub_i32 s34, s34, s35
	s_add_i32 s9, s9, s34
	v_cmp_gt_i32_e32 vcc, s9, v0
                                        ; implicit-def: $vgpr32
	s_and_saveexec_b64 s[34:35], vcc
	s_cbranch_execz .LBB1_175
; %bb.167:                              ;   in Loop: Header=BB1_7 Depth=1
	s_mov_b64 s[36:37], 0
	v_mov_b32_e32 v2, v0
                                        ; implicit-def: $sgpr44_sgpr45
	s_branch .LBB1_170
.LBB1_168:                              ;   in Loop: Header=BB1_170 Depth=2
	s_or_b64 exec, exec, s[46:47]
	s_waitcnt lgkmcnt(0)
	s_barrier
	ds_read_u16 v3, v8 offset:3072
	s_mov_b64 s[46:47], -1
	s_waitcnt lgkmcnt(0)
	s_barrier
	v_cmp_eq_u32_sdwa s[48:49], v3, v8 src0_sel:BYTE_0 src1_sel:DWORD
	s_and_b64 vcc, exec, s[48:49]
	s_mov_b64 s[48:49], -1
	s_cbranch_vccnz .LBB1_173
.LBB1_169:                              ;   in Loop: Header=BB1_170 Depth=2
	s_and_b64 s[46:47], exec, s[46:47]
	s_or_b64 s[36:37], s[46:47], s[36:37]
	s_andn2_b64 s[44:45], s[44:45], exec
	s_and_b64 s[46:47], s[48:49], exec
	s_or_b64 s[44:45], s[44:45], s[46:47]
	s_andn2_b64 exec, exec, s[36:37]
	s_cbranch_execz .LBB1_174
.LBB1_170:                              ;   Parent Loop BB1_7 Depth=1
                                        ; =>  This Inner Loop Header: Depth=2
	v_cmp_gt_i32_e32 vcc, s8, v2
	s_and_saveexec_b64 s[46:47], vcc
	s_cbranch_execz .LBB1_168
; %bb.171:                              ;   in Loop: Header=BB1_170 Depth=2
	ds_read_u8 v3, v2
	s_waitcnt lgkmcnt(0)
	v_bitop3_b32 v16, v3, s7, v31 bitop3:0x80
	v_cmp_eq_u32_e32 vcc, v16, v23
	s_and_b64 exec, exec, vcc
	s_cbranch_execz .LBB1_168
; %bb.172:                              ;   in Loop: Header=BB1_170 Depth=2
	v_lshlrev_b16_e32 v3, 8, v3
	v_or_b32_e32 v3, 1, v3
	ds_write_b16 v8, v3 offset:3072
	s_branch .LBB1_168
.LBB1_173:                              ;   in Loop: Header=BB1_170 Depth=2
	v_add_u32_e32 v2, s62, v2
	v_cmp_le_i32_e32 vcc, s9, v2
	s_mov_b64 s[48:49], 0
	s_orn2_b64 s[46:47], vcc, exec
	s_branch .LBB1_169
.LBB1_174:                              ;   in Loop: Header=BB1_7 Depth=1
	s_or_b64 exec, exec, s[36:37]
	s_andn2_b64 s[8:9], s[42:43], exec
	s_and_b64 s[36:37], s[44:45], exec
	v_lshrrev_b32_sdwa v32, v30, v3 dst_sel:DWORD dst_unused:UNUSED_PAD src0_sel:DWORD src1_sel:WORD_0
	s_or_b64 s[42:43], s[8:9], s[36:37]
.LBB1_175:                              ;   in Loop: Header=BB1_7 Depth=1
	s_or_b64 exec, exec, s[34:35]
	s_mov_b64 s[34:35], 0
	s_mov_b64 s[36:37], -1
.LBB1_176:                              ;   in Loop: Header=BB1_7 Depth=1
	s_orn2_b64 s[42:43], s[42:43], exec
.LBB1_177:                              ;   in Loop: Header=BB1_7 Depth=1
	s_or_b64 exec, exec, s[38:39]
	s_mov_b64 s[44:45], 0
	s_and_saveexec_b64 s[38:39], s[42:43]
	s_cbranch_execz .LBB1_227
; %bb.178:                              ;   in Loop: Header=BB1_7 Depth=1
	s_xor_b64 s[8:9], s[40:41], -1
	s_mov_b64 s[48:49], 0
	v_mov_b32_e32 v16, 1
	v_mov_b32_e32 v5, 1
	s_and_saveexec_b64 s[40:41], s[8:9]
	s_cbranch_execz .LBB1_187
; %bb.179:                              ;   in Loop: Header=BB1_7 Depth=1
	v_cmp_ge_i32_e32 vcc, s54, v17
	s_and_saveexec_b64 s[8:9], vcc
	s_xor_b64 s[42:43], exec, s[8:9]
	s_cbranch_execz .LBB1_184
; %bb.180:                              ;   in Loop: Header=BB1_7 Depth=1
	ds_read_b32 v2, v8 offset:4096
	v_and_b32_e32 v3, v23, v9
	v_lshl_or_b32 v23, 2, v29, v3
	v_or_b32_e32 v31, v31, v4
	s_waitcnt lgkmcnt(0)
	v_cmp_ne_u32_e32 vcc, 0, v2
	s_cbranch_vccnz .LBB1_184
; %bb.181:                              ;   in Loop: Header=BB1_7 Depth=1
	s_and_saveexec_b64 s[44:45], s[0:1]
; %bb.182:                              ;   in Loop: Header=BB1_7 Depth=1
	v_mov_b32_e32 v2, s54
	ds_write_b32 v8, v2 offset:4100
; %bb.183:                              ;   in Loop: Header=BB1_7 Depth=1
	s_or_b64 exec, exec, s[44:45]
	s_waitcnt lgkmcnt(0)
	s_barrier
.LBB1_184:                              ;   in Loop: Header=BB1_7 Depth=1
	s_or_saveexec_b64 s[42:43], s[42:43]
	s_mov_b64 s[44:45], 0
	v_mov_b32_e32 v5, 8
	s_xor_b64 exec, exec, s[42:43]
; %bb.185:                              ;   in Loop: Header=BB1_7 Depth=1
	s_mov_b64 s[44:45], exec
	v_subrev_u32_e32 v17, s54, v17
	v_mov_b32_e32 v5, 0
; %bb.186:                              ;   in Loop: Header=BB1_7 Depth=1
	s_or_b64 exec, exec, s[42:43]
	s_and_b64 s[48:49], s[44:45], exec
	v_mov_b32_e32 v16, v17
.LBB1_187:                              ;   in Loop: Header=BB1_7 Depth=1
	s_or_b64 exec, exec, s[40:41]
	s_mov_b64 s[46:47], -1
                                        ; implicit-def: $sgpr44_sgpr45
                                        ; implicit-def: $sgpr42_sgpr43
	s_and_saveexec_b64 s[40:41], s[48:49]
	s_cbranch_execz .LBB1_226
; %bb.188:                              ;   in Loop: Header=BB1_7 Depth=1
	s_cmp_eq_u32 s86, 1
	s_cselect_b64 s[8:9], -1, 0
	v_cmp_eq_u32_e32 vcc, 1, v16
	s_and_b64 s[46:47], s[8:9], vcc
	s_mov_b64 s[50:51], -1
                                        ; implicit-def: $sgpr44_sgpr45
                                        ; implicit-def: $sgpr42_sgpr43
	s_and_saveexec_b64 s[48:49], s[46:47]
	s_cbranch_execz .LBB1_214
; %bb.189:                              ;   in Loop: Header=BB1_7 Depth=1
	ds_read_b32 v2, v8 offset:4096
	s_waitcnt lgkmcnt(0)
	s_barrier
	v_readfirstlane_b32 s8, v2
	s_and_saveexec_b64 s[42:43], s[4:5]
; %bb.190:                              ;   in Loop: Header=BB1_7 Depth=1
	ds_write_b8 v0, v8 offset:3072
; %bb.191:                              ;   in Loop: Header=BB1_7 Depth=1
	s_or_b64 exec, exec, s[42:43]
	v_or_b32_e32 v23, v23, v4
	v_or_b32_e32 v31, v31, v4
	s_mov_b64 s[42:43], -1
	s_mov_b64 s[44:45], 0
	s_cmp_gt_i32 s8, 0
	s_mov_b64 s[50:51], 0
	s_mov_b64 s[52:53], -1
	s_waitcnt lgkmcnt(0)
	s_barrier
                                        ; implicit-def: $vgpr32
	s_cbranch_scc1 .LBB1_202
; %bb.192:                              ;   in Loop: Header=BB1_7 Depth=1
	s_mov_b64 s[52:53], 0
                                        ; implicit-def: $vgpr32
	s_and_saveexec_b64 s[54:55], s[16:17]
	s_cbranch_execz .LBB1_201
; %bb.193:                              ;   in Loop: Header=BB1_7 Depth=1
	v_mov_b32_e32 v2, v6
	v_mov_b32_e32 v9, v0
                                        ; implicit-def: $sgpr56_sgpr57
	s_branch .LBB1_196
.LBB1_194:                              ;   in Loop: Header=BB1_196 Depth=2
	s_or_b64 exec, exec, s[58:59]
	s_waitcnt lgkmcnt(0)
	s_barrier
	ds_read_u16 v3, v8 offset:3072
	s_mov_b64 s[58:59], -1
	s_waitcnt lgkmcnt(0)
	s_barrier
	v_cmp_ne_u32_sdwa s[70:71], v3, v8 src0_sel:BYTE_0 src1_sel:DWORD
	s_and_b64 vcc, exec, s[70:71]
	s_mov_b64 s[70:71], -1
	s_cbranch_vccz .LBB1_199
.LBB1_195:                              ;   in Loop: Header=BB1_196 Depth=2
	s_and_b64 s[58:59], exec, s[58:59]
	s_or_b64 s[50:51], s[58:59], s[50:51]
	s_andn2_b64 s[56:57], s[56:57], exec
	s_and_b64 s[58:59], s[70:71], exec
	s_or_b64 s[56:57], s[56:57], s[58:59]
	s_andn2_b64 exec, exec, s[50:51]
	s_cbranch_execz .LBB1_200
.LBB1_196:                              ;   Parent Loop BB1_7 Depth=1
                                        ; =>  This Inner Loop Header: Depth=2
	v_cmp_gt_i32_e32 vcc, s60, v9
	s_and_saveexec_b64 s[58:59], vcc
	s_cbranch_execz .LBB1_194
; %bb.197:                              ;   in Loop: Header=BB1_196 Depth=2
	v_ashrrev_i32_e32 v3, 31, v2
	v_lshl_add_u64 v[32:33], s[72:73], 0, v[2:3]
	global_load_ubyte v3, v[32:33], off
	s_waitcnt vmcnt(0)
	v_bitop3_b32 v17, v3, s7, v31 bitop3:0x80
	v_cmp_eq_u32_e32 vcc, v17, v23
	s_and_b64 exec, exec, vcc
	s_cbranch_execz .LBB1_194
; %bb.198:                              ;   in Loop: Header=BB1_196 Depth=2
	v_lshlrev_b16_e32 v3, 8, v3
	v_or_b32_e32 v3, 1, v3
	ds_write_b16 v8, v3 offset:3072
	s_branch .LBB1_194
.LBB1_199:                              ;   in Loop: Header=BB1_196 Depth=2
	v_add_u32_e32 v9, s62, v9
	v_cmp_le_i32_e32 vcc, s91, v9
	v_add_u32_e32 v2, s88, v2
	s_mov_b64 s[70:71], 0
	s_orn2_b64 s[58:59], vcc, exec
	s_branch .LBB1_195
.LBB1_200:                              ;   in Loop: Header=BB1_7 Depth=1
	s_or_b64 exec, exec, s[50:51]
	v_lshrrev_b32_sdwa v32, v30, v3 dst_sel:DWORD dst_unused:UNUSED_PAD src0_sel:DWORD src1_sel:WORD_0
	s_and_b64 s[50:51], s[56:57], exec
.LBB1_201:                              ;   in Loop: Header=BB1_7 Depth=1
	s_or_b64 exec, exec, s[54:55]
.LBB1_202:                              ;   in Loop: Header=BB1_7 Depth=1
	s_and_b64 vcc, exec, s[52:53]
	s_cbranch_vccz .LBB1_213
; %bb.203:                              ;   in Loop: Header=BB1_7 Depth=1
	s_add_i32 s9, s8, s90
	s_abs_i32 s43, s9
	s_mul_hi_u32 s44, s43, s33
	s_mul_i32 s44, s44, s62
	s_sub_i32 s43, s43, s44
	s_ashr_i32 s42, s9, 31
	s_sub_i32 s44, s43, s62
	s_cmp_ge_u32 s43, s62
	s_cselect_b32 s43, s44, s43
	s_sub_i32 s44, s43, s62
	s_cmp_ge_u32 s43, s62
	s_cselect_b32 s43, s44, s43
	s_xor_b32 s43, s43, s42
	s_sub_i32 s42, s42, s43
	s_add_i32 s9, s9, s42
	v_cmp_gt_i32_e32 vcc, s9, v0
                                        ; implicit-def: $vgpr32
	s_and_saveexec_b64 s[42:43], vcc
	s_cbranch_execz .LBB1_212
; %bb.204:                              ;   in Loop: Header=BB1_7 Depth=1
	s_mov_b64 s[44:45], 0
	v_mov_b32_e32 v2, v0
                                        ; implicit-def: $sgpr52_sgpr53
	s_branch .LBB1_207
.LBB1_205:                              ;   in Loop: Header=BB1_207 Depth=2
	s_or_b64 exec, exec, s[54:55]
	s_waitcnt lgkmcnt(0)
	s_barrier
	ds_read_u16 v3, v8 offset:3072
	s_mov_b64 s[54:55], -1
	s_waitcnt lgkmcnt(0)
	s_barrier
	v_cmp_eq_u32_sdwa s[56:57], v3, v8 src0_sel:BYTE_0 src1_sel:DWORD
	s_and_b64 vcc, exec, s[56:57]
	s_mov_b64 s[56:57], -1
	s_cbranch_vccnz .LBB1_210
.LBB1_206:                              ;   in Loop: Header=BB1_207 Depth=2
	s_and_b64 s[54:55], exec, s[54:55]
	s_or_b64 s[44:45], s[54:55], s[44:45]
	s_andn2_b64 s[52:53], s[52:53], exec
	s_and_b64 s[54:55], s[56:57], exec
	s_or_b64 s[52:53], s[52:53], s[54:55]
	s_andn2_b64 exec, exec, s[44:45]
	s_cbranch_execz .LBB1_211
.LBB1_207:                              ;   Parent Loop BB1_7 Depth=1
                                        ; =>  This Inner Loop Header: Depth=2
	v_cmp_gt_i32_e32 vcc, s8, v2
	s_and_saveexec_b64 s[54:55], vcc
	s_cbranch_execz .LBB1_205
; %bb.208:                              ;   in Loop: Header=BB1_207 Depth=2
	ds_read_u8 v3, v2
	s_waitcnt lgkmcnt(0)
	v_bitop3_b32 v9, v3, s7, v31 bitop3:0x80
	v_cmp_eq_u32_e32 vcc, v9, v23
	s_and_b64 exec, exec, vcc
	s_cbranch_execz .LBB1_205
; %bb.209:                              ;   in Loop: Header=BB1_207 Depth=2
	v_lshlrev_b16_e32 v3, 8, v3
	v_or_b32_e32 v3, 1, v3
	ds_write_b16 v8, v3 offset:3072
	s_branch .LBB1_205
.LBB1_210:                              ;   in Loop: Header=BB1_207 Depth=2
	v_add_u32_e32 v2, s62, v2
	v_cmp_le_i32_e32 vcc, s9, v2
	s_mov_b64 s[56:57], 0
	s_orn2_b64 s[54:55], vcc, exec
	s_branch .LBB1_206
.LBB1_211:                              ;   in Loop: Header=BB1_7 Depth=1
	s_or_b64 exec, exec, s[44:45]
	s_andn2_b64 s[8:9], s[50:51], exec
	s_and_b64 s[44:45], s[52:53], exec
	v_lshrrev_b32_sdwa v32, v30, v3 dst_sel:DWORD dst_unused:UNUSED_PAD src0_sel:DWORD src1_sel:WORD_0
	s_or_b64 s[50:51], s[8:9], s[44:45]
.LBB1_212:                              ;   in Loop: Header=BB1_7 Depth=1
	s_or_b64 exec, exec, s[42:43]
	s_mov_b64 s[42:43], 0
	s_mov_b64 s[44:45], -1
.LBB1_213:                              ;   in Loop: Header=BB1_7 Depth=1
	s_orn2_b64 s[50:51], s[50:51], exec
.LBB1_214:                              ;   in Loop: Header=BB1_7 Depth=1
	s_or_b64 exec, exec, s[48:49]
	s_mov_b64 s[52:53], 0
	s_and_saveexec_b64 s[48:49], s[50:51]
	s_cbranch_execz .LBB1_225
; %bb.215:                              ;   in Loop: Header=BB1_7 Depth=1
	s_xor_b64 s[8:9], s[46:47], -1
	v_mov_b32_e32 v5, 1
	v_mov_b32_e32 v2, 1
	s_and_saveexec_b64 s[46:47], s[8:9]
	s_cbranch_execz .LBB1_224
; %bb.216:                              ;   in Loop: Header=BB1_7 Depth=1
	v_cmp_ge_i32_e32 vcc, s86, v16
	s_and_saveexec_b64 s[8:9], vcc
	s_xor_b64 s[50:51], exec, s[8:9]
	s_cbranch_execz .LBB1_221
; %bb.217:                              ;   in Loop: Header=BB1_7 Depth=1
	ds_read_b32 v2, v8 offset:4096
	v_or_b32_e32 v23, v23, v4
	v_or_b32_e32 v31, v31, v4
	s_waitcnt lgkmcnt(0)
	v_cmp_ne_u32_e32 vcc, 0, v2
	s_cbranch_vccnz .LBB1_221
; %bb.218:                              ;   in Loop: Header=BB1_7 Depth=1
	s_and_saveexec_b64 s[52:53], s[0:1]
; %bb.219:                              ;   in Loop: Header=BB1_7 Depth=1
	v_mov_b32_e32 v2, s86
	ds_write_b32 v8, v2 offset:4100
; %bb.220:                              ;   in Loop: Header=BB1_7 Depth=1
	s_or_b64 exec, exec, s[52:53]
	s_waitcnt lgkmcnt(0)
	s_barrier
.LBB1_221:                              ;   in Loop: Header=BB1_7 Depth=1
	s_andn2_saveexec_b64 s[50:51], s[50:51]
; %bb.222:                              ;   in Loop: Header=BB1_7 Depth=1
	v_subrev_u32_e32 v16, s86, v16
; %bb.223:                              ;   in Loop: Header=BB1_7 Depth=1
	s_or_b64 exec, exec, s[50:51]
	v_mov_b32_e32 v5, 8
	v_mov_b32_e32 v2, v16
.LBB1_224:                              ;   in Loop: Header=BB1_7 Depth=1
	s_or_b64 exec, exec, s[46:47]
	s_mov_b64 s[52:53], exec
	v_mov_b32_e32 v16, v2
.LBB1_225:                              ;   in Loop: Header=BB1_7 Depth=1
	s_or_b64 exec, exec, s[48:49]
	s_orn2_b64 s[46:47], s[52:53], exec
.LBB1_226:                              ;   in Loop: Header=BB1_7 Depth=1
	s_or_b64 exec, exec, s[40:41]
	s_andn2_b64 s[8:9], s[36:37], exec
	s_and_b64 s[36:37], s[44:45], exec
	s_or_b64 s[36:37], s[8:9], s[36:37]
	s_andn2_b64 s[8:9], s[34:35], exec
	s_and_b64 s[34:35], s[42:43], exec
	s_or_b64 s[34:35], s[8:9], s[34:35]
	s_and_b64 s[44:45], s[46:47], exec
	v_mov_b32_e32 v17, v16
.LBB1_227:                              ;   in Loop: Header=BB1_7 Depth=1
	s_or_b64 exec, exec, s[38:39]
	s_orn2_b64 s[38:39], s[44:45], exec
.LBB1_228:                              ;   in Loop: Header=BB1_7 Depth=1
	s_or_b64 exec, exec, s[30:31]
	s_andn2_b64 s[8:9], s[26:27], exec
	s_and_b64 s[26:27], s[36:37], exec
	s_or_b64 s[26:27], s[8:9], s[26:27]
	s_andn2_b64 s[8:9], s[24:25], exec
	s_and_b64 s[24:25], s[34:35], exec
	s_or_b64 s[24:25], s[8:9], s[24:25]
	s_and_b64 s[36:37], s[38:39], exec
	v_mov_b32_e32 v16, v17
.LBB1_229:                              ;   in Loop: Header=BB1_7 Depth=1
	s_or_b64 exec, exec, s[28:29]
	s_orn2_b64 s[28:29], s[36:37], exec
.LBB1_230:                              ;   in Loop: Header=BB1_7 Depth=1
	s_or_b64 exec, exec, s[22:23]
	s_mov_b64 s[30:31], 0
                                        ; implicit-def: $sgpr34
	s_and_saveexec_b64 s[8:9], s[28:29]
	s_xor_b64 s[22:23], exec, s[8:9]
	s_cbranch_execz .LBB1_5
; %bb.231:                              ;   in Loop: Header=BB1_7 Depth=1
	v_and_b32_e32 v2, 7, v5
	v_cmp_eq_u32_e32 vcc, 0, v2
	s_mov_b64 s[20:21], -1
	s_mov_b64 s[28:29], -1
                                        ; implicit-def: $sgpr34
	s_and_saveexec_b64 s[30:31], vcc
	s_cbranch_execz .LBB1_4
; %bb.232:                              ;   in Loop: Header=BB1_7 Depth=1
	v_add_u32_e32 v2, -2, v29
	v_cmp_eq_u32_e32 vcc, 0, v29
	s_xor_b32 s34, s61, 1
	s_xor_b64 s[28:29], exec, -1
	s_orn2_b64 s[20:21], vcc, exec
	v_mov_b32_e32 v29, v2
	s_branch .LBB1_4
.LBB1_233:
	s_or_b64 exec, exec, s[92:93]
	s_xor_b64 s[8:9], s[98:99], -1
	s_xor_b64 s[2:3], s[94:95], -1
	;; [unrolled: 1-line block ×3, first 2 shown]
	s_mov_b64 s[4:5], 0
	s_and_saveexec_b64 s[10:11], s[2:3]
	s_xor_b64 s[2:3], exec, s[10:11]
	s_cbranch_execnz .LBB1_238
; %bb.234:
	s_andn2_saveexec_b64 s[0:1], s[2:3]
	s_cbranch_execnz .LBB1_258
.LBB1_235:
	s_or_b64 exec, exec, s[0:1]
	s_and_saveexec_b64 s[0:1], s[4:5]
.LBB1_236:
	; divergent unreachable
.LBB1_237:
	s_endpgm
.LBB1_238:
	s_and_saveexec_b64 s[4:5], s[8:9]
	s_xor_b64 s[4:5], exec, s[4:5]
	s_cbranch_execz .LBB1_256
; %bb.239:
	s_and_saveexec_b64 s[8:9], s[6:7]
	s_xor_b64 s[6:7], exec, s[8:9]
; %bb.240:
	v_mov_b32_e32 v32, v23
; %bb.241:
	s_or_b64 exec, exec, s[6:7]
	s_and_saveexec_b64 s[6:7], s[0:1]
	v_readlane_b32 s20, v50, 18
	v_readlane_b32 s21, v50, 14
	;; [unrolled: 1-line block ×5, first 2 shown]
; %bb.242:
	v_mov_b32_e32 v1, 0
	v_mov_b32_e32 v2, s60
	ds_write_b32 v1, v2 offset:4108
; %bb.243:
	s_or_b64 exec, exec, s[6:7]
	v_mov_b32_e32 v1, 0
	s_waitcnt lgkmcnt(0)
	s_barrier
	ds_read_b32 v1, v1 offset:4108
	s_waitcnt lgkmcnt(0)
	v_min_i32_e32 v2, s60, v1
	v_cmp_lt_i32_e32 vcc, v0, v2
	s_and_saveexec_b64 s[6:7], vcc
	s_cbranch_execz .LBB1_253
; %bb.244:
	s_mov_b64 s[8:9], 0
                                        ; implicit-def: $sgpr10_sgpr11
                                        ; implicit-def: $sgpr14_sgpr15
                                        ; implicit-def: $sgpr12_sgpr13
	s_branch .LBB1_246
.LBB1_245:                              ;   in Loop: Header=BB1_246 Depth=1
	s_or_b64 exec, exec, s[16:17]
	s_and_b64 s[16:17], exec, s[14:15]
	s_or_b64 s[8:9], s[16:17], s[8:9]
	s_andn2_b64 s[10:11], s[10:11], exec
	s_and_b64 s[16:17], s[12:13], exec
	s_or_b64 s[10:11], s[10:11], s[16:17]
	s_andn2_b64 exec, exec, s[8:9]
	s_cbranch_execz .LBB1_248
.LBB1_246:                              ; =>This Inner Loop Header: Depth=1
	v_ashrrev_i32_e32 v7, 31, v6
	v_lshl_add_u64 v[4:5], s[72:73], 0, v[6:7]
	global_load_ubyte v3, v[4:5], off
	v_mov_b32_e32 v1, v0
	s_or_b64 s[12:13], s[12:13], exec
	s_or_b64 s[14:15], s[14:15], exec
                                        ; implicit-def: $vgpr0
	s_waitcnt vmcnt(0)
	v_cmp_ne_u16_sdwa s[18:19], v3, v32 src0_sel:DWORD src1_sel:BYTE_0
	s_and_saveexec_b64 s[16:17], s[18:19]
	s_cbranch_execz .LBB1_245
; %bb.247:                              ;   in Loop: Header=BB1_246 Depth=1
	v_add_u32_e32 v0, s62, v1
	v_cmp_ge_i32_e32 vcc, v0, v2
	s_andn2_b64 s[14:15], s[14:15], exec
	s_and_b64 s[18:19], vcc, exec
	v_add_u32_e32 v6, s88, v6
	s_andn2_b64 s[12:13], s[12:13], exec
	s_or_b64 s[14:15], s[14:15], s[18:19]
	s_branch .LBB1_245
.LBB1_248:
	s_or_b64 exec, exec, s[8:9]
	s_and_saveexec_b64 s[8:9], s[10:11]
	s_xor_b64 s[8:9], exec, s[8:9]
	s_cbranch_execz .LBB1_253
; %bb.249:
	s_mov_b64 s[8:9], exec
	s_brev_b32 s10, -2
.LBB1_250:                              ; =>This Inner Loop Header: Depth=1
	s_ff1_i32_b64 s11, s[8:9]
	v_readlane_b32 s14, v1, s11
	s_lshl_b64 s[12:13], 1, s11
	s_min_i32 s10, s10, s14
	s_andn2_b64 s[8:9], s[8:9], s[12:13]
	s_cmp_lg_u64 s[8:9], 0
	s_cbranch_scc1 .LBB1_250
; %bb.251:
	v_mbcnt_lo_u32_b32 v0, exec_lo, 0
	v_mbcnt_hi_u32_b32 v0, exec_hi, v0
	v_cmp_eq_u32_e32 vcc, 0, v0
	s_and_saveexec_b64 s[8:9], vcc
	s_xor_b64 s[8:9], exec, s[8:9]
; %bb.252:
	v_mov_b32_e32 v0, 0
	v_mov_b32_e32 v1, s10
	ds_min_i32 v0, v1 offset:4108
.LBB1_253:
	s_or_b64 exec, exec, s[6:7]
	s_waitcnt lgkmcnt(0)
	s_barrier
	s_and_saveexec_b64 s[6:7], s[0:1]
	s_cbranch_execz .LBB1_255
; %bb.254:
	v_readlane_b32 s10, v50, 8
	v_readlane_b32 s11, v50, 9
	s_mul_i32 s1, s11, s10
	v_readlane_b32 s0, v50, 13
	s_sub_i32 s1, s23, s1
	s_xor_b32 s0, s22, s0
	s_add_i32 s8, s11, 1
	s_sub_i32 s9, s1, s10
	s_cmp_ge_u32 s1, s10
	s_cselect_b32 s8, s8, s11
	s_cselect_b32 s1, s9, s1
	s_add_i32 s9, s8, 1
	s_cmp_ge_u32 s1, s10
	s_cselect_b32 s1, s9, s8
	s_xor_b32 s1, s1, s0
	s_sub_i32 s0, s1, s0
	s_mul_i32 s1, s0, s24
	v_readlane_b32 s8, v50, 6
	s_sub_i32 s1, s20, s1
	v_readlane_b32 s9, v50, 7
	v_readlane_b32 s11, v50, 10
	;; [unrolled: 1-line block ×3, first 2 shown]
	s_mul_i32 s1, s1, s9
	s_mul_i32 s0, s0, s8
	;; [unrolled: 1-line block ×3, first 2 shown]
	s_add_i32 s1, s0, s1
	v_readlane_b32 s0, v50, 15
	s_sub_i32 s8, s23, s8
	s_xor_b32 s0, s22, s0
	s_add_i32 s9, s12, 1
	s_sub_i32 s10, s8, s11
	s_cmp_ge_u32 s8, s11
	s_cselect_b32 s9, s9, s12
	s_cselect_b32 s8, s10, s8
	s_add_i32 s10, s9, 1
	s_cmp_ge_u32 s8, s11
	s_cselect_b32 s8, s10, s9
	s_xor_b32 s8, s8, s0
	s_sub_i32 s0, s8, s0
	s_mul_i32 s8, s0, s21
	v_readlane_b32 s10, v50, 2
	s_sub_i32 s8, s20, s8
	v_readlane_b32 s11, v50, 3
	s_mul_i32 s8, s8, s11
	s_mul_i32 s0, s0, s10
	v_mov_b32_e32 v2, 0
	s_add_i32 s0, s0, s8
	s_ashr_i32 s9, s1, 31
	v_readlane_b32 s10, v50, 0
	ds_read_b32 v0, v2 offset:4108
	v_readlane_b32 s11, v50, 1
	s_add_u32 s8, s10, s1
	s_addc_u32 s9, s11, s9
	s_ashr_i32 s1, s0, 31
	s_lshl_b64 s[0:1], s[0:1], 3
	v_readlane_b32 s10, v50, 4
	v_readlane_b32 s11, v50, 5
	s_add_u32 s0, s10, s0
	s_addc_u32 s1, s11, s1
	s_waitcnt lgkmcnt(0)
	v_ashrrev_i32_e32 v1, 31, v0
	global_store_dwordx2 v2, v[0:1], s[0:1]
	global_store_byte v2, v32, s[8:9]
.LBB1_255:
	s_or_b64 exec, exec, s[6:7]
.LBB1_256:
	s_or_saveexec_b64 s[0:1], s[4:5]
	s_mov_b64 s[4:5], 0
	s_xor_b64 exec, exec, s[0:1]
	s_cbranch_execnz .LBB1_259
.LBB1_257:
	s_or_b64 exec, exec, s[0:1]
	s_and_b64 s[4:5], s[4:5], exec
	s_andn2_saveexec_b64 s[0:1], s[2:3]
	s_cbranch_execz .LBB1_235
.LBB1_258:
	s_or_b64 s[4:5], s[4:5], exec
	s_trap 2
	s_or_b64 exec, exec, s[0:1]
	s_and_saveexec_b64 s[0:1], s[4:5]
	s_cbranch_execnz .LBB1_236
	s_branch .LBB1_237
.LBB1_259:
	s_mov_b64 s[4:5], exec
	s_trap 2
	s_branch .LBB1_257
	.section	.rodata,"a",@progbits
	.p2align	6, 0x0
	.amdhsa_kernel _ZN2at6native12_GLOBAL__N_114gatherKthValueIhiLi2EEEvNS_4cuda6detail10TensorInfoIKT_T0_EES8_S8_S8_S8_NS5_IS6_S8_EENS5_IlS8_EE
		.amdhsa_group_segment_fixed_size 4112
		.amdhsa_private_segment_fixed_size 0
		.amdhsa_kernarg_size 920
		.amdhsa_user_sgpr_count 2
		.amdhsa_user_sgpr_dispatch_ptr 0
		.amdhsa_user_sgpr_queue_ptr 0
		.amdhsa_user_sgpr_kernarg_segment_ptr 1
		.amdhsa_user_sgpr_dispatch_id 0
		.amdhsa_user_sgpr_kernarg_preload_length 0
		.amdhsa_user_sgpr_kernarg_preload_offset 0
		.amdhsa_user_sgpr_private_segment_size 0
		.amdhsa_uses_dynamic_stack 0
		.amdhsa_enable_private_segment 0
		.amdhsa_system_sgpr_workgroup_id_x 1
		.amdhsa_system_sgpr_workgroup_id_y 1
		.amdhsa_system_sgpr_workgroup_id_z 1
		.amdhsa_system_sgpr_workgroup_info 0
		.amdhsa_system_vgpr_workitem_id 0
		.amdhsa_next_free_vgpr 51
		.amdhsa_next_free_sgpr 100
		.amdhsa_accum_offset 52
		.amdhsa_reserve_vcc 1
		.amdhsa_float_round_mode_32 0
		.amdhsa_float_round_mode_16_64 0
		.amdhsa_float_denorm_mode_32 3
		.amdhsa_float_denorm_mode_16_64 3
		.amdhsa_dx10_clamp 1
		.amdhsa_ieee_mode 1
		.amdhsa_fp16_overflow 0
		.amdhsa_tg_split 0
		.amdhsa_exception_fp_ieee_invalid_op 0
		.amdhsa_exception_fp_denorm_src 0
		.amdhsa_exception_fp_ieee_div_zero 0
		.amdhsa_exception_fp_ieee_overflow 0
		.amdhsa_exception_fp_ieee_underflow 0
		.amdhsa_exception_fp_ieee_inexact 0
		.amdhsa_exception_int_div_zero 0
	.end_amdhsa_kernel
	.section	.text._ZN2at6native12_GLOBAL__N_114gatherKthValueIhiLi2EEEvNS_4cuda6detail10TensorInfoIKT_T0_EES8_S8_S8_S8_NS5_IS6_S8_EENS5_IlS8_EE,"axG",@progbits,_ZN2at6native12_GLOBAL__N_114gatherKthValueIhiLi2EEEvNS_4cuda6detail10TensorInfoIKT_T0_EES8_S8_S8_S8_NS5_IS6_S8_EENS5_IlS8_EE,comdat
.Lfunc_end1:
	.size	_ZN2at6native12_GLOBAL__N_114gatherKthValueIhiLi2EEEvNS_4cuda6detail10TensorInfoIKT_T0_EES8_S8_S8_S8_NS5_IS6_S8_EENS5_IlS8_EE, .Lfunc_end1-_ZN2at6native12_GLOBAL__N_114gatherKthValueIhiLi2EEEvNS_4cuda6detail10TensorInfoIKT_T0_EES8_S8_S8_S8_NS5_IS6_S8_EENS5_IlS8_EE
                                        ; -- End function
	.set _ZN2at6native12_GLOBAL__N_114gatherKthValueIhiLi2EEEvNS_4cuda6detail10TensorInfoIKT_T0_EES8_S8_S8_S8_NS5_IS6_S8_EENS5_IlS8_EE.num_vgpr, 51
	.set _ZN2at6native12_GLOBAL__N_114gatherKthValueIhiLi2EEEvNS_4cuda6detail10TensorInfoIKT_T0_EES8_S8_S8_S8_NS5_IS6_S8_EENS5_IlS8_EE.num_agpr, 0
	.set _ZN2at6native12_GLOBAL__N_114gatherKthValueIhiLi2EEEvNS_4cuda6detail10TensorInfoIKT_T0_EES8_S8_S8_S8_NS5_IS6_S8_EENS5_IlS8_EE.numbered_sgpr, 100
	.set _ZN2at6native12_GLOBAL__N_114gatherKthValueIhiLi2EEEvNS_4cuda6detail10TensorInfoIKT_T0_EES8_S8_S8_S8_NS5_IS6_S8_EENS5_IlS8_EE.num_named_barrier, 0
	.set _ZN2at6native12_GLOBAL__N_114gatherKthValueIhiLi2EEEvNS_4cuda6detail10TensorInfoIKT_T0_EES8_S8_S8_S8_NS5_IS6_S8_EENS5_IlS8_EE.private_seg_size, 0
	.set _ZN2at6native12_GLOBAL__N_114gatherKthValueIhiLi2EEEvNS_4cuda6detail10TensorInfoIKT_T0_EES8_S8_S8_S8_NS5_IS6_S8_EENS5_IlS8_EE.uses_vcc, 1
	.set _ZN2at6native12_GLOBAL__N_114gatherKthValueIhiLi2EEEvNS_4cuda6detail10TensorInfoIKT_T0_EES8_S8_S8_S8_NS5_IS6_S8_EENS5_IlS8_EE.uses_flat_scratch, 0
	.set _ZN2at6native12_GLOBAL__N_114gatherKthValueIhiLi2EEEvNS_4cuda6detail10TensorInfoIKT_T0_EES8_S8_S8_S8_NS5_IS6_S8_EENS5_IlS8_EE.has_dyn_sized_stack, 0
	.set _ZN2at6native12_GLOBAL__N_114gatherKthValueIhiLi2EEEvNS_4cuda6detail10TensorInfoIKT_T0_EES8_S8_S8_S8_NS5_IS6_S8_EENS5_IlS8_EE.has_recursion, 0
	.set _ZN2at6native12_GLOBAL__N_114gatherKthValueIhiLi2EEEvNS_4cuda6detail10TensorInfoIKT_T0_EES8_S8_S8_S8_NS5_IS6_S8_EENS5_IlS8_EE.has_indirect_call, 0
	.section	.AMDGPU.csdata,"",@progbits
; Kernel info:
; codeLenInByte = 9488
; TotalNumSgprs: 106
; NumVgprs: 51
; NumAgprs: 0
; TotalNumVgprs: 51
; ScratchSize: 0
; MemoryBound: 0
; FloatMode: 240
; IeeeMode: 1
; LDSByteSize: 4112 bytes/workgroup (compile time only)
; SGPRBlocks: 13
; VGPRBlocks: 6
; NumSGPRsForWavesPerEU: 106
; NumVGPRsForWavesPerEU: 51
; AccumOffset: 52
; Occupancy: 7
; WaveLimiterHint : 1
; COMPUTE_PGM_RSRC2:SCRATCH_EN: 0
; COMPUTE_PGM_RSRC2:USER_SGPR: 2
; COMPUTE_PGM_RSRC2:TRAP_HANDLER: 0
; COMPUTE_PGM_RSRC2:TGID_X_EN: 1
; COMPUTE_PGM_RSRC2:TGID_Y_EN: 1
; COMPUTE_PGM_RSRC2:TGID_Z_EN: 1
; COMPUTE_PGM_RSRC2:TIDIG_COMP_CNT: 0
; COMPUTE_PGM_RSRC3_GFX90A:ACCUM_OFFSET: 12
; COMPUTE_PGM_RSRC3_GFX90A:TG_SPLIT: 0
	.section	.text._ZN2at6native12_GLOBAL__N_114gatherKthValueIhiLi3EEEvNS_4cuda6detail10TensorInfoIKT_T0_EES8_S8_S8_S8_NS5_IS6_S8_EENS5_IlS8_EE,"axG",@progbits,_ZN2at6native12_GLOBAL__N_114gatherKthValueIhiLi3EEEvNS_4cuda6detail10TensorInfoIKT_T0_EES8_S8_S8_S8_NS5_IS6_S8_EENS5_IlS8_EE,comdat
	.globl	_ZN2at6native12_GLOBAL__N_114gatherKthValueIhiLi3EEEvNS_4cuda6detail10TensorInfoIKT_T0_EES8_S8_S8_S8_NS5_IS6_S8_EENS5_IlS8_EE ; -- Begin function _ZN2at6native12_GLOBAL__N_114gatherKthValueIhiLi3EEEvNS_4cuda6detail10TensorInfoIKT_T0_EES8_S8_S8_S8_NS5_IS6_S8_EENS5_IlS8_EE
	.p2align	8
	.type	_ZN2at6native12_GLOBAL__N_114gatherKthValueIhiLi3EEEvNS_4cuda6detail10TensorInfoIKT_T0_EES8_S8_S8_S8_NS5_IS6_S8_EENS5_IlS8_EE,@function
_ZN2at6native12_GLOBAL__N_114gatherKthValueIhiLi3EEEvNS_4cuda6detail10TensorInfoIKT_T0_EES8_S8_S8_S8_NS5_IS6_S8_EENS5_IlS8_EE: ; @_ZN2at6native12_GLOBAL__N_114gatherKthValueIhiLi3EEEvNS_4cuda6detail10TensorInfoIKT_T0_EES8_S8_S8_S8_NS5_IS6_S8_EENS5_IlS8_EE
; %bb.0:
	s_load_dwordx2 s[12:13], s[0:1], 0x298
	s_load_dwordx4 s[68:71], s[0:1], 0xd8
	s_add_u32 s10, s0, 0x298
	s_addc_u32 s11, s1, 0
	s_waitcnt lgkmcnt(0)
	s_mul_i32 s4, s13, s4
	s_add_i32 s3, s4, s3
	s_mul_i32 s3, s3, s12
	s_add_i32 s24, s3, s2
	s_cmp_ge_i32 s24, s70
	s_cbranch_scc1 .LBB2_237
; %bb.1:
	s_load_dwordx2 s[8:9], s[0:1], 0xc
	s_load_dwordx2 s[26:27], s[0:1], 0xf4
	s_abs_i32 s5, s24
	s_ashr_i32 s4, s24, 31
	s_load_dwordx4 s[28:31], s[0:1], 0x154
	s_waitcnt lgkmcnt(0)
	s_abs_i32 s3, s9
	v_cvt_f32_u32_e32 v1, s3
	s_sub_i32 s7, 0, s3
	s_ashr_i32 s6, s9, 31
	s_xor_b32 s6, s4, s6
	v_rcp_iflag_f32_e32 v1, v1
                                        ; implicit-def: $vgpr50 : SGPR spill to VGPR lane
                                        ; kill: killed $sgpr0 killed $sgpr1
	v_writelane_b32 v50, s28, 0
	v_mul_f32_e32 v1, 0x4f7ffffe, v1
	v_cvt_u32_f32_e32 v1, v1
	v_writelane_b32 v50, s29, 1
	v_writelane_b32 v50, s30, 2
	;; [unrolled: 1-line block ×3, first 2 shown]
	v_readfirstlane_b32 s13, v1
	s_mul_i32 s7, s7, s13
	s_mul_hi_u32 s7, s13, s7
	s_add_i32 s13, s13, s7
	s_mul_hi_u32 s7, s5, s13
	s_mul_i32 s13, s7, s3
	s_sub_i32 s13, s5, s13
	s_add_i32 s14, s7, 1
	s_sub_i32 s15, s13, s3
	s_cmp_ge_u32 s13, s3
	s_cselect_b32 s7, s14, s7
	s_cselect_b32 s13, s15, s13
	s_add_i32 s14, s7, 1
	s_cmp_ge_u32 s13, s3
	s_cselect_b32 s7, s14, s7
	s_abs_i32 s3, s8
	v_cvt_f32_u32_e32 v1, s3
	s_abs_i32 s15, s27
	v_cvt_f32_u32_e32 v2, s15
	s_xor_b32 s7, s7, s6
	v_rcp_iflag_f32_e32 v1, v1
	s_sub_i32 s16, 0, s3
	v_rcp_iflag_f32_e32 v2, v2
	s_sub_i32 s18, s7, s6
	v_mul_f32_e32 v1, 0x4f7ffffe, v1
	v_cvt_u32_f32_e32 v1, v1
	v_mul_f32_e32 v2, 0x4f7ffffe, v2
	v_cvt_u32_f32_e32 v2, v2
	s_ashr_i32 s14, s27, 31
	v_readfirstlane_b32 s6, v1
	s_mul_i32 s16, s16, s6
	s_mul_hi_u32 s7, s6, s16
	s_add_i32 s16, s6, s7
	s_sub_i32 s6, 0, s15
	v_readfirstlane_b32 s7, v2
	s_mul_i32 s6, s6, s7
	s_mul_hi_u32 s6, s7, s6
	s_add_i32 s7, s7, s6
	s_mul_hi_u32 s6, s5, s7
	s_mul_i32 s7, s6, s15
	s_sub_i32 s7, s5, s7
	s_ashr_i32 s13, s8, 31
	s_xor_b32 s17, s4, s14
	s_ashr_i32 s19, s18, 31
	s_abs_i32 s20, s18
	s_add_i32 s14, s6, 1
	s_sub_i32 s21, s7, s15
	s_cmp_ge_u32 s7, s15
	s_cselect_b32 s6, s14, s6
	s_cselect_b32 s7, s21, s7
	s_add_i32 s14, s6, 1
	s_cmp_ge_u32 s7, s15
	s_cselect_b32 s6, s14, s6
	s_load_dwordx2 s[14:15], s[0:1], 0x0
	s_load_dwordx4 s[28:31], s[0:1], 0x22c
	s_abs_i32 s7, s26
	v_cvt_f32_u32_e32 v1, s7
	s_xor_b32 s6, s6, s17
	s_sub_i32 s25, s6, s17
	s_waitcnt lgkmcnt(0)
	v_writelane_b32 v50, s28, 4
	v_rcp_iflag_f32_e32 v1, v1
	s_nop 0
	v_writelane_b32 v50, s29, 5
	v_writelane_b32 v50, s30, 6
	;; [unrolled: 1-line block ×3, first 2 shown]
	s_load_dwordx2 s[28:29], s[0:1], 0x1cc
	s_load_dwordx2 s[22:23], s[0:1], 0x1c0
	v_mul_f32_e32 v1, 0x4f7ffffe, v1
	v_cvt_u32_f32_e32 v1, v1
	s_waitcnt lgkmcnt(0)
	s_abs_i32 s6, s29
	v_cvt_f32_u32_e32 v2, s6
	v_readfirstlane_b32 s17, v1
	v_writelane_b32 v50, s22, 8
	v_rcp_iflag_f32_e32 v1, v2
	s_nop 0
	v_writelane_b32 v50, s23, 9
	v_writelane_b32 v50, s7, 10
	s_sub_i32 s7, 0, s7
	v_mul_f32_e32 v1, 0x4f7ffffe, v1
	v_cvt_u32_f32_e32 v1, v1
	s_mul_i32 s7, s7, s17
	s_mul_hi_u32 s7, s17, s7
	s_add_i32 s17, s17, s7
	s_ashr_i32 s7, s29, 31
	s_xor_b32 s21, s4, s7
	s_sub_i32 s4, 0, s6
	v_readfirstlane_b32 s7, v1
	s_mul_i32 s4, s4, s7
	s_mul_hi_u32 s4, s7, s4
	s_add_i32 s7, s7, s4
	s_mul_hi_u32 s4, s5, s7
	s_mul_i32 s7, s4, s6
	s_sub_i32 s5, s5, s7
	s_abs_i32 s23, s25
	s_add_i32 s7, s4, 1
	s_sub_i32 s22, s5, s6
	s_cmp_ge_u32 s5, s6
	s_cselect_b32 s4, s7, s4
	s_cselect_b32 s5, s22, s5
	s_add_i32 s7, s4, 1
	s_cmp_ge_u32 s5, s6
	s_cselect_b32 s22, s7, s4
	s_abs_i32 s30, s28
	v_cvt_f32_u32_e32 v1, s30
	s_load_dwordx2 s[4:5], s[0:1], 0xe8
	v_rcp_iflag_f32_e32 v1, v1
	s_waitcnt lgkmcnt(0)
	v_writelane_b32 v50, s4, 11
	v_mul_f32_e32 v1, 0x4f7ffffe, v1
	v_cvt_u32_f32_e32 v1, v1
	v_writelane_b32 v50, s5, 12
	s_load_dwordx4 s[4:7], s[0:1], 0x6c
	v_writelane_b32 v50, s23, 13
	s_mul_hi_u32 s0, s23, s17
	v_writelane_b32 v50, s0, 14
	s_xor_b32 s0, s22, s21
	s_sub_i32 s21, s0, s21
	s_sub_i32 s0, 0, s30
	v_readfirstlane_b32 s1, v1
	s_mul_i32 s0, s0, s1
	s_mul_hi_u32 s0, s1, s0
	s_waitcnt lgkmcnt(0)
	s_mul_hi_u32 s7, s20, s16
	s_abs_i32 s16, s21
	v_writelane_b32 v50, s30, 15
	s_add_i32 s1, s1, s0
	v_writelane_b32 v50, s16, 16
	s_mul_hi_u32 s0, s16, s1
	v_writelane_b32 v50, s0, 17
	v_cmp_eq_u32_e64 s[0:1], 0, v0
	s_and_saveexec_b64 s[16:17], s[0:1]
; %bb.2:
	v_mov_b32_e32 v2, 0
	v_mov_b32_e32 v3, s68
	v_mov_b32_e32 v4, v2
	ds_write_b96 v2, v[2:4] offset:4096
; %bb.3:
	s_or_b64 exec, exec, s[16:17]
	v_writelane_b32 v50, s25, 18
	s_ashr_i32 s16, s25, 31
	v_writelane_b32 v50, s16, 19
	v_writelane_b32 v50, s26, 20
	s_ashr_i32 s16, s26, 31
	s_mul_i32 s9, s18, s9
	v_writelane_b32 v50, s27, 21
	v_writelane_b32 v50, s16, 22
	;; [unrolled: 1-line block ×3, first 2 shown]
	s_ashr_i32 s16, s21, 31
	v_writelane_b32 v50, s16, 24
	s_sub_i32 s9, s24, s9
	v_writelane_b32 v50, s28, 25
	s_mul_i32 s9, s9, s6
	s_xor_b32 s6, s19, s13
	s_mul_i32 s13, s7, s3
	v_writelane_b32 v50, s29, 26
	s_ashr_i32 s16, s28, 31
	s_sub_i32 s13, s20, s13
	v_writelane_b32 v50, s16, 27
	s_add_i32 s16, s7, 1
	s_sub_i32 s17, s13, s3
	s_cmp_ge_u32 s13, s3
	s_cselect_b32 s7, s16, s7
	s_cselect_b32 s13, s17, s13
	s_add_i32 s16, s7, 1
	s_cmp_ge_u32 s13, s3
	s_cselect_b32 s3, s16, s7
	s_xor_b32 s3, s3, s6
	s_sub_i32 s3, s3, s6
	s_mul_i32 s6, s3, s8
	s_sub_i32 s6, s18, s6
	s_mul_i32 s5, s6, s5
	s_waitcnt lgkmcnt(0)
	s_barrier
	s_load_dword s6, s[10:11], 0xc
	s_add_i32 s5, s5, s9
	s_mul_i32 s3, s3, s4
	s_add_i32 s5, s5, s3
	s_ashr_i32 s3, s5, 31
	s_add_u32 s80, s14, s5
	v_mbcnt_lo_u32_b32 v1, -1, 0
	s_addc_u32 s81, s15, s3
	s_waitcnt lgkmcnt(0)
	s_and_b32 s70, s6, 0xffff
	v_mbcnt_hi_u32_b32 v18, -1, v1
	v_cmp_gt_u32_e32 vcc, 64, v0
	v_cmp_gt_i32_e64 s[4:5], 4, v18
	s_add_i32 s96, s70, -1
	s_lshl_b32 s95, s70, 2
	s_and_b64 s[84:85], vcc, s[4:5]
	s_add_i32 s97, s96, s68
	s_cmpk_gt_i32 s68, 0xc00
	v_writelane_b32 v50, s24, 28
	s_cselect_b64 s[86:87], -1, 0
	v_cmp_gt_u32_e64 s[8:9], s68, v0
	s_cmp_gt_u32 s70, 63
	s_cselect_b64 s[88:89], -1, 0
	v_writelane_b32 v50, s8, 29
	s_cmp_lt_u32 s2, s12
	s_cselect_b32 s2, 12, 18
	v_writelane_b32 v50, s9, 30
	v_cmp_gt_i32_e64 s[8:9], s68, v0
	s_add_u32 s2, s10, s2
	s_addc_u32 s3, s11, 0
	v_writelane_b32 v50, s8, 31
	s_bfe_u32 s6, s6, 0xa0006
	v_lshlrev_b64 v[2:3], v18, -1
	v_writelane_b32 v50, s9, 32
	v_writelane_b32 v50, s2, 33
	v_not_b32_e32 v12, v2
	v_lshrrev_b32_e32 v2, 2, v0
	v_writelane_b32 v50, s3, 34
	s_add_i32 s2, s6, -2
	s_lshr_b32 s3, s2, 1
	s_add_i32 s3, s3, 1
	s_cmpk_gt_u32 s70, 0x7f
	v_and_b32_e32 v2, 0xf0, v2
	s_cselect_b64 s[8:9], -1, 0
	v_or_b32_e32 v19, 0xc00, v2
	v_writelane_b32 v50, s8, 35
	v_cvt_f32_u32_e32 v2, s95
	s_and_b32 s7, s6, 0x3fe
	v_writelane_b32 v50, s9, 36
	s_and_b32 s8, s3, 7
	s_cmp_gt_u32 s2, 13
	s_cselect_b64 s[10:11], -1, 0
	v_writelane_b32 v50, s10, 37
	v_rcp_iflag_f32_e32 v2, v2
	s_and_b32 s2, s3, -8
	v_writelane_b32 v50, s11, 38
	v_writelane_b32 v50, s2, 39
	s_cmp_lg_u32 s8, 0
	v_writelane_b32 v50, s8, 40
	s_cselect_b64 s[2:3], -1, 0
	v_writelane_b32 v50, s2, 41
	v_mul_f32_e32 v2, 0x4f7ffffe, v2
	v_cvt_u32_f32_e32 v2, v2
	v_writelane_b32 v50, s3, 42
	v_writelane_b32 v50, s6, 43
	s_cmp_lg_u32 s7, s6
	v_writelane_b32 v50, s7, 44
	s_cselect_b64 s[2:3], -1, 0
	v_writelane_b32 v50, s2, 45
	v_not_b32_e32 v1, v3
	v_cvt_f32_u32_e32 v3, s70
	v_writelane_b32 v50, s3, 46
	s_sub_i32 s2, 0, s95
	v_readfirstlane_b32 s3, v2
	s_mul_i32 s2, s2, s3
	s_mul_hi_u32 s2, s3, s2
	s_add_i32 s98, s3, s2
	s_mul_hi_u32 s2, s68, s98
	s_mul_i32 s2, s2, s95
	s_sub_i32 s2, s68, s2
	s_sub_i32 s3, s2, s95
	s_cmp_ge_u32 s2, s95
	s_cselect_b32 s2, s3, s2
	s_sub_i32 s3, s2, s95
	s_cmp_ge_u32 s2, s95
	s_cselect_b32 s2, s3, s2
	s_sub_i32 s99, s68, s2
	v_rcp_iflag_f32_e32 v5, v3
	v_add_u32_e32 v20, s99, v0
	v_mul_lo_u32 v2, v20, s71
	v_ashrrev_i32_e32 v3, 31, v2
	v_lshl_add_u64 v[14:15], s[80:81], 0, v[2:3]
	v_mul_f32_e32 v2, 0x4f7ffffe, v5
	v_cvt_u32_f32_e32 v2, v2
	s_sub_i32 s7, 0, s70
	s_abs_i32 s6, s97
	s_ashr_i32 s3, s97, 31
	v_readfirstlane_b32 s8, v2
	s_mul_i32 s7, s7, s8
	s_mul_hi_u32 s7, s8, s7
	s_add_i32 s33, s8, s7
	s_mul_hi_u32 s7, s6, s33
	s_mul_i32 s7, s7, s70
	s_sub_i32 s6, s6, s7
	s_sub_i32 s7, s6, s70
	s_cmp_ge_u32 s6, s70
	s_cselect_b32 s6, s7, s6
	s_sub_i32 s7, s6, s70
	s_cmp_ge_u32 s6, s70
	v_lshlrev_b32_e32 v13, 2, v0
	s_cselect_b32 s6, s7, s6
	s_xor_b32 s6, s6, s3
	v_mul_lo_u32 v2, s71, v13
	s_sub_i32 s3, s3, s6
	v_add_u32_e32 v21, s71, v2
	v_or_b32_e32 v2, 2, v13
	s_add_i32 s97, s97, s3
	v_mul_lo_u32 v22, s71, v2
	v_or_b32_e32 v2, 3, v13
	s_add_i32 s3, s70, s68
	v_mov_b32_e32 v8, 0
	v_mul_lo_u32 v24, s71, v2
	v_add_u32_e32 v2, s3, v0
	v_mul_lo_u32 v6, s71, v0
	v_mov_b32_e32 v7, v8
	v_lshlrev_b32_e32 v4, 2, v18
	s_mul_i32 s94, s71, s70
	v_subrev_u32_e32 v2, s2, v2
	s_mov_b32 s2, 0
	v_cmp_eq_u32_e64 s[18:19], 0, v18
	v_cmp_gt_u32_e64 s[4:5], 2, v0
	v_lshl_add_u64 v[10:11], s[80:81], 0, v[6:7]
	v_and_b32_e32 v7, 0x100, v4
	v_cmp_gt_i32_e64 s[10:11], s99, v13
	v_cmp_gt_u32_e64 s[12:13], s68, v20
	v_cmp_gt_i32_e64 s[14:15], s68, v20
	v_cmp_gt_i32_e64 s[16:17], s97, v0
	s_lshl_b32 s6, s94, 2
	v_lshlrev_b32_e32 v25, 2, v6
	v_mul_lo_u32 v26, s71, v2
	v_or_b32_e32 v27, 0xc00, v4
	s_mov_b64 s[74:75], 0
	v_mov_b32_e32 v29, 6
	v_mov_b32_e32 v33, s69
	s_movk_i32 s7, 0xff
	v_mov_b32_e32 v35, s68
	v_mov_b32_e32 v28, 0xc00
	;; [unrolled: 1-line block ×6, first 2 shown]
	s_mov_b32 s3, 1
	s_mov_b32 s69, s2
                                        ; implicit-def: $sgpr78_sgpr79
                                        ; implicit-def: $sgpr62_sgpr63
                                        ; implicit-def: $sgpr60_sgpr61
                                        ; implicit-def: $sgpr64_sgpr65
                                        ; implicit-def: $sgpr82_sgpr83
                                        ; implicit-def: $sgpr66_sgpr67
	s_branch .LBB2_7
.LBB2_4:                                ;   in Loop: Header=BB2_7 Depth=1
	s_or_b64 exec, exec, s[30:31]
	s_and_b64 s[30:31], s[28:29], exec
	s_andn2_b64 s[26:27], s[26:27], exec
	s_andn2_b64 s[24:25], s[24:25], exec
	s_orn2_b64 s[20:21], s[20:21], exec
.LBB2_5:                                ;   in Loop: Header=BB2_7 Depth=1
	s_or_b64 exec, exec, s[22:23]
	s_andn2_b64 s[8:9], s[66:67], exec
	s_and_b64 s[22:23], s[30:31], exec
	s_or_b64 s[66:67], s[8:9], s[22:23]
	s_andn2_b64 s[8:9], s[82:83], exec
	s_and_b64 s[22:23], s[26:27], exec
	s_or_b64 s[82:83], s[8:9], s[22:23]
	;; [unrolled: 3-line block ×3, first 2 shown]
	s_orn2_b64 s[20:21], s[20:21], exec
.LBB2_6:                                ;   in Loop: Header=BB2_7 Depth=1
	s_or_b64 exec, exec, s[2:3]
	s_and_b64 s[2:3], exec, s[20:21]
	s_or_b64 s[74:75], s[2:3], s[74:75]
	s_andn2_b64 s[2:3], s[60:61], exec
	s_and_b64 s[8:9], s[66:67], exec
	s_or_b64 s[60:61], s[2:3], s[8:9]
	s_andn2_b64 s[2:3], s[62:63], exec
	s_and_b64 s[8:9], s[82:83], exec
	;; [unrolled: 3-line block ×3, first 2 shown]
	s_or_b64 s[78:79], s[2:3], s[8:9]
	s_mov_b32 s69, s34
	v_mov_b32_e32 v33, v16
	s_andn2_b64 exec, exec, s[74:75]
	s_cbranch_execz .LBB2_233
.LBB2_7:                                ; =>This Loop Header: Depth=1
                                        ;     Child Loop BB2_12 Depth 2
                                        ;     Child Loop BB2_27 Depth 2
	;; [unrolled: 1-line block ×17, first 2 shown]
	ds_read_b64 v[2:3], v8 offset:4096
	s_waitcnt lgkmcnt(0)
	v_readfirstlane_b32 s8, v2
	s_cmp_gt_i32 s8, 0
	s_cbranch_scc1 .LBB2_34
; %bb.8:                                ;   in Loop: Header=BB2_7 Depth=1
	s_and_b64 vcc, exec, s[86:87]
	s_cbranch_vccz .LBB2_20
; %bb.9:                                ;   in Loop: Header=BB2_7 Depth=1
	s_movk_i32 s2, 0xc01
	v_cmp_gt_i32_e32 vcc, s2, v3
	s_mov_b64 s[20:21], 0
	s_mov_b64 s[2:3], 0
	s_cbranch_vccz .LBB2_21
; %bb.10:                               ;   in Loop: Header=BB2_7 Depth=1
	v_readlane_b32 s2, v50, 33
	v_readlane_b32 s3, v50, 34
	s_nop 4
	global_load_ushort v2, v8, s[2:3]
	global_load_ubyte v5, v[10:11], off
	s_mov_b64 s[22:23], 0
	v_mov_b32_e32 v9, v0
	s_waitcnt vmcnt(1)
	v_add_u32_e32 v4, v0, v2
	v_mul_lo_u32 v3, s71, v2
	v_mul_lo_u32 v4, s71, v4
	s_branch .LBB2_12
.LBB2_11:                               ;   in Loop: Header=BB2_12 Depth=2
	s_or_b64 exec, exec, s[2:3]
	v_cmp_le_i32_e32 vcc, s68, v9
	v_add_u32_e32 v4, v4, v3
	s_or_b64 s[22:23], vcc, s[22:23]
	v_mov_b32_e32 v5, v16
	s_andn2_b64 exec, exec, s[22:23]
	s_cbranch_execz .LBB2_66
.LBB2_12:                               ;   Parent Loop BB2_7 Depth=1
                                        ; =>  This Inner Loop Header: Depth=2
	v_add_u32_e32 v9, v9, v2
	v_cmp_gt_u32_e32 vcc, s68, v9
	s_waitcnt lgkmcnt(0)
	v_mov_b32_e32 v17, 0
	v_mov_b32_e32 v16, 0
	s_and_saveexec_b64 s[2:3], vcc
	s_cbranch_execz .LBB2_14
; %bb.13:                               ;   in Loop: Header=BB2_12 Depth=2
	global_load_ubyte v16, v4, s[80:81]
.LBB2_14:                               ;   in Loop: Header=BB2_12 Depth=2
	s_or_b64 exec, exec, s[2:3]
	s_waitcnt vmcnt(0)
	v_bitop3_b32 v34, v5, s7, v31 bitop3:0x80
	v_cmp_eq_u32_e32 vcc, v34, v23
	s_cmp_lg_u64 vcc, 0
	s_cselect_b64 s[2:3], -1, 0
	s_and_b64 s[2:3], s[18:19], s[2:3]
	s_and_saveexec_b64 s[24:25], s[2:3]
	s_cbranch_execz .LBB2_18
; %bb.15:                               ;   in Loop: Header=BB2_12 Depth=2
	s_mov_b64 s[28:29], exec
	v_mbcnt_lo_u32_b32 v17, s28, 0
	v_mbcnt_hi_u32_b32 v17, s29, v17
	s_bcnt1_i32_b64 s9, vcc
	v_cmp_eq_u32_e64 s[2:3], 0, v17
                                        ; implicit-def: $vgpr34
	s_and_saveexec_b64 s[26:27], s[2:3]
; %bb.16:                               ;   in Loop: Header=BB2_12 Depth=2
	s_bcnt1_i32_b64 s2, s[28:29]
	s_mul_i32 s2, s9, s2
	v_mov_b32_e32 v34, s2
	ds_add_rtn_u32 v34, v8, v34 offset:4104
; %bb.17:                               ;   in Loop: Header=BB2_12 Depth=2
	s_or_b64 exec, exec, s[26:27]
	s_waitcnt lgkmcnt(0)
	v_readfirstlane_b32 s2, v34
	s_nop 1
	v_mov_b32_e32 v34, s2
	v_mad_u32_u24 v17, s9, v17, v34
.LBB2_18:                               ;   in Loop: Header=BB2_12 Depth=2
	s_or_b64 exec, exec, s[24:25]
	ds_bpermute_b32 v17, v7, v17
	s_and_saveexec_b64 s[2:3], vcc
	s_cbranch_execz .LBB2_11
; %bb.19:                               ;   in Loop: Header=BB2_12 Depth=2
	v_and_b32_e32 v36, vcc_lo, v12
	v_and_b32_e32 v34, vcc_hi, v1
	v_bcnt_u32_b32 v36, v36, 0
	v_bcnt_u32_b32 v34, v34, v36
	s_waitcnt lgkmcnt(0)
	v_add_u32_e32 v17, v17, v34
	ds_write_b8 v17, v5
	s_branch .LBB2_11
.LBB2_20:                               ;   in Loop: Header=BB2_7 Depth=1
	s_mov_b64 s[20:21], -1
	s_mov_b64 s[2:3], 0
.LBB2_21:                               ;   in Loop: Header=BB2_7 Depth=1
	s_and_b64 vcc, exec, s[20:21]
	s_cbranch_vccz .LBB2_32
.LBB2_22:                               ;   in Loop: Header=BB2_7 Depth=1
	v_mov_b32_e32 v2, 0
	s_mov_b64 s[2:3], exec
	v_readlane_b32 s20, v50, 29
	v_readlane_b32 s21, v50, 30
	s_and_b64 s[20:21], s[2:3], s[20:21]
	s_mov_b64 exec, s[20:21]
	s_cbranch_execz .LBB2_24
; %bb.23:                               ;   in Loop: Header=BB2_7 Depth=1
	global_load_ubyte v2, v[10:11], off
.LBB2_24:                               ;   in Loop: Header=BB2_7 Depth=1
	s_or_b64 exec, exec, s[2:3]
	s_mov_b64 s[2:3], exec
	v_readlane_b32 s20, v50, 31
	v_readlane_b32 s21, v50, 32
	s_and_b64 s[20:21], s[2:3], s[20:21]
	s_mov_b64 exec, s[20:21]
	s_cbranch_execz .LBB2_29
; %bb.25:                               ;   in Loop: Header=BB2_7 Depth=1
	v_readlane_b32 s20, v50, 33
	v_readlane_b32 s21, v50, 34
	v_mov_b32_e32 v9, v0
	s_nop 3
	global_load_ushort v3, v8, s[20:21]
	s_mov_b64 s[20:21], 0
	s_waitcnt vmcnt(0)
	v_add_u32_e32 v5, v0, v3
	v_mul_lo_u32 v4, s71, v3
	v_mul_lo_u32 v5, s71, v5
	s_branch .LBB2_27
.LBB2_26:                               ;   in Loop: Header=BB2_27 Depth=2
	s_or_b64 exec, exec, s[22:23]
	v_cmp_le_i32_e32 vcc, s68, v16
	ds_write_b8 v9, v2
	v_add_u32_e32 v5, v5, v4
	s_or_b64 s[20:21], vcc, s[20:21]
	s_waitcnt vmcnt(0)
	v_mov_b32_e32 v2, v17
	v_mov_b32_e32 v9, v16
	s_andn2_b64 exec, exec, s[20:21]
	s_cbranch_execz .LBB2_29
.LBB2_27:                               ;   Parent Loop BB2_7 Depth=1
                                        ; =>  This Inner Loop Header: Depth=2
	v_add_u32_e32 v16, v9, v3
	v_cmp_gt_u32_e32 vcc, s68, v16
	v_mov_b32_e32 v17, 0
	s_and_saveexec_b64 s[22:23], vcc
	s_cbranch_execz .LBB2_26
; %bb.28:                               ;   in Loop: Header=BB2_27 Depth=2
	global_load_ubyte v17, v5, s[80:81]
	s_branch .LBB2_26
.LBB2_29:                               ;   in Loop: Header=BB2_7 Depth=1
	s_or_b64 exec, exec, s[2:3]
	s_waitcnt lgkmcnt(0)
	s_barrier
	s_and_saveexec_b64 s[2:3], s[0:1]
; %bb.30:                               ;   in Loop: Header=BB2_7 Depth=1
	ds_write_b32 v8, v35 offset:4096
; %bb.31:                               ;   in Loop: Header=BB2_7 Depth=1
	s_or_b64 exec, exec, s[2:3]
	s_mov_b64 s[2:3], -1
	s_waitcnt lgkmcnt(0)
	s_barrier
.LBB2_32:                               ;   in Loop: Header=BB2_7 Depth=1
	s_and_b64 vcc, exec, s[2:3]
	s_cbranch_vccz .LBB2_34
; %bb.33:                               ;   in Loop: Header=BB2_7 Depth=1
	s_waitcnt vmcnt(0)
	ds_read_b32 v2, v8 offset:4096
	s_waitcnt lgkmcnt(0)
	v_readfirstlane_b32 s8, v2
.LBB2_34:                               ;   in Loop: Header=BB2_7 Depth=1
	s_cmp_lt_i32 s8, 1
	s_mov_b64 s[2:3], -1
                                        ; implicit-def: $vgpr5
	s_cbranch_scc1 .LBB2_44
; %bb.35:                               ;   in Loop: Header=BB2_7 Depth=1
	s_and_b64 vcc, exec, s[2:3]
	s_cbranch_vccnz .LBB2_57
.LBB2_36:                               ;   in Loop: Header=BB2_7 Depth=1
	s_lshl_b32 s8, s69, 6
	s_and_saveexec_b64 s[2:3], s[18:19]
	s_cbranch_execz .LBB2_38
.LBB2_37:                               ;   in Loop: Header=BB2_7 Depth=1
	v_lshl_add_u32 v9, s8, 2, v19
	s_waitcnt vmcnt(0)
	ds_write_b128 v9, v[2:5]
.LBB2_38:                               ;   in Loop: Header=BB2_7 Depth=1
	s_or_b64 exec, exec, s[2:3]
	s_waitcnt lgkmcnt(0)
	s_barrier
	s_and_saveexec_b64 s[2:3], s[84:85]
	s_cbranch_execz .LBB2_77
; %bb.39:                               ;   in Loop: Header=BB2_7 Depth=1
	v_add_u32_e32 v4, s8, v18
	s_andn2_b64 vcc, exec, s[88:89]
	s_waitcnt vmcnt(0)
	v_mov_b32_e32 v2, 0
	s_cbranch_vccnz .LBB2_76
; %bb.40:                               ;   in Loop: Header=BB2_7 Depth=1
	v_readlane_b32 s20, v50, 35
	v_readlane_b32 s21, v50, 36
	s_andn2_b64 vcc, exec, s[20:21]
	s_cbranch_vccnz .LBB2_69
; %bb.41:                               ;   in Loop: Header=BB2_7 Depth=1
	v_readlane_b32 s20, v50, 37
	v_readlane_b32 s21, v50, 38
	s_andn2_b64 vcc, exec, s[20:21]
	v_lshl_add_u32 v5, v4, 2, v28
	s_cbranch_vccnz .LBB2_70
; %bb.42:                               ;   in Loop: Header=BB2_7 Depth=1
	s_mov_b32 s21, 1
	s_mov_b32 s20, 0
	v_mov_b32_e32 v2, 0
	v_mov_b32_e32 v3, 0
	v_readlane_b32 s9, v50, 39
.LBB2_43:                               ;   Parent Loop BB2_7 Depth=1
                                        ; =>  This Inner Loop Header: Depth=2
	v_lshl_add_u32 v9, s20, 4, v5
	v_lshl_add_u32 v34, s21, 4, v5
	ds_read2_b32 v[16:17], v9 offset1:8
	ds_read2_b32 v[36:37], v34 offset1:8
	ds_read2_b32 v[38:39], v9 offset0:16 offset1:24
	ds_read2_b32 v[40:41], v34 offset0:16 offset1:24
	ds_read2_b32 v[42:43], v9 offset0:32 offset1:40
	ds_read2_b32 v[44:45], v34 offset0:32 offset1:40
	ds_read2_b32 v[46:47], v9 offset0:48 offset1:56
	ds_read2_b32 v[48:49], v34 offset0:48 offset1:56
	s_waitcnt lgkmcnt(7)
	v_add3_u32 v2, v16, v2, v17
	s_waitcnt lgkmcnt(6)
	v_add3_u32 v3, v36, v3, v37
	;; [unrolled: 2-line block ×3, first 2 shown]
	v_add3_u32 v2, v38, v2, v39
	s_add_i32 s21, s21, 16
	s_add_i32 s20, s20, 16
	s_add_i32 s9, s9, -8
	s_waitcnt lgkmcnt(3)
	v_add3_u32 v2, v42, v2, v43
	s_waitcnt lgkmcnt(2)
	v_add3_u32 v3, v44, v3, v45
	s_cmp_lg_u32 s9, 0
	s_waitcnt lgkmcnt(0)
	v_add3_u32 v3, v48, v3, v49
	v_add3_u32 v2, v46, v2, v47
	s_cbranch_scc1 .LBB2_43
	s_branch .LBB2_71
.LBB2_44:                               ;   in Loop: Header=BB2_7 Depth=1
	s_waitcnt vmcnt(0)
	v_mov_b32_e32 v2, 0
	v_mov_b32_e32 v3, 0
	;; [unrolled: 1-line block ×4, first 2 shown]
	s_and_saveexec_b64 s[72:73], s[10:11]
	s_cbranch_execnz .LBB2_47
; %bb.45:                               ;   in Loop: Header=BB2_7 Depth=1
	s_or_b64 exec, exec, s[72:73]
	v_mov_b32_e32 v34, 0
	s_and_saveexec_b64 s[2:3], s[12:13]
	s_cbranch_execnz .LBB2_50
.LBB2_46:                               ;   in Loop: Header=BB2_7 Depth=1
	s_or_b64 exec, exec, s[2:3]
	s_and_saveexec_b64 s[20:21], s[14:15]
	s_cbranch_execnz .LBB2_51
	s_branch .LBB2_56
.LBB2_47:                               ;   in Loop: Header=BB2_7 Depth=1
	s_mov_b32 s9, 0
	s_mov_b64 s[76:77], 0
	s_mov_b32 s92, 0
	s_mov_b32 s93, 0
	;; [unrolled: 1-line block ×4, first 2 shown]
	v_mov_b32_e32 v9, v13
.LBB2_48:                               ;   Parent Loop BB2_7 Depth=1
                                        ; =>  This Inner Loop Header: Depth=2
	v_add_u32_e32 v2, s9, v25
	v_add_u32_e32 v4, s9, v21
	;; [unrolled: 1-line block ×4, first 2 shown]
	v_ashrrev_i32_e32 v3, 31, v2
	v_ashrrev_i32_e32 v5, 31, v4
	;; [unrolled: 1-line block ×4, first 2 shown]
	v_lshl_add_u64 v[2:3], s[80:81], 0, v[2:3]
	v_lshl_add_u64 v[4:5], s[80:81], 0, v[4:5]
	;; [unrolled: 1-line block ×4, first 2 shown]
	global_load_ubyte v2, v[2:3], off
	s_nop 0
	global_load_ubyte v3, v[4:5], off
	s_nop 0
	global_load_ubyte v4, v[16:17], off
	global_load_ubyte v5, v[36:37], off
	v_add_u32_e32 v9, s95, v9
	s_add_i32 s9, s9, s6
	v_cmp_le_i32_e32 vcc, s99, v9
	s_waitcnt vmcnt(3)
	v_and_b32_e32 v16, v31, v2
	v_bfe_u32 v2, v2, v29, 2
	s_waitcnt vmcnt(2)
	v_and_b32_e32 v17, v31, v3
	v_bfe_u32 v3, v3, v29, 2
	v_cmp_eq_u32_e64 s[2:3], v16, v23
	v_cmp_eq_u32_e64 s[26:27], 0, v2
	s_waitcnt vmcnt(1)
	v_and_b32_e32 v34, v31, v4
	v_bfe_u32 v4, v4, v29, 2
	v_cmp_eq_u32_e64 s[20:21], v17, v23
	v_cmp_eq_u32_e64 s[28:29], 0, v3
	s_and_b64 s[26:27], s[2:3], s[26:27]
	s_waitcnt vmcnt(0)
	v_and_b32_e32 v36, v31, v5
	v_bfe_u32 v5, v5, v29, 2
	v_cmp_eq_u32_e64 s[22:23], v34, v23
	v_cmp_eq_u32_e64 s[30:31], 0, v4
	;; [unrolled: 1-line block ×5, first 2 shown]
	v_cndmask_b32_e64 v2, 0, 1, s[26:27]
	s_and_b64 s[26:27], s[20:21], s[28:29]
	v_cmp_eq_u32_e64 s[24:25], v36, v23
	v_cmp_eq_u32_e64 s[34:35], 0, v5
	;; [unrolled: 1-line block ×5, first 2 shown]
	v_cndmask_b32_e64 v3, 0, 1, s[26:27]
	s_and_b64 s[26:27], s[22:23], s[30:31]
	v_cmp_eq_u32_e64 s[40:41], 1, v4
	v_cmp_eq_u32_e64 s[48:49], 2, v4
	;; [unrolled: 1-line block ×3, first 2 shown]
	v_cndmask_b32_e64 v4, 0, 1, s[26:27]
	s_and_b64 s[26:27], s[24:25], s[34:35]
	v_cmp_eq_u32_e64 s[42:43], 1, v5
	v_cmp_eq_u32_e64 s[50:51], 2, v5
	v_cmp_eq_u32_e64 s[58:59], 3, v5
	v_cndmask_b32_e64 v5, 0, 1, s[26:27]
	s_and_b64 s[26:27], s[2:3], s[36:37]
	v_cndmask_b32_e64 v16, 0, 1, s[26:27]
	s_and_b64 s[26:27], s[20:21], s[38:39]
	;; [unrolled: 2-line block ×5, first 2 shown]
	s_and_b64 s[2:3], s[2:3], s[52:53]
	v_cndmask_b32_e64 v37, 0, 1, s[26:27]
	s_and_b64 s[26:27], s[20:21], s[46:47]
	v_cndmask_b32_e64 v41, 0, 1, s[2:3]
	s_and_b64 s[2:3], s[20:21], s[54:55]
	v_cndmask_b32_e64 v38, 0, 1, s[26:27]
	s_and_b64 s[26:27], s[22:23], s[48:49]
	v_cndmask_b32_e64 v42, 0, 1, s[2:3]
	s_and_b64 s[2:3], s[22:23], s[56:57]
	v_cndmask_b32_e64 v39, 0, 1, s[26:27]
	s_and_b64 s[26:27], s[24:25], s[50:51]
	v_cndmask_b32_e64 v43, 0, 1, s[2:3]
	s_and_b64 s[2:3], s[24:25], s[58:59]
	v_cndmask_b32_e64 v40, 0, 1, s[26:27]
	v_cndmask_b32_e64 v44, 0, 1, s[2:3]
	v_cmp_ne_u32_e64 s[2:3], 0, v2
	v_cmp_ne_u32_e64 s[20:21], 0, v3
	;; [unrolled: 1-line block ×11, first 2 shown]
	s_bcnt1_i32_b64 s2, s[2:3]
	s_bcnt1_i32_b64 s3, s[20:21]
	;; [unrolled: 1-line block ×8, first 2 shown]
	v_cmp_ne_u32_e64 s[34:35], 0, v36
	v_cmp_ne_u32_e64 s[40:41], 0, v39
	;; [unrolled: 1-line block ×3, first 2 shown]
	s_bcnt1_i32_b64 s23, s[28:29]
	s_bcnt1_i32_b64 s27, s[38:39]
	;; [unrolled: 1-line block ×3, first 2 shown]
	s_add_i32 s2, s91, s2
	s_add_i32 s22, s90, s22
	;; [unrolled: 1-line block ×4, first 2 shown]
	v_cmp_ne_u32_e64 s[42:43], 0, v40
	v_cmp_ne_u32_e64 s[50:51], 0, v44
	s_bcnt1_i32_b64 s25, s[34:35]
	s_bcnt1_i32_b64 s28, s[40:41]
	;; [unrolled: 1-line block ×3, first 2 shown]
	s_add_i32 s2, s2, s3
	s_add_i32 s3, s22, s23
	;; [unrolled: 1-line block ×4, first 2 shown]
	s_bcnt1_i32_b64 s29, s[42:43]
	s_bcnt1_i32_b64 s35, s[50:51]
	s_add_i32 s2, s2, s20
	s_add_i32 s3, s3, s24
	s_add_i32 s20, s22, s28
	s_add_i32 s22, s23, s34
	s_add_i32 s91, s2, s21
	s_add_i32 s90, s3, s25
	s_add_i32 s93, s20, s29
	s_add_i32 s92, s22, s35
	s_or_b64 s[76:77], vcc, s[76:77]
	v_mov_b32_e32 v2, s91
	v_mov_b32_e32 v3, s90
	v_mov_b32_e32 v4, s93
	v_mov_b32_e32 v5, s92
	s_andn2_b64 exec, exec, s[76:77]
	s_cbranch_execnz .LBB2_48
; %bb.49:                               ;   in Loop: Header=BB2_7 Depth=1
	s_or_b64 exec, exec, s[76:77]
	s_or_b64 exec, exec, s[72:73]
	v_mov_b32_e32 v34, 0
	s_and_saveexec_b64 s[2:3], s[12:13]
	s_cbranch_execz .LBB2_46
.LBB2_50:                               ;   in Loop: Header=BB2_7 Depth=1
	global_load_ubyte v34, v[14:15], off
	s_or_b64 exec, exec, s[2:3]
	s_and_saveexec_b64 s[20:21], s[14:15]
	s_cbranch_execz .LBB2_56
.LBB2_51:                               ;   in Loop: Header=BB2_7 Depth=1
	s_mov_b64 s[22:23], 0
	v_mov_b32_e32 v16, v26
	v_mov_b32_e32 v9, v20
	s_branch .LBB2_53
.LBB2_52:                               ;   in Loop: Header=BB2_53 Depth=2
	s_or_b64 exec, exec, s[2:3]
	s_waitcnt vmcnt(0)
	v_and_b32_e32 v36, 0xff, v34
	v_bitop3_b32 v34, v31, v34, s7 bitop3:0x80
	v_cmp_eq_u32_e32 vcc, v34, v23
	v_bfe_u32 v34, v36, v29, 2
	v_cmp_eq_u32_e64 s[2:3], 0, v34
	s_and_b64 s[2:3], vcc, s[2:3]
	v_add_u32_e32 v16, s94, v16
	v_cndmask_b32_e64 v36, 0, 1, s[2:3]
	v_cmp_ne_u32_e64 s[2:3], 0, v36
	s_bcnt1_i32_b64 s2, s[2:3]
	s_nop 0
	v_add_u32_e32 v2, s2, v2
	v_cmp_eq_u32_e64 s[2:3], 1, v34
	s_and_b64 s[2:3], vcc, s[2:3]
	s_nop 0
	v_cndmask_b32_e64 v36, 0, 1, s[2:3]
	v_cmp_ne_u32_e64 s[2:3], 0, v36
	s_bcnt1_i32_b64 s2, s[2:3]
	s_nop 0
	v_add_u32_e32 v3, s2, v3
	v_cmp_eq_u32_e64 s[2:3], 2, v34
	s_and_b64 s[2:3], vcc, s[2:3]
	s_nop 0
	;; [unrolled: 8-line block ×3, first 2 shown]
	v_cndmask_b32_e64 v34, 0, 1, s[2:3]
	v_cmp_ne_u32_e32 vcc, 0, v34
	s_bcnt1_i32_b64 s2, vcc
	v_cmp_le_i32_e32 vcc, s68, v9
	v_add_u32_e32 v5, s2, v5
	s_or_b64 s[22:23], vcc, s[22:23]
	v_mov_b32_e32 v34, v17
	s_andn2_b64 exec, exec, s[22:23]
	s_cbranch_execz .LBB2_55
.LBB2_53:                               ;   Parent Loop BB2_7 Depth=1
                                        ; =>  This Inner Loop Header: Depth=2
	v_add_u32_e32 v9, s70, v9
	v_cmp_gt_u32_e32 vcc, s68, v9
	v_mov_b32_e32 v17, 0
	s_and_saveexec_b64 s[2:3], vcc
	s_cbranch_execz .LBB2_52
; %bb.54:                               ;   in Loop: Header=BB2_53 Depth=2
	v_ashrrev_i32_e32 v17, 31, v16
	v_lshl_add_u64 v[36:37], s[80:81], 0, v[16:17]
	global_load_ubyte v17, v[36:37], off
	s_branch .LBB2_52
.LBB2_55:                               ;   in Loop: Header=BB2_7 Depth=1
	s_or_b64 exec, exec, s[22:23]
.LBB2_56:                               ;   in Loop: Header=BB2_7 Depth=1
	s_or_b64 exec, exec, s[20:21]
	s_branch .LBB2_36
.LBB2_57:                               ;   in Loop: Header=BB2_7 Depth=1
	s_mul_hi_u32 s2, s8, s98
	s_mul_i32 s2, s2, s95
	s_sub_i32 s2, s8, s2
	s_sub_i32 s3, s2, s95
	s_cmp_ge_u32 s2, s95
	s_cselect_b32 s2, s3, s2
	s_sub_i32 s3, s2, s95
	s_cmp_ge_u32 s2, s95
	s_cselect_b32 s2, s3, s2
	s_sub_i32 s9, s8, s2
	v_cmp_gt_u32_e32 vcc, s9, v13
	s_waitcnt vmcnt(0)
	v_mov_b32_e32 v2, 0
	v_mov_b32_e32 v3, 0
	v_mov_b32_e32 v4, 0
	v_mov_b32_e32 v5, 0
	s_and_saveexec_b64 s[72:73], vcc
	s_cbranch_execz .LBB2_61
; %bb.58:                               ;   in Loop: Header=BB2_7 Depth=1
	s_mov_b32 s90, 0
	s_mov_b64 s[76:77], 0
	s_mov_b32 s91, 0
	s_mov_b32 s92, 0
	;; [unrolled: 1-line block ×3, first 2 shown]
	v_mov_b32_e32 v9, v13
.LBB2_59:                               ;   Parent Loop BB2_7 Depth=1
                                        ; =>  This Inner Loop Header: Depth=2
	ds_read_b32 v2, v9
	v_add_u32_e32 v9, s95, v9
	v_cmp_le_i32_e32 vcc, s9, v9
	s_waitcnt lgkmcnt(0)
	v_and_b32_e32 v16, 0xff, v2
	v_lshrrev_b32_e32 v3, 16, v2
	v_lshrrev_b32_e32 v4, 8, v2
	;; [unrolled: 1-line block ×3, first 2 shown]
	v_bfe_u32 v17, v2, 8, 8
	v_bfe_u32 v34, v2, 16, 8
	v_bitop3_b32 v2, v31, v2, s7 bitop3:0x80
	v_bfe_u32 v16, v16, v29, 2
	v_cmp_eq_u32_e64 s[2:3], v2, v23
	v_bitop3_b32 v2, v31, v4, s7 bitop3:0x80
	v_bfe_u32 v17, v17, v29, 2
	v_cmp_eq_u32_e64 s[26:27], 0, v16
	;; [unrolled: 3-line block ×3, first 2 shown]
	v_cmp_eq_u32_e64 s[28:29], 0, v17
	s_and_b64 s[26:27], s[2:3], s[26:27]
	v_and_b32_e32 v4, v31, v5
	v_bfe_u32 v5, v5, v29, 2
	v_cmp_eq_u32_e64 s[22:23], v3, v23
	v_cmp_eq_u32_e64 s[30:31], 0, v34
	v_cndmask_b32_e64 v2, 0, 1, s[26:27]
	s_and_b64 s[26:27], s[20:21], s[28:29]
	v_cmp_eq_u32_e64 s[24:25], v4, v23
	v_cmp_eq_u32_e64 s[34:35], 0, v5
	v_cndmask_b32_e64 v3, 0, 1, s[26:27]
	s_and_b64 s[26:27], s[22:23], s[30:31]
	v_cmp_eq_u32_e64 s[36:37], 1, v16
	v_cndmask_b32_e64 v4, 0, 1, s[26:27]
	s_and_b64 s[26:27], s[24:25], s[34:35]
	v_cmp_eq_u32_e64 s[38:39], 1, v17
	v_cmp_eq_u32_e64 s[42:43], 1, v5
	;; [unrolled: 1-line block ×4, first 2 shown]
	v_cndmask_b32_e64 v5, 0, 1, s[26:27]
	s_and_b64 s[26:27], s[2:3], s[36:37]
	v_cmp_eq_u32_e64 s[40:41], 1, v34
	v_cmp_eq_u32_e64 s[44:45], 2, v16
	;; [unrolled: 1-line block ×3, first 2 shown]
	v_cndmask_b32_e64 v16, 0, 1, s[26:27]
	s_and_b64 s[26:27], s[20:21], s[38:39]
	v_cmp_eq_u32_e64 s[46:47], 2, v17
	v_cmp_eq_u32_e64 s[54:55], 3, v17
	v_cndmask_b32_e64 v17, 0, 1, s[26:27]
	s_and_b64 s[26:27], s[22:23], s[40:41]
	v_cmp_eq_u32_e64 s[48:49], 2, v34
	v_cmp_eq_u32_e64 s[56:57], 3, v34
	v_cndmask_b32_e64 v34, 0, 1, s[26:27]
	s_and_b64 s[26:27], s[24:25], s[42:43]
	v_cndmask_b32_e64 v36, 0, 1, s[26:27]
	s_and_b64 s[26:27], s[2:3], s[44:45]
	s_and_b64 s[2:3], s[2:3], s[52:53]
	v_cndmask_b32_e64 v37, 0, 1, s[26:27]
	s_and_b64 s[26:27], s[20:21], s[46:47]
	v_cndmask_b32_e64 v41, 0, 1, s[2:3]
	s_and_b64 s[2:3], s[20:21], s[54:55]
	v_cndmask_b32_e64 v38, 0, 1, s[26:27]
	s_and_b64 s[26:27], s[22:23], s[48:49]
	v_cndmask_b32_e64 v42, 0, 1, s[2:3]
	s_and_b64 s[2:3], s[22:23], s[56:57]
	v_cndmask_b32_e64 v39, 0, 1, s[26:27]
	s_and_b64 s[26:27], s[24:25], s[50:51]
	v_cndmask_b32_e64 v43, 0, 1, s[2:3]
	s_and_b64 s[2:3], s[24:25], s[58:59]
	v_cndmask_b32_e64 v40, 0, 1, s[26:27]
	v_cndmask_b32_e64 v44, 0, 1, s[2:3]
	v_cmp_ne_u32_e64 s[2:3], 0, v2
	v_cmp_ne_u32_e64 s[20:21], 0, v3
	;; [unrolled: 1-line block ×11, first 2 shown]
	s_bcnt1_i32_b64 s2, s[2:3]
	s_bcnt1_i32_b64 s3, s[20:21]
	;; [unrolled: 1-line block ×8, first 2 shown]
	v_cmp_ne_u32_e64 s[34:35], 0, v36
	v_cmp_ne_u32_e64 s[40:41], 0, v39
	;; [unrolled: 1-line block ×3, first 2 shown]
	s_bcnt1_i32_b64 s23, s[28:29]
	s_bcnt1_i32_b64 s27, s[38:39]
	;; [unrolled: 1-line block ×3, first 2 shown]
	s_add_i32 s2, s93, s2
	s_add_i32 s22, s92, s22
	;; [unrolled: 1-line block ×4, first 2 shown]
	v_cmp_ne_u32_e64 s[42:43], 0, v40
	v_cmp_ne_u32_e64 s[50:51], 0, v44
	s_bcnt1_i32_b64 s25, s[34:35]
	s_bcnt1_i32_b64 s28, s[40:41]
	s_bcnt1_i32_b64 s34, s[48:49]
	s_add_i32 s2, s2, s3
	s_add_i32 s3, s22, s23
	;; [unrolled: 1-line block ×4, first 2 shown]
	s_bcnt1_i32_b64 s29, s[42:43]
	s_bcnt1_i32_b64 s35, s[50:51]
	s_add_i32 s2, s2, s20
	s_add_i32 s3, s3, s24
	;; [unrolled: 1-line block ×8, first 2 shown]
	s_or_b64 s[76:77], vcc, s[76:77]
	v_mov_b32_e32 v2, s93
	v_mov_b32_e32 v3, s92
	;; [unrolled: 1-line block ×4, first 2 shown]
	s_andn2_b64 exec, exec, s[76:77]
	s_cbranch_execnz .LBB2_59
; %bb.60:                               ;   in Loop: Header=BB2_7 Depth=1
	s_or_b64 exec, exec, s[76:77]
.LBB2_61:                               ;   in Loop: Header=BB2_7 Depth=1
	s_or_b64 exec, exec, s[72:73]
	v_add_u32_e32 v9, s9, v0
	v_cmp_gt_i32_e32 vcc, s8, v9
	s_and_saveexec_b64 s[28:29], vcc
	s_cbranch_execz .LBB2_65
; %bb.62:                               ;   in Loop: Header=BB2_7 Depth=1
	s_mov_b64 s[30:31], 0
.LBB2_63:                               ;   Parent Loop BB2_7 Depth=1
                                        ; =>  This Inner Loop Header: Depth=2
	ds_read_u8 v16, v9
	v_add_u32_e32 v9, s70, v9
	v_cmp_le_i32_e32 vcc, s8, v9
	s_waitcnt lgkmcnt(0)
	v_and_b32_e32 v17, v31, v16
	v_bfe_u32 v16, v16, v29, 2
	v_cmp_eq_u32_e64 s[2:3], v17, v23
	v_cmp_eq_u32_e64 s[20:21], 0, v16
	;; [unrolled: 1-line block ×3, first 2 shown]
	s_and_b64 s[20:21], s[2:3], s[20:21]
	v_cmp_eq_u32_e64 s[24:25], 2, v16
	v_cmp_eq_u32_e64 s[26:27], 3, v16
	v_cndmask_b32_e64 v16, 0, 1, s[20:21]
	s_and_b64 s[20:21], s[2:3], s[22:23]
	v_cndmask_b32_e64 v17, 0, 1, s[20:21]
	s_and_b64 s[20:21], s[2:3], s[24:25]
	s_and_b64 s[2:3], s[2:3], s[26:27]
	v_cndmask_b32_e64 v34, 0, 1, s[20:21]
	v_cndmask_b32_e64 v36, 0, 1, s[2:3]
	v_cmp_ne_u32_e64 s[2:3], 0, v16
	v_cmp_ne_u32_e64 s[20:21], 0, v17
	v_cmp_ne_u32_e64 s[22:23], 0, v34
	v_cmp_ne_u32_e64 s[24:25], 0, v36
	s_bcnt1_i32_b64 s2, s[2:3]
	s_bcnt1_i32_b64 s3, s[20:21]
	;; [unrolled: 1-line block ×4, first 2 shown]
	v_add_u32_e32 v2, s2, v2
	v_add_u32_e32 v3, s3, v3
	v_add_u32_e32 v4, s9, v4
	s_or_b64 s[30:31], vcc, s[30:31]
	v_add_u32_e32 v5, s20, v5
	s_andn2_b64 exec, exec, s[30:31]
	s_cbranch_execnz .LBB2_63
; %bb.64:                               ;   in Loop: Header=BB2_7 Depth=1
	s_or_b64 exec, exec, s[30:31]
.LBB2_65:                               ;   in Loop: Header=BB2_7 Depth=1
	s_or_b64 exec, exec, s[28:29]
	s_lshl_b32 s8, s69, 6
	s_and_saveexec_b64 s[2:3], s[18:19]
	s_cbranch_execnz .LBB2_37
	s_branch .LBB2_38
.LBB2_66:                               ;   in Loop: Header=BB2_7 Depth=1
	s_or_b64 exec, exec, s[22:23]
	s_waitcnt lgkmcnt(0)
	s_barrier
	s_and_saveexec_b64 s[2:3], s[0:1]
	s_cbranch_execz .LBB2_68
; %bb.67:                               ;   in Loop: Header=BB2_7 Depth=1
	ds_read_b32 v2, v8 offset:4104
	s_waitcnt lgkmcnt(0)
	ds_write_b32 v8, v2 offset:4096
.LBB2_68:                               ;   in Loop: Header=BB2_7 Depth=1
	s_or_b64 exec, exec, s[2:3]
	s_waitcnt lgkmcnt(0)
	s_barrier
	s_mov_b64 s[2:3], -1
	s_and_b64 vcc, exec, s[20:21]
	s_cbranch_vccnz .LBB2_22
	s_branch .LBB2_32
.LBB2_69:                               ;   in Loop: Header=BB2_7 Depth=1
	v_mov_b32_e32 v2, 0
	s_mov_b32 s9, 0
	s_cbranch_execnz .LBB2_74
	s_branch .LBB2_76
.LBB2_70:                               ;   in Loop: Header=BB2_7 Depth=1
	v_mov_b32_e32 v9, v8
	s_mov_b32 s20, 0
	v_mov_b64_e32 v[2:3], v[8:9]
	s_mov_b32 s21, 1
.LBB2_71:                               ;   in Loop: Header=BB2_7 Depth=1
	v_readlane_b32 s22, v50, 41
	v_readlane_b32 s23, v50, 42
	s_andn2_b64 vcc, exec, s[22:23]
	v_readlane_b32 s9, v50, 40
	s_cbranch_vccnz .LBB2_73
.LBB2_72:                               ;   Parent Loop BB2_7 Depth=1
                                        ; =>  This Inner Loop Header: Depth=2
	v_lshl_add_u32 v9, s20, 4, v5
	v_lshl_add_u32 v16, s21, 4, v5
	ds_read_b32 v16, v16
	ds_read_b32 v9, v9
	s_add_i32 s21, s21, 2
	s_add_i32 s20, s20, 2
	s_add_i32 s9, s9, -1
	s_cmp_lg_u32 s9, 0
	s_waitcnt lgkmcnt(1)
	v_add_u32_e32 v3, v16, v3
	s_waitcnt lgkmcnt(0)
	v_add_u32_e32 v2, v9, v2
	s_cbranch_scc1 .LBB2_72
.LBB2_73:                               ;   in Loop: Header=BB2_7 Depth=1
	v_readlane_b32 s20, v50, 45
	v_add_u32_e32 v2, v2, v3
	v_readlane_b32 s9, v50, 44
	v_readlane_b32 s21, v50, 46
	s_and_b64 vcc, exec, s[20:21]
	s_cbranch_vccz .LBB2_76
.LBB2_74:                               ;   in Loop: Header=BB2_7 Depth=1
	s_lshl_b32 s20, s69, 8
	s_lshl_b32 s21, s9, 4
	s_add_i32 s20, s20, s21
	v_add_u32_e32 v3, s20, v27
	v_readlane_b32 s20, v50, 43
	s_sub_i32 s9, s20, s9
.LBB2_75:                               ;   Parent Loop BB2_7 Depth=1
                                        ; =>  This Inner Loop Header: Depth=2
	ds_read_b32 v5, v3
	s_add_i32 s9, s9, -1
	v_add_u32_e32 v3, 16, v3
	s_cmp_eq_u32 s9, 0
	s_waitcnt lgkmcnt(0)
	v_add_u32_e32 v2, v5, v2
	s_cbranch_scc0 .LBB2_75
.LBB2_76:                               ;   in Loop: Header=BB2_7 Depth=1
	v_lshlrev_b32_e32 v3, 2, v4
	ds_write_b32 v3, v2 offset:3072
.LBB2_77:                               ;   in Loop: Header=BB2_7 Depth=1
	s_or_b64 exec, exec, s[2:3]
	s_lshl_b32 s2, s8, 2
	s_waitcnt vmcnt(0)
	v_mov_b32_e32 v2, s2
	s_waitcnt lgkmcnt(0)
	s_barrier
	ds_read_b128 v[2:5], v2 offset:3072
	v_cmp_eq_u32_e32 vcc, 1, v33
	s_mov_b64 s[20:21], -1
	s_mov_b64 s[28:29], -1
                                        ; implicit-def: $sgpr26_sgpr27
                                        ; implicit-def: $sgpr24_sgpr25
	s_waitcnt lgkmcnt(0)
	v_readfirstlane_b32 s9, v2
	s_cmp_eq_u32 s9, 1
	v_readfirstlane_b32 s54, v4
	v_lshlrev_b32_e64 v4, v29, 3
	s_cselect_b64 s[2:3], -1, 0
	v_readfirstlane_b32 s8, v3
	v_readfirstlane_b32 s76, v5
	v_not_b32_e32 v9, v4
	s_and_b64 s[22:23], s[2:3], vcc
	s_and_saveexec_b64 s[2:3], s[22:23]
	s_cbranch_execz .LBB2_103
; %bb.78:                               ;   in Loop: Header=BB2_7 Depth=1
	ds_read_b32 v2, v8 offset:4096
	s_waitcnt lgkmcnt(0)
	s_barrier
	v_readfirstlane_b32 s42, v2
	s_and_saveexec_b64 s[24:25], s[4:5]
; %bb.79:                               ;   in Loop: Header=BB2_7 Depth=1
	ds_write_b8 v0, v8 offset:3072
; %bb.80:                               ;   in Loop: Header=BB2_7 Depth=1
	s_or_b64 exec, exec, s[24:25]
	v_and_b32_e32 v23, v23, v9
	v_or_b32_e32 v31, v31, v4
	s_mov_b64 s[24:25], -1
	s_mov_b64 s[26:27], 0
	s_cmp_lt_i32 s42, 1
	s_mov_b64 s[28:29], 0
	s_mov_b64 s[30:31], -1
	s_waitcnt lgkmcnt(0)
	s_barrier
                                        ; implicit-def: $vgpr32
	s_cbranch_scc0 .LBB2_91
; %bb.81:                               ;   in Loop: Header=BB2_7 Depth=1
	s_mov_b64 s[30:31], 0
                                        ; implicit-def: $vgpr32
	s_and_saveexec_b64 s[34:35], s[16:17]
	s_cbranch_execz .LBB2_90
; %bb.82:                               ;   in Loop: Header=BB2_7 Depth=1
	v_mov_b32_e32 v2, v6
	v_mov_b32_e32 v5, v0
                                        ; implicit-def: $sgpr36_sgpr37
	s_branch .LBB2_85
.LBB2_83:                               ;   in Loop: Header=BB2_85 Depth=2
	s_or_b64 exec, exec, s[38:39]
	s_waitcnt lgkmcnt(0)
	s_barrier
	ds_read_u16 v3, v8 offset:3072
	s_mov_b64 s[38:39], -1
	s_waitcnt lgkmcnt(0)
	s_barrier
	v_cmp_ne_u32_sdwa s[40:41], v3, v8 src0_sel:BYTE_0 src1_sel:DWORD
	s_and_b64 vcc, exec, s[40:41]
	s_mov_b64 s[40:41], -1
	s_cbranch_vccz .LBB2_88
.LBB2_84:                               ;   in Loop: Header=BB2_85 Depth=2
	s_and_b64 s[38:39], exec, s[38:39]
	s_or_b64 s[28:29], s[38:39], s[28:29]
	s_andn2_b64 s[36:37], s[36:37], exec
	s_and_b64 s[38:39], s[40:41], exec
	s_or_b64 s[36:37], s[36:37], s[38:39]
	s_andn2_b64 exec, exec, s[28:29]
	s_cbranch_execz .LBB2_89
.LBB2_85:                               ;   Parent Loop BB2_7 Depth=1
                                        ; =>  This Inner Loop Header: Depth=2
	v_cmp_gt_i32_e32 vcc, s68, v5
	s_and_saveexec_b64 s[38:39], vcc
	s_cbranch_execz .LBB2_83
; %bb.86:                               ;   in Loop: Header=BB2_85 Depth=2
	v_ashrrev_i32_e32 v3, 31, v2
	v_lshl_add_u64 v[16:17], s[80:81], 0, v[2:3]
	global_load_ubyte v3, v[16:17], off
	s_waitcnt vmcnt(0)
	v_bitop3_b32 v16, v3, s7, v31 bitop3:0x80
	v_cmp_eq_u32_e32 vcc, v16, v23
	s_and_b64 exec, exec, vcc
	s_cbranch_execz .LBB2_83
; %bb.87:                               ;   in Loop: Header=BB2_85 Depth=2
	v_lshlrev_b16_e32 v3, 8, v3
	v_or_b32_e32 v3, 1, v3
	ds_write_b16 v8, v3 offset:3072
	s_branch .LBB2_83
.LBB2_88:                               ;   in Loop: Header=BB2_85 Depth=2
	v_add_u32_e32 v5, s70, v5
	v_cmp_le_i32_e32 vcc, s97, v5
	v_add_u32_e32 v2, s94, v2
	s_mov_b64 s[40:41], 0
	s_orn2_b64 s[38:39], vcc, exec
	s_branch .LBB2_84
.LBB2_89:                               ;   in Loop: Header=BB2_7 Depth=1
	s_or_b64 exec, exec, s[28:29]
	v_lshrrev_b32_sdwa v32, v30, v3 dst_sel:DWORD dst_unused:UNUSED_PAD src0_sel:DWORD src1_sel:WORD_0
	s_and_b64 s[28:29], s[36:37], exec
.LBB2_90:                               ;   in Loop: Header=BB2_7 Depth=1
	s_or_b64 exec, exec, s[34:35]
.LBB2_91:                               ;   in Loop: Header=BB2_7 Depth=1
	s_and_b64 vcc, exec, s[30:31]
	s_cbranch_vccz .LBB2_102
; %bb.92:                               ;   in Loop: Header=BB2_7 Depth=1
	s_add_i32 s38, s42, s96
	s_abs_i32 s25, s38
	s_mul_hi_u32 s26, s25, s33
	s_mul_i32 s26, s26, s70
	s_sub_i32 s25, s25, s26
	s_ashr_i32 s24, s38, 31
	s_sub_i32 s26, s25, s70
	s_cmp_ge_u32 s25, s70
	s_cselect_b32 s25, s26, s25
	s_sub_i32 s26, s25, s70
	s_cmp_ge_u32 s25, s70
	s_cselect_b32 s25, s26, s25
	s_xor_b32 s25, s25, s24
	s_sub_i32 s24, s24, s25
	s_add_i32 s38, s38, s24
	v_cmp_gt_i32_e32 vcc, s38, v0
                                        ; implicit-def: $vgpr32
	s_and_saveexec_b64 s[24:25], vcc
	s_cbranch_execz .LBB2_101
; %bb.93:                               ;   in Loop: Header=BB2_7 Depth=1
	s_mov_b64 s[26:27], 0
	v_mov_b32_e32 v2, v0
                                        ; implicit-def: $sgpr30_sgpr31
	s_branch .LBB2_96
.LBB2_94:                               ;   in Loop: Header=BB2_96 Depth=2
	s_or_b64 exec, exec, s[34:35]
	s_waitcnt lgkmcnt(0)
	s_barrier
	ds_read_u16 v3, v8 offset:3072
	s_mov_b64 s[34:35], -1
	s_waitcnt lgkmcnt(0)
	s_barrier
	v_cmp_ne_u32_sdwa s[36:37], v3, v8 src0_sel:BYTE_0 src1_sel:DWORD
	s_and_b64 vcc, exec, s[36:37]
	s_mov_b64 s[36:37], -1
	s_cbranch_vccz .LBB2_99
.LBB2_95:                               ;   in Loop: Header=BB2_96 Depth=2
	s_and_b64 s[34:35], exec, s[34:35]
	s_or_b64 s[26:27], s[34:35], s[26:27]
	s_andn2_b64 s[30:31], s[30:31], exec
	s_and_b64 s[34:35], s[36:37], exec
	s_or_b64 s[30:31], s[30:31], s[34:35]
	s_andn2_b64 exec, exec, s[26:27]
	s_cbranch_execz .LBB2_100
.LBB2_96:                               ;   Parent Loop BB2_7 Depth=1
                                        ; =>  This Inner Loop Header: Depth=2
	v_cmp_gt_i32_e32 vcc, s42, v2
	s_and_saveexec_b64 s[34:35], vcc
	s_cbranch_execz .LBB2_94
; %bb.97:                               ;   in Loop: Header=BB2_96 Depth=2
	ds_read_u8 v3, v2
	s_waitcnt lgkmcnt(0)
	v_bitop3_b32 v5, v3, s7, v31 bitop3:0x80
	v_cmp_eq_u32_e32 vcc, v5, v23
	s_and_b64 exec, exec, vcc
	s_cbranch_execz .LBB2_94
; %bb.98:                               ;   in Loop: Header=BB2_96 Depth=2
	v_lshlrev_b16_e32 v3, 8, v3
	v_or_b32_e32 v3, 1, v3
	ds_write_b16 v8, v3 offset:3072
	s_branch .LBB2_94
.LBB2_99:                               ;   in Loop: Header=BB2_96 Depth=2
	v_add_u32_e32 v2, s70, v2
	v_cmp_le_i32_e32 vcc, s38, v2
	s_mov_b64 s[36:37], 0
	s_orn2_b64 s[34:35], vcc, exec
	s_branch .LBB2_95
.LBB2_100:                              ;   in Loop: Header=BB2_7 Depth=1
	s_or_b64 exec, exec, s[26:27]
	s_andn2_b64 s[26:27], s[28:29], exec
	s_and_b64 s[28:29], s[30:31], exec
	v_lshrrev_b32_sdwa v32, v30, v3 dst_sel:DWORD dst_unused:UNUSED_PAD src0_sel:DWORD src1_sel:WORD_0
	s_or_b64 s[28:29], s[26:27], s[28:29]
.LBB2_101:                              ;   in Loop: Header=BB2_7 Depth=1
	s_or_b64 exec, exec, s[24:25]
	s_mov_b64 s[24:25], 0
	s_mov_b64 s[26:27], -1
.LBB2_102:                              ;   in Loop: Header=BB2_7 Depth=1
	s_orn2_b64 s[28:29], s[28:29], exec
.LBB2_103:                              ;   in Loop: Header=BB2_7 Depth=1
	s_or_b64 exec, exec, s[2:3]
	s_andn2_b64 s[2:3], s[82:83], exec
	s_and_b64 s[26:27], s[26:27], exec
	s_or_b64 s[82:83], s[2:3], s[26:27]
	s_andn2_b64 s[2:3], s[64:65], exec
	s_and_b64 s[24:25], s[24:25], exec
	v_readfirstlane_b32 s34, v0
	s_andn2_b64 s[66:67], s[66:67], exec
	s_or_b64 s[64:65], s[2:3], s[24:25]
                                        ; implicit-def: $vgpr16
	s_and_saveexec_b64 s[2:3], s[28:29]
	s_cbranch_execz .LBB2_6
; %bb.104:                              ;   in Loop: Header=BB2_7 Depth=1
	s_xor_b64 s[24:25], s[22:23], -1
	s_mov_b64 s[22:23], 0
	v_mov_b32_e32 v16, 1
	v_mov_b32_e32 v5, 1
	s_and_saveexec_b64 s[20:21], s[24:25]
	s_cbranch_execz .LBB2_113
; %bb.105:                              ;   in Loop: Header=BB2_7 Depth=1
	v_cmp_ge_i32_e32 vcc, s9, v33
	s_and_saveexec_b64 s[22:23], vcc
	s_xor_b64 s[22:23], exec, s[22:23]
	s_cbranch_execz .LBB2_110
; %bb.106:                              ;   in Loop: Header=BB2_7 Depth=1
	ds_read_b32 v2, v8 offset:4096
	v_and_b32_e32 v23, v23, v9
	v_or_b32_e32 v31, v31, v4
	s_waitcnt lgkmcnt(0)
	v_cmp_ne_u32_e32 vcc, 0, v2
	s_cbranch_vccnz .LBB2_110
; %bb.107:                              ;   in Loop: Header=BB2_7 Depth=1
	s_and_saveexec_b64 s[24:25], s[0:1]
; %bb.108:                              ;   in Loop: Header=BB2_7 Depth=1
	v_mov_b32_e32 v2, s9
	ds_write_b32 v8, v2 offset:4100
; %bb.109:                              ;   in Loop: Header=BB2_7 Depth=1
	s_or_b64 exec, exec, s[24:25]
	s_waitcnt lgkmcnt(0)
	s_barrier
.LBB2_110:                              ;   in Loop: Header=BB2_7 Depth=1
	s_or_saveexec_b64 s[22:23], s[22:23]
	s_mov_b64 s[24:25], 0
	v_mov_b32_e32 v5, 8
	s_xor_b64 exec, exec, s[22:23]
; %bb.111:                              ;   in Loop: Header=BB2_7 Depth=1
	s_mov_b64 s[24:25], exec
	v_subrev_u32_e32 v33, s9, v33
	v_mov_b32_e32 v5, 0
; %bb.112:                              ;   in Loop: Header=BB2_7 Depth=1
	s_or_b64 exec, exec, s[22:23]
	s_and_b64 s[22:23], s[24:25], exec
	v_mov_b32_e32 v16, v33
.LBB2_113:                              ;   in Loop: Header=BB2_7 Depth=1
	s_or_b64 exec, exec, s[20:21]
	s_mov_b64 s[20:21], -1
	s_mov_b64 s[28:29], -1
                                        ; implicit-def: $sgpr24_sgpr25
                                        ; implicit-def: $sgpr26_sgpr27
	s_and_saveexec_b64 s[30:31], s[22:23]
	s_xor_b64 s[22:23], exec, s[30:31]
	s_cbranch_execz .LBB2_230
; %bb.114:                              ;   in Loop: Header=BB2_7 Depth=1
	s_cmp_eq_u32 s8, 1
	s_cselect_b64 s[24:25], -1, 0
	v_cmp_eq_u32_e32 vcc, 1, v16
	s_and_b64 s[30:31], s[24:25], vcc
	s_mov_b64 s[34:35], -1
                                        ; implicit-def: $sgpr26_sgpr27
                                        ; implicit-def: $sgpr24_sgpr25
	s_and_saveexec_b64 s[28:29], s[30:31]
	s_cbranch_execz .LBB2_140
; %bb.115:                              ;   in Loop: Header=BB2_7 Depth=1
	ds_read_b32 v2, v8 offset:4096
	s_waitcnt lgkmcnt(0)
	s_barrier
	v_readfirstlane_b32 s9, v2
	s_and_saveexec_b64 s[24:25], s[4:5]
; %bb.116:                              ;   in Loop: Header=BB2_7 Depth=1
	ds_write_b8 v0, v8 offset:3072
; %bb.117:                              ;   in Loop: Header=BB2_7 Depth=1
	s_or_b64 exec, exec, s[24:25]
	v_and_b32_e32 v2, v23, v9
	v_lshl_or_b32 v23, 1, v29, v2
	v_or_b32_e32 v31, v31, v4
	s_mov_b64 s[24:25], -1
	s_mov_b64 s[26:27], 0
	s_cmp_gt_i32 s9, 0
	s_mov_b64 s[34:35], 0
	s_mov_b64 s[36:37], -1
	s_waitcnt lgkmcnt(0)
	s_barrier
                                        ; implicit-def: $vgpr32
	s_cbranch_scc1 .LBB2_128
; %bb.118:                              ;   in Loop: Header=BB2_7 Depth=1
	s_mov_b64 s[36:37], 0
                                        ; implicit-def: $vgpr32
	s_and_saveexec_b64 s[38:39], s[16:17]
	s_cbranch_execz .LBB2_127
; %bb.119:                              ;   in Loop: Header=BB2_7 Depth=1
	v_mov_b32_e32 v2, v6
	v_mov_b32_e32 v17, v0
                                        ; implicit-def: $sgpr40_sgpr41
	s_branch .LBB2_122
.LBB2_120:                              ;   in Loop: Header=BB2_122 Depth=2
	s_or_b64 exec, exec, s[42:43]
	s_waitcnt lgkmcnt(0)
	s_barrier
	ds_read_u16 v3, v8 offset:3072
	s_mov_b64 s[42:43], -1
	s_waitcnt lgkmcnt(0)
	s_barrier
	v_cmp_ne_u32_sdwa s[44:45], v3, v8 src0_sel:BYTE_0 src1_sel:DWORD
	s_and_b64 vcc, exec, s[44:45]
	s_mov_b64 s[44:45], -1
	s_cbranch_vccz .LBB2_125
.LBB2_121:                              ;   in Loop: Header=BB2_122 Depth=2
	s_and_b64 s[42:43], exec, s[42:43]
	s_or_b64 s[34:35], s[42:43], s[34:35]
	s_andn2_b64 s[40:41], s[40:41], exec
	s_and_b64 s[42:43], s[44:45], exec
	s_or_b64 s[40:41], s[40:41], s[42:43]
	s_andn2_b64 exec, exec, s[34:35]
	s_cbranch_execz .LBB2_126
.LBB2_122:                              ;   Parent Loop BB2_7 Depth=1
                                        ; =>  This Inner Loop Header: Depth=2
	v_cmp_gt_i32_e32 vcc, s68, v17
	s_and_saveexec_b64 s[42:43], vcc
	s_cbranch_execz .LBB2_120
; %bb.123:                              ;   in Loop: Header=BB2_122 Depth=2
	v_ashrrev_i32_e32 v3, 31, v2
	v_lshl_add_u64 v[32:33], s[80:81], 0, v[2:3]
	global_load_ubyte v3, v[32:33], off
	s_waitcnt vmcnt(0)
	v_bitop3_b32 v32, v3, s7, v31 bitop3:0x80
	v_cmp_eq_u32_e32 vcc, v32, v23
	s_and_b64 exec, exec, vcc
	s_cbranch_execz .LBB2_120
; %bb.124:                              ;   in Loop: Header=BB2_122 Depth=2
	v_lshlrev_b16_e32 v3, 8, v3
	v_or_b32_e32 v3, 1, v3
	ds_write_b16 v8, v3 offset:3072
	s_branch .LBB2_120
.LBB2_125:                              ;   in Loop: Header=BB2_122 Depth=2
	v_add_u32_e32 v17, s70, v17
	v_cmp_le_i32_e32 vcc, s97, v17
	v_add_u32_e32 v2, s94, v2
	s_mov_b64 s[44:45], 0
	s_orn2_b64 s[42:43], vcc, exec
	s_branch .LBB2_121
.LBB2_126:                              ;   in Loop: Header=BB2_7 Depth=1
	s_or_b64 exec, exec, s[34:35]
	v_lshrrev_b32_sdwa v32, v30, v3 dst_sel:DWORD dst_unused:UNUSED_PAD src0_sel:DWORD src1_sel:WORD_0
	s_and_b64 s[34:35], s[40:41], exec
.LBB2_127:                              ;   in Loop: Header=BB2_7 Depth=1
	s_or_b64 exec, exec, s[38:39]
.LBB2_128:                              ;   in Loop: Header=BB2_7 Depth=1
	s_and_b64 vcc, exec, s[36:37]
	s_cbranch_vccz .LBB2_139
; %bb.129:                              ;   in Loop: Header=BB2_7 Depth=1
	s_add_i32 s42, s9, s96
	s_abs_i32 s25, s42
	s_mul_hi_u32 s26, s25, s33
	s_mul_i32 s26, s26, s70
	s_sub_i32 s25, s25, s26
	s_ashr_i32 s24, s42, 31
	s_sub_i32 s26, s25, s70
	s_cmp_ge_u32 s25, s70
	s_cselect_b32 s25, s26, s25
	s_sub_i32 s26, s25, s70
	s_cmp_ge_u32 s25, s70
	s_cselect_b32 s25, s26, s25
	s_xor_b32 s25, s25, s24
	s_sub_i32 s24, s24, s25
	s_add_i32 s42, s42, s24
	v_cmp_gt_i32_e32 vcc, s42, v0
                                        ; implicit-def: $vgpr32
	s_and_saveexec_b64 s[24:25], vcc
	s_cbranch_execz .LBB2_138
; %bb.130:                              ;   in Loop: Header=BB2_7 Depth=1
	s_mov_b64 s[26:27], 0
	v_mov_b32_e32 v2, v0
                                        ; implicit-def: $sgpr36_sgpr37
	s_branch .LBB2_133
.LBB2_131:                              ;   in Loop: Header=BB2_133 Depth=2
	s_or_b64 exec, exec, s[38:39]
	s_waitcnt lgkmcnt(0)
	s_barrier
	ds_read_u16 v3, v8 offset:3072
	s_mov_b64 s[38:39], -1
	s_waitcnt lgkmcnt(0)
	s_barrier
	v_cmp_eq_u32_sdwa s[40:41], v3, v8 src0_sel:BYTE_0 src1_sel:DWORD
	s_and_b64 vcc, exec, s[40:41]
	s_mov_b64 s[40:41], -1
	s_cbranch_vccnz .LBB2_136
.LBB2_132:                              ;   in Loop: Header=BB2_133 Depth=2
	s_and_b64 s[38:39], exec, s[38:39]
	s_or_b64 s[26:27], s[38:39], s[26:27]
	s_andn2_b64 s[36:37], s[36:37], exec
	s_and_b64 s[38:39], s[40:41], exec
	s_or_b64 s[36:37], s[36:37], s[38:39]
	s_andn2_b64 exec, exec, s[26:27]
	s_cbranch_execz .LBB2_137
.LBB2_133:                              ;   Parent Loop BB2_7 Depth=1
                                        ; =>  This Inner Loop Header: Depth=2
	v_cmp_gt_i32_e32 vcc, s9, v2
	s_and_saveexec_b64 s[38:39], vcc
	s_cbranch_execz .LBB2_131
; %bb.134:                              ;   in Loop: Header=BB2_133 Depth=2
	ds_read_u8 v3, v2
	s_waitcnt lgkmcnt(0)
	v_bitop3_b32 v17, v3, s7, v31 bitop3:0x80
	v_cmp_eq_u32_e32 vcc, v17, v23
	s_and_b64 exec, exec, vcc
	s_cbranch_execz .LBB2_131
; %bb.135:                              ;   in Loop: Header=BB2_133 Depth=2
	v_lshlrev_b16_e32 v3, 8, v3
	v_or_b32_e32 v3, 1, v3
	ds_write_b16 v8, v3 offset:3072
	s_branch .LBB2_131
.LBB2_136:                              ;   in Loop: Header=BB2_133 Depth=2
	v_add_u32_e32 v2, s70, v2
	v_cmp_le_i32_e32 vcc, s42, v2
	s_mov_b64 s[40:41], 0
	s_orn2_b64 s[38:39], vcc, exec
	s_branch .LBB2_132
.LBB2_137:                              ;   in Loop: Header=BB2_7 Depth=1
	s_or_b64 exec, exec, s[26:27]
	s_andn2_b64 s[26:27], s[34:35], exec
	s_and_b64 s[34:35], s[36:37], exec
	v_lshrrev_b32_sdwa v32, v30, v3 dst_sel:DWORD dst_unused:UNUSED_PAD src0_sel:DWORD src1_sel:WORD_0
	s_or_b64 s[34:35], s[26:27], s[34:35]
.LBB2_138:                              ;   in Loop: Header=BB2_7 Depth=1
	s_or_b64 exec, exec, s[24:25]
	s_mov_b64 s[24:25], 0
	s_mov_b64 s[26:27], -1
.LBB2_139:                              ;   in Loop: Header=BB2_7 Depth=1
	s_orn2_b64 s[34:35], s[34:35], exec
.LBB2_140:                              ;   in Loop: Header=BB2_7 Depth=1
	s_or_b64 exec, exec, s[28:29]
	s_mov_b64 s[36:37], 0
	s_and_saveexec_b64 s[28:29], s[34:35]
	s_cbranch_execz .LBB2_229
; %bb.141:                              ;   in Loop: Header=BB2_7 Depth=1
	s_xor_b64 s[34:35], s[30:31], -1
	s_mov_b64 s[40:41], 0
	v_mov_b32_e32 v17, 1
	v_mov_b32_e32 v5, 1
	s_and_saveexec_b64 s[30:31], s[34:35]
	s_cbranch_execz .LBB2_150
; %bb.142:                              ;   in Loop: Header=BB2_7 Depth=1
	v_cmp_ge_i32_e32 vcc, s8, v16
	s_and_saveexec_b64 s[34:35], vcc
	s_xor_b64 s[34:35], exec, s[34:35]
	s_cbranch_execz .LBB2_147
; %bb.143:                              ;   in Loop: Header=BB2_7 Depth=1
	ds_read_b32 v2, v8 offset:4096
	v_and_b32_e32 v3, v23, v9
	v_lshl_or_b32 v23, 1, v29, v3
	v_or_b32_e32 v31, v31, v4
	s_waitcnt lgkmcnt(0)
	v_cmp_ne_u32_e32 vcc, 0, v2
	s_cbranch_vccnz .LBB2_147
; %bb.144:                              ;   in Loop: Header=BB2_7 Depth=1
	s_and_saveexec_b64 s[36:37], s[0:1]
; %bb.145:                              ;   in Loop: Header=BB2_7 Depth=1
	v_mov_b32_e32 v2, s8
	ds_write_b32 v8, v2 offset:4100
; %bb.146:                              ;   in Loop: Header=BB2_7 Depth=1
	s_or_b64 exec, exec, s[36:37]
	s_waitcnt lgkmcnt(0)
	s_barrier
.LBB2_147:                              ;   in Loop: Header=BB2_7 Depth=1
	s_or_saveexec_b64 s[34:35], s[34:35]
	s_mov_b64 s[36:37], 0
	v_mov_b32_e32 v5, 8
	s_xor_b64 exec, exec, s[34:35]
; %bb.148:                              ;   in Loop: Header=BB2_7 Depth=1
	s_mov_b64 s[36:37], exec
	v_subrev_u32_e32 v16, s8, v16
	v_mov_b32_e32 v5, 0
; %bb.149:                              ;   in Loop: Header=BB2_7 Depth=1
	s_or_b64 exec, exec, s[34:35]
	s_and_b64 s[40:41], s[36:37], exec
	v_mov_b32_e32 v17, v16
.LBB2_150:                              ;   in Loop: Header=BB2_7 Depth=1
	s_or_b64 exec, exec, s[30:31]
	s_mov_b64 s[38:39], -1
                                        ; implicit-def: $sgpr34_sgpr35
                                        ; implicit-def: $sgpr36_sgpr37
	s_and_saveexec_b64 s[30:31], s[40:41]
	s_cbranch_execz .LBB2_228
; %bb.151:                              ;   in Loop: Header=BB2_7 Depth=1
	s_cmp_eq_u32 s54, 1
	s_cselect_b64 s[8:9], -1, 0
	v_cmp_eq_u32_e32 vcc, 1, v17
	s_and_b64 s[40:41], s[8:9], vcc
	s_mov_b64 s[42:43], -1
                                        ; implicit-def: $sgpr36_sgpr37
                                        ; implicit-def: $sgpr34_sgpr35
	s_and_saveexec_b64 s[38:39], s[40:41]
	s_cbranch_execz .LBB2_177
; %bb.152:                              ;   in Loop: Header=BB2_7 Depth=1
	ds_read_b32 v2, v8 offset:4096
	s_waitcnt lgkmcnt(0)
	s_barrier
	v_readfirstlane_b32 s8, v2
	s_and_saveexec_b64 s[34:35], s[4:5]
; %bb.153:                              ;   in Loop: Header=BB2_7 Depth=1
	ds_write_b8 v0, v8 offset:3072
; %bb.154:                              ;   in Loop: Header=BB2_7 Depth=1
	s_or_b64 exec, exec, s[34:35]
	v_and_b32_e32 v2, v23, v9
	v_lshl_or_b32 v23, 2, v29, v2
	v_or_b32_e32 v31, v31, v4
	s_mov_b64 s[34:35], -1
	s_mov_b64 s[36:37], 0
	s_cmp_gt_i32 s8, 0
	s_mov_b64 s[42:43], 0
	s_mov_b64 s[44:45], -1
	s_waitcnt lgkmcnt(0)
	s_barrier
                                        ; implicit-def: $vgpr32
	s_cbranch_scc1 .LBB2_165
; %bb.155:                              ;   in Loop: Header=BB2_7 Depth=1
	s_mov_b64 s[44:45], 0
                                        ; implicit-def: $vgpr32
	s_and_saveexec_b64 s[46:47], s[16:17]
	s_cbranch_execz .LBB2_164
; %bb.156:                              ;   in Loop: Header=BB2_7 Depth=1
	v_mov_b32_e32 v2, v6
	v_mov_b32_e32 v16, v0
                                        ; implicit-def: $sgpr48_sgpr49
	s_branch .LBB2_159
.LBB2_157:                              ;   in Loop: Header=BB2_159 Depth=2
	s_or_b64 exec, exec, s[50:51]
	s_waitcnt lgkmcnt(0)
	s_barrier
	ds_read_u16 v3, v8 offset:3072
	s_mov_b64 s[50:51], -1
	s_waitcnt lgkmcnt(0)
	s_barrier
	v_cmp_ne_u32_sdwa s[52:53], v3, v8 src0_sel:BYTE_0 src1_sel:DWORD
	s_and_b64 vcc, exec, s[52:53]
	s_mov_b64 s[52:53], -1
	s_cbranch_vccz .LBB2_162
.LBB2_158:                              ;   in Loop: Header=BB2_159 Depth=2
	s_and_b64 s[50:51], exec, s[50:51]
	s_or_b64 s[42:43], s[50:51], s[42:43]
	s_andn2_b64 s[48:49], s[48:49], exec
	s_and_b64 s[50:51], s[52:53], exec
	s_or_b64 s[48:49], s[48:49], s[50:51]
	s_andn2_b64 exec, exec, s[42:43]
	s_cbranch_execz .LBB2_163
.LBB2_159:                              ;   Parent Loop BB2_7 Depth=1
                                        ; =>  This Inner Loop Header: Depth=2
	v_cmp_gt_i32_e32 vcc, s68, v16
	s_and_saveexec_b64 s[50:51], vcc
	s_cbranch_execz .LBB2_157
; %bb.160:                              ;   in Loop: Header=BB2_159 Depth=2
	v_ashrrev_i32_e32 v3, 31, v2
	v_lshl_add_u64 v[32:33], s[80:81], 0, v[2:3]
	global_load_ubyte v3, v[32:33], off
	s_waitcnt vmcnt(0)
	v_bitop3_b32 v32, v3, s7, v31 bitop3:0x80
	v_cmp_eq_u32_e32 vcc, v32, v23
	s_and_b64 exec, exec, vcc
	s_cbranch_execz .LBB2_157
; %bb.161:                              ;   in Loop: Header=BB2_159 Depth=2
	v_lshlrev_b16_e32 v3, 8, v3
	v_or_b32_e32 v3, 1, v3
	ds_write_b16 v8, v3 offset:3072
	s_branch .LBB2_157
.LBB2_162:                              ;   in Loop: Header=BB2_159 Depth=2
	v_add_u32_e32 v16, s70, v16
	v_cmp_le_i32_e32 vcc, s97, v16
	v_add_u32_e32 v2, s94, v2
	s_mov_b64 s[52:53], 0
	s_orn2_b64 s[50:51], vcc, exec
	s_branch .LBB2_158
.LBB2_163:                              ;   in Loop: Header=BB2_7 Depth=1
	s_or_b64 exec, exec, s[42:43]
	v_lshrrev_b32_sdwa v32, v30, v3 dst_sel:DWORD dst_unused:UNUSED_PAD src0_sel:DWORD src1_sel:WORD_0
	s_and_b64 s[42:43], s[48:49], exec
.LBB2_164:                              ;   in Loop: Header=BB2_7 Depth=1
	s_or_b64 exec, exec, s[46:47]
.LBB2_165:                              ;   in Loop: Header=BB2_7 Depth=1
	s_and_b64 vcc, exec, s[44:45]
	s_cbranch_vccz .LBB2_176
; %bb.166:                              ;   in Loop: Header=BB2_7 Depth=1
	s_add_i32 s9, s8, s96
	s_abs_i32 s35, s9
	s_mul_hi_u32 s36, s35, s33
	s_mul_i32 s36, s36, s70
	s_sub_i32 s35, s35, s36
	s_ashr_i32 s34, s9, 31
	s_sub_i32 s36, s35, s70
	s_cmp_ge_u32 s35, s70
	s_cselect_b32 s35, s36, s35
	s_sub_i32 s36, s35, s70
	s_cmp_ge_u32 s35, s70
	s_cselect_b32 s35, s36, s35
	s_xor_b32 s35, s35, s34
	s_sub_i32 s34, s34, s35
	s_add_i32 s9, s9, s34
	v_cmp_gt_i32_e32 vcc, s9, v0
                                        ; implicit-def: $vgpr32
	s_and_saveexec_b64 s[34:35], vcc
	s_cbranch_execz .LBB2_175
; %bb.167:                              ;   in Loop: Header=BB2_7 Depth=1
	s_mov_b64 s[36:37], 0
	v_mov_b32_e32 v2, v0
                                        ; implicit-def: $sgpr44_sgpr45
	s_branch .LBB2_170
.LBB2_168:                              ;   in Loop: Header=BB2_170 Depth=2
	s_or_b64 exec, exec, s[46:47]
	s_waitcnt lgkmcnt(0)
	s_barrier
	ds_read_u16 v3, v8 offset:3072
	s_mov_b64 s[46:47], -1
	s_waitcnt lgkmcnt(0)
	s_barrier
	v_cmp_eq_u32_sdwa s[48:49], v3, v8 src0_sel:BYTE_0 src1_sel:DWORD
	s_and_b64 vcc, exec, s[48:49]
	s_mov_b64 s[48:49], -1
	s_cbranch_vccnz .LBB2_173
.LBB2_169:                              ;   in Loop: Header=BB2_170 Depth=2
	s_and_b64 s[46:47], exec, s[46:47]
	s_or_b64 s[36:37], s[46:47], s[36:37]
	s_andn2_b64 s[44:45], s[44:45], exec
	s_and_b64 s[46:47], s[48:49], exec
	s_or_b64 s[44:45], s[44:45], s[46:47]
	s_andn2_b64 exec, exec, s[36:37]
	s_cbranch_execz .LBB2_174
.LBB2_170:                              ;   Parent Loop BB2_7 Depth=1
                                        ; =>  This Inner Loop Header: Depth=2
	v_cmp_gt_i32_e32 vcc, s8, v2
	s_and_saveexec_b64 s[46:47], vcc
	s_cbranch_execz .LBB2_168
; %bb.171:                              ;   in Loop: Header=BB2_170 Depth=2
	ds_read_u8 v3, v2
	s_waitcnt lgkmcnt(0)
	v_bitop3_b32 v16, v3, s7, v31 bitop3:0x80
	v_cmp_eq_u32_e32 vcc, v16, v23
	s_and_b64 exec, exec, vcc
	s_cbranch_execz .LBB2_168
; %bb.172:                              ;   in Loop: Header=BB2_170 Depth=2
	v_lshlrev_b16_e32 v3, 8, v3
	v_or_b32_e32 v3, 1, v3
	ds_write_b16 v8, v3 offset:3072
	s_branch .LBB2_168
.LBB2_173:                              ;   in Loop: Header=BB2_170 Depth=2
	v_add_u32_e32 v2, s70, v2
	v_cmp_le_i32_e32 vcc, s9, v2
	s_mov_b64 s[48:49], 0
	s_orn2_b64 s[46:47], vcc, exec
	s_branch .LBB2_169
.LBB2_174:                              ;   in Loop: Header=BB2_7 Depth=1
	s_or_b64 exec, exec, s[36:37]
	s_andn2_b64 s[8:9], s[42:43], exec
	s_and_b64 s[36:37], s[44:45], exec
	v_lshrrev_b32_sdwa v32, v30, v3 dst_sel:DWORD dst_unused:UNUSED_PAD src0_sel:DWORD src1_sel:WORD_0
	s_or_b64 s[42:43], s[8:9], s[36:37]
.LBB2_175:                              ;   in Loop: Header=BB2_7 Depth=1
	s_or_b64 exec, exec, s[34:35]
	s_mov_b64 s[34:35], 0
	s_mov_b64 s[36:37], -1
.LBB2_176:                              ;   in Loop: Header=BB2_7 Depth=1
	s_orn2_b64 s[42:43], s[42:43], exec
.LBB2_177:                              ;   in Loop: Header=BB2_7 Depth=1
	s_or_b64 exec, exec, s[38:39]
	s_mov_b64 s[44:45], 0
	s_and_saveexec_b64 s[38:39], s[42:43]
	s_cbranch_execz .LBB2_227
; %bb.178:                              ;   in Loop: Header=BB2_7 Depth=1
	s_xor_b64 s[8:9], s[40:41], -1
	s_mov_b64 s[48:49], 0
	v_mov_b32_e32 v16, 1
	v_mov_b32_e32 v5, 1
	s_and_saveexec_b64 s[40:41], s[8:9]
	s_cbranch_execz .LBB2_187
; %bb.179:                              ;   in Loop: Header=BB2_7 Depth=1
	v_cmp_ge_i32_e32 vcc, s54, v17
	s_and_saveexec_b64 s[8:9], vcc
	s_xor_b64 s[42:43], exec, s[8:9]
	s_cbranch_execz .LBB2_184
; %bb.180:                              ;   in Loop: Header=BB2_7 Depth=1
	ds_read_b32 v2, v8 offset:4096
	v_and_b32_e32 v3, v23, v9
	v_lshl_or_b32 v23, 2, v29, v3
	v_or_b32_e32 v31, v31, v4
	s_waitcnt lgkmcnt(0)
	v_cmp_ne_u32_e32 vcc, 0, v2
	s_cbranch_vccnz .LBB2_184
; %bb.181:                              ;   in Loop: Header=BB2_7 Depth=1
	s_and_saveexec_b64 s[44:45], s[0:1]
; %bb.182:                              ;   in Loop: Header=BB2_7 Depth=1
	v_mov_b32_e32 v2, s54
	ds_write_b32 v8, v2 offset:4100
; %bb.183:                              ;   in Loop: Header=BB2_7 Depth=1
	s_or_b64 exec, exec, s[44:45]
	s_waitcnt lgkmcnt(0)
	s_barrier
.LBB2_184:                              ;   in Loop: Header=BB2_7 Depth=1
	s_or_saveexec_b64 s[42:43], s[42:43]
	s_mov_b64 s[44:45], 0
	v_mov_b32_e32 v5, 8
	s_xor_b64 exec, exec, s[42:43]
; %bb.185:                              ;   in Loop: Header=BB2_7 Depth=1
	s_mov_b64 s[44:45], exec
	v_subrev_u32_e32 v17, s54, v17
	v_mov_b32_e32 v5, 0
; %bb.186:                              ;   in Loop: Header=BB2_7 Depth=1
	s_or_b64 exec, exec, s[42:43]
	s_and_b64 s[48:49], s[44:45], exec
	v_mov_b32_e32 v16, v17
.LBB2_187:                              ;   in Loop: Header=BB2_7 Depth=1
	s_or_b64 exec, exec, s[40:41]
	s_mov_b64 s[46:47], -1
                                        ; implicit-def: $sgpr44_sgpr45
                                        ; implicit-def: $sgpr42_sgpr43
	s_and_saveexec_b64 s[40:41], s[48:49]
	s_cbranch_execz .LBB2_226
; %bb.188:                              ;   in Loop: Header=BB2_7 Depth=1
	s_cmp_eq_u32 s76, 1
	s_cselect_b64 s[8:9], -1, 0
	v_cmp_eq_u32_e32 vcc, 1, v16
	s_and_b64 s[46:47], s[8:9], vcc
	s_mov_b64 s[50:51], -1
                                        ; implicit-def: $sgpr44_sgpr45
                                        ; implicit-def: $sgpr42_sgpr43
	s_and_saveexec_b64 s[48:49], s[46:47]
	s_cbranch_execz .LBB2_214
; %bb.189:                              ;   in Loop: Header=BB2_7 Depth=1
	ds_read_b32 v2, v8 offset:4096
	s_waitcnt lgkmcnt(0)
	s_barrier
	v_readfirstlane_b32 s8, v2
	s_and_saveexec_b64 s[42:43], s[4:5]
; %bb.190:                              ;   in Loop: Header=BB2_7 Depth=1
	ds_write_b8 v0, v8 offset:3072
; %bb.191:                              ;   in Loop: Header=BB2_7 Depth=1
	s_or_b64 exec, exec, s[42:43]
	v_or_b32_e32 v23, v23, v4
	v_or_b32_e32 v31, v31, v4
	s_mov_b64 s[42:43], -1
	s_mov_b64 s[44:45], 0
	s_cmp_gt_i32 s8, 0
	s_mov_b64 s[50:51], 0
	s_mov_b64 s[52:53], -1
	s_waitcnt lgkmcnt(0)
	s_barrier
                                        ; implicit-def: $vgpr32
	s_cbranch_scc1 .LBB2_202
; %bb.192:                              ;   in Loop: Header=BB2_7 Depth=1
	s_mov_b64 s[52:53], 0
                                        ; implicit-def: $vgpr32
	s_and_saveexec_b64 s[54:55], s[16:17]
	s_cbranch_execz .LBB2_201
; %bb.193:                              ;   in Loop: Header=BB2_7 Depth=1
	v_mov_b32_e32 v2, v6
	v_mov_b32_e32 v9, v0
                                        ; implicit-def: $sgpr56_sgpr57
	s_branch .LBB2_196
.LBB2_194:                              ;   in Loop: Header=BB2_196 Depth=2
	s_or_b64 exec, exec, s[58:59]
	s_waitcnt lgkmcnt(0)
	s_barrier
	ds_read_u16 v3, v8 offset:3072
	s_mov_b64 s[58:59], -1
	s_waitcnt lgkmcnt(0)
	s_barrier
	v_cmp_ne_u32_sdwa s[72:73], v3, v8 src0_sel:BYTE_0 src1_sel:DWORD
	s_and_b64 vcc, exec, s[72:73]
	s_mov_b64 s[72:73], -1
	s_cbranch_vccz .LBB2_199
.LBB2_195:                              ;   in Loop: Header=BB2_196 Depth=2
	s_and_b64 s[58:59], exec, s[58:59]
	s_or_b64 s[50:51], s[58:59], s[50:51]
	s_andn2_b64 s[56:57], s[56:57], exec
	s_and_b64 s[58:59], s[72:73], exec
	s_or_b64 s[56:57], s[56:57], s[58:59]
	s_andn2_b64 exec, exec, s[50:51]
	s_cbranch_execz .LBB2_200
.LBB2_196:                              ;   Parent Loop BB2_7 Depth=1
                                        ; =>  This Inner Loop Header: Depth=2
	v_cmp_gt_i32_e32 vcc, s68, v9
	s_and_saveexec_b64 s[58:59], vcc
	s_cbranch_execz .LBB2_194
; %bb.197:                              ;   in Loop: Header=BB2_196 Depth=2
	v_ashrrev_i32_e32 v3, 31, v2
	v_lshl_add_u64 v[32:33], s[80:81], 0, v[2:3]
	global_load_ubyte v3, v[32:33], off
	s_waitcnt vmcnt(0)
	v_bitop3_b32 v17, v3, s7, v31 bitop3:0x80
	v_cmp_eq_u32_e32 vcc, v17, v23
	s_and_b64 exec, exec, vcc
	s_cbranch_execz .LBB2_194
; %bb.198:                              ;   in Loop: Header=BB2_196 Depth=2
	v_lshlrev_b16_e32 v3, 8, v3
	v_or_b32_e32 v3, 1, v3
	ds_write_b16 v8, v3 offset:3072
	s_branch .LBB2_194
.LBB2_199:                              ;   in Loop: Header=BB2_196 Depth=2
	v_add_u32_e32 v9, s70, v9
	v_cmp_le_i32_e32 vcc, s97, v9
	v_add_u32_e32 v2, s94, v2
	s_mov_b64 s[72:73], 0
	s_orn2_b64 s[58:59], vcc, exec
	s_branch .LBB2_195
.LBB2_200:                              ;   in Loop: Header=BB2_7 Depth=1
	s_or_b64 exec, exec, s[50:51]
	v_lshrrev_b32_sdwa v32, v30, v3 dst_sel:DWORD dst_unused:UNUSED_PAD src0_sel:DWORD src1_sel:WORD_0
	s_and_b64 s[50:51], s[56:57], exec
.LBB2_201:                              ;   in Loop: Header=BB2_7 Depth=1
	s_or_b64 exec, exec, s[54:55]
.LBB2_202:                              ;   in Loop: Header=BB2_7 Depth=1
	s_and_b64 vcc, exec, s[52:53]
	s_cbranch_vccz .LBB2_213
; %bb.203:                              ;   in Loop: Header=BB2_7 Depth=1
	s_add_i32 s9, s8, s96
	s_abs_i32 s43, s9
	s_mul_hi_u32 s44, s43, s33
	s_mul_i32 s44, s44, s70
	s_sub_i32 s43, s43, s44
	s_ashr_i32 s42, s9, 31
	s_sub_i32 s44, s43, s70
	s_cmp_ge_u32 s43, s70
	s_cselect_b32 s43, s44, s43
	s_sub_i32 s44, s43, s70
	s_cmp_ge_u32 s43, s70
	s_cselect_b32 s43, s44, s43
	s_xor_b32 s43, s43, s42
	s_sub_i32 s42, s42, s43
	s_add_i32 s9, s9, s42
	v_cmp_gt_i32_e32 vcc, s9, v0
                                        ; implicit-def: $vgpr32
	s_and_saveexec_b64 s[42:43], vcc
	s_cbranch_execz .LBB2_212
; %bb.204:                              ;   in Loop: Header=BB2_7 Depth=1
	s_mov_b64 s[44:45], 0
	v_mov_b32_e32 v2, v0
                                        ; implicit-def: $sgpr52_sgpr53
	s_branch .LBB2_207
.LBB2_205:                              ;   in Loop: Header=BB2_207 Depth=2
	s_or_b64 exec, exec, s[54:55]
	s_waitcnt lgkmcnt(0)
	s_barrier
	ds_read_u16 v3, v8 offset:3072
	s_mov_b64 s[54:55], -1
	s_waitcnt lgkmcnt(0)
	s_barrier
	v_cmp_eq_u32_sdwa s[56:57], v3, v8 src0_sel:BYTE_0 src1_sel:DWORD
	s_and_b64 vcc, exec, s[56:57]
	s_mov_b64 s[56:57], -1
	s_cbranch_vccnz .LBB2_210
.LBB2_206:                              ;   in Loop: Header=BB2_207 Depth=2
	s_and_b64 s[54:55], exec, s[54:55]
	s_or_b64 s[44:45], s[54:55], s[44:45]
	s_andn2_b64 s[52:53], s[52:53], exec
	s_and_b64 s[54:55], s[56:57], exec
	s_or_b64 s[52:53], s[52:53], s[54:55]
	s_andn2_b64 exec, exec, s[44:45]
	s_cbranch_execz .LBB2_211
.LBB2_207:                              ;   Parent Loop BB2_7 Depth=1
                                        ; =>  This Inner Loop Header: Depth=2
	v_cmp_gt_i32_e32 vcc, s8, v2
	s_and_saveexec_b64 s[54:55], vcc
	s_cbranch_execz .LBB2_205
; %bb.208:                              ;   in Loop: Header=BB2_207 Depth=2
	ds_read_u8 v3, v2
	s_waitcnt lgkmcnt(0)
	v_bitop3_b32 v9, v3, s7, v31 bitop3:0x80
	v_cmp_eq_u32_e32 vcc, v9, v23
	s_and_b64 exec, exec, vcc
	s_cbranch_execz .LBB2_205
; %bb.209:                              ;   in Loop: Header=BB2_207 Depth=2
	v_lshlrev_b16_e32 v3, 8, v3
	v_or_b32_e32 v3, 1, v3
	ds_write_b16 v8, v3 offset:3072
	s_branch .LBB2_205
.LBB2_210:                              ;   in Loop: Header=BB2_207 Depth=2
	v_add_u32_e32 v2, s70, v2
	v_cmp_le_i32_e32 vcc, s9, v2
	s_mov_b64 s[56:57], 0
	s_orn2_b64 s[54:55], vcc, exec
	s_branch .LBB2_206
.LBB2_211:                              ;   in Loop: Header=BB2_7 Depth=1
	s_or_b64 exec, exec, s[44:45]
	s_andn2_b64 s[8:9], s[50:51], exec
	s_and_b64 s[44:45], s[52:53], exec
	v_lshrrev_b32_sdwa v32, v30, v3 dst_sel:DWORD dst_unused:UNUSED_PAD src0_sel:DWORD src1_sel:WORD_0
	s_or_b64 s[50:51], s[8:9], s[44:45]
.LBB2_212:                              ;   in Loop: Header=BB2_7 Depth=1
	s_or_b64 exec, exec, s[42:43]
	s_mov_b64 s[42:43], 0
	s_mov_b64 s[44:45], -1
.LBB2_213:                              ;   in Loop: Header=BB2_7 Depth=1
	s_orn2_b64 s[50:51], s[50:51], exec
.LBB2_214:                              ;   in Loop: Header=BB2_7 Depth=1
	s_or_b64 exec, exec, s[48:49]
	s_mov_b64 s[52:53], 0
	s_and_saveexec_b64 s[48:49], s[50:51]
	s_cbranch_execz .LBB2_225
; %bb.215:                              ;   in Loop: Header=BB2_7 Depth=1
	s_xor_b64 s[8:9], s[46:47], -1
	v_mov_b32_e32 v5, 1
	v_mov_b32_e32 v2, 1
	s_and_saveexec_b64 s[46:47], s[8:9]
	s_cbranch_execz .LBB2_224
; %bb.216:                              ;   in Loop: Header=BB2_7 Depth=1
	v_cmp_ge_i32_e32 vcc, s76, v16
	s_and_saveexec_b64 s[8:9], vcc
	s_xor_b64 s[50:51], exec, s[8:9]
	s_cbranch_execz .LBB2_221
; %bb.217:                              ;   in Loop: Header=BB2_7 Depth=1
	ds_read_b32 v2, v8 offset:4096
	v_or_b32_e32 v23, v23, v4
	v_or_b32_e32 v31, v31, v4
	s_waitcnt lgkmcnt(0)
	v_cmp_ne_u32_e32 vcc, 0, v2
	s_cbranch_vccnz .LBB2_221
; %bb.218:                              ;   in Loop: Header=BB2_7 Depth=1
	s_and_saveexec_b64 s[52:53], s[0:1]
; %bb.219:                              ;   in Loop: Header=BB2_7 Depth=1
	v_mov_b32_e32 v2, s76
	ds_write_b32 v8, v2 offset:4100
; %bb.220:                              ;   in Loop: Header=BB2_7 Depth=1
	s_or_b64 exec, exec, s[52:53]
	s_waitcnt lgkmcnt(0)
	s_barrier
.LBB2_221:                              ;   in Loop: Header=BB2_7 Depth=1
	s_andn2_saveexec_b64 s[50:51], s[50:51]
; %bb.222:                              ;   in Loop: Header=BB2_7 Depth=1
	v_subrev_u32_e32 v16, s76, v16
; %bb.223:                              ;   in Loop: Header=BB2_7 Depth=1
	s_or_b64 exec, exec, s[50:51]
	v_mov_b32_e32 v5, 8
	v_mov_b32_e32 v2, v16
.LBB2_224:                              ;   in Loop: Header=BB2_7 Depth=1
	s_or_b64 exec, exec, s[46:47]
	s_mov_b64 s[52:53], exec
	v_mov_b32_e32 v16, v2
.LBB2_225:                              ;   in Loop: Header=BB2_7 Depth=1
	s_or_b64 exec, exec, s[48:49]
	s_orn2_b64 s[46:47], s[52:53], exec
.LBB2_226:                              ;   in Loop: Header=BB2_7 Depth=1
	s_or_b64 exec, exec, s[40:41]
	s_andn2_b64 s[8:9], s[36:37], exec
	s_and_b64 s[36:37], s[44:45], exec
	s_or_b64 s[36:37], s[8:9], s[36:37]
	s_andn2_b64 s[8:9], s[34:35], exec
	s_and_b64 s[34:35], s[42:43], exec
	s_or_b64 s[34:35], s[8:9], s[34:35]
	s_and_b64 s[44:45], s[46:47], exec
	v_mov_b32_e32 v17, v16
.LBB2_227:                              ;   in Loop: Header=BB2_7 Depth=1
	s_or_b64 exec, exec, s[38:39]
	s_orn2_b64 s[38:39], s[44:45], exec
.LBB2_228:                              ;   in Loop: Header=BB2_7 Depth=1
	s_or_b64 exec, exec, s[30:31]
	s_andn2_b64 s[8:9], s[26:27], exec
	s_and_b64 s[26:27], s[36:37], exec
	s_or_b64 s[26:27], s[8:9], s[26:27]
	s_andn2_b64 s[8:9], s[24:25], exec
	s_and_b64 s[24:25], s[34:35], exec
	s_or_b64 s[24:25], s[8:9], s[24:25]
	s_and_b64 s[36:37], s[38:39], exec
	v_mov_b32_e32 v16, v17
.LBB2_229:                              ;   in Loop: Header=BB2_7 Depth=1
	s_or_b64 exec, exec, s[28:29]
	s_orn2_b64 s[28:29], s[36:37], exec
.LBB2_230:                              ;   in Loop: Header=BB2_7 Depth=1
	s_or_b64 exec, exec, s[22:23]
	s_mov_b64 s[30:31], 0
                                        ; implicit-def: $sgpr34
	s_and_saveexec_b64 s[8:9], s[28:29]
	s_xor_b64 s[22:23], exec, s[8:9]
	s_cbranch_execz .LBB2_5
; %bb.231:                              ;   in Loop: Header=BB2_7 Depth=1
	v_and_b32_e32 v2, 7, v5
	v_cmp_eq_u32_e32 vcc, 0, v2
	s_mov_b64 s[20:21], -1
	s_mov_b64 s[28:29], -1
                                        ; implicit-def: $sgpr34
	s_and_saveexec_b64 s[30:31], vcc
	s_cbranch_execz .LBB2_4
; %bb.232:                              ;   in Loop: Header=BB2_7 Depth=1
	v_add_u32_e32 v2, -2, v29
	v_cmp_eq_u32_e32 vcc, 0, v29
	s_xor_b32 s34, s69, 1
	s_xor_b64 s[28:29], exec, -1
	s_orn2_b64 s[20:21], vcc, exec
	v_mov_b32_e32 v29, v2
	s_branch .LBB2_4
.LBB2_233:
	s_or_b64 exec, exec, s[74:75]
	s_xor_b64 s[8:9], s[62:63], -1
	s_xor_b64 s[2:3], s[78:79], -1
	;; [unrolled: 1-line block ×3, first 2 shown]
	s_mov_b64 s[4:5], 0
	s_and_saveexec_b64 s[10:11], s[2:3]
	s_xor_b64 s[2:3], exec, s[10:11]
	s_cbranch_execnz .LBB2_238
; %bb.234:
	s_andn2_saveexec_b64 s[0:1], s[2:3]
	s_cbranch_execnz .LBB2_258
.LBB2_235:
	s_or_b64 exec, exec, s[0:1]
	s_and_saveexec_b64 s[0:1], s[4:5]
.LBB2_236:
	; divergent unreachable
.LBB2_237:
	s_endpgm
.LBB2_238:
	s_and_saveexec_b64 s[4:5], s[8:9]
	s_xor_b64 s[4:5], exec, s[4:5]
	s_cbranch_execz .LBB2_256
; %bb.239:
	s_and_saveexec_b64 s[8:9], s[6:7]
	s_xor_b64 s[6:7], exec, s[8:9]
; %bb.240:
	v_mov_b32_e32 v32, v23
; %bb.241:
	s_or_b64 exec, exec, s[6:7]
	s_and_saveexec_b64 s[6:7], s[0:1]
	v_readlane_b32 s22, v50, 20
	v_readlane_b32 s24, v50, 25
	;; [unrolled: 1-line block ×7, first 2 shown]
; %bb.242:
	v_mov_b32_e32 v1, 0
	v_mov_b32_e32 v2, s68
	ds_write_b32 v1, v2 offset:4108
; %bb.243:
	s_or_b64 exec, exec, s[6:7]
	v_mov_b32_e32 v1, 0
	s_waitcnt lgkmcnt(0)
	s_barrier
	ds_read_b32 v1, v1 offset:4108
	s_waitcnt lgkmcnt(0)
	v_min_i32_e32 v2, s68, v1
	v_cmp_lt_i32_e32 vcc, v0, v2
	s_and_saveexec_b64 s[6:7], vcc
	s_cbranch_execz .LBB2_253
; %bb.244:
	s_mov_b64 s[8:9], 0
                                        ; implicit-def: $sgpr10_sgpr11
                                        ; implicit-def: $sgpr14_sgpr15
                                        ; implicit-def: $sgpr12_sgpr13
	s_branch .LBB2_246
.LBB2_245:                              ;   in Loop: Header=BB2_246 Depth=1
	s_or_b64 exec, exec, s[16:17]
	s_and_b64 s[16:17], exec, s[14:15]
	s_or_b64 s[8:9], s[16:17], s[8:9]
	s_andn2_b64 s[10:11], s[10:11], exec
	s_and_b64 s[16:17], s[12:13], exec
	s_or_b64 s[10:11], s[10:11], s[16:17]
	s_andn2_b64 exec, exec, s[8:9]
	s_cbranch_execz .LBB2_248
.LBB2_246:                              ; =>This Inner Loop Header: Depth=1
	v_ashrrev_i32_e32 v7, 31, v6
	v_lshl_add_u64 v[4:5], s[80:81], 0, v[6:7]
	global_load_ubyte v3, v[4:5], off
	v_mov_b32_e32 v1, v0
	s_or_b64 s[12:13], s[12:13], exec
	s_or_b64 s[14:15], s[14:15], exec
                                        ; implicit-def: $vgpr0
	s_waitcnt vmcnt(0)
	v_cmp_ne_u16_sdwa s[18:19], v3, v32 src0_sel:DWORD src1_sel:BYTE_0
	s_and_saveexec_b64 s[16:17], s[18:19]
	s_cbranch_execz .LBB2_245
; %bb.247:                              ;   in Loop: Header=BB2_246 Depth=1
	v_add_u32_e32 v0, s70, v1
	v_cmp_ge_i32_e32 vcc, v0, v2
	s_andn2_b64 s[14:15], s[14:15], exec
	s_and_b64 s[18:19], vcc, exec
	v_add_u32_e32 v6, s94, v6
	s_andn2_b64 s[12:13], s[12:13], exec
	s_or_b64 s[14:15], s[14:15], s[18:19]
	s_branch .LBB2_245
.LBB2_248:
	s_or_b64 exec, exec, s[8:9]
	s_and_saveexec_b64 s[8:9], s[10:11]
	s_xor_b64 s[8:9], exec, s[8:9]
	s_cbranch_execz .LBB2_253
; %bb.249:
	s_mov_b64 s[8:9], exec
	s_brev_b32 s10, -2
.LBB2_250:                              ; =>This Inner Loop Header: Depth=1
	s_ff1_i32_b64 s11, s[8:9]
	v_readlane_b32 s14, v1, s11
	s_lshl_b64 s[12:13], 1, s11
	s_min_i32 s10, s10, s14
	s_andn2_b64 s[8:9], s[8:9], s[12:13]
	s_cmp_lg_u64 s[8:9], 0
	s_cbranch_scc1 .LBB2_250
; %bb.251:
	v_mbcnt_lo_u32_b32 v0, exec_lo, 0
	v_mbcnt_hi_u32_b32 v0, exec_hi, v0
	v_cmp_eq_u32_e32 vcc, 0, v0
	s_and_saveexec_b64 s[8:9], vcc
	s_xor_b64 s[8:9], exec, s[8:9]
; %bb.252:
	v_mov_b32_e32 v0, 0
	v_mov_b32_e32 v1, s10
	ds_min_i32 v0, v1 offset:4108
.LBB2_253:
	s_or_b64 exec, exec, s[6:7]
	s_waitcnt lgkmcnt(0)
	s_barrier
	s_and_saveexec_b64 s[6:7], s[0:1]
	s_cbranch_execz .LBB2_255
; %bb.254:
	v_readlane_b32 s8, v50, 0
	s_mul_i32 s0, s21, s23
	v_readlane_b32 s10, v50, 2
	s_sub_i32 s0, s20, s0
	v_readlane_b32 s9, v50, 1
	v_readlane_b32 s11, v50, 3
	s_mov_b32 s14, s10
	s_mov_b64 s[12:13], s[8:9]
	s_mul_i32 s0, s0, s14
	v_readlane_b32 s1, v50, 19
	v_readlane_b32 s8, v50, 22
	;; [unrolled: 1-line block ×4, first 2 shown]
	s_xor_b32 s1, s1, s8
	s_mul_i32 s8, s14, s11
	v_readlane_b32 s9, v50, 13
	s_sub_i32 s8, s9, s8
	s_add_i32 s9, s14, 1
	s_sub_i32 s10, s8, s11
	s_cmp_ge_u32 s8, s11
	s_cselect_b32 s9, s9, s14
	s_cselect_b32 s8, s10, s8
	s_add_i32 s10, s9, 1
	s_cmp_ge_u32 s8, s11
	s_cselect_b32 s8, s10, s9
	s_xor_b32 s8, s8, s1
	s_sub_i32 s1, s8, s1
	s_mul_i32 s8, s1, s22
	s_sub_i32 s8, s21, s8
	s_mul_i32 s8, s8, s13
	s_add_i32 s0, s8, s0
	s_mul_i32 s1, s1, s12
	v_readlane_b32 s8, v50, 4
	s_add_i32 s1, s0, s1
	s_mul_i32 s0, s26, s25
	v_readlane_b32 s10, v50, 6
	s_sub_i32 s0, s20, s0
	v_readlane_b32 s9, v50, 5
	s_mov_b32 s14, s10
	s_mov_b64 s[12:13], s[8:9]
	s_mul_i32 s0, s0, s14
	v_readlane_b32 s8, v50, 24
	v_readlane_b32 s9, v50, 27
	;; [unrolled: 1-line block ×4, first 2 shown]
	s_xor_b32 s8, s8, s9
	s_mul_i32 s9, s15, s14
	v_readlane_b32 s10, v50, 16
	v_readlane_b32 s11, v50, 7
	s_sub_i32 s9, s10, s9
	s_add_i32 s10, s15, 1
	s_sub_i32 s11, s9, s14
	s_cmp_ge_u32 s9, s14
	s_cselect_b32 s10, s10, s15
	s_cselect_b32 s9, s11, s9
	s_add_i32 s11, s10, 1
	s_cmp_ge_u32 s9, s14
	s_cselect_b32 s9, s11, s10
	s_xor_b32 s9, s9, s8
	s_sub_i32 s8, s9, s8
	s_mul_i32 s9, s8, s24
	s_sub_i32 s9, s26, s9
	s_mul_i32 s9, s9, s13
	s_add_i32 s0, s9, s0
	s_mul_i32 s8, s8, s12
	v_mov_b32_e32 v2, 0
	s_add_i32 s0, s0, s8
	s_ashr_i32 s9, s1, 31
	v_readlane_b32 s10, v50, 11
	ds_read_b32 v0, v2 offset:4108
	v_readlane_b32 s11, v50, 12
	s_add_u32 s8, s10, s1
	s_addc_u32 s9, s11, s9
	s_ashr_i32 s1, s0, 31
	s_lshl_b64 s[0:1], s[0:1], 3
	v_readlane_b32 s10, v50, 8
	v_readlane_b32 s11, v50, 9
	s_add_u32 s0, s10, s0
	s_addc_u32 s1, s11, s1
	s_waitcnt lgkmcnt(0)
	v_ashrrev_i32_e32 v1, 31, v0
	global_store_dwordx2 v2, v[0:1], s[0:1]
	global_store_byte v2, v32, s[8:9]
.LBB2_255:
	s_or_b64 exec, exec, s[6:7]
.LBB2_256:
	s_or_saveexec_b64 s[0:1], s[4:5]
	s_mov_b64 s[4:5], 0
	s_xor_b64 exec, exec, s[0:1]
	s_cbranch_execnz .LBB2_259
.LBB2_257:
	s_or_b64 exec, exec, s[0:1]
	s_and_b64 s[4:5], s[4:5], exec
	s_andn2_saveexec_b64 s[0:1], s[2:3]
	s_cbranch_execz .LBB2_235
.LBB2_258:
	s_or_b64 s[4:5], s[4:5], exec
	s_trap 2
	s_or_b64 exec, exec, s[0:1]
	s_and_saveexec_b64 s[0:1], s[4:5]
	s_cbranch_execnz .LBB2_236
	s_branch .LBB2_237
.LBB2_259:
	s_mov_b64 s[4:5], exec
	s_trap 2
	s_branch .LBB2_257
	.section	.rodata,"a",@progbits
	.p2align	6, 0x0
	.amdhsa_kernel _ZN2at6native12_GLOBAL__N_114gatherKthValueIhiLi3EEEvNS_4cuda6detail10TensorInfoIKT_T0_EES8_S8_S8_S8_NS5_IS6_S8_EENS5_IlS8_EE
		.amdhsa_group_segment_fixed_size 4112
		.amdhsa_private_segment_fixed_size 0
		.amdhsa_kernarg_size 920
		.amdhsa_user_sgpr_count 2
		.amdhsa_user_sgpr_dispatch_ptr 0
		.amdhsa_user_sgpr_queue_ptr 0
		.amdhsa_user_sgpr_kernarg_segment_ptr 1
		.amdhsa_user_sgpr_dispatch_id 0
		.amdhsa_user_sgpr_kernarg_preload_length 0
		.amdhsa_user_sgpr_kernarg_preload_offset 0
		.amdhsa_user_sgpr_private_segment_size 0
		.amdhsa_uses_dynamic_stack 0
		.amdhsa_enable_private_segment 0
		.amdhsa_system_sgpr_workgroup_id_x 1
		.amdhsa_system_sgpr_workgroup_id_y 1
		.amdhsa_system_sgpr_workgroup_id_z 1
		.amdhsa_system_sgpr_workgroup_info 0
		.amdhsa_system_vgpr_workitem_id 0
		.amdhsa_next_free_vgpr 51
		.amdhsa_next_free_sgpr 100
		.amdhsa_accum_offset 52
		.amdhsa_reserve_vcc 1
		.amdhsa_float_round_mode_32 0
		.amdhsa_float_round_mode_16_64 0
		.amdhsa_float_denorm_mode_32 3
		.amdhsa_float_denorm_mode_16_64 3
		.amdhsa_dx10_clamp 1
		.amdhsa_ieee_mode 1
		.amdhsa_fp16_overflow 0
		.amdhsa_tg_split 0
		.amdhsa_exception_fp_ieee_invalid_op 0
		.amdhsa_exception_fp_denorm_src 0
		.amdhsa_exception_fp_ieee_div_zero 0
		.amdhsa_exception_fp_ieee_overflow 0
		.amdhsa_exception_fp_ieee_underflow 0
		.amdhsa_exception_fp_ieee_inexact 0
		.amdhsa_exception_int_div_zero 0
	.end_amdhsa_kernel
	.section	.text._ZN2at6native12_GLOBAL__N_114gatherKthValueIhiLi3EEEvNS_4cuda6detail10TensorInfoIKT_T0_EES8_S8_S8_S8_NS5_IS6_S8_EENS5_IlS8_EE,"axG",@progbits,_ZN2at6native12_GLOBAL__N_114gatherKthValueIhiLi3EEEvNS_4cuda6detail10TensorInfoIKT_T0_EES8_S8_S8_S8_NS5_IS6_S8_EENS5_IlS8_EE,comdat
.Lfunc_end2:
	.size	_ZN2at6native12_GLOBAL__N_114gatherKthValueIhiLi3EEEvNS_4cuda6detail10TensorInfoIKT_T0_EES8_S8_S8_S8_NS5_IS6_S8_EENS5_IlS8_EE, .Lfunc_end2-_ZN2at6native12_GLOBAL__N_114gatherKthValueIhiLi3EEEvNS_4cuda6detail10TensorInfoIKT_T0_EES8_S8_S8_S8_NS5_IS6_S8_EENS5_IlS8_EE
                                        ; -- End function
	.set _ZN2at6native12_GLOBAL__N_114gatherKthValueIhiLi3EEEvNS_4cuda6detail10TensorInfoIKT_T0_EES8_S8_S8_S8_NS5_IS6_S8_EENS5_IlS8_EE.num_vgpr, 51
	.set _ZN2at6native12_GLOBAL__N_114gatherKthValueIhiLi3EEEvNS_4cuda6detail10TensorInfoIKT_T0_EES8_S8_S8_S8_NS5_IS6_S8_EENS5_IlS8_EE.num_agpr, 0
	.set _ZN2at6native12_GLOBAL__N_114gatherKthValueIhiLi3EEEvNS_4cuda6detail10TensorInfoIKT_T0_EES8_S8_S8_S8_NS5_IS6_S8_EENS5_IlS8_EE.numbered_sgpr, 100
	.set _ZN2at6native12_GLOBAL__N_114gatherKthValueIhiLi3EEEvNS_4cuda6detail10TensorInfoIKT_T0_EES8_S8_S8_S8_NS5_IS6_S8_EENS5_IlS8_EE.num_named_barrier, 0
	.set _ZN2at6native12_GLOBAL__N_114gatherKthValueIhiLi3EEEvNS_4cuda6detail10TensorInfoIKT_T0_EES8_S8_S8_S8_NS5_IS6_S8_EENS5_IlS8_EE.private_seg_size, 0
	.set _ZN2at6native12_GLOBAL__N_114gatherKthValueIhiLi3EEEvNS_4cuda6detail10TensorInfoIKT_T0_EES8_S8_S8_S8_NS5_IS6_S8_EENS5_IlS8_EE.uses_vcc, 1
	.set _ZN2at6native12_GLOBAL__N_114gatherKthValueIhiLi3EEEvNS_4cuda6detail10TensorInfoIKT_T0_EES8_S8_S8_S8_NS5_IS6_S8_EENS5_IlS8_EE.uses_flat_scratch, 0
	.set _ZN2at6native12_GLOBAL__N_114gatherKthValueIhiLi3EEEvNS_4cuda6detail10TensorInfoIKT_T0_EES8_S8_S8_S8_NS5_IS6_S8_EENS5_IlS8_EE.has_dyn_sized_stack, 0
	.set _ZN2at6native12_GLOBAL__N_114gatherKthValueIhiLi3EEEvNS_4cuda6detail10TensorInfoIKT_T0_EES8_S8_S8_S8_NS5_IS6_S8_EENS5_IlS8_EE.has_recursion, 0
	.set _ZN2at6native12_GLOBAL__N_114gatherKthValueIhiLi3EEEvNS_4cuda6detail10TensorInfoIKT_T0_EES8_S8_S8_S8_NS5_IS6_S8_EENS5_IlS8_EE.has_indirect_call, 0
	.section	.AMDGPU.csdata,"",@progbits
; Kernel info:
; codeLenInByte = 10024
; TotalNumSgprs: 106
; NumVgprs: 51
; NumAgprs: 0
; TotalNumVgprs: 51
; ScratchSize: 0
; MemoryBound: 0
; FloatMode: 240
; IeeeMode: 1
; LDSByteSize: 4112 bytes/workgroup (compile time only)
; SGPRBlocks: 13
; VGPRBlocks: 6
; NumSGPRsForWavesPerEU: 106
; NumVGPRsForWavesPerEU: 51
; AccumOffset: 52
; Occupancy: 7
; WaveLimiterHint : 1
; COMPUTE_PGM_RSRC2:SCRATCH_EN: 0
; COMPUTE_PGM_RSRC2:USER_SGPR: 2
; COMPUTE_PGM_RSRC2:TRAP_HANDLER: 0
; COMPUTE_PGM_RSRC2:TGID_X_EN: 1
; COMPUTE_PGM_RSRC2:TGID_Y_EN: 1
; COMPUTE_PGM_RSRC2:TGID_Z_EN: 1
; COMPUTE_PGM_RSRC2:TIDIG_COMP_CNT: 0
; COMPUTE_PGM_RSRC3_GFX90A:ACCUM_OFFSET: 12
; COMPUTE_PGM_RSRC3_GFX90A:TG_SPLIT: 0
	.section	.text._ZN2at6native12_GLOBAL__N_114gatherKthValueIhiLin1EEEvNS_4cuda6detail10TensorInfoIKT_T0_EES8_S8_S8_S8_NS5_IS6_S8_EENS5_IlS8_EE,"axG",@progbits,_ZN2at6native12_GLOBAL__N_114gatherKthValueIhiLin1EEEvNS_4cuda6detail10TensorInfoIKT_T0_EES8_S8_S8_S8_NS5_IS6_S8_EENS5_IlS8_EE,comdat
	.globl	_ZN2at6native12_GLOBAL__N_114gatherKthValueIhiLin1EEEvNS_4cuda6detail10TensorInfoIKT_T0_EES8_S8_S8_S8_NS5_IS6_S8_EENS5_IlS8_EE ; -- Begin function _ZN2at6native12_GLOBAL__N_114gatherKthValueIhiLin1EEEvNS_4cuda6detail10TensorInfoIKT_T0_EES8_S8_S8_S8_NS5_IS6_S8_EENS5_IlS8_EE
	.p2align	8
	.type	_ZN2at6native12_GLOBAL__N_114gatherKthValueIhiLin1EEEvNS_4cuda6detail10TensorInfoIKT_T0_EES8_S8_S8_S8_NS5_IS6_S8_EENS5_IlS8_EE,@function
_ZN2at6native12_GLOBAL__N_114gatherKthValueIhiLin1EEEvNS_4cuda6detail10TensorInfoIKT_T0_EES8_S8_S8_S8_NS5_IS6_S8_EENS5_IlS8_EE: ; @_ZN2at6native12_GLOBAL__N_114gatherKthValueIhiLin1EEEvNS_4cuda6detail10TensorInfoIKT_T0_EES8_S8_S8_S8_NS5_IS6_S8_EENS5_IlS8_EE
; %bb.0:
	s_load_dwordx2 s[12:13], s[0:1], 0x298
	s_load_dwordx4 s[60:63], s[0:1], 0xd8
	s_add_u32 s10, s0, 0x298
	s_addc_u32 s11, s1, 0
	s_waitcnt lgkmcnt(0)
	s_mul_i32 s4, s13, s4
	s_add_i32 s3, s4, s3
	s_mul_i32 s3, s3, s12
	s_add_i32 s33, s3, s2
	s_cmp_ge_i32 s33, s62
	s_cbranch_scc1 .LBB3_246
; %bb.1:
	s_load_dword s4, s[0:1], 0xd0
	s_mov_b32 s5, 0
	s_mov_b32 s3, s33
	s_waitcnt lgkmcnt(0)
	s_cmp_lt_i32 s4, 2
	s_cbranch_scc1 .LBB3_4
; %bb.2:
	s_add_i32 s8, s4, 1
	s_add_i32 s4, s4, -1
	s_lshl_b64 s[6:7], s[4:5], 2
	s_add_u32 s3, s0, s6
	s_addc_u32 s4, s1, s7
	s_add_u32 s6, s3, 8
	s_addc_u32 s7, s4, 0
	s_mov_b32 s3, s33
.LBB3_3:                                ; =>This Inner Loop Header: Depth=1
	s_load_dword s4, s[6:7], 0x0
	s_load_dword s13, s[6:7], 0x64
	s_mov_b32 s9, s3
	s_abs_i32 s3, s3
	s_waitcnt lgkmcnt(0)
	s_abs_i32 s15, s4
	v_cvt_f32_u32_e32 v1, s15
	s_sub_i32 s16, 0, s15
	s_xor_b32 s14, s9, s4
	s_ashr_i32 s14, s14, 31
	v_rcp_iflag_f32_e32 v1, v1
	s_nop 0
	v_mul_f32_e32 v1, 0x4f7ffffe, v1
	v_cvt_u32_f32_e32 v1, v1
	s_nop 0
	v_readfirstlane_b32 s17, v1
	s_mul_i32 s16, s16, s17
	s_mul_hi_u32 s16, s17, s16
	s_add_i32 s17, s17, s16
	s_mul_hi_u32 s16, s3, s17
	s_mul_i32 s17, s16, s15
	s_sub_i32 s3, s3, s17
	s_add_i32 s18, s16, 1
	s_sub_i32 s17, s3, s15
	s_cmp_ge_u32 s3, s15
	s_cselect_b32 s16, s18, s16
	s_cselect_b32 s3, s17, s3
	s_add_i32 s17, s16, 1
	s_cmp_ge_u32 s3, s15
	s_cselect_b32 s3, s17, s16
	s_xor_b32 s3, s3, s14
	s_sub_i32 s3, s3, s14
	s_mul_i32 s4, s3, s4
	s_sub_i32 s4, s9, s4
	s_mul_i32 s4, s13, s4
	s_add_i32 s8, s8, -1
	s_add_i32 s5, s4, s5
	s_add_u32 s6, s6, -4
	s_addc_u32 s7, s7, -1
	s_cmp_gt_u32 s8, 2
	s_cbranch_scc1 .LBB3_3
.LBB3_4:
	s_load_dword s8, s[0:1], 0x1b8
	s_add_u32 s6, s0, 0xe8
	s_addc_u32 s7, s1, 0
	s_mov_b32 s65, 0
	s_mov_b32 s62, s33
	s_waitcnt lgkmcnt(0)
	s_cmp_lt_i32 s8, 2
	s_cbranch_scc1 .LBB3_7
; %bb.5:
	s_add_i32 s64, s8, -1
	s_add_i32 s4, s8, 1
	s_lshl_b64 s[8:9], s[64:65], 2
	s_add_u32 s8, s6, s8
	s_addc_u32 s9, s7, s9
	s_add_u32 s8, s8, 8
	s_addc_u32 s9, s9, 0
	s_mov_b32 s62, s33
.LBB3_6:                                ; =>This Inner Loop Header: Depth=1
	s_load_dword s13, s[8:9], 0x0
	s_load_dword s15, s[8:9], 0x64
	s_abs_i32 s16, s62
	s_mov_b32 s14, s62
	s_waitcnt lgkmcnt(0)
	s_abs_i32 s18, s13
	v_cvt_f32_u32_e32 v1, s18
	s_sub_i32 s19, 0, s18
	s_xor_b32 s17, s62, s13
	s_ashr_i32 s17, s17, 31
	v_rcp_iflag_f32_e32 v1, v1
	s_nop 0
	v_mul_f32_e32 v1, 0x4f7ffffe, v1
	v_cvt_u32_f32_e32 v1, v1
	s_nop 0
	v_readfirstlane_b32 s20, v1
	s_mul_i32 s19, s19, s20
	s_mul_hi_u32 s19, s20, s19
	s_add_i32 s20, s20, s19
	s_mul_hi_u32 s19, s16, s20
	s_mul_i32 s20, s19, s18
	s_sub_i32 s16, s16, s20
	s_add_i32 s21, s19, 1
	s_sub_i32 s20, s16, s18
	s_cmp_ge_u32 s16, s18
	s_cselect_b32 s19, s21, s19
	s_cselect_b32 s16, s20, s16
	s_add_i32 s20, s19, 1
	s_cmp_ge_u32 s16, s18
	s_cselect_b32 s16, s20, s19
	s_xor_b32 s16, s16, s17
	s_sub_i32 s62, s16, s17
	s_mul_i32 s13, s62, s13
	s_sub_i32 s13, s14, s13
	s_mul_i32 s13, s15, s13
	s_add_i32 s4, s4, -1
	s_add_i32 s65, s13, s65
	s_add_u32 s8, s8, -4
	s_addc_u32 s9, s9, -1
	s_cmp_gt_u32 s4, 2
	s_cbranch_scc1 .LBB3_6
.LBB3_7:
	s_load_dword s4, s[0:1], 0x6c
	s_load_dword s14, s[0:1], 0x290
	s_add_u32 s8, s0, 0x1c0
	s_addc_u32 s9, s1, 0
	s_mov_b32 s67, 0
	s_waitcnt lgkmcnt(0)
	s_cmp_lt_i32 s14, 2
	s_cbranch_scc1 .LBB3_10
; %bb.8:
	s_add_i32 s66, s14, -1
	s_add_i32 s13, s14, 1
	s_lshl_b64 s[14:15], s[66:67], 2
	s_add_u32 s8, s8, s14
	s_addc_u32 s9, s9, s15
	s_add_u32 s8, s8, 8
	s_addc_u32 s9, s9, 0
.LBB3_9:                                ; =>This Inner Loop Header: Depth=1
	s_load_dword s14, s[8:9], 0x0
	s_load_dword s16, s[8:9], 0x64
	s_abs_i32 s17, s33
	s_mov_b32 s15, s33
	s_waitcnt lgkmcnt(0)
	s_abs_i32 s19, s14
	v_cvt_f32_u32_e32 v1, s19
	s_sub_i32 s20, 0, s19
	s_xor_b32 s18, s33, s14
	s_ashr_i32 s18, s18, 31
	v_rcp_iflag_f32_e32 v1, v1
	s_nop 0
	v_mul_f32_e32 v1, 0x4f7ffffe, v1
	v_cvt_u32_f32_e32 v1, v1
	s_nop 0
	v_readfirstlane_b32 s21, v1
	s_mul_i32 s20, s20, s21
	s_mul_hi_u32 s20, s21, s20
	s_add_i32 s21, s21, s20
	s_mul_hi_u32 s20, s17, s21
	s_mul_i32 s21, s20, s19
	s_sub_i32 s17, s17, s21
	s_add_i32 s22, s20, 1
	s_sub_i32 s21, s17, s19
	s_cmp_ge_u32 s17, s19
	s_cselect_b32 s20, s22, s20
	s_cselect_b32 s17, s21, s17
	s_add_i32 s21, s20, 1
	s_cmp_ge_u32 s17, s19
	s_cselect_b32 s17, s21, s20
	s_xor_b32 s17, s17, s18
	s_sub_i32 s33, s17, s18
	s_mul_i32 s14, s33, s14
	s_sub_i32 s14, s15, s14
	s_mul_i32 s14, s16, s14
	s_add_i32 s13, s13, -1
	s_add_i32 s67, s14, s67
	s_add_u32 s8, s8, -4
	s_addc_u32 s9, s9, -1
	s_cmp_gt_u32 s13, 2
	s_cbranch_scc1 .LBB3_9
.LBB3_10:
	s_load_dword s6, s[6:7], 0x6c
                                        ; implicit-def: $vgpr50 : SGPR spill to VGPR lane
	v_cmp_eq_u32_e64 s[18:19], 0, v0
	s_waitcnt lgkmcnt(0)
	v_writelane_b32 v50, s6, 0
	s_load_dwordx2 s[6:7], s[0:1], 0x0
	s_load_dwordx2 s[8:9], s[0:1], 0xe8
	s_waitcnt lgkmcnt(0)
	v_writelane_b32 v50, s8, 1
	s_nop 1
	v_writelane_b32 v50, s9, 2
	s_load_dwordx2 s[8:9], s[0:1], 0x1c0
	s_waitcnt lgkmcnt(0)
	v_writelane_b32 v50, s8, 3
	s_nop 1
	v_writelane_b32 v50, s9, 4
	s_and_saveexec_b64 s[8:9], s[18:19]
; %bb.11:
	v_mov_b32_e32 v2, 0
	v_mov_b32_e32 v3, s60
	;; [unrolled: 1-line block ×3, first 2 shown]
	ds_write_b96 v2, v[2:4] offset:4096
; %bb.12:
	s_or_b64 exec, exec, s[8:9]
	s_load_dword s0, s[0:1], 0x22c
	s_waitcnt lgkmcnt(0)
	s_barrier
	v_mbcnt_lo_u32_b32 v1, -1, 0
	v_writelane_b32 v50, s0, 5
	s_mul_i32 s0, s4, s3
	s_load_dword s3, s[10:11], 0xc
	s_add_i32 s0, s0, s5
	s_ashr_i32 s1, s0, 31
	s_add_u32 s72, s6, s0
	s_addc_u32 s73, s7, s1
	s_waitcnt lgkmcnt(0)
	s_and_b32 s64, s3, 0xffff
	v_mbcnt_hi_u32_b32 v18, -1, v1
	v_cmp_gt_u32_e32 vcc, 64, v0
	v_cmp_gt_i32_e64 s[4:5], 4, v18
	s_add_i32 s6, s64, -1
	s_lshl_b32 s66, s64, 2
	s_and_b64 s[76:77], vcc, s[4:5]
	s_add_i32 s9, s6, s60
	v_writelane_b32 v50, s6, 6
	s_cmpk_gt_i32 s60, 0xc00
	v_cmp_gt_u32_e64 s[6:7], s60, v0
	s_cselect_b64 s[78:79], -1, 0
	s_cmp_gt_u32 s64, 63
	v_writelane_b32 v50, s6, 7
	s_cselect_b64 s[80:81], -1, 0
	s_cmp_lt_u32 s2, s12
	v_writelane_b32 v50, s7, 8
	v_cmp_gt_i32_e64 s[6:7], s60, v0
	s_cselect_b32 s2, 12, 18
	v_lshlrev_b64 v[2:3], v18, -1
	v_writelane_b32 v50, s6, 9
	v_not_b32_e32 v12, v2
	v_lshrrev_b32_e32 v2, 2, v0
	v_writelane_b32 v50, s7, 10
	s_add_u32 s6, s10, s2
	s_addc_u32 s7, s11, 0
	v_writelane_b32 v50, s6, 11
	v_and_b32_e32 v2, 0xf0, v2
	v_or_b32_e32 v19, 0xc00, v2
	v_writelane_b32 v50, s7, 12
	s_bfe_u32 s6, s3, 0xa0006
	s_add_i32 s2, s6, -2
	s_lshr_b32 s3, s2, 1
	s_add_i32 s3, s3, 1
	s_cmpk_gt_u32 s64, 0x7f
	v_cvt_f32_u32_e32 v2, s66
	s_cselect_b64 s[10:11], -1, 0
	s_and_b32 s7, s6, 0x3fe
	s_and_b32 s8, s3, 7
	v_writelane_b32 v50, s10, 13
	s_cmp_gt_u32 s2, 13
	v_rcp_iflag_f32_e32 v2, v2
	v_writelane_b32 v50, s11, 14
	s_cselect_b64 s[10:11], -1, 0
	v_writelane_b32 v50, s10, 15
	s_and_b32 s2, s3, -8
	s_cmp_lg_u32 s8, 0
	v_writelane_b32 v50, s11, 16
	v_writelane_b32 v50, s2, 17
	;; [unrolled: 1-line block ×3, first 2 shown]
	s_cselect_b64 s[2:3], -1, 0
	v_writelane_b32 v50, s2, 19
	v_mul_f32_e32 v2, 0x4f7ffffe, v2
	v_cvt_u32_f32_e32 v2, v2
	v_writelane_b32 v50, s3, 20
	v_writelane_b32 v50, s6, 21
	s_cmp_lg_u32 s7, s6
	v_writelane_b32 v50, s7, 22
	s_cselect_b64 s[2:3], -1, 0
	v_writelane_b32 v50, s2, 23
	v_not_b32_e32 v1, v3
	v_cvt_f32_u32_e32 v3, s64
	v_writelane_b32 v50, s3, 24
	s_sub_i32 s2, 0, s66
	v_readfirstlane_b32 s3, v2
	s_mul_i32 s2, s2, s3
	s_mul_hi_u32 s2, s3, s2
	s_add_i32 s6, s3, s2
	s_mul_hi_u32 s2, s60, s6
	s_mul_i32 s2, s2, s66
	s_sub_i32 s2, s60, s2
	s_sub_i32 s3, s2, s66
	s_cmp_ge_u32 s2, s66
	s_cselect_b32 s2, s3, s2
	s_sub_i32 s3, s2, s66
	s_cmp_ge_u32 s2, s66
	s_cselect_b32 s2, s3, s2
	s_sub_i32 s7, s60, s2
	v_rcp_iflag_f32_e32 v5, v3
	v_add_u32_e32 v20, s7, v0
	v_mul_lo_u32 v2, v20, s63
	v_ashrrev_i32_e32 v3, 31, v2
	v_lshl_add_u64 v[14:15], s[72:73], 0, v[2:3]
	v_mul_f32_e32 v2, 0x4f7ffffe, v5
	v_cvt_u32_f32_e32 v2, v2
	s_sub_i32 s16, 0, s64
	s_abs_i32 s8, s9
	s_ashr_i32 s3, s9, 31
	v_readfirstlane_b32 s17, v2
	s_mul_i32 s16, s16, s17
	s_mul_hi_u32 s16, s17, s16
	s_add_i32 s16, s17, s16
	v_writelane_b32 v50, s16, 25
	s_mul_hi_u32 s16, s8, s16
	s_mul_i32 s16, s16, s64
	s_sub_i32 s8, s8, s16
	s_sub_i32 s16, s8, s64
	s_cmp_ge_u32 s8, s64
	s_cselect_b32 s8, s16, s8
	s_sub_i32 s16, s8, s64
	s_cmp_ge_u32 s8, s64
	s_cselect_b32 s8, s16, s8
	v_lshlrev_b32_e32 v13, 2, v0
	s_xor_b32 s8, s8, s3
	s_sub_i32 s3, s3, s8
	v_mul_lo_u32 v2, s63, v13
	s_add_i32 s9, s9, s3
	v_add_u32_e32 v21, s63, v2
	v_or_b32_e32 v2, 2, v13
	v_cmp_gt_i32_e64 s[16:17], s9, v0
	v_mul_lo_u32 v22, s63, v2
	v_or_b32_e32 v2, 3, v13
	s_add_i32 s3, s64, s60
	v_mov_b32_e32 v8, 0
	v_writelane_b32 v50, s16, 26
	v_mul_lo_u32 v23, s63, v2
	v_add_u32_e32 v2, s3, v0
	v_mul_lo_u32 v6, s63, v0
	v_mov_b32_e32 v7, v8
	v_lshlrev_b32_e32 v4, 2, v18
	s_mov_b32 s20, 0
	s_mov_b32 s21, 1
	v_writelane_b32 v50, s17, 27
	s_mul_i32 s74, s63, s64
	v_subrev_u32_e32 v2, s2, v2
	v_cmp_eq_u32_e64 s[0:1], 0, v18
	v_cmp_gt_u32_e64 s[4:5], 2, v0
	v_lshl_add_u64 v[10:11], s[72:73], 0, v[6:7]
	v_and_b32_e32 v7, 0x100, v4
	v_cmp_gt_i32_e64 s[10:11], s7, v13
	v_cmp_gt_u32_e64 s[12:13], s60, v20
	v_cmp_gt_i32_e64 s[14:15], s60, v20
	s_lshl_b32 s84, s74, 2
	v_lshlrev_b32_e32 v24, 2, v6
	v_mul_lo_u32 v26, s63, v2
	v_or_b32_e32 v27, 0xc00, v4
	s_mov_b64 s[92:93], 0
	v_mov_b32_e32 v29, 6
	v_mov_b32_e32 v33, s61
	s_movk_i32 s61, 0xff
	v_mov_b32_e32 v35, s60
	v_mov_b32_e32 v28, 0xc00
	;; [unrolled: 1-line block ×4, first 2 shown]
	v_writelane_b32 v50, s20, 28
	s_mov_b32 s85, s20
	v_mov_b32_e32 v25, 0
	v_mov_b32_e32 v31, 0
                                        ; implicit-def: $sgpr94_sgpr95
                                        ; implicit-def: $sgpr98_sgpr99
                                        ; implicit-def: $sgpr96_sgpr97
                                        ; implicit-def: $sgpr70_sgpr71
                                        ; implicit-def: $sgpr86_sgpr87
                                        ; implicit-def: $sgpr68_sgpr69
	v_writelane_b32 v50, s21, 29
	s_branch .LBB3_16
.LBB3_13:                               ;   in Loop: Header=BB3_16 Depth=1
	s_or_b64 exec, exec, s[30:31]
	s_and_b64 s[30:31], s[28:29], exec
	s_andn2_b64 s[26:27], s[26:27], exec
	s_andn2_b64 s[24:25], s[24:25], exec
	s_orn2_b64 s[20:21], s[20:21], exec
.LBB3_14:                               ;   in Loop: Header=BB3_16 Depth=1
	s_or_b64 exec, exec, s[22:23]
	s_andn2_b64 s[16:17], s[68:69], exec
	s_and_b64 s[22:23], s[30:31], exec
	s_or_b64 s[68:69], s[16:17], s[22:23]
	s_andn2_b64 s[16:17], s[86:87], exec
	s_and_b64 s[22:23], s[26:27], exec
	s_or_b64 s[86:87], s[16:17], s[22:23]
	;; [unrolled: 3-line block ×3, first 2 shown]
	s_orn2_b64 s[20:21], s[20:21], exec
.LBB3_15:                               ;   in Loop: Header=BB3_16 Depth=1
	s_or_b64 exec, exec, s[2:3]
	s_and_b64 s[2:3], exec, s[20:21]
	s_or_b64 s[92:93], s[2:3], s[92:93]
	s_andn2_b64 s[2:3], s[96:97], exec
	s_and_b64 s[16:17], s[68:69], exec
	s_or_b64 s[96:97], s[2:3], s[16:17]
	s_andn2_b64 s[2:3], s[98:99], exec
	s_and_b64 s[16:17], s[86:87], exec
	;; [unrolled: 3-line block ×3, first 2 shown]
	s_or_b64 s[94:95], s[2:3], s[16:17]
	s_mov_b32 s85, s8
	v_mov_b32_e32 v33, v16
	s_andn2_b64 exec, exec, s[92:93]
	s_cbranch_execz .LBB3_242
.LBB3_16:                               ; =>This Loop Header: Depth=1
                                        ;     Child Loop BB3_21 Depth 2
                                        ;     Child Loop BB3_36 Depth 2
	;; [unrolled: 1-line block ×17, first 2 shown]
	ds_read_b64 v[2:3], v8 offset:4096
	s_waitcnt lgkmcnt(0)
	v_readfirstlane_b32 s82, v2
	s_cmp_gt_i32 s82, 0
	s_cbranch_scc1 .LBB3_43
; %bb.17:                               ;   in Loop: Header=BB3_16 Depth=1
	s_and_b64 vcc, exec, s[78:79]
	s_cbranch_vccz .LBB3_29
; %bb.18:                               ;   in Loop: Header=BB3_16 Depth=1
	s_movk_i32 s2, 0xc01
	v_cmp_gt_i32_e32 vcc, s2, v3
	s_mov_b64 s[20:21], 0
	s_mov_b64 s[2:3], 0
	s_cbranch_vccz .LBB3_30
; %bb.19:                               ;   in Loop: Header=BB3_16 Depth=1
	v_readlane_b32 s2, v50, 11
	v_readlane_b32 s3, v50, 12
	s_nop 4
	global_load_ushort v2, v8, s[2:3]
	global_load_ubyte v5, v[10:11], off
	s_mov_b64 s[22:23], 0
	v_mov_b32_e32 v9, v0
	s_waitcnt vmcnt(1)
	v_add_u32_e32 v4, v0, v2
	v_mul_lo_u32 v3, s63, v2
	v_mul_lo_u32 v4, s63, v4
	s_branch .LBB3_21
.LBB3_20:                               ;   in Loop: Header=BB3_21 Depth=2
	s_or_b64 exec, exec, s[2:3]
	v_cmp_le_i32_e32 vcc, s60, v9
	v_add_u32_e32 v4, v4, v3
	s_or_b64 s[22:23], vcc, s[22:23]
	v_mov_b32_e32 v5, v16
	s_andn2_b64 exec, exec, s[22:23]
	s_cbranch_execz .LBB3_75
.LBB3_21:                               ;   Parent Loop BB3_16 Depth=1
                                        ; =>  This Inner Loop Header: Depth=2
	v_add_u32_e32 v9, v9, v2
	v_cmp_gt_u32_e32 vcc, s60, v9
	s_waitcnt lgkmcnt(0)
	v_mov_b32_e32 v17, 0
	v_mov_b32_e32 v16, 0
	s_and_saveexec_b64 s[2:3], vcc
	s_cbranch_execz .LBB3_23
; %bb.22:                               ;   in Loop: Header=BB3_21 Depth=2
	global_load_ubyte v16, v4, s[72:73]
.LBB3_23:                               ;   in Loop: Header=BB3_21 Depth=2
	s_or_b64 exec, exec, s[2:3]
	s_waitcnt vmcnt(0)
	v_bitop3_b32 v34, v5, s61, v31 bitop3:0x80
	v_cmp_eq_u32_e32 vcc, v34, v25
	s_cmp_lg_u64 vcc, 0
	s_cselect_b64 s[2:3], -1, 0
	s_and_b64 s[2:3], s[0:1], s[2:3]
	s_and_saveexec_b64 s[24:25], s[2:3]
	s_cbranch_execz .LBB3_27
; %bb.24:                               ;   in Loop: Header=BB3_21 Depth=2
	s_mov_b64 s[28:29], exec
	v_mbcnt_lo_u32_b32 v17, s28, 0
	v_mbcnt_hi_u32_b32 v17, s29, v17
	s_bcnt1_i32_b64 s8, vcc
	v_cmp_eq_u32_e64 s[2:3], 0, v17
                                        ; implicit-def: $vgpr34
	s_and_saveexec_b64 s[26:27], s[2:3]
; %bb.25:                               ;   in Loop: Header=BB3_21 Depth=2
	s_bcnt1_i32_b64 s2, s[28:29]
	s_mul_i32 s2, s8, s2
	v_mov_b32_e32 v34, s2
	ds_add_rtn_u32 v34, v8, v34 offset:4104
; %bb.26:                               ;   in Loop: Header=BB3_21 Depth=2
	s_or_b64 exec, exec, s[26:27]
	s_waitcnt lgkmcnt(0)
	v_readfirstlane_b32 s2, v34
	s_nop 1
	v_mov_b32_e32 v34, s2
	v_mad_u32_u24 v17, s8, v17, v34
.LBB3_27:                               ;   in Loop: Header=BB3_21 Depth=2
	s_or_b64 exec, exec, s[24:25]
	ds_bpermute_b32 v17, v7, v17
	s_and_saveexec_b64 s[2:3], vcc
	s_cbranch_execz .LBB3_20
; %bb.28:                               ;   in Loop: Header=BB3_21 Depth=2
	v_and_b32_e32 v36, vcc_lo, v12
	v_and_b32_e32 v34, vcc_hi, v1
	v_bcnt_u32_b32 v36, v36, 0
	v_bcnt_u32_b32 v34, v34, v36
	s_waitcnt lgkmcnt(0)
	v_add_u32_e32 v17, v17, v34
	ds_write_b8 v17, v5
	s_branch .LBB3_20
.LBB3_29:                               ;   in Loop: Header=BB3_16 Depth=1
	s_mov_b64 s[20:21], -1
	s_mov_b64 s[2:3], 0
.LBB3_30:                               ;   in Loop: Header=BB3_16 Depth=1
	s_and_b64 vcc, exec, s[20:21]
	s_cbranch_vccz .LBB3_41
.LBB3_31:                               ;   in Loop: Header=BB3_16 Depth=1
	v_mov_b32_e32 v2, 0
	s_mov_b64 s[2:3], exec
	v_readlane_b32 s16, v50, 7
	v_readlane_b32 s17, v50, 8
	s_and_b64 s[16:17], s[2:3], s[16:17]
	s_mov_b64 exec, s[16:17]
	s_cbranch_execz .LBB3_33
; %bb.32:                               ;   in Loop: Header=BB3_16 Depth=1
	global_load_ubyte v2, v[10:11], off
.LBB3_33:                               ;   in Loop: Header=BB3_16 Depth=1
	s_or_b64 exec, exec, s[2:3]
	s_mov_b64 s[2:3], exec
	v_readlane_b32 s16, v50, 9
	v_readlane_b32 s17, v50, 10
	s_and_b64 s[16:17], s[2:3], s[16:17]
	s_mov_b64 exec, s[16:17]
	s_cbranch_execz .LBB3_38
; %bb.34:                               ;   in Loop: Header=BB3_16 Depth=1
	v_readlane_b32 s16, v50, 11
	v_readlane_b32 s17, v50, 12
	s_mov_b64 s[20:21], 0
	v_mov_b32_e32 v9, v0
	s_nop 2
	global_load_ushort v3, v8, s[16:17]
	s_waitcnt vmcnt(0)
	v_add_u32_e32 v5, v0, v3
	v_mul_lo_u32 v4, s63, v3
	v_mul_lo_u32 v5, s63, v5
	s_branch .LBB3_36
.LBB3_35:                               ;   in Loop: Header=BB3_36 Depth=2
	s_or_b64 exec, exec, s[22:23]
	v_cmp_le_i32_e32 vcc, s60, v16
	ds_write_b8 v9, v2
	v_add_u32_e32 v5, v5, v4
	s_or_b64 s[20:21], vcc, s[20:21]
	s_waitcnt vmcnt(0)
	v_mov_b32_e32 v2, v17
	v_mov_b32_e32 v9, v16
	s_andn2_b64 exec, exec, s[20:21]
	s_cbranch_execz .LBB3_38
.LBB3_36:                               ;   Parent Loop BB3_16 Depth=1
                                        ; =>  This Inner Loop Header: Depth=2
	v_add_u32_e32 v16, v9, v3
	v_cmp_gt_u32_e32 vcc, s60, v16
	v_mov_b32_e32 v17, 0
	s_and_saveexec_b64 s[22:23], vcc
	s_cbranch_execz .LBB3_35
; %bb.37:                               ;   in Loop: Header=BB3_36 Depth=2
	global_load_ubyte v17, v5, s[72:73]
	s_branch .LBB3_35
.LBB3_38:                               ;   in Loop: Header=BB3_16 Depth=1
	s_or_b64 exec, exec, s[2:3]
	s_waitcnt lgkmcnt(0)
	s_barrier
	s_and_saveexec_b64 s[2:3], s[18:19]
; %bb.39:                               ;   in Loop: Header=BB3_16 Depth=1
	ds_write_b32 v8, v35 offset:4096
; %bb.40:                               ;   in Loop: Header=BB3_16 Depth=1
	s_or_b64 exec, exec, s[2:3]
	s_mov_b64 s[2:3], -1
	s_waitcnt lgkmcnt(0)
	s_barrier
.LBB3_41:                               ;   in Loop: Header=BB3_16 Depth=1
	s_and_b64 vcc, exec, s[2:3]
	s_cbranch_vccz .LBB3_43
; %bb.42:                               ;   in Loop: Header=BB3_16 Depth=1
	s_waitcnt vmcnt(0)
	ds_read_b32 v2, v8 offset:4096
	s_waitcnt lgkmcnt(0)
	v_readfirstlane_b32 s82, v2
.LBB3_43:                               ;   in Loop: Header=BB3_16 Depth=1
	s_cmp_lt_i32 s82, 1
	s_mov_b64 s[2:3], -1
                                        ; implicit-def: $vgpr5
	s_cbranch_scc1 .LBB3_53
; %bb.44:                               ;   in Loop: Header=BB3_16 Depth=1
	s_and_b64 vcc, exec, s[2:3]
	s_cbranch_vccnz .LBB3_66
.LBB3_45:                               ;   in Loop: Header=BB3_16 Depth=1
	s_lshl_b32 s8, s85, 6
	s_and_saveexec_b64 s[2:3], s[0:1]
	s_cbranch_execz .LBB3_47
.LBB3_46:                               ;   in Loop: Header=BB3_16 Depth=1
	v_lshl_add_u32 v9, s8, 2, v19
	s_waitcnt vmcnt(0)
	ds_write_b128 v9, v[2:5]
.LBB3_47:                               ;   in Loop: Header=BB3_16 Depth=1
	s_or_b64 exec, exec, s[2:3]
	s_waitcnt lgkmcnt(0)
	s_barrier
	s_and_saveexec_b64 s[2:3], s[76:77]
	s_cbranch_execz .LBB3_86
; %bb.48:                               ;   in Loop: Header=BB3_16 Depth=1
	v_add_u32_e32 v4, s8, v18
	s_andn2_b64 vcc, exec, s[80:81]
	s_waitcnt vmcnt(0)
	v_mov_b32_e32 v2, 0
	s_cbranch_vccnz .LBB3_85
; %bb.49:                               ;   in Loop: Header=BB3_16 Depth=1
	v_readlane_b32 s16, v50, 13
	v_readlane_b32 s17, v50, 14
	s_andn2_b64 vcc, exec, s[16:17]
	s_cbranch_vccnz .LBB3_78
; %bb.50:                               ;   in Loop: Header=BB3_16 Depth=1
	v_readlane_b32 s16, v50, 15
	v_readlane_b32 s17, v50, 16
	s_andn2_b64 vcc, exec, s[16:17]
	v_lshl_add_u32 v5, v4, 2, v28
	s_cbranch_vccnz .LBB3_79
; %bb.51:                               ;   in Loop: Header=BB3_16 Depth=1
	s_mov_b32 s21, 1
	s_mov_b32 s20, 0
	v_mov_b32_e32 v2, 0
	v_mov_b32_e32 v3, 0
	v_readlane_b32 s16, v50, 17
.LBB3_52:                               ;   Parent Loop BB3_16 Depth=1
                                        ; =>  This Inner Loop Header: Depth=2
	v_lshl_add_u32 v9, s20, 4, v5
	v_lshl_add_u32 v34, s21, 4, v5
	ds_read2_b32 v[16:17], v9 offset1:8
	ds_read2_b32 v[36:37], v34 offset1:8
	ds_read2_b32 v[38:39], v9 offset0:16 offset1:24
	ds_read2_b32 v[40:41], v34 offset0:16 offset1:24
	;; [unrolled: 1-line block ×6, first 2 shown]
	s_waitcnt lgkmcnt(7)
	v_add3_u32 v2, v16, v2, v17
	s_waitcnt lgkmcnt(6)
	v_add3_u32 v3, v36, v3, v37
	;; [unrolled: 2-line block ×3, first 2 shown]
	v_add3_u32 v2, v38, v2, v39
	s_add_i32 s21, s21, 16
	s_add_i32 s20, s20, 16
	s_add_i32 s16, s16, -8
	s_waitcnt lgkmcnt(3)
	v_add3_u32 v2, v42, v2, v43
	s_waitcnt lgkmcnt(2)
	v_add3_u32 v3, v44, v3, v45
	s_cmp_lg_u32 s16, 0
	s_waitcnt lgkmcnt(0)
	v_add3_u32 v3, v48, v3, v49
	v_add3_u32 v2, v46, v2, v47
	s_cbranch_scc1 .LBB3_52
	s_branch .LBB3_80
.LBB3_53:                               ;   in Loop: Header=BB3_16 Depth=1
	s_waitcnt vmcnt(0)
	v_mov_b32_e32 v2, 0
	v_mov_b32_e32 v3, 0
	;; [unrolled: 1-line block ×4, first 2 shown]
	s_and_saveexec_b64 s[88:89], s[10:11]
	s_cbranch_execnz .LBB3_56
; %bb.54:                               ;   in Loop: Header=BB3_16 Depth=1
	s_or_b64 exec, exec, s[88:89]
	v_mov_b32_e32 v34, 0
	s_and_saveexec_b64 s[2:3], s[12:13]
	s_cbranch_execnz .LBB3_59
.LBB3_55:                               ;   in Loop: Header=BB3_16 Depth=1
	s_or_b64 exec, exec, s[2:3]
	s_and_saveexec_b64 s[20:21], s[14:15]
	s_cbranch_execnz .LBB3_60
	s_branch .LBB3_65
.LBB3_56:                               ;   in Loop: Header=BB3_16 Depth=1
	s_mov_b32 s83, 0
	s_mov_b64 s[90:91], 0
	s_mov_b32 s16, 0
	s_mov_b32 s17, 0
	;; [unrolled: 1-line block ×4, first 2 shown]
	v_mov_b32_e32 v9, v13
.LBB3_57:                               ;   Parent Loop BB3_16 Depth=1
                                        ; =>  This Inner Loop Header: Depth=2
	v_add_u32_e32 v2, s83, v24
	v_add_u32_e32 v4, s83, v21
	;; [unrolled: 1-line block ×4, first 2 shown]
	v_ashrrev_i32_e32 v3, 31, v2
	v_ashrrev_i32_e32 v5, 31, v4
	;; [unrolled: 1-line block ×4, first 2 shown]
	v_lshl_add_u64 v[2:3], s[72:73], 0, v[2:3]
	v_lshl_add_u64 v[4:5], s[72:73], 0, v[4:5]
	;; [unrolled: 1-line block ×4, first 2 shown]
	global_load_ubyte v2, v[2:3], off
	s_nop 0
	global_load_ubyte v3, v[4:5], off
	s_nop 0
	global_load_ubyte v4, v[16:17], off
	global_load_ubyte v5, v[36:37], off
	v_add_u32_e32 v9, s66, v9
	s_add_i32 s83, s83, s84
	v_cmp_le_i32_e32 vcc, s7, v9
	s_waitcnt vmcnt(3)
	v_and_b32_e32 v16, v31, v2
	v_bfe_u32 v2, v2, v29, 2
	s_waitcnt vmcnt(2)
	v_and_b32_e32 v17, v31, v3
	v_bfe_u32 v3, v3, v29, 2
	v_cmp_eq_u32_e64 s[2:3], v16, v25
	v_cmp_eq_u32_e64 s[26:27], 0, v2
	s_waitcnt vmcnt(1)
	v_and_b32_e32 v34, v31, v4
	v_bfe_u32 v4, v4, v29, 2
	v_cmp_eq_u32_e64 s[20:21], v17, v25
	v_cmp_eq_u32_e64 s[28:29], 0, v3
	s_and_b64 s[26:27], s[2:3], s[26:27]
	s_waitcnt vmcnt(0)
	v_and_b32_e32 v36, v31, v5
	v_bfe_u32 v5, v5, v29, 2
	v_cmp_eq_u32_e64 s[22:23], v34, v25
	v_cmp_eq_u32_e64 s[30:31], 0, v4
	;; [unrolled: 1-line block ×5, first 2 shown]
	v_cndmask_b32_e64 v2, 0, 1, s[26:27]
	s_and_b64 s[26:27], s[20:21], s[28:29]
	v_cmp_eq_u32_e64 s[24:25], v36, v25
	v_cmp_eq_u32_e64 s[34:35], 0, v5
	;; [unrolled: 1-line block ×5, first 2 shown]
	v_cndmask_b32_e64 v3, 0, 1, s[26:27]
	s_and_b64 s[26:27], s[22:23], s[30:31]
	v_cmp_eq_u32_e64 s[40:41], 1, v4
	v_cmp_eq_u32_e64 s[48:49], 2, v4
	;; [unrolled: 1-line block ×3, first 2 shown]
	v_cndmask_b32_e64 v4, 0, 1, s[26:27]
	s_and_b64 s[26:27], s[24:25], s[34:35]
	v_cmp_eq_u32_e64 s[42:43], 1, v5
	v_cmp_eq_u32_e64 s[50:51], 2, v5
	v_cmp_eq_u32_e64 s[58:59], 3, v5
	v_cndmask_b32_e64 v5, 0, 1, s[26:27]
	s_and_b64 s[26:27], s[2:3], s[36:37]
	v_cndmask_b32_e64 v16, 0, 1, s[26:27]
	s_and_b64 s[26:27], s[20:21], s[38:39]
	;; [unrolled: 2-line block ×5, first 2 shown]
	s_and_b64 s[2:3], s[2:3], s[52:53]
	v_cndmask_b32_e64 v37, 0, 1, s[26:27]
	s_and_b64 s[26:27], s[20:21], s[46:47]
	v_cndmask_b32_e64 v41, 0, 1, s[2:3]
	;; [unrolled: 2-line block ×7, first 2 shown]
	v_cndmask_b32_e64 v44, 0, 1, s[2:3]
	v_cmp_ne_u32_e64 s[2:3], 0, v2
	v_cmp_ne_u32_e64 s[20:21], 0, v3
	;; [unrolled: 1-line block ×11, first 2 shown]
	s_bcnt1_i32_b64 s2, s[2:3]
	s_bcnt1_i32_b64 s3, s[20:21]
	;; [unrolled: 1-line block ×8, first 2 shown]
	v_cmp_ne_u32_e64 s[34:35], 0, v36
	v_cmp_ne_u32_e64 s[40:41], 0, v39
	;; [unrolled: 1-line block ×3, first 2 shown]
	s_bcnt1_i32_b64 s23, s[28:29]
	s_bcnt1_i32_b64 s27, s[38:39]
	;; [unrolled: 1-line block ×3, first 2 shown]
	s_add_i32 s2, s8, s2
	s_add_i32 s8, s75, s22
	;; [unrolled: 1-line block ×4, first 2 shown]
	v_cmp_ne_u32_e64 s[42:43], 0, v40
	v_cmp_ne_u32_e64 s[50:51], 0, v44
	s_bcnt1_i32_b64 s25, s[34:35]
	s_bcnt1_i32_b64 s28, s[40:41]
	s_bcnt1_i32_b64 s34, s[48:49]
	s_add_i32 s2, s2, s3
	s_add_i32 s3, s8, s23
	;; [unrolled: 1-line block ×4, first 2 shown]
	s_bcnt1_i32_b64 s29, s[42:43]
	s_bcnt1_i32_b64 s35, s[50:51]
	s_add_i32 s2, s2, s20
	s_add_i32 s3, s3, s24
	;; [unrolled: 1-line block ×8, first 2 shown]
	s_or_b64 s[90:91], vcc, s[90:91]
	v_mov_b32_e32 v2, s8
	v_mov_b32_e32 v3, s75
	;; [unrolled: 1-line block ×4, first 2 shown]
	s_andn2_b64 exec, exec, s[90:91]
	s_cbranch_execnz .LBB3_57
; %bb.58:                               ;   in Loop: Header=BB3_16 Depth=1
	s_or_b64 exec, exec, s[90:91]
	s_or_b64 exec, exec, s[88:89]
	v_mov_b32_e32 v34, 0
	s_and_saveexec_b64 s[2:3], s[12:13]
	s_cbranch_execz .LBB3_55
.LBB3_59:                               ;   in Loop: Header=BB3_16 Depth=1
	global_load_ubyte v34, v[14:15], off
	s_or_b64 exec, exec, s[2:3]
	s_and_saveexec_b64 s[20:21], s[14:15]
	s_cbranch_execz .LBB3_65
.LBB3_60:                               ;   in Loop: Header=BB3_16 Depth=1
	s_mov_b64 s[22:23], 0
	v_mov_b32_e32 v16, v26
	v_mov_b32_e32 v9, v20
	s_branch .LBB3_62
.LBB3_61:                               ;   in Loop: Header=BB3_62 Depth=2
	s_or_b64 exec, exec, s[2:3]
	s_waitcnt vmcnt(0)
	v_and_b32_e32 v36, 0xff, v34
	v_bitop3_b32 v34, v31, v34, s61 bitop3:0x80
	v_cmp_eq_u32_e32 vcc, v34, v25
	v_bfe_u32 v34, v36, v29, 2
	v_cmp_eq_u32_e64 s[2:3], 0, v34
	s_and_b64 s[2:3], vcc, s[2:3]
	v_add_u32_e32 v16, s74, v16
	v_cndmask_b32_e64 v36, 0, 1, s[2:3]
	v_cmp_ne_u32_e64 s[2:3], 0, v36
	s_bcnt1_i32_b64 s2, s[2:3]
	s_nop 0
	v_add_u32_e32 v2, s2, v2
	v_cmp_eq_u32_e64 s[2:3], 1, v34
	s_and_b64 s[2:3], vcc, s[2:3]
	s_nop 0
	v_cndmask_b32_e64 v36, 0, 1, s[2:3]
	v_cmp_ne_u32_e64 s[2:3], 0, v36
	s_bcnt1_i32_b64 s2, s[2:3]
	s_nop 0
	v_add_u32_e32 v3, s2, v3
	v_cmp_eq_u32_e64 s[2:3], 2, v34
	s_and_b64 s[2:3], vcc, s[2:3]
	s_nop 0
	;; [unrolled: 8-line block ×3, first 2 shown]
	v_cndmask_b32_e64 v34, 0, 1, s[2:3]
	v_cmp_ne_u32_e32 vcc, 0, v34
	s_bcnt1_i32_b64 s2, vcc
	v_cmp_le_i32_e32 vcc, s60, v9
	v_add_u32_e32 v5, s2, v5
	s_or_b64 s[22:23], vcc, s[22:23]
	v_mov_b32_e32 v34, v17
	s_andn2_b64 exec, exec, s[22:23]
	s_cbranch_execz .LBB3_64
.LBB3_62:                               ;   Parent Loop BB3_16 Depth=1
                                        ; =>  This Inner Loop Header: Depth=2
	v_add_u32_e32 v9, s64, v9
	v_cmp_gt_u32_e32 vcc, s60, v9
	v_mov_b32_e32 v17, 0
	s_and_saveexec_b64 s[2:3], vcc
	s_cbranch_execz .LBB3_61
; %bb.63:                               ;   in Loop: Header=BB3_62 Depth=2
	v_ashrrev_i32_e32 v17, 31, v16
	v_lshl_add_u64 v[36:37], s[72:73], 0, v[16:17]
	global_load_ubyte v17, v[36:37], off
	s_branch .LBB3_61
.LBB3_64:                               ;   in Loop: Header=BB3_16 Depth=1
	s_or_b64 exec, exec, s[22:23]
.LBB3_65:                               ;   in Loop: Header=BB3_16 Depth=1
	s_or_b64 exec, exec, s[20:21]
	s_branch .LBB3_45
.LBB3_66:                               ;   in Loop: Header=BB3_16 Depth=1
	s_mul_hi_u32 s2, s82, s6
	s_mul_i32 s2, s2, s66
	s_sub_i32 s2, s82, s2
	s_sub_i32 s3, s2, s66
	s_cmp_ge_u32 s2, s66
	s_cselect_b32 s2, s3, s2
	s_sub_i32 s3, s2, s66
	s_cmp_ge_u32 s2, s66
	s_cselect_b32 s2, s3, s2
	s_sub_i32 s83, s82, s2
	v_cmp_gt_u32_e32 vcc, s83, v13
	s_waitcnt vmcnt(0)
	v_mov_b32_e32 v2, 0
	v_mov_b32_e32 v3, 0
	;; [unrolled: 1-line block ×4, first 2 shown]
	s_and_saveexec_b64 s[88:89], vcc
	s_cbranch_execz .LBB3_70
; %bb.67:                               ;   in Loop: Header=BB3_16 Depth=1
	s_mov_b32 s8, 0
	s_mov_b64 s[90:91], 0
	s_mov_b32 s16, 0
	s_mov_b32 s17, 0
	;; [unrolled: 1-line block ×3, first 2 shown]
	v_mov_b32_e32 v9, v13
.LBB3_68:                               ;   Parent Loop BB3_16 Depth=1
                                        ; =>  This Inner Loop Header: Depth=2
	ds_read_b32 v2, v9
	v_add_u32_e32 v9, s66, v9
	v_cmp_le_i32_e32 vcc, s83, v9
	s_waitcnt lgkmcnt(0)
	v_and_b32_e32 v16, 0xff, v2
	v_lshrrev_b32_e32 v3, 16, v2
	v_lshrrev_b32_e32 v4, 8, v2
	;; [unrolled: 1-line block ×3, first 2 shown]
	v_bfe_u32 v17, v2, 8, 8
	v_bfe_u32 v34, v2, 16, 8
	v_bitop3_b32 v2, v31, v2, s61 bitop3:0x80
	v_bfe_u32 v16, v16, v29, 2
	v_cmp_eq_u32_e64 s[2:3], v2, v25
	v_bitop3_b32 v2, v31, v4, s61 bitop3:0x80
	v_bfe_u32 v17, v17, v29, 2
	v_cmp_eq_u32_e64 s[26:27], 0, v16
	;; [unrolled: 3-line block ×3, first 2 shown]
	v_cmp_eq_u32_e64 s[28:29], 0, v17
	s_and_b64 s[26:27], s[2:3], s[26:27]
	v_and_b32_e32 v4, v31, v5
	v_bfe_u32 v5, v5, v29, 2
	v_cmp_eq_u32_e64 s[22:23], v3, v25
	v_cmp_eq_u32_e64 s[30:31], 0, v34
	v_cndmask_b32_e64 v2, 0, 1, s[26:27]
	s_and_b64 s[26:27], s[20:21], s[28:29]
	v_cmp_eq_u32_e64 s[24:25], v4, v25
	v_cmp_eq_u32_e64 s[34:35], 0, v5
	v_cndmask_b32_e64 v3, 0, 1, s[26:27]
	s_and_b64 s[26:27], s[22:23], s[30:31]
	v_cmp_eq_u32_e64 s[36:37], 1, v16
	v_cndmask_b32_e64 v4, 0, 1, s[26:27]
	s_and_b64 s[26:27], s[24:25], s[34:35]
	v_cmp_eq_u32_e64 s[38:39], 1, v17
	v_cmp_eq_u32_e64 s[42:43], 1, v5
	v_cmp_eq_u32_e64 s[50:51], 2, v5
	v_cmp_eq_u32_e64 s[58:59], 3, v5
	v_cndmask_b32_e64 v5, 0, 1, s[26:27]
	s_and_b64 s[26:27], s[2:3], s[36:37]
	v_cmp_eq_u32_e64 s[40:41], 1, v34
	v_cmp_eq_u32_e64 s[44:45], 2, v16
	;; [unrolled: 1-line block ×3, first 2 shown]
	v_cndmask_b32_e64 v16, 0, 1, s[26:27]
	s_and_b64 s[26:27], s[20:21], s[38:39]
	v_cmp_eq_u32_e64 s[46:47], 2, v17
	v_cmp_eq_u32_e64 s[54:55], 3, v17
	v_cndmask_b32_e64 v17, 0, 1, s[26:27]
	s_and_b64 s[26:27], s[22:23], s[40:41]
	v_cmp_eq_u32_e64 s[48:49], 2, v34
	v_cmp_eq_u32_e64 s[56:57], 3, v34
	v_cndmask_b32_e64 v34, 0, 1, s[26:27]
	s_and_b64 s[26:27], s[24:25], s[42:43]
	v_cndmask_b32_e64 v36, 0, 1, s[26:27]
	s_and_b64 s[26:27], s[2:3], s[44:45]
	s_and_b64 s[2:3], s[2:3], s[52:53]
	v_cndmask_b32_e64 v37, 0, 1, s[26:27]
	s_and_b64 s[26:27], s[20:21], s[46:47]
	v_cndmask_b32_e64 v41, 0, 1, s[2:3]
	;; [unrolled: 2-line block ×7, first 2 shown]
	v_cndmask_b32_e64 v44, 0, 1, s[2:3]
	v_cmp_ne_u32_e64 s[2:3], 0, v2
	v_cmp_ne_u32_e64 s[20:21], 0, v3
	;; [unrolled: 1-line block ×11, first 2 shown]
	s_bcnt1_i32_b64 s2, s[2:3]
	s_bcnt1_i32_b64 s3, s[20:21]
	;; [unrolled: 1-line block ×8, first 2 shown]
	v_cmp_ne_u32_e64 s[34:35], 0, v36
	v_cmp_ne_u32_e64 s[40:41], 0, v39
	;; [unrolled: 1-line block ×3, first 2 shown]
	s_bcnt1_i32_b64 s23, s[28:29]
	s_bcnt1_i32_b64 s27, s[38:39]
	;; [unrolled: 1-line block ×3, first 2 shown]
	s_add_i32 s2, s75, s2
	s_add_i32 s17, s17, s22
	;; [unrolled: 1-line block ×4, first 2 shown]
	v_cmp_ne_u32_e64 s[42:43], 0, v40
	v_cmp_ne_u32_e64 s[50:51], 0, v44
	s_bcnt1_i32_b64 s25, s[34:35]
	s_bcnt1_i32_b64 s28, s[40:41]
	;; [unrolled: 1-line block ×3, first 2 shown]
	s_add_i32 s2, s2, s3
	s_add_i32 s3, s17, s23
	;; [unrolled: 1-line block ×4, first 2 shown]
	s_bcnt1_i32_b64 s29, s[42:43]
	s_bcnt1_i32_b64 s35, s[50:51]
	s_add_i32 s2, s2, s20
	s_add_i32 s3, s3, s24
	;; [unrolled: 1-line block ×8, first 2 shown]
	s_or_b64 s[90:91], vcc, s[90:91]
	v_mov_b32_e32 v2, s75
	v_mov_b32_e32 v3, s17
	;; [unrolled: 1-line block ×4, first 2 shown]
	s_andn2_b64 exec, exec, s[90:91]
	s_cbranch_execnz .LBB3_68
; %bb.69:                               ;   in Loop: Header=BB3_16 Depth=1
	s_or_b64 exec, exec, s[90:91]
.LBB3_70:                               ;   in Loop: Header=BB3_16 Depth=1
	s_or_b64 exec, exec, s[88:89]
	v_add_u32_e32 v9, s83, v0
	v_cmp_gt_i32_e32 vcc, s82, v9
	s_and_saveexec_b64 s[28:29], vcc
	s_cbranch_execz .LBB3_74
; %bb.71:                               ;   in Loop: Header=BB3_16 Depth=1
	s_mov_b64 s[30:31], 0
.LBB3_72:                               ;   Parent Loop BB3_16 Depth=1
                                        ; =>  This Inner Loop Header: Depth=2
	ds_read_u8 v16, v9
	v_add_u32_e32 v9, s64, v9
	v_cmp_le_i32_e32 vcc, s82, v9
	s_waitcnt lgkmcnt(0)
	v_and_b32_e32 v17, v31, v16
	v_bfe_u32 v16, v16, v29, 2
	v_cmp_eq_u32_e64 s[2:3], v17, v25
	v_cmp_eq_u32_e64 s[20:21], 0, v16
	;; [unrolled: 1-line block ×3, first 2 shown]
	s_and_b64 s[16:17], s[2:3], s[20:21]
	v_cmp_eq_u32_e64 s[24:25], 2, v16
	v_cmp_eq_u32_e64 s[26:27], 3, v16
	v_cndmask_b32_e64 v16, 0, 1, s[16:17]
	s_and_b64 s[16:17], s[2:3], s[22:23]
	v_cndmask_b32_e64 v17, 0, 1, s[16:17]
	s_and_b64 s[16:17], s[2:3], s[24:25]
	s_and_b64 s[2:3], s[2:3], s[26:27]
	v_cndmask_b32_e64 v34, 0, 1, s[16:17]
	v_cndmask_b32_e64 v36, 0, 1, s[2:3]
	v_cmp_ne_u32_e64 s[2:3], 0, v16
	v_cmp_ne_u32_e64 s[20:21], 0, v17
	;; [unrolled: 1-line block ×4, first 2 shown]
	s_bcnt1_i32_b64 s2, s[2:3]
	s_bcnt1_i32_b64 s3, s[20:21]
	;; [unrolled: 1-line block ×4, first 2 shown]
	v_add_u32_e32 v2, s2, v2
	v_add_u32_e32 v3, s3, v3
	;; [unrolled: 1-line block ×3, first 2 shown]
	s_or_b64 s[30:31], vcc, s[30:31]
	v_add_u32_e32 v5, s16, v5
	s_andn2_b64 exec, exec, s[30:31]
	s_cbranch_execnz .LBB3_72
; %bb.73:                               ;   in Loop: Header=BB3_16 Depth=1
	s_or_b64 exec, exec, s[30:31]
.LBB3_74:                               ;   in Loop: Header=BB3_16 Depth=1
	s_or_b64 exec, exec, s[28:29]
	s_lshl_b32 s8, s85, 6
	s_and_saveexec_b64 s[2:3], s[0:1]
	s_cbranch_execnz .LBB3_46
	s_branch .LBB3_47
.LBB3_75:                               ;   in Loop: Header=BB3_16 Depth=1
	s_or_b64 exec, exec, s[22:23]
	s_waitcnt lgkmcnt(0)
	s_barrier
	s_and_saveexec_b64 s[2:3], s[18:19]
	s_cbranch_execz .LBB3_77
; %bb.76:                               ;   in Loop: Header=BB3_16 Depth=1
	ds_read_b32 v2, v8 offset:4104
	s_waitcnt lgkmcnt(0)
	ds_write_b32 v8, v2 offset:4096
.LBB3_77:                               ;   in Loop: Header=BB3_16 Depth=1
	s_or_b64 exec, exec, s[2:3]
	s_waitcnt lgkmcnt(0)
	s_barrier
	s_mov_b64 s[2:3], -1
	s_and_b64 vcc, exec, s[20:21]
	s_cbranch_vccnz .LBB3_31
	s_branch .LBB3_41
.LBB3_78:                               ;   in Loop: Header=BB3_16 Depth=1
	v_mov_b32_e32 v2, 0
	s_mov_b32 s16, 0
	s_cbranch_execnz .LBB3_83
	s_branch .LBB3_85
.LBB3_79:                               ;   in Loop: Header=BB3_16 Depth=1
	v_mov_b32_e32 v9, v8
	v_readlane_b32 s20, v50, 28
	v_mov_b64_e32 v[2:3], v[8:9]
	v_readlane_b32 s21, v50, 29
.LBB3_80:                               ;   in Loop: Header=BB3_16 Depth=1
	v_readlane_b32 s16, v50, 19
	v_readlane_b32 s17, v50, 20
	s_andn2_b64 vcc, exec, s[16:17]
	v_readlane_b32 s16, v50, 18
	s_cbranch_vccnz .LBB3_82
.LBB3_81:                               ;   Parent Loop BB3_16 Depth=1
                                        ; =>  This Inner Loop Header: Depth=2
	v_lshl_add_u32 v9, s20, 4, v5
	v_lshl_add_u32 v16, s21, 4, v5
	ds_read_b32 v16, v16
	ds_read_b32 v9, v9
	s_add_i32 s21, s21, 2
	s_add_i32 s20, s20, 2
	s_add_i32 s16, s16, -1
	s_cmp_lg_u32 s16, 0
	s_waitcnt lgkmcnt(1)
	v_add_u32_e32 v3, v16, v3
	s_waitcnt lgkmcnt(0)
	v_add_u32_e32 v2, v9, v2
	s_cbranch_scc1 .LBB3_81
.LBB3_82:                               ;   in Loop: Header=BB3_16 Depth=1
	v_readlane_b32 s20, v50, 23
	v_add_u32_e32 v2, v2, v3
	v_readlane_b32 s16, v50, 22
	v_readlane_b32 s21, v50, 24
	s_and_b64 vcc, exec, s[20:21]
	s_cbranch_vccz .LBB3_85
.LBB3_83:                               ;   in Loop: Header=BB3_16 Depth=1
	s_lshl_b32 s17, s85, 8
	s_lshl_b32 s20, s16, 4
	s_add_i32 s17, s17, s20
	v_add_u32_e32 v3, s17, v27
	v_readlane_b32 s17, v50, 21
	s_sub_i32 s16, s17, s16
.LBB3_84:                               ;   Parent Loop BB3_16 Depth=1
                                        ; =>  This Inner Loop Header: Depth=2
	ds_read_b32 v5, v3
	s_add_i32 s16, s16, -1
	v_add_u32_e32 v3, 16, v3
	s_cmp_eq_u32 s16, 0
	s_waitcnt lgkmcnt(0)
	v_add_u32_e32 v2, v5, v2
	s_cbranch_scc0 .LBB3_84
.LBB3_85:                               ;   in Loop: Header=BB3_16 Depth=1
	v_lshlrev_b32_e32 v3, 2, v4
	ds_write_b32 v3, v2 offset:3072
.LBB3_86:                               ;   in Loop: Header=BB3_16 Depth=1
	s_or_b64 exec, exec, s[2:3]
	s_lshl_b32 s2, s8, 2
	s_waitcnt vmcnt(0)
	v_mov_b32_e32 v2, s2
	s_waitcnt lgkmcnt(0)
	s_barrier
	ds_read_b128 v[2:5], v2 offset:3072
	v_cmp_eq_u32_e32 vcc, 1, v33
	s_mov_b64 s[20:21], -1
	s_mov_b64 s[28:29], -1
                                        ; implicit-def: $sgpr26_sgpr27
                                        ; implicit-def: $sgpr24_sgpr25
	s_waitcnt lgkmcnt(0)
	v_readfirstlane_b32 s42, v2
	s_cmp_eq_u32 s42, 1
	v_readfirstlane_b32 s54, v4
	v_lshlrev_b32_e64 v4, v29, 3
	s_cselect_b64 s[2:3], -1, 0
	v_readfirstlane_b32 s46, v3
	v_readfirstlane_b32 s90, v5
	v_not_b32_e32 v9, v4
	s_and_b64 s[22:23], s[2:3], vcc
	s_and_saveexec_b64 s[2:3], s[22:23]
	s_cbranch_execz .LBB3_112
; %bb.87:                               ;   in Loop: Header=BB3_16 Depth=1
	ds_read_b32 v2, v8 offset:4096
	s_waitcnt lgkmcnt(0)
	s_barrier
	v_readfirstlane_b32 s8, v2
	s_and_saveexec_b64 s[24:25], s[4:5]
; %bb.88:                               ;   in Loop: Header=BB3_16 Depth=1
	ds_write_b8 v0, v8 offset:3072
; %bb.89:                               ;   in Loop: Header=BB3_16 Depth=1
	s_or_b64 exec, exec, s[24:25]
	v_and_b32_e32 v25, v25, v9
	v_or_b32_e32 v31, v31, v4
	s_mov_b64 s[24:25], -1
	s_mov_b64 s[26:27], 0
	s_cmp_lt_i32 s8, 1
	s_mov_b64 s[28:29], 0
	s_mov_b64 s[30:31], -1
	s_waitcnt lgkmcnt(0)
	s_barrier
                                        ; implicit-def: $vgpr32
	s_cbranch_scc0 .LBB3_100
; %bb.90:                               ;   in Loop: Header=BB3_16 Depth=1
	s_mov_b64 s[30:31], 0
                                        ; implicit-def: $vgpr32
	s_mov_b64 s[34:35], exec
	v_readlane_b32 s16, v50, 26
	v_readlane_b32 s17, v50, 27
	s_and_b64 s[16:17], s[34:35], s[16:17]
	s_mov_b64 exec, s[16:17]
	s_cbranch_execz .LBB3_99
; %bb.91:                               ;   in Loop: Header=BB3_16 Depth=1
	v_mov_b32_e32 v2, v6
	v_mov_b32_e32 v5, v0
                                        ; implicit-def: $sgpr36_sgpr37
	s_branch .LBB3_94
.LBB3_92:                               ;   in Loop: Header=BB3_94 Depth=2
	s_or_b64 exec, exec, s[38:39]
	s_waitcnt lgkmcnt(0)
	s_barrier
	ds_read_u16 v3, v8 offset:3072
	s_mov_b64 s[38:39], -1
	s_mov_b64 s[40:41], -1
	s_waitcnt lgkmcnt(0)
	s_barrier
	v_cmp_ne_u32_sdwa s[16:17], v3, v8 src0_sel:BYTE_0 src1_sel:DWORD
	s_and_b64 vcc, exec, s[16:17]
	s_cbranch_vccz .LBB3_97
.LBB3_93:                               ;   in Loop: Header=BB3_94 Depth=2
	s_and_b64 s[16:17], exec, s[38:39]
	s_or_b64 s[28:29], s[16:17], s[28:29]
	s_andn2_b64 s[16:17], s[36:37], exec
	s_and_b64 s[36:37], s[40:41], exec
	s_or_b64 s[36:37], s[16:17], s[36:37]
	s_andn2_b64 exec, exec, s[28:29]
	s_cbranch_execz .LBB3_98
.LBB3_94:                               ;   Parent Loop BB3_16 Depth=1
                                        ; =>  This Inner Loop Header: Depth=2
	v_cmp_gt_i32_e32 vcc, s60, v5
	s_and_saveexec_b64 s[38:39], vcc
	s_cbranch_execz .LBB3_92
; %bb.95:                               ;   in Loop: Header=BB3_94 Depth=2
	v_ashrrev_i32_e32 v3, 31, v2
	v_lshl_add_u64 v[16:17], s[72:73], 0, v[2:3]
	global_load_ubyte v3, v[16:17], off
	s_waitcnt vmcnt(0)
	v_bitop3_b32 v16, v3, s61, v31 bitop3:0x80
	v_cmp_eq_u32_e32 vcc, v16, v25
	s_and_b64 exec, exec, vcc
	s_cbranch_execz .LBB3_92
; %bb.96:                               ;   in Loop: Header=BB3_94 Depth=2
	v_lshlrev_b16_e32 v3, 8, v3
	v_or_b32_e32 v3, 1, v3
	ds_write_b16 v8, v3 offset:3072
	s_branch .LBB3_92
.LBB3_97:                               ;   in Loop: Header=BB3_94 Depth=2
	v_add_u32_e32 v5, s64, v5
	v_cmp_le_i32_e32 vcc, s9, v5
	v_add_u32_e32 v2, s74, v2
	s_mov_b64 s[40:41], 0
	s_orn2_b64 s[38:39], vcc, exec
	s_branch .LBB3_93
.LBB3_98:                               ;   in Loop: Header=BB3_16 Depth=1
	s_or_b64 exec, exec, s[28:29]
	v_lshrrev_b32_sdwa v32, v30, v3 dst_sel:DWORD dst_unused:UNUSED_PAD src0_sel:DWORD src1_sel:WORD_0
	s_and_b64 s[28:29], s[36:37], exec
.LBB3_99:                               ;   in Loop: Header=BB3_16 Depth=1
	s_or_b64 exec, exec, s[34:35]
.LBB3_100:                              ;   in Loop: Header=BB3_16 Depth=1
	s_and_b64 vcc, exec, s[30:31]
	s_cbranch_vccz .LBB3_111
; %bb.101:                              ;   in Loop: Header=BB3_16 Depth=1
	v_readlane_b32 s16, v50, 6
	s_add_i32 s16, s8, s16
	s_abs_i32 s24, s16
	v_readlane_b32 s25, v50, 25
	s_mul_hi_u32 s25, s24, s25
	s_mul_i32 s25, s25, s64
	s_sub_i32 s24, s24, s25
	s_ashr_i32 s17, s16, 31
	s_sub_i32 s25, s24, s64
	s_cmp_ge_u32 s24, s64
	s_cselect_b32 s24, s25, s24
	s_sub_i32 s25, s24, s64
	s_cmp_ge_u32 s24, s64
	s_cselect_b32 s24, s25, s24
	s_xor_b32 s24, s24, s17
	s_sub_i32 s17, s17, s24
	s_add_i32 s16, s16, s17
	v_cmp_gt_i32_e32 vcc, s16, v0
                                        ; implicit-def: $vgpr32
	s_and_saveexec_b64 s[24:25], vcc
	s_cbranch_execz .LBB3_110
; %bb.102:                              ;   in Loop: Header=BB3_16 Depth=1
	s_mov_b64 s[26:27], 0
	v_mov_b32_e32 v2, v0
                                        ; implicit-def: $sgpr30_sgpr31
	s_branch .LBB3_105
.LBB3_103:                              ;   in Loop: Header=BB3_105 Depth=2
	s_or_b64 exec, exec, s[34:35]
	s_waitcnt lgkmcnt(0)
	s_barrier
	ds_read_u16 v3, v8 offset:3072
	s_mov_b64 s[34:35], -1
	s_waitcnt lgkmcnt(0)
	s_barrier
	v_cmp_ne_u32_sdwa s[36:37], v3, v8 src0_sel:BYTE_0 src1_sel:DWORD
	s_and_b64 vcc, exec, s[36:37]
	s_mov_b64 s[36:37], -1
	s_cbranch_vccz .LBB3_108
.LBB3_104:                              ;   in Loop: Header=BB3_105 Depth=2
	s_and_b64 s[34:35], exec, s[34:35]
	s_or_b64 s[26:27], s[34:35], s[26:27]
	s_andn2_b64 s[30:31], s[30:31], exec
	s_and_b64 s[34:35], s[36:37], exec
	s_or_b64 s[30:31], s[30:31], s[34:35]
	s_andn2_b64 exec, exec, s[26:27]
	s_cbranch_execz .LBB3_109
.LBB3_105:                              ;   Parent Loop BB3_16 Depth=1
                                        ; =>  This Inner Loop Header: Depth=2
	v_cmp_gt_i32_e32 vcc, s8, v2
	s_and_saveexec_b64 s[34:35], vcc
	s_cbranch_execz .LBB3_103
; %bb.106:                              ;   in Loop: Header=BB3_105 Depth=2
	ds_read_u8 v3, v2
	s_waitcnt lgkmcnt(0)
	v_bitop3_b32 v5, v3, s61, v31 bitop3:0x80
	v_cmp_eq_u32_e32 vcc, v5, v25
	s_and_b64 exec, exec, vcc
	s_cbranch_execz .LBB3_103
; %bb.107:                              ;   in Loop: Header=BB3_105 Depth=2
	v_lshlrev_b16_e32 v3, 8, v3
	v_or_b32_e32 v3, 1, v3
	ds_write_b16 v8, v3 offset:3072
	s_branch .LBB3_103
.LBB3_108:                              ;   in Loop: Header=BB3_105 Depth=2
	v_add_u32_e32 v2, s64, v2
	v_cmp_le_i32_e32 vcc, s16, v2
	s_mov_b64 s[36:37], 0
	s_orn2_b64 s[34:35], vcc, exec
	s_branch .LBB3_104
.LBB3_109:                              ;   in Loop: Header=BB3_16 Depth=1
	s_or_b64 exec, exec, s[26:27]
	s_andn2_b64 s[16:17], s[28:29], exec
	s_and_b64 s[26:27], s[30:31], exec
	v_lshrrev_b32_sdwa v32, v30, v3 dst_sel:DWORD dst_unused:UNUSED_PAD src0_sel:DWORD src1_sel:WORD_0
	s_or_b64 s[28:29], s[16:17], s[26:27]
.LBB3_110:                              ;   in Loop: Header=BB3_16 Depth=1
	s_or_b64 exec, exec, s[24:25]
	s_mov_b64 s[24:25], 0
	s_mov_b64 s[26:27], -1
.LBB3_111:                              ;   in Loop: Header=BB3_16 Depth=1
	s_orn2_b64 s[28:29], s[28:29], exec
.LBB3_112:                              ;   in Loop: Header=BB3_16 Depth=1
	s_or_b64 exec, exec, s[2:3]
	s_andn2_b64 s[2:3], s[86:87], exec
	s_and_b64 s[16:17], s[26:27], exec
	s_or_b64 s[86:87], s[2:3], s[16:17]
	s_andn2_b64 s[2:3], s[70:71], exec
	s_and_b64 s[16:17], s[24:25], exec
	v_readfirstlane_b32 s8, v0
	s_andn2_b64 s[68:69], s[68:69], exec
	s_or_b64 s[70:71], s[2:3], s[16:17]
                                        ; implicit-def: $vgpr16
	s_and_saveexec_b64 s[2:3], s[28:29]
	s_cbranch_execz .LBB3_15
; %bb.113:                              ;   in Loop: Header=BB3_16 Depth=1
	s_xor_b64 s[16:17], s[22:23], -1
	s_mov_b64 s[22:23], 0
	v_mov_b32_e32 v16, 1
	v_mov_b32_e32 v5, 1
	s_and_saveexec_b64 s[20:21], s[16:17]
	s_cbranch_execz .LBB3_122
; %bb.114:                              ;   in Loop: Header=BB3_16 Depth=1
	v_cmp_ge_i32_e32 vcc, s42, v33
	s_and_saveexec_b64 s[16:17], vcc
	s_xor_b64 s[22:23], exec, s[16:17]
	s_cbranch_execz .LBB3_119
; %bb.115:                              ;   in Loop: Header=BB3_16 Depth=1
	ds_read_b32 v2, v8 offset:4096
	v_and_b32_e32 v25, v25, v9
	v_or_b32_e32 v31, v31, v4
	s_waitcnt lgkmcnt(0)
	v_cmp_ne_u32_e32 vcc, 0, v2
	s_cbranch_vccnz .LBB3_119
; %bb.116:                              ;   in Loop: Header=BB3_16 Depth=1
	s_and_saveexec_b64 s[24:25], s[18:19]
; %bb.117:                              ;   in Loop: Header=BB3_16 Depth=1
	v_mov_b32_e32 v2, s42
	ds_write_b32 v8, v2 offset:4100
; %bb.118:                              ;   in Loop: Header=BB3_16 Depth=1
	s_or_b64 exec, exec, s[24:25]
	s_waitcnt lgkmcnt(0)
	s_barrier
.LBB3_119:                              ;   in Loop: Header=BB3_16 Depth=1
	s_or_saveexec_b64 s[22:23], s[22:23]
	s_mov_b64 s[24:25], 0
	v_mov_b32_e32 v5, 8
	s_xor_b64 exec, exec, s[22:23]
; %bb.120:                              ;   in Loop: Header=BB3_16 Depth=1
	s_mov_b64 s[24:25], exec
	v_subrev_u32_e32 v33, s42, v33
	v_mov_b32_e32 v5, 0
; %bb.121:                              ;   in Loop: Header=BB3_16 Depth=1
	s_or_b64 exec, exec, s[22:23]
	s_and_b64 s[22:23], s[24:25], exec
	v_mov_b32_e32 v16, v33
.LBB3_122:                              ;   in Loop: Header=BB3_16 Depth=1
	s_or_b64 exec, exec, s[20:21]
	s_mov_b64 s[20:21], -1
	s_mov_b64 s[28:29], -1
                                        ; implicit-def: $sgpr24_sgpr25
                                        ; implicit-def: $sgpr26_sgpr27
	s_and_saveexec_b64 s[16:17], s[22:23]
	s_xor_b64 s[22:23], exec, s[16:17]
	s_cbranch_execz .LBB3_239
; %bb.123:                              ;   in Loop: Header=BB3_16 Depth=1
	s_cmp_eq_u32 s46, 1
	s_cselect_b64 s[16:17], -1, 0
	v_cmp_eq_u32_e32 vcc, 1, v16
	s_and_b64 s[30:31], s[16:17], vcc
	s_mov_b64 s[34:35], -1
                                        ; implicit-def: $sgpr26_sgpr27
                                        ; implicit-def: $sgpr24_sgpr25
	s_and_saveexec_b64 s[28:29], s[30:31]
	s_cbranch_execz .LBB3_149
; %bb.124:                              ;   in Loop: Header=BB3_16 Depth=1
	ds_read_b32 v2, v8 offset:4096
	s_waitcnt lgkmcnt(0)
	s_barrier
	v_readfirstlane_b32 s8, v2
	s_and_saveexec_b64 s[24:25], s[4:5]
; %bb.125:                              ;   in Loop: Header=BB3_16 Depth=1
	ds_write_b8 v0, v8 offset:3072
; %bb.126:                              ;   in Loop: Header=BB3_16 Depth=1
	s_or_b64 exec, exec, s[24:25]
	v_and_b32_e32 v2, v25, v9
	v_lshl_or_b32 v25, 1, v29, v2
	v_or_b32_e32 v31, v31, v4
	s_mov_b64 s[24:25], -1
	s_mov_b64 s[26:27], 0
	s_cmp_gt_i32 s8, 0
	s_mov_b64 s[34:35], 0
	s_mov_b64 s[36:37], -1
	s_waitcnt lgkmcnt(0)
	s_barrier
                                        ; implicit-def: $vgpr32
	s_cbranch_scc1 .LBB3_137
; %bb.127:                              ;   in Loop: Header=BB3_16 Depth=1
	s_mov_b64 s[36:37], 0
                                        ; implicit-def: $vgpr32
	s_mov_b64 s[38:39], exec
	v_readlane_b32 s16, v50, 26
	v_readlane_b32 s17, v50, 27
	s_and_b64 s[16:17], s[38:39], s[16:17]
	s_mov_b64 exec, s[16:17]
	s_cbranch_execz .LBB3_136
; %bb.128:                              ;   in Loop: Header=BB3_16 Depth=1
	v_mov_b32_e32 v2, v6
	v_mov_b32_e32 v17, v0
                                        ; implicit-def: $sgpr40_sgpr41
	s_branch .LBB3_131
.LBB3_129:                              ;   in Loop: Header=BB3_131 Depth=2
	s_or_b64 exec, exec, s[42:43]
	s_waitcnt lgkmcnt(0)
	s_barrier
	ds_read_u16 v3, v8 offset:3072
	s_mov_b64 s[42:43], -1
	s_mov_b64 s[44:45], -1
	s_waitcnt lgkmcnt(0)
	s_barrier
	v_cmp_ne_u32_sdwa s[16:17], v3, v8 src0_sel:BYTE_0 src1_sel:DWORD
	s_and_b64 vcc, exec, s[16:17]
	s_cbranch_vccz .LBB3_134
.LBB3_130:                              ;   in Loop: Header=BB3_131 Depth=2
	s_and_b64 s[16:17], exec, s[42:43]
	s_or_b64 s[34:35], s[16:17], s[34:35]
	s_andn2_b64 s[16:17], s[40:41], exec
	s_and_b64 s[40:41], s[44:45], exec
	s_or_b64 s[40:41], s[16:17], s[40:41]
	s_andn2_b64 exec, exec, s[34:35]
	s_cbranch_execz .LBB3_135
.LBB3_131:                              ;   Parent Loop BB3_16 Depth=1
                                        ; =>  This Inner Loop Header: Depth=2
	v_cmp_gt_i32_e32 vcc, s60, v17
	s_and_saveexec_b64 s[42:43], vcc
	s_cbranch_execz .LBB3_129
; %bb.132:                              ;   in Loop: Header=BB3_131 Depth=2
	v_ashrrev_i32_e32 v3, 31, v2
	v_lshl_add_u64 v[32:33], s[72:73], 0, v[2:3]
	global_load_ubyte v3, v[32:33], off
	s_waitcnt vmcnt(0)
	v_bitop3_b32 v32, v3, s61, v31 bitop3:0x80
	v_cmp_eq_u32_e32 vcc, v32, v25
	s_and_b64 exec, exec, vcc
	s_cbranch_execz .LBB3_129
; %bb.133:                              ;   in Loop: Header=BB3_131 Depth=2
	v_lshlrev_b16_e32 v3, 8, v3
	v_or_b32_e32 v3, 1, v3
	ds_write_b16 v8, v3 offset:3072
	s_branch .LBB3_129
.LBB3_134:                              ;   in Loop: Header=BB3_131 Depth=2
	v_add_u32_e32 v17, s64, v17
	v_cmp_le_i32_e32 vcc, s9, v17
	v_add_u32_e32 v2, s74, v2
	s_mov_b64 s[44:45], 0
	s_orn2_b64 s[42:43], vcc, exec
	s_branch .LBB3_130
.LBB3_135:                              ;   in Loop: Header=BB3_16 Depth=1
	s_or_b64 exec, exec, s[34:35]
	v_lshrrev_b32_sdwa v32, v30, v3 dst_sel:DWORD dst_unused:UNUSED_PAD src0_sel:DWORD src1_sel:WORD_0
	s_and_b64 s[34:35], s[40:41], exec
.LBB3_136:                              ;   in Loop: Header=BB3_16 Depth=1
	s_or_b64 exec, exec, s[38:39]
.LBB3_137:                              ;   in Loop: Header=BB3_16 Depth=1
	s_and_b64 vcc, exec, s[36:37]
	s_cbranch_vccz .LBB3_148
; %bb.138:                              ;   in Loop: Header=BB3_16 Depth=1
	v_readlane_b32 s16, v50, 6
	s_add_i32 s16, s8, s16
	s_abs_i32 s24, s16
	v_readlane_b32 s25, v50, 25
	s_mul_hi_u32 s25, s24, s25
	s_mul_i32 s25, s25, s64
	s_sub_i32 s24, s24, s25
	s_ashr_i32 s17, s16, 31
	s_sub_i32 s25, s24, s64
	s_cmp_ge_u32 s24, s64
	s_cselect_b32 s24, s25, s24
	s_sub_i32 s25, s24, s64
	s_cmp_ge_u32 s24, s64
	s_cselect_b32 s24, s25, s24
	s_xor_b32 s24, s24, s17
	s_sub_i32 s17, s17, s24
	s_add_i32 s16, s16, s17
	v_cmp_gt_i32_e32 vcc, s16, v0
                                        ; implicit-def: $vgpr32
	s_and_saveexec_b64 s[24:25], vcc
	s_cbranch_execz .LBB3_147
; %bb.139:                              ;   in Loop: Header=BB3_16 Depth=1
	s_mov_b64 s[26:27], 0
	v_mov_b32_e32 v2, v0
                                        ; implicit-def: $sgpr36_sgpr37
	s_branch .LBB3_142
.LBB3_140:                              ;   in Loop: Header=BB3_142 Depth=2
	s_or_b64 exec, exec, s[38:39]
	s_waitcnt lgkmcnt(0)
	s_barrier
	ds_read_u16 v3, v8 offset:3072
	s_mov_b64 s[38:39], -1
	s_waitcnt lgkmcnt(0)
	s_barrier
	v_cmp_eq_u32_sdwa s[40:41], v3, v8 src0_sel:BYTE_0 src1_sel:DWORD
	s_and_b64 vcc, exec, s[40:41]
	s_mov_b64 s[40:41], -1
	s_cbranch_vccnz .LBB3_145
.LBB3_141:                              ;   in Loop: Header=BB3_142 Depth=2
	s_and_b64 s[38:39], exec, s[38:39]
	s_or_b64 s[26:27], s[38:39], s[26:27]
	s_andn2_b64 s[36:37], s[36:37], exec
	s_and_b64 s[38:39], s[40:41], exec
	s_or_b64 s[36:37], s[36:37], s[38:39]
	s_andn2_b64 exec, exec, s[26:27]
	s_cbranch_execz .LBB3_146
.LBB3_142:                              ;   Parent Loop BB3_16 Depth=1
                                        ; =>  This Inner Loop Header: Depth=2
	v_cmp_gt_i32_e32 vcc, s8, v2
	s_and_saveexec_b64 s[38:39], vcc
	s_cbranch_execz .LBB3_140
; %bb.143:                              ;   in Loop: Header=BB3_142 Depth=2
	ds_read_u8 v3, v2
	s_waitcnt lgkmcnt(0)
	v_bitop3_b32 v17, v3, s61, v31 bitop3:0x80
	v_cmp_eq_u32_e32 vcc, v17, v25
	s_and_b64 exec, exec, vcc
	s_cbranch_execz .LBB3_140
; %bb.144:                              ;   in Loop: Header=BB3_142 Depth=2
	v_lshlrev_b16_e32 v3, 8, v3
	v_or_b32_e32 v3, 1, v3
	ds_write_b16 v8, v3 offset:3072
	s_branch .LBB3_140
.LBB3_145:                              ;   in Loop: Header=BB3_142 Depth=2
	v_add_u32_e32 v2, s64, v2
	v_cmp_le_i32_e32 vcc, s16, v2
	s_mov_b64 s[40:41], 0
	s_orn2_b64 s[38:39], vcc, exec
	s_branch .LBB3_141
.LBB3_146:                              ;   in Loop: Header=BB3_16 Depth=1
	s_or_b64 exec, exec, s[26:27]
	s_andn2_b64 s[16:17], s[34:35], exec
	s_and_b64 s[26:27], s[36:37], exec
	v_lshrrev_b32_sdwa v32, v30, v3 dst_sel:DWORD dst_unused:UNUSED_PAD src0_sel:DWORD src1_sel:WORD_0
	s_or_b64 s[34:35], s[16:17], s[26:27]
.LBB3_147:                              ;   in Loop: Header=BB3_16 Depth=1
	s_or_b64 exec, exec, s[24:25]
	s_mov_b64 s[24:25], 0
	s_mov_b64 s[26:27], -1
.LBB3_148:                              ;   in Loop: Header=BB3_16 Depth=1
	s_orn2_b64 s[34:35], s[34:35], exec
.LBB3_149:                              ;   in Loop: Header=BB3_16 Depth=1
	s_or_b64 exec, exec, s[28:29]
	s_mov_b64 s[36:37], 0
	s_and_saveexec_b64 s[28:29], s[34:35]
	s_cbranch_execz .LBB3_238
; %bb.150:                              ;   in Loop: Header=BB3_16 Depth=1
	s_xor_b64 s[16:17], s[30:31], -1
	s_mov_b64 s[40:41], 0
	v_mov_b32_e32 v17, 1
	v_mov_b32_e32 v5, 1
	s_and_saveexec_b64 s[30:31], s[16:17]
	s_cbranch_execz .LBB3_159
; %bb.151:                              ;   in Loop: Header=BB3_16 Depth=1
	v_cmp_ge_i32_e32 vcc, s46, v16
	s_and_saveexec_b64 s[16:17], vcc
	s_xor_b64 s[34:35], exec, s[16:17]
	s_cbranch_execz .LBB3_156
; %bb.152:                              ;   in Loop: Header=BB3_16 Depth=1
	ds_read_b32 v2, v8 offset:4096
	v_and_b32_e32 v3, v25, v9
	v_lshl_or_b32 v25, 1, v29, v3
	v_or_b32_e32 v31, v31, v4
	s_waitcnt lgkmcnt(0)
	v_cmp_ne_u32_e32 vcc, 0, v2
	s_cbranch_vccnz .LBB3_156
; %bb.153:                              ;   in Loop: Header=BB3_16 Depth=1
	s_and_saveexec_b64 s[36:37], s[18:19]
; %bb.154:                              ;   in Loop: Header=BB3_16 Depth=1
	v_mov_b32_e32 v2, s46
	ds_write_b32 v8, v2 offset:4100
; %bb.155:                              ;   in Loop: Header=BB3_16 Depth=1
	s_or_b64 exec, exec, s[36:37]
	s_waitcnt lgkmcnt(0)
	s_barrier
.LBB3_156:                              ;   in Loop: Header=BB3_16 Depth=1
	s_or_saveexec_b64 s[34:35], s[34:35]
	s_mov_b64 s[36:37], 0
	v_mov_b32_e32 v5, 8
	s_xor_b64 exec, exec, s[34:35]
; %bb.157:                              ;   in Loop: Header=BB3_16 Depth=1
	s_mov_b64 s[36:37], exec
	v_subrev_u32_e32 v16, s46, v16
	v_mov_b32_e32 v5, 0
; %bb.158:                              ;   in Loop: Header=BB3_16 Depth=1
	s_or_b64 exec, exec, s[34:35]
	s_and_b64 s[40:41], s[36:37], exec
	v_mov_b32_e32 v17, v16
.LBB3_159:                              ;   in Loop: Header=BB3_16 Depth=1
	s_or_b64 exec, exec, s[30:31]
	s_mov_b64 s[38:39], -1
                                        ; implicit-def: $sgpr34_sgpr35
                                        ; implicit-def: $sgpr36_sgpr37
	s_and_saveexec_b64 s[30:31], s[40:41]
	s_cbranch_execz .LBB3_237
; %bb.160:                              ;   in Loop: Header=BB3_16 Depth=1
	s_cmp_eq_u32 s54, 1
	s_cselect_b64 s[16:17], -1, 0
	v_cmp_eq_u32_e32 vcc, 1, v17
	s_and_b64 s[40:41], s[16:17], vcc
	s_mov_b64 s[42:43], -1
                                        ; implicit-def: $sgpr36_sgpr37
                                        ; implicit-def: $sgpr34_sgpr35
	s_and_saveexec_b64 s[38:39], s[40:41]
	s_cbranch_execz .LBB3_186
; %bb.161:                              ;   in Loop: Header=BB3_16 Depth=1
	ds_read_b32 v2, v8 offset:4096
	s_waitcnt lgkmcnt(0)
	s_barrier
	v_readfirstlane_b32 s8, v2
	s_and_saveexec_b64 s[34:35], s[4:5]
; %bb.162:                              ;   in Loop: Header=BB3_16 Depth=1
	ds_write_b8 v0, v8 offset:3072
; %bb.163:                              ;   in Loop: Header=BB3_16 Depth=1
	s_or_b64 exec, exec, s[34:35]
	v_and_b32_e32 v2, v25, v9
	v_lshl_or_b32 v25, 2, v29, v2
	v_or_b32_e32 v31, v31, v4
	s_mov_b64 s[34:35], -1
	s_mov_b64 s[36:37], 0
	s_cmp_gt_i32 s8, 0
	s_mov_b64 s[42:43], 0
	s_mov_b64 s[44:45], -1
	s_waitcnt lgkmcnt(0)
	s_barrier
                                        ; implicit-def: $vgpr32
	s_cbranch_scc1 .LBB3_174
; %bb.164:                              ;   in Loop: Header=BB3_16 Depth=1
	s_mov_b64 s[44:45], 0
                                        ; implicit-def: $vgpr32
	s_mov_b64 s[46:47], exec
	v_readlane_b32 s16, v50, 26
	v_readlane_b32 s17, v50, 27
	s_and_b64 s[16:17], s[46:47], s[16:17]
	s_mov_b64 exec, s[16:17]
	s_cbranch_execz .LBB3_173
; %bb.165:                              ;   in Loop: Header=BB3_16 Depth=1
	v_mov_b32_e32 v2, v6
	v_mov_b32_e32 v16, v0
                                        ; implicit-def: $sgpr48_sgpr49
	s_branch .LBB3_168
.LBB3_166:                              ;   in Loop: Header=BB3_168 Depth=2
	s_or_b64 exec, exec, s[50:51]
	s_waitcnt lgkmcnt(0)
	s_barrier
	ds_read_u16 v3, v8 offset:3072
	s_mov_b64 s[50:51], -1
	s_mov_b64 s[52:53], -1
	s_waitcnt lgkmcnt(0)
	s_barrier
	v_cmp_ne_u32_sdwa s[16:17], v3, v8 src0_sel:BYTE_0 src1_sel:DWORD
	s_and_b64 vcc, exec, s[16:17]
	s_cbranch_vccz .LBB3_171
.LBB3_167:                              ;   in Loop: Header=BB3_168 Depth=2
	s_and_b64 s[16:17], exec, s[50:51]
	s_or_b64 s[42:43], s[16:17], s[42:43]
	s_andn2_b64 s[16:17], s[48:49], exec
	s_and_b64 s[48:49], s[52:53], exec
	s_or_b64 s[48:49], s[16:17], s[48:49]
	s_andn2_b64 exec, exec, s[42:43]
	s_cbranch_execz .LBB3_172
.LBB3_168:                              ;   Parent Loop BB3_16 Depth=1
                                        ; =>  This Inner Loop Header: Depth=2
	v_cmp_gt_i32_e32 vcc, s60, v16
	s_and_saveexec_b64 s[50:51], vcc
	s_cbranch_execz .LBB3_166
; %bb.169:                              ;   in Loop: Header=BB3_168 Depth=2
	v_ashrrev_i32_e32 v3, 31, v2
	v_lshl_add_u64 v[32:33], s[72:73], 0, v[2:3]
	global_load_ubyte v3, v[32:33], off
	s_waitcnt vmcnt(0)
	v_bitop3_b32 v32, v3, s61, v31 bitop3:0x80
	v_cmp_eq_u32_e32 vcc, v32, v25
	s_and_b64 exec, exec, vcc
	s_cbranch_execz .LBB3_166
; %bb.170:                              ;   in Loop: Header=BB3_168 Depth=2
	v_lshlrev_b16_e32 v3, 8, v3
	v_or_b32_e32 v3, 1, v3
	ds_write_b16 v8, v3 offset:3072
	s_branch .LBB3_166
.LBB3_171:                              ;   in Loop: Header=BB3_168 Depth=2
	v_add_u32_e32 v16, s64, v16
	v_cmp_le_i32_e32 vcc, s9, v16
	v_add_u32_e32 v2, s74, v2
	s_mov_b64 s[52:53], 0
	s_orn2_b64 s[50:51], vcc, exec
	s_branch .LBB3_167
.LBB3_172:                              ;   in Loop: Header=BB3_16 Depth=1
	s_or_b64 exec, exec, s[42:43]
	v_lshrrev_b32_sdwa v32, v30, v3 dst_sel:DWORD dst_unused:UNUSED_PAD src0_sel:DWORD src1_sel:WORD_0
	s_and_b64 s[42:43], s[48:49], exec
.LBB3_173:                              ;   in Loop: Header=BB3_16 Depth=1
	s_or_b64 exec, exec, s[46:47]
.LBB3_174:                              ;   in Loop: Header=BB3_16 Depth=1
	s_and_b64 vcc, exec, s[44:45]
	s_cbranch_vccz .LBB3_185
; %bb.175:                              ;   in Loop: Header=BB3_16 Depth=1
	v_readlane_b32 s16, v50, 6
	s_add_i32 s16, s8, s16
	s_abs_i32 s34, s16
	v_readlane_b32 s35, v50, 25
	s_mul_hi_u32 s35, s34, s35
	s_mul_i32 s35, s35, s64
	s_sub_i32 s34, s34, s35
	s_ashr_i32 s17, s16, 31
	s_sub_i32 s35, s34, s64
	s_cmp_ge_u32 s34, s64
	s_cselect_b32 s34, s35, s34
	s_sub_i32 s35, s34, s64
	s_cmp_ge_u32 s34, s64
	s_cselect_b32 s34, s35, s34
	s_xor_b32 s34, s34, s17
	s_sub_i32 s17, s17, s34
	s_add_i32 s16, s16, s17
	v_cmp_gt_i32_e32 vcc, s16, v0
                                        ; implicit-def: $vgpr32
	s_and_saveexec_b64 s[34:35], vcc
	s_cbranch_execz .LBB3_184
; %bb.176:                              ;   in Loop: Header=BB3_16 Depth=1
	s_mov_b64 s[36:37], 0
	v_mov_b32_e32 v2, v0
                                        ; implicit-def: $sgpr44_sgpr45
	s_branch .LBB3_179
.LBB3_177:                              ;   in Loop: Header=BB3_179 Depth=2
	s_or_b64 exec, exec, s[46:47]
	s_waitcnt lgkmcnt(0)
	s_barrier
	ds_read_u16 v3, v8 offset:3072
	s_mov_b64 s[46:47], -1
	s_waitcnt lgkmcnt(0)
	s_barrier
	v_cmp_eq_u32_sdwa s[48:49], v3, v8 src0_sel:BYTE_0 src1_sel:DWORD
	s_and_b64 vcc, exec, s[48:49]
	s_mov_b64 s[48:49], -1
	s_cbranch_vccnz .LBB3_182
.LBB3_178:                              ;   in Loop: Header=BB3_179 Depth=2
	s_and_b64 s[46:47], exec, s[46:47]
	s_or_b64 s[36:37], s[46:47], s[36:37]
	s_andn2_b64 s[44:45], s[44:45], exec
	s_and_b64 s[46:47], s[48:49], exec
	s_or_b64 s[44:45], s[44:45], s[46:47]
	s_andn2_b64 exec, exec, s[36:37]
	s_cbranch_execz .LBB3_183
.LBB3_179:                              ;   Parent Loop BB3_16 Depth=1
                                        ; =>  This Inner Loop Header: Depth=2
	v_cmp_gt_i32_e32 vcc, s8, v2
	s_and_saveexec_b64 s[46:47], vcc
	s_cbranch_execz .LBB3_177
; %bb.180:                              ;   in Loop: Header=BB3_179 Depth=2
	ds_read_u8 v3, v2
	s_waitcnt lgkmcnt(0)
	v_bitop3_b32 v16, v3, s61, v31 bitop3:0x80
	v_cmp_eq_u32_e32 vcc, v16, v25
	s_and_b64 exec, exec, vcc
	s_cbranch_execz .LBB3_177
; %bb.181:                              ;   in Loop: Header=BB3_179 Depth=2
	v_lshlrev_b16_e32 v3, 8, v3
	v_or_b32_e32 v3, 1, v3
	ds_write_b16 v8, v3 offset:3072
	s_branch .LBB3_177
.LBB3_182:                              ;   in Loop: Header=BB3_179 Depth=2
	v_add_u32_e32 v2, s64, v2
	v_cmp_le_i32_e32 vcc, s16, v2
	s_mov_b64 s[48:49], 0
	s_orn2_b64 s[46:47], vcc, exec
	s_branch .LBB3_178
.LBB3_183:                              ;   in Loop: Header=BB3_16 Depth=1
	s_or_b64 exec, exec, s[36:37]
	s_andn2_b64 s[16:17], s[42:43], exec
	s_and_b64 s[36:37], s[44:45], exec
	v_lshrrev_b32_sdwa v32, v30, v3 dst_sel:DWORD dst_unused:UNUSED_PAD src0_sel:DWORD src1_sel:WORD_0
	s_or_b64 s[42:43], s[16:17], s[36:37]
.LBB3_184:                              ;   in Loop: Header=BB3_16 Depth=1
	s_or_b64 exec, exec, s[34:35]
	s_mov_b64 s[34:35], 0
	s_mov_b64 s[36:37], -1
.LBB3_185:                              ;   in Loop: Header=BB3_16 Depth=1
	s_orn2_b64 s[42:43], s[42:43], exec
.LBB3_186:                              ;   in Loop: Header=BB3_16 Depth=1
	s_or_b64 exec, exec, s[38:39]
	s_mov_b64 s[44:45], 0
	s_and_saveexec_b64 s[38:39], s[42:43]
	s_cbranch_execz .LBB3_236
; %bb.187:                              ;   in Loop: Header=BB3_16 Depth=1
	s_xor_b64 s[16:17], s[40:41], -1
	s_mov_b64 s[48:49], 0
	v_mov_b32_e32 v16, 1
	v_mov_b32_e32 v5, 1
	s_and_saveexec_b64 s[40:41], s[16:17]
	s_cbranch_execz .LBB3_196
; %bb.188:                              ;   in Loop: Header=BB3_16 Depth=1
	v_cmp_ge_i32_e32 vcc, s54, v17
	s_and_saveexec_b64 s[16:17], vcc
	s_xor_b64 s[42:43], exec, s[16:17]
	s_cbranch_execz .LBB3_193
; %bb.189:                              ;   in Loop: Header=BB3_16 Depth=1
	ds_read_b32 v2, v8 offset:4096
	v_and_b32_e32 v3, v25, v9
	v_lshl_or_b32 v25, 2, v29, v3
	v_or_b32_e32 v31, v31, v4
	s_waitcnt lgkmcnt(0)
	v_cmp_ne_u32_e32 vcc, 0, v2
	s_cbranch_vccnz .LBB3_193
; %bb.190:                              ;   in Loop: Header=BB3_16 Depth=1
	s_and_saveexec_b64 s[44:45], s[18:19]
; %bb.191:                              ;   in Loop: Header=BB3_16 Depth=1
	v_mov_b32_e32 v2, s54
	ds_write_b32 v8, v2 offset:4100
; %bb.192:                              ;   in Loop: Header=BB3_16 Depth=1
	s_or_b64 exec, exec, s[44:45]
	s_waitcnt lgkmcnt(0)
	s_barrier
.LBB3_193:                              ;   in Loop: Header=BB3_16 Depth=1
	s_or_saveexec_b64 s[42:43], s[42:43]
	s_mov_b64 s[44:45], 0
	v_mov_b32_e32 v5, 8
	s_xor_b64 exec, exec, s[42:43]
; %bb.194:                              ;   in Loop: Header=BB3_16 Depth=1
	s_mov_b64 s[44:45], exec
	v_subrev_u32_e32 v17, s54, v17
	v_mov_b32_e32 v5, 0
; %bb.195:                              ;   in Loop: Header=BB3_16 Depth=1
	s_or_b64 exec, exec, s[42:43]
	s_and_b64 s[48:49], s[44:45], exec
	v_mov_b32_e32 v16, v17
.LBB3_196:                              ;   in Loop: Header=BB3_16 Depth=1
	s_or_b64 exec, exec, s[40:41]
	s_mov_b64 s[46:47], -1
                                        ; implicit-def: $sgpr44_sgpr45
                                        ; implicit-def: $sgpr42_sgpr43
	s_and_saveexec_b64 s[40:41], s[48:49]
	s_cbranch_execz .LBB3_235
; %bb.197:                              ;   in Loop: Header=BB3_16 Depth=1
	s_cmp_eq_u32 s90, 1
	s_cselect_b64 s[16:17], -1, 0
	v_cmp_eq_u32_e32 vcc, 1, v16
	s_and_b64 s[46:47], s[16:17], vcc
	s_mov_b64 s[50:51], -1
                                        ; implicit-def: $sgpr44_sgpr45
                                        ; implicit-def: $sgpr42_sgpr43
	s_and_saveexec_b64 s[48:49], s[46:47]
	s_cbranch_execz .LBB3_223
; %bb.198:                              ;   in Loop: Header=BB3_16 Depth=1
	ds_read_b32 v2, v8 offset:4096
	s_waitcnt lgkmcnt(0)
	s_barrier
	v_readfirstlane_b32 s8, v2
	s_and_saveexec_b64 s[42:43], s[4:5]
; %bb.199:                              ;   in Loop: Header=BB3_16 Depth=1
	ds_write_b8 v0, v8 offset:3072
; %bb.200:                              ;   in Loop: Header=BB3_16 Depth=1
	s_or_b64 exec, exec, s[42:43]
	v_or_b32_e32 v25, v25, v4
	v_or_b32_e32 v31, v31, v4
	s_mov_b64 s[42:43], -1
	s_mov_b64 s[44:45], 0
	s_cmp_gt_i32 s8, 0
	s_mov_b64 s[50:51], 0
	s_mov_b64 s[52:53], -1
	s_waitcnt lgkmcnt(0)
	s_barrier
                                        ; implicit-def: $vgpr32
	s_cbranch_scc1 .LBB3_211
; %bb.201:                              ;   in Loop: Header=BB3_16 Depth=1
	s_mov_b64 s[52:53], 0
                                        ; implicit-def: $vgpr32
	s_mov_b64 s[54:55], exec
	v_readlane_b32 s16, v50, 26
	v_readlane_b32 s17, v50, 27
	s_and_b64 s[16:17], s[54:55], s[16:17]
	s_mov_b64 exec, s[16:17]
	s_cbranch_execz .LBB3_210
; %bb.202:                              ;   in Loop: Header=BB3_16 Depth=1
	v_mov_b32_e32 v2, v6
	v_mov_b32_e32 v9, v0
                                        ; implicit-def: $sgpr56_sgpr57
	s_branch .LBB3_205
.LBB3_203:                              ;   in Loop: Header=BB3_205 Depth=2
	s_or_b64 exec, exec, s[58:59]
	s_waitcnt lgkmcnt(0)
	s_barrier
	ds_read_u16 v3, v8 offset:3072
	s_mov_b64 s[58:59], -1
	s_mov_b64 s[88:89], -1
	s_waitcnt lgkmcnt(0)
	s_barrier
	v_cmp_ne_u32_sdwa s[16:17], v3, v8 src0_sel:BYTE_0 src1_sel:DWORD
	s_and_b64 vcc, exec, s[16:17]
	s_cbranch_vccz .LBB3_208
.LBB3_204:                              ;   in Loop: Header=BB3_205 Depth=2
	s_and_b64 s[16:17], exec, s[58:59]
	s_or_b64 s[50:51], s[16:17], s[50:51]
	s_andn2_b64 s[16:17], s[56:57], exec
	s_and_b64 s[56:57], s[88:89], exec
	s_or_b64 s[56:57], s[16:17], s[56:57]
	s_andn2_b64 exec, exec, s[50:51]
	s_cbranch_execz .LBB3_209
.LBB3_205:                              ;   Parent Loop BB3_16 Depth=1
                                        ; =>  This Inner Loop Header: Depth=2
	v_cmp_gt_i32_e32 vcc, s60, v9
	s_and_saveexec_b64 s[58:59], vcc
	s_cbranch_execz .LBB3_203
; %bb.206:                              ;   in Loop: Header=BB3_205 Depth=2
	v_ashrrev_i32_e32 v3, 31, v2
	v_lshl_add_u64 v[32:33], s[72:73], 0, v[2:3]
	global_load_ubyte v3, v[32:33], off
	s_waitcnt vmcnt(0)
	v_bitop3_b32 v17, v3, s61, v31 bitop3:0x80
	v_cmp_eq_u32_e32 vcc, v17, v25
	s_and_b64 exec, exec, vcc
	s_cbranch_execz .LBB3_203
; %bb.207:                              ;   in Loop: Header=BB3_205 Depth=2
	v_lshlrev_b16_e32 v3, 8, v3
	v_or_b32_e32 v3, 1, v3
	ds_write_b16 v8, v3 offset:3072
	s_branch .LBB3_203
.LBB3_208:                              ;   in Loop: Header=BB3_205 Depth=2
	v_add_u32_e32 v9, s64, v9
	v_cmp_le_i32_e32 vcc, s9, v9
	v_add_u32_e32 v2, s74, v2
	s_mov_b64 s[88:89], 0
	s_orn2_b64 s[58:59], vcc, exec
	s_branch .LBB3_204
.LBB3_209:                              ;   in Loop: Header=BB3_16 Depth=1
	s_or_b64 exec, exec, s[50:51]
	v_lshrrev_b32_sdwa v32, v30, v3 dst_sel:DWORD dst_unused:UNUSED_PAD src0_sel:DWORD src1_sel:WORD_0
	s_and_b64 s[50:51], s[56:57], exec
.LBB3_210:                              ;   in Loop: Header=BB3_16 Depth=1
	s_or_b64 exec, exec, s[54:55]
.LBB3_211:                              ;   in Loop: Header=BB3_16 Depth=1
	s_and_b64 vcc, exec, s[52:53]
	s_cbranch_vccz .LBB3_222
; %bb.212:                              ;   in Loop: Header=BB3_16 Depth=1
	v_readlane_b32 s16, v50, 6
	s_add_i32 s16, s8, s16
	s_abs_i32 s42, s16
	v_readlane_b32 s43, v50, 25
	s_mul_hi_u32 s43, s42, s43
	s_mul_i32 s43, s43, s64
	s_sub_i32 s42, s42, s43
	s_ashr_i32 s17, s16, 31
	s_sub_i32 s43, s42, s64
	s_cmp_ge_u32 s42, s64
	s_cselect_b32 s42, s43, s42
	s_sub_i32 s43, s42, s64
	s_cmp_ge_u32 s42, s64
	s_cselect_b32 s42, s43, s42
	s_xor_b32 s42, s42, s17
	s_sub_i32 s17, s17, s42
	s_add_i32 s16, s16, s17
	v_cmp_gt_i32_e32 vcc, s16, v0
                                        ; implicit-def: $vgpr32
	s_and_saveexec_b64 s[42:43], vcc
	s_cbranch_execz .LBB3_221
; %bb.213:                              ;   in Loop: Header=BB3_16 Depth=1
	s_mov_b64 s[44:45], 0
	v_mov_b32_e32 v2, v0
                                        ; implicit-def: $sgpr52_sgpr53
	s_branch .LBB3_216
.LBB3_214:                              ;   in Loop: Header=BB3_216 Depth=2
	s_or_b64 exec, exec, s[54:55]
	s_waitcnt lgkmcnt(0)
	s_barrier
	ds_read_u16 v3, v8 offset:3072
	s_mov_b64 s[54:55], -1
	s_waitcnt lgkmcnt(0)
	s_barrier
	v_cmp_eq_u32_sdwa s[56:57], v3, v8 src0_sel:BYTE_0 src1_sel:DWORD
	s_and_b64 vcc, exec, s[56:57]
	s_mov_b64 s[56:57], -1
	s_cbranch_vccnz .LBB3_219
.LBB3_215:                              ;   in Loop: Header=BB3_216 Depth=2
	s_and_b64 s[54:55], exec, s[54:55]
	s_or_b64 s[44:45], s[54:55], s[44:45]
	s_andn2_b64 s[52:53], s[52:53], exec
	s_and_b64 s[54:55], s[56:57], exec
	s_or_b64 s[52:53], s[52:53], s[54:55]
	s_andn2_b64 exec, exec, s[44:45]
	s_cbranch_execz .LBB3_220
.LBB3_216:                              ;   Parent Loop BB3_16 Depth=1
                                        ; =>  This Inner Loop Header: Depth=2
	v_cmp_gt_i32_e32 vcc, s8, v2
	s_and_saveexec_b64 s[54:55], vcc
	s_cbranch_execz .LBB3_214
; %bb.217:                              ;   in Loop: Header=BB3_216 Depth=2
	ds_read_u8 v3, v2
	s_waitcnt lgkmcnt(0)
	v_bitop3_b32 v9, v3, s61, v31 bitop3:0x80
	v_cmp_eq_u32_e32 vcc, v9, v25
	s_and_b64 exec, exec, vcc
	s_cbranch_execz .LBB3_214
; %bb.218:                              ;   in Loop: Header=BB3_216 Depth=2
	v_lshlrev_b16_e32 v3, 8, v3
	v_or_b32_e32 v3, 1, v3
	ds_write_b16 v8, v3 offset:3072
	s_branch .LBB3_214
.LBB3_219:                              ;   in Loop: Header=BB3_216 Depth=2
	v_add_u32_e32 v2, s64, v2
	v_cmp_le_i32_e32 vcc, s16, v2
	s_mov_b64 s[56:57], 0
	s_orn2_b64 s[54:55], vcc, exec
	s_branch .LBB3_215
.LBB3_220:                              ;   in Loop: Header=BB3_16 Depth=1
	s_or_b64 exec, exec, s[44:45]
	s_andn2_b64 s[16:17], s[50:51], exec
	s_and_b64 s[44:45], s[52:53], exec
	v_lshrrev_b32_sdwa v32, v30, v3 dst_sel:DWORD dst_unused:UNUSED_PAD src0_sel:DWORD src1_sel:WORD_0
	s_or_b64 s[50:51], s[16:17], s[44:45]
.LBB3_221:                              ;   in Loop: Header=BB3_16 Depth=1
	s_or_b64 exec, exec, s[42:43]
	s_mov_b64 s[42:43], 0
	s_mov_b64 s[44:45], -1
.LBB3_222:                              ;   in Loop: Header=BB3_16 Depth=1
	s_orn2_b64 s[50:51], s[50:51], exec
.LBB3_223:                              ;   in Loop: Header=BB3_16 Depth=1
	s_or_b64 exec, exec, s[48:49]
	s_mov_b64 s[52:53], 0
	s_and_saveexec_b64 s[48:49], s[50:51]
	s_cbranch_execz .LBB3_234
; %bb.224:                              ;   in Loop: Header=BB3_16 Depth=1
	s_xor_b64 s[16:17], s[46:47], -1
	v_mov_b32_e32 v5, 1
	v_mov_b32_e32 v2, 1
	s_and_saveexec_b64 s[46:47], s[16:17]
	s_cbranch_execz .LBB3_233
; %bb.225:                              ;   in Loop: Header=BB3_16 Depth=1
	v_cmp_ge_i32_e32 vcc, s90, v16
	s_and_saveexec_b64 s[16:17], vcc
	s_xor_b64 s[50:51], exec, s[16:17]
	s_cbranch_execz .LBB3_230
; %bb.226:                              ;   in Loop: Header=BB3_16 Depth=1
	ds_read_b32 v2, v8 offset:4096
	v_or_b32_e32 v25, v25, v4
	v_or_b32_e32 v31, v31, v4
	s_waitcnt lgkmcnt(0)
	v_cmp_ne_u32_e32 vcc, 0, v2
	s_cbranch_vccnz .LBB3_230
; %bb.227:                              ;   in Loop: Header=BB3_16 Depth=1
	s_and_saveexec_b64 s[52:53], s[18:19]
; %bb.228:                              ;   in Loop: Header=BB3_16 Depth=1
	v_mov_b32_e32 v2, s90
	ds_write_b32 v8, v2 offset:4100
; %bb.229:                              ;   in Loop: Header=BB3_16 Depth=1
	s_or_b64 exec, exec, s[52:53]
	s_waitcnt lgkmcnt(0)
	s_barrier
.LBB3_230:                              ;   in Loop: Header=BB3_16 Depth=1
	s_andn2_saveexec_b64 s[50:51], s[50:51]
; %bb.231:                              ;   in Loop: Header=BB3_16 Depth=1
	v_subrev_u32_e32 v16, s90, v16
; %bb.232:                              ;   in Loop: Header=BB3_16 Depth=1
	s_or_b64 exec, exec, s[50:51]
	v_mov_b32_e32 v5, 8
	v_mov_b32_e32 v2, v16
.LBB3_233:                              ;   in Loop: Header=BB3_16 Depth=1
	s_or_b64 exec, exec, s[46:47]
	s_mov_b64 s[52:53], exec
	v_mov_b32_e32 v16, v2
.LBB3_234:                              ;   in Loop: Header=BB3_16 Depth=1
	s_or_b64 exec, exec, s[48:49]
	s_orn2_b64 s[46:47], s[52:53], exec
.LBB3_235:                              ;   in Loop: Header=BB3_16 Depth=1
	s_or_b64 exec, exec, s[40:41]
	s_andn2_b64 s[16:17], s[36:37], exec
	s_and_b64 s[36:37], s[44:45], exec
	s_or_b64 s[36:37], s[16:17], s[36:37]
	s_andn2_b64 s[16:17], s[34:35], exec
	s_and_b64 s[34:35], s[42:43], exec
	s_or_b64 s[34:35], s[16:17], s[34:35]
	s_and_b64 s[44:45], s[46:47], exec
	v_mov_b32_e32 v17, v16
.LBB3_236:                              ;   in Loop: Header=BB3_16 Depth=1
	s_or_b64 exec, exec, s[38:39]
	s_orn2_b64 s[38:39], s[44:45], exec
.LBB3_237:                              ;   in Loop: Header=BB3_16 Depth=1
	s_or_b64 exec, exec, s[30:31]
	s_andn2_b64 s[16:17], s[26:27], exec
	s_and_b64 s[26:27], s[36:37], exec
	s_or_b64 s[26:27], s[16:17], s[26:27]
	s_andn2_b64 s[16:17], s[24:25], exec
	s_and_b64 s[24:25], s[34:35], exec
	s_or_b64 s[24:25], s[16:17], s[24:25]
	s_and_b64 s[36:37], s[38:39], exec
	v_mov_b32_e32 v16, v17
.LBB3_238:                              ;   in Loop: Header=BB3_16 Depth=1
	s_or_b64 exec, exec, s[28:29]
	s_orn2_b64 s[28:29], s[36:37], exec
.LBB3_239:                              ;   in Loop: Header=BB3_16 Depth=1
	s_or_b64 exec, exec, s[22:23]
	s_mov_b64 s[30:31], 0
                                        ; implicit-def: $sgpr8
	s_and_saveexec_b64 s[16:17], s[28:29]
	s_xor_b64 s[22:23], exec, s[16:17]
	s_cbranch_execz .LBB3_14
; %bb.240:                              ;   in Loop: Header=BB3_16 Depth=1
	v_and_b32_e32 v2, 7, v5
	v_cmp_eq_u32_e32 vcc, 0, v2
	s_mov_b64 s[20:21], -1
	s_mov_b64 s[28:29], -1
                                        ; implicit-def: $sgpr8
	s_and_saveexec_b64 s[30:31], vcc
	s_cbranch_execz .LBB3_13
; %bb.241:                              ;   in Loop: Header=BB3_16 Depth=1
	v_add_u32_e32 v2, -2, v29
	v_cmp_eq_u32_e32 vcc, 0, v29
	s_xor_b32 s8, s85, 1
	s_xor_b64 s[28:29], exec, -1
	s_orn2_b64 s[20:21], vcc, exec
	v_mov_b32_e32 v29, v2
	s_branch .LBB3_13
.LBB3_242:
	s_or_b64 exec, exec, s[92:93]
	s_xor_b64 s[6:7], s[98:99], -1
	s_xor_b64 s[0:1], s[94:95], -1
	;; [unrolled: 1-line block ×3, first 2 shown]
	s_mov_b64 s[2:3], 0
	s_and_saveexec_b64 s[8:9], s[0:1]
	s_xor_b64 s[0:1], exec, s[8:9]
	s_cbranch_execnz .LBB3_247
; %bb.243:
	s_andn2_saveexec_b64 s[0:1], s[0:1]
	s_cbranch_execnz .LBB3_267
.LBB3_244:
	s_or_b64 exec, exec, s[0:1]
	s_and_saveexec_b64 s[0:1], s[2:3]
.LBB3_245:
	; divergent unreachable
.LBB3_246:
	s_endpgm
.LBB3_247:
	s_and_saveexec_b64 s[2:3], s[6:7]
	s_xor_b64 s[2:3], exec, s[2:3]
	s_cbranch_execz .LBB3_265
; %bb.248:
	s_and_saveexec_b64 s[6:7], s[4:5]
	s_xor_b64 s[4:5], exec, s[6:7]
; %bb.249:
	v_mov_b32_e32 v32, v25
; %bb.250:
	s_or_b64 exec, exec, s[4:5]
	s_and_saveexec_b64 s[4:5], s[18:19]
; %bb.251:
	v_mov_b32_e32 v1, 0
	v_mov_b32_e32 v2, s60
	ds_write_b32 v1, v2 offset:4108
; %bb.252:
	s_or_b64 exec, exec, s[4:5]
	v_mov_b32_e32 v1, 0
	s_waitcnt lgkmcnt(0)
	s_barrier
	ds_read_b32 v1, v1 offset:4108
	s_waitcnt lgkmcnt(0)
	v_min_i32_e32 v2, s60, v1
	v_cmp_lt_i32_e32 vcc, v0, v2
	s_and_saveexec_b64 s[4:5], vcc
	s_cbranch_execz .LBB3_262
; %bb.253:
	s_mov_b64 s[6:7], 0
                                        ; implicit-def: $sgpr8_sgpr9
                                        ; implicit-def: $sgpr12_sgpr13
                                        ; implicit-def: $sgpr10_sgpr11
	s_branch .LBB3_255
.LBB3_254:                              ;   in Loop: Header=BB3_255 Depth=1
	s_or_b64 exec, exec, s[14:15]
	s_and_b64 s[14:15], exec, s[12:13]
	s_or_b64 s[6:7], s[14:15], s[6:7]
	s_andn2_b64 s[8:9], s[8:9], exec
	s_and_b64 s[14:15], s[10:11], exec
	s_or_b64 s[8:9], s[8:9], s[14:15]
	s_andn2_b64 exec, exec, s[6:7]
	s_cbranch_execz .LBB3_257
.LBB3_255:                              ; =>This Inner Loop Header: Depth=1
	v_ashrrev_i32_e32 v7, 31, v6
	v_lshl_add_u64 v[4:5], s[72:73], 0, v[6:7]
	global_load_ubyte v3, v[4:5], off
	v_mov_b32_e32 v1, v0
	s_or_b64 s[10:11], s[10:11], exec
	s_or_b64 s[12:13], s[12:13], exec
                                        ; implicit-def: $vgpr0
	s_waitcnt vmcnt(0)
	v_cmp_ne_u16_sdwa s[16:17], v3, v32 src0_sel:DWORD src1_sel:BYTE_0
	s_and_saveexec_b64 s[14:15], s[16:17]
	s_cbranch_execz .LBB3_254
; %bb.256:                              ;   in Loop: Header=BB3_255 Depth=1
	v_add_u32_e32 v0, s64, v1
	v_cmp_ge_i32_e32 vcc, v0, v2
	s_andn2_b64 s[12:13], s[12:13], exec
	s_and_b64 s[16:17], vcc, exec
	v_add_u32_e32 v6, s74, v6
	s_andn2_b64 s[10:11], s[10:11], exec
	s_or_b64 s[12:13], s[12:13], s[16:17]
	s_branch .LBB3_254
.LBB3_257:
	s_or_b64 exec, exec, s[6:7]
	s_and_saveexec_b64 s[6:7], s[8:9]
	s_xor_b64 s[6:7], exec, s[6:7]
	s_cbranch_execz .LBB3_262
; %bb.258:
	s_mov_b64 s[6:7], exec
	s_brev_b32 s8, -2
.LBB3_259:                              ; =>This Inner Loop Header: Depth=1
	s_ff1_i32_b64 s9, s[6:7]
	v_readlane_b32 s12, v1, s9
	s_lshl_b64 s[10:11], 1, s9
	s_min_i32 s8, s8, s12
	s_andn2_b64 s[6:7], s[6:7], s[10:11]
	s_cmp_lg_u64 s[6:7], 0
	s_cbranch_scc1 .LBB3_259
; %bb.260:
	v_mbcnt_lo_u32_b32 v0, exec_lo, 0
	v_mbcnt_hi_u32_b32 v0, exec_hi, v0
	v_cmp_eq_u32_e32 vcc, 0, v0
	s_and_saveexec_b64 s[6:7], vcc
	s_xor_b64 s[6:7], exec, s[6:7]
; %bb.261:
	v_mov_b32_e32 v0, 0
	v_mov_b32_e32 v1, s8
	ds_min_i32 v0, v1 offset:4108
.LBB3_262:
	s_or_b64 exec, exec, s[4:5]
	s_waitcnt lgkmcnt(0)
	s_barrier
	s_and_saveexec_b64 s[4:5], s[18:19]
	s_cbranch_execz .LBB3_264
; %bb.263:
	v_readlane_b32 s6, v50, 0
	s_mul_i32 s6, s6, s62
	s_add_i32 s7, s6, s65
	v_readlane_b32 s6, v50, 5
	s_mul_i32 s6, s6, s33
	v_mov_b32_e32 v2, 0
	s_add_i32 s6, s6, s67
	s_ashr_i32 s9, s7, 31
	v_readlane_b32 s10, v50, 1
	ds_read_b32 v0, v2 offset:4108
	v_readlane_b32 s11, v50, 2
	s_add_u32 s8, s10, s7
	s_addc_u32 s9, s11, s9
	s_ashr_i32 s7, s6, 31
	s_lshl_b64 s[6:7], s[6:7], 3
	v_readlane_b32 s10, v50, 3
	v_readlane_b32 s11, v50, 4
	s_add_u32 s6, s10, s6
	s_addc_u32 s7, s11, s7
	s_waitcnt lgkmcnt(0)
	v_ashrrev_i32_e32 v1, 31, v0
	global_store_dwordx2 v2, v[0:1], s[6:7]
	global_store_byte v2, v32, s[8:9]
.LBB3_264:
	s_or_b64 exec, exec, s[4:5]
.LBB3_265:
	s_or_saveexec_b64 s[2:3], s[2:3]
	s_mov_b64 s[4:5], 0
	s_xor_b64 exec, exec, s[2:3]
	s_cbranch_execnz .LBB3_268
.LBB3_266:
	s_or_b64 exec, exec, s[2:3]
	s_and_b64 s[2:3], s[4:5], exec
	s_andn2_saveexec_b64 s[0:1], s[0:1]
	s_cbranch_execz .LBB3_244
.LBB3_267:
	s_or_b64 s[2:3], s[2:3], exec
	s_trap 2
	s_or_b64 exec, exec, s[0:1]
	s_and_saveexec_b64 s[0:1], s[2:3]
	s_cbranch_execnz .LBB3_245
	s_branch .LBB3_246
.LBB3_268:
	s_mov_b64 s[4:5], exec
	s_trap 2
	s_branch .LBB3_266
	.section	.rodata,"a",@progbits
	.p2align	6, 0x0
	.amdhsa_kernel _ZN2at6native12_GLOBAL__N_114gatherKthValueIhiLin1EEEvNS_4cuda6detail10TensorInfoIKT_T0_EES8_S8_S8_S8_NS5_IS6_S8_EENS5_IlS8_EE
		.amdhsa_group_segment_fixed_size 4112
		.amdhsa_private_segment_fixed_size 0
		.amdhsa_kernarg_size 920
		.amdhsa_user_sgpr_count 2
		.amdhsa_user_sgpr_dispatch_ptr 0
		.amdhsa_user_sgpr_queue_ptr 0
		.amdhsa_user_sgpr_kernarg_segment_ptr 1
		.amdhsa_user_sgpr_dispatch_id 0
		.amdhsa_user_sgpr_kernarg_preload_length 0
		.amdhsa_user_sgpr_kernarg_preload_offset 0
		.amdhsa_user_sgpr_private_segment_size 0
		.amdhsa_uses_dynamic_stack 0
		.amdhsa_enable_private_segment 0
		.amdhsa_system_sgpr_workgroup_id_x 1
		.amdhsa_system_sgpr_workgroup_id_y 1
		.amdhsa_system_sgpr_workgroup_id_z 1
		.amdhsa_system_sgpr_workgroup_info 0
		.amdhsa_system_vgpr_workitem_id 0
		.amdhsa_next_free_vgpr 51
		.amdhsa_next_free_sgpr 100
		.amdhsa_accum_offset 52
		.amdhsa_reserve_vcc 1
		.amdhsa_float_round_mode_32 0
		.amdhsa_float_round_mode_16_64 0
		.amdhsa_float_denorm_mode_32 3
		.amdhsa_float_denorm_mode_16_64 3
		.amdhsa_dx10_clamp 1
		.amdhsa_ieee_mode 1
		.amdhsa_fp16_overflow 0
		.amdhsa_tg_split 0
		.amdhsa_exception_fp_ieee_invalid_op 0
		.amdhsa_exception_fp_denorm_src 0
		.amdhsa_exception_fp_ieee_div_zero 0
		.amdhsa_exception_fp_ieee_overflow 0
		.amdhsa_exception_fp_ieee_underflow 0
		.amdhsa_exception_fp_ieee_inexact 0
		.amdhsa_exception_int_div_zero 0
	.end_amdhsa_kernel
	.section	.text._ZN2at6native12_GLOBAL__N_114gatherKthValueIhiLin1EEEvNS_4cuda6detail10TensorInfoIKT_T0_EES8_S8_S8_S8_NS5_IS6_S8_EENS5_IlS8_EE,"axG",@progbits,_ZN2at6native12_GLOBAL__N_114gatherKthValueIhiLin1EEEvNS_4cuda6detail10TensorInfoIKT_T0_EES8_S8_S8_S8_NS5_IS6_S8_EENS5_IlS8_EE,comdat
.Lfunc_end3:
	.size	_ZN2at6native12_GLOBAL__N_114gatherKthValueIhiLin1EEEvNS_4cuda6detail10TensorInfoIKT_T0_EES8_S8_S8_S8_NS5_IS6_S8_EENS5_IlS8_EE, .Lfunc_end3-_ZN2at6native12_GLOBAL__N_114gatherKthValueIhiLin1EEEvNS_4cuda6detail10TensorInfoIKT_T0_EES8_S8_S8_S8_NS5_IS6_S8_EENS5_IlS8_EE
                                        ; -- End function
	.set _ZN2at6native12_GLOBAL__N_114gatherKthValueIhiLin1EEEvNS_4cuda6detail10TensorInfoIKT_T0_EES8_S8_S8_S8_NS5_IS6_S8_EENS5_IlS8_EE.num_vgpr, 51
	.set _ZN2at6native12_GLOBAL__N_114gatherKthValueIhiLin1EEEvNS_4cuda6detail10TensorInfoIKT_T0_EES8_S8_S8_S8_NS5_IS6_S8_EENS5_IlS8_EE.num_agpr, 0
	.set _ZN2at6native12_GLOBAL__N_114gatherKthValueIhiLin1EEEvNS_4cuda6detail10TensorInfoIKT_T0_EES8_S8_S8_S8_NS5_IS6_S8_EENS5_IlS8_EE.numbered_sgpr, 100
	.set _ZN2at6native12_GLOBAL__N_114gatherKthValueIhiLin1EEEvNS_4cuda6detail10TensorInfoIKT_T0_EES8_S8_S8_S8_NS5_IS6_S8_EENS5_IlS8_EE.num_named_barrier, 0
	.set _ZN2at6native12_GLOBAL__N_114gatherKthValueIhiLin1EEEvNS_4cuda6detail10TensorInfoIKT_T0_EES8_S8_S8_S8_NS5_IS6_S8_EENS5_IlS8_EE.private_seg_size, 0
	.set _ZN2at6native12_GLOBAL__N_114gatherKthValueIhiLin1EEEvNS_4cuda6detail10TensorInfoIKT_T0_EES8_S8_S8_S8_NS5_IS6_S8_EENS5_IlS8_EE.uses_vcc, 1
	.set _ZN2at6native12_GLOBAL__N_114gatherKthValueIhiLin1EEEvNS_4cuda6detail10TensorInfoIKT_T0_EES8_S8_S8_S8_NS5_IS6_S8_EENS5_IlS8_EE.uses_flat_scratch, 0
	.set _ZN2at6native12_GLOBAL__N_114gatherKthValueIhiLin1EEEvNS_4cuda6detail10TensorInfoIKT_T0_EES8_S8_S8_S8_NS5_IS6_S8_EENS5_IlS8_EE.has_dyn_sized_stack, 0
	.set _ZN2at6native12_GLOBAL__N_114gatherKthValueIhiLin1EEEvNS_4cuda6detail10TensorInfoIKT_T0_EES8_S8_S8_S8_NS5_IS6_S8_EENS5_IlS8_EE.has_recursion, 0
	.set _ZN2at6native12_GLOBAL__N_114gatherKthValueIhiLin1EEEvNS_4cuda6detail10TensorInfoIKT_T0_EES8_S8_S8_S8_NS5_IS6_S8_EENS5_IlS8_EE.has_indirect_call, 0
	.section	.AMDGPU.csdata,"",@progbits
; Kernel info:
; codeLenInByte = 9808
; TotalNumSgprs: 106
; NumVgprs: 51
; NumAgprs: 0
; TotalNumVgprs: 51
; ScratchSize: 0
; MemoryBound: 0
; FloatMode: 240
; IeeeMode: 1
; LDSByteSize: 4112 bytes/workgroup (compile time only)
; SGPRBlocks: 13
; VGPRBlocks: 6
; NumSGPRsForWavesPerEU: 106
; NumVGPRsForWavesPerEU: 51
; AccumOffset: 52
; Occupancy: 7
; WaveLimiterHint : 1
; COMPUTE_PGM_RSRC2:SCRATCH_EN: 0
; COMPUTE_PGM_RSRC2:USER_SGPR: 2
; COMPUTE_PGM_RSRC2:TRAP_HANDLER: 0
; COMPUTE_PGM_RSRC2:TGID_X_EN: 1
; COMPUTE_PGM_RSRC2:TGID_Y_EN: 1
; COMPUTE_PGM_RSRC2:TGID_Z_EN: 1
; COMPUTE_PGM_RSRC2:TIDIG_COMP_CNT: 0
; COMPUTE_PGM_RSRC3_GFX90A:ACCUM_OFFSET: 12
; COMPUTE_PGM_RSRC3_GFX90A:TG_SPLIT: 0
	.section	.text._ZN2at6native12_GLOBAL__N_114gatherKthValueIhlLi1EEEvNS_4cuda6detail10TensorInfoIKT_T0_EES8_S8_S8_S8_NS5_IS6_S8_EENS5_IlS8_EE,"axG",@progbits,_ZN2at6native12_GLOBAL__N_114gatherKthValueIhlLi1EEEvNS_4cuda6detail10TensorInfoIKT_T0_EES8_S8_S8_S8_NS5_IS6_S8_EENS5_IlS8_EE,comdat
	.globl	_ZN2at6native12_GLOBAL__N_114gatherKthValueIhlLi1EEEvNS_4cuda6detail10TensorInfoIKT_T0_EES8_S8_S8_S8_NS5_IS6_S8_EENS5_IlS8_EE ; -- Begin function _ZN2at6native12_GLOBAL__N_114gatherKthValueIhlLi1EEEvNS_4cuda6detail10TensorInfoIKT_T0_EES8_S8_S8_S8_NS5_IS6_S8_EENS5_IlS8_EE
	.p2align	8
	.type	_ZN2at6native12_GLOBAL__N_114gatherKthValueIhlLi1EEEvNS_4cuda6detail10TensorInfoIKT_T0_EES8_S8_S8_S8_NS5_IS6_S8_EENS5_IlS8_EE,@function
_ZN2at6native12_GLOBAL__N_114gatherKthValueIhlLi1EEEvNS_4cuda6detail10TensorInfoIKT_T0_EES8_S8_S8_S8_NS5_IS6_S8_EENS5_IlS8_EE: ; @_ZN2at6native12_GLOBAL__N_114gatherKthValueIhlLi1EEEvNS_4cuda6detail10TensorInfoIKT_T0_EES8_S8_S8_S8_NS5_IS6_S8_EENS5_IlS8_EE
; %bb.0:
	s_load_dwordx2 s[10:11], s[0:1], 0x500
	s_load_dwordx8 s[56:63], s[0:1], 0x1a0
	s_add_u32 s8, s0, 0x500
	s_addc_u32 s9, s1, 0
	s_mov_b32 s15, 0
	s_waitcnt lgkmcnt(0)
	s_mul_i32 s4, s11, s4
	s_add_i32 s3, s4, s3
	s_mul_i32 s3, s3, s10
	s_add_i32 s14, s3, s2
	v_mov_b64_e32 v[2:3], s[14:15]
	v_cmp_le_i64_e32 vcc, s[60:61], v[2:3]
	s_cbranch_vccnz .LBB4_274
; %bb.1:
	s_load_dwordx2 s[4:5], s[0:1], 0x430
                                        ; implicit-def: $vgpr64 : SGPR spill to VGPR lane
	v_cmp_eq_u32_e64 s[12:13], 0, v0
	s_waitcnt lgkmcnt(0)
	v_writelane_b32 v64, s4, 0
	s_nop 1
	v_writelane_b32 v64, s5, 1
	s_load_dwordx2 s[4:5], s[0:1], 0x360
	s_waitcnt lgkmcnt(0)
	v_writelane_b32 v64, s4, 2
	s_nop 1
	v_writelane_b32 v64, s5, 3
	s_load_dwordx2 s[4:5], s[0:1], 0x290
	;; [unrolled: 5-line block ×4, first 2 shown]
	s_load_dwordx2 s[4:5], s[0:1], 0x0
	s_mov_b64 s[0:1], exec
	v_writelane_b32 v64, s12, 8
	s_nop 1
	v_writelane_b32 v64, s13, 9
	s_and_b64 s[12:13], s[0:1], s[12:13]
	s_mov_b64 exec, s[12:13]
	s_cbranch_execz .LBB4_3
; %bb.2:
	v_mov_b32_e32 v2, 0
	v_mov_b32_e32 v4, s56
	;; [unrolled: 1-line block ×4, first 2 shown]
	ds_write_b32 v2, v2 offset:5136
	ds_write_b128 v2, v[2:5] offset:5120
.LBB4_3:
	s_or_b64 exec, exec, s[0:1]
	s_waitcnt lgkmcnt(0)
	s_mul_i32 s0, s7, s14
	s_mul_hi_u32 s1, s6, s14
	s_add_i32 s1, s1, s0
	s_mov_b32 s0, s14
	v_writelane_b32 v64, s0, 10
	v_mbcnt_lo_u32_b32 v1, -1, 0
	v_mbcnt_hi_u32_b32 v38, -1, v1
	v_writelane_b32 v64, s1, 11
	s_mul_i32 s0, s6, s14
	s_add_u32 s80, s4, s0
	v_cmp_gt_u32_e32 vcc, 64, v0
	v_cmp_gt_i32_e64 s[6:7], 4, v38
	s_addc_u32 s81, s5, s1
	s_and_b64 s[0:1], vcc, s[6:7]
	v_writelane_b32 v64, s0, 12
	v_mov_b64_e32 v[4:5], 0xc00
	v_mov_b32_e32 v3, 0
	v_writelane_b32 v64, s1, 13
	v_cmp_gt_u32_e64 s[0:1], 2, v0
	v_mov_b64_e32 v[6:7], s[80:81]
	v_mov_b32_e32 v1, v3
	v_writelane_b32 v64, s0, 14
	s_barrier
	s_nop 0
	v_writelane_b32 v64, s1, 15
	v_cmp_gt_i64_e64 s[0:1], s[56:57], v[4:5]
	v_mul_lo_u32 v2, s63, v0
	s_nop 0
	v_writelane_b32 v64, s0, 16
	v_mov_b32_e32 v9, -1
	v_not_b32_e32 v8, v0
	v_writelane_b32 v64, s1, 17
	v_mad_u64_u32 v[4:5], s[0:1], s62, v0, 0
	v_mad_u64_u32 v[12:13], s[0:1], s62, v0, v[6:7]
	v_cmp_gt_i64_e64 s[0:1], s[56:57], v[0:1]
	v_add_u32_e32 v5, v5, v2
	v_add_u32_e32 v13, v2, v13
	v_writelane_b32 v64, s0, 18
	v_lshlrev_b32_e32 v2, 2, v38
	v_and_b32_e32 v39, 0x100, v2
	v_writelane_b32 v64, s1, 19
	s_load_dword s0, s[8:9], 0xc
	v_lshrrev_b32_e32 v2, 1, v0
	v_and_b32_e32 v2, 0x1e0, v2
	v_lshlrev_b64 v[6:7], v38, -1
	v_or_b32_e32 v40, 0xc00, v2
	s_waitcnt lgkmcnt(0)
	s_and_b32 s72, s0, 0xffff
	s_bfe_u32 s0, s0, 0xa0006
	s_cmp_gt_u32 s72, 63
	s_cselect_b64 s[6:7], -1, 0
	v_add_u32_e32 v2, 2, v0
	v_not_b32_e32 v16, v6
	v_writelane_b32 v64, s6, 20
	s_add_u32 s1, s72, -1
	v_mov_b32_e32 v6, s57
	v_cmp_gt_i64_e32 vcc, s[56:57], v[2:3]
	v_not_b32_e32 v17, v7
	v_writelane_b32 v64, s7, 21
	s_addc_u32 s3, 0, -1
	v_cndmask_b32_e32 v7, 0, v6, vcc
	v_mov_b32_e32 v6, s56
	v_writelane_b32 v64, s1, 22
	s_add_u32 s1, s1, s56
	v_cndmask_b32_e32 v6, v2, v6, vcc
	v_writelane_b32 v64, s1, 23
	s_addc_u32 s55, s3, s57
	v_lshl_add_u64 v[6:7], v[6:7], 0, v[8:9]
	v_writelane_b32 v64, s3, 24
	s_cmp_lt_u32 s2, s10
	v_cmp_lt_u64_e64 s[2:3], 3, v[6:7]
	s_cselect_b32 s1, 12, 18
	v_and_b32_e32 v18, -4, v6
	v_writelane_b32 v64, s2, 25
	v_mov_b32_e32 v19, v7
	s_add_u32 s76, s8, s1
	v_writelane_b32 v64, s3, 26
	v_cmp_ne_u64_e64 s[2:3], v[6:7], v[18:19]
	s_addc_u32 s77, s9, 0
	s_add_i32 s1, s0, -1
	v_writelane_b32 v64, s2, 27
	s_and_b32 s1, s1, 0xffff
	v_lshlrev_b32_e32 v14, 2, v0
	v_writelane_b32 v64, s3, 28
	s_bfe_u32 s2, s72, 0x30006
	s_cmp_gt_u32 s1, 6
	s_cselect_b64 s[6:7], -1, 0
	v_writelane_b32 v64, s6, 29
	s_and_b32 s87, s0, 0x3f8
	s_cmp_lg_u32 s2, 0
	v_writelane_b32 v64, s7, 30
	v_writelane_b32 v64, s2, 31
	s_cselect_b64 s[0:1], -1, 0
	v_writelane_b32 v64, s0, 32
	v_or_b32_e32 v6, 3, v14
	s_mul_i32 s74, s62, s72
	v_writelane_b32 v64, s1, 33
	v_mad_u64_u32 v[22:23], s[0:1], s62, v6, 0
	v_mov_b32_e32 v2, v23
	v_mad_u64_u32 v[6:7], s[0:1], s63, v6, v[2:3]
	v_mov_b32_e32 v23, v6
	v_or_b32_e32 v6, 2, v14
	v_mad_u64_u32 v[24:25], s[0:1], s62, v6, 0
	v_mov_b32_e32 v2, v25
	v_mad_u64_u32 v[6:7], s[0:1], s63, v6, v[2:3]
	v_mov_b32_e32 v25, v6
	v_mov_b64_e32 v[6:7], s[62:63]
	v_mad_u64_u32 v[26:27], s[0:1], s62, v14, v[6:7]
	v_mov_b32_e32 v2, v27
	v_mad_u64_u32 v[6:7], s[0:1], s63, v14, v[2:3]
	s_mul_i32 s0, s63, s72
	s_mul_hi_u32 s1, s62, s72
	s_add_i32 s75, s1, s0
	v_writelane_b32 v64, s74, 34
	s_mov_b32 s82, s62
	s_mov_b32 s83, s63
	v_writelane_b32 v64, s75, 35
	v_writelane_b32 v64, s76, 36
	s_mov_b32 s33, s62
	s_mov_b32 s86, s63
	v_writelane_b32 v64, s77, 37
	v_writelane_b32 v64, s82, 38
	;; [unrolled: 1-line block ×4, first 2 shown]
	s_mov_b32 s79, 0
	s_mov_b32 s49, s62
	v_mov_b32_e32 v2, 0xc00
	v_writelane_b32 v64, s86, 41
	v_cmp_eq_u32_e64 s[4:5], 0, v38
	v_mov_b32_e32 v15, v3
	s_mov_b32 s73, s79
	v_lshl_add_u64 v[20:21], v[18:19], 0, v[0:1]
	s_mov_b32 s88, s63
	s_mov_b32 s89, s62
	;; [unrolled: 1-line block ×4, first 2 shown]
	s_lshl_b64 s[92:93], s[62:63], 2
	v_mov_b32_e32 v27, v6
	v_lshlrev_b64 v[28:29], 2, v[4:5]
	v_lshl_add_u64 v[30:31], s[56:57], 0, v[0:1]
	v_lshl_or_b32 v42, v38, 3, v2
	s_mov_b64 s[94:95], 0
	v_mov_b64_e32 v[32:33], s[58:59]
	s_movk_i32 s85, 0xff
	s_mov_b32 s51, 0xc0c0004
	v_mov_b64_e32 v[48:49], s[56:57]
	v_mov_b32_e32 v43, 8
	v_mov_b32_e32 v45, 0
	s_mov_b32 s65, 0
	v_mov_b32_e32 v41, 0
	v_mov_b32_e32 v44, 0
	v_writelane_b32 v64, s49, 42
                                        ; implicit-def: $sgpr58_sgpr59
                                        ; implicit-def: $sgpr98_sgpr99
                                        ; implicit-def: $sgpr96_sgpr97
                                        ; implicit-def: $sgpr60_sgpr61
                                        ; implicit-def: $sgpr66_sgpr67
                                        ; implicit-def: $sgpr68_sgpr69
	v_writelane_b32 v64, s50, 43
	s_branch .LBB4_7
.LBB4_4:                                ;   in Loop: Header=BB4_7 Depth=1
	s_or_b64 exec, exec, s[10:11]
	s_and_b64 s[6:7], s[6:7], exec
	s_andn2_b64 s[24:25], s[24:25], exec
	s_andn2_b64 s[2:3], s[2:3], exec
	s_orn2_b64 s[18:19], s[8:9], exec
.LBB4_5:                                ;   in Loop: Header=BB4_7 Depth=1
	s_or_b64 exec, exec, s[0:1]
	s_andn2_b64 s[0:1], s[68:69], exec
	s_and_b64 s[6:7], s[6:7], exec
	s_or_b64 s[68:69], s[0:1], s[6:7]
	s_andn2_b64 s[0:1], s[66:67], exec
	s_and_b64 s[6:7], s[24:25], exec
	s_or_b64 s[66:67], s[0:1], s[6:7]
	;; [unrolled: 3-line block ×3, first 2 shown]
	s_orn2_b64 s[2:3], s[18:19], exec
.LBB4_6:                                ;   in Loop: Header=BB4_7 Depth=1
	s_or_b64 exec, exec, s[16:17]
	s_and_b64 s[0:1], exec, s[2:3]
	s_or_b64 s[94:95], s[0:1], s[94:95]
	s_andn2_b64 s[0:1], s[96:97], exec
	s_and_b64 s[2:3], s[68:69], exec
	s_or_b64 s[96:97], s[0:1], s[2:3]
	s_andn2_b64 s[0:1], s[98:99], exec
	s_and_b64 s[2:3], s[66:67], exec
	;; [unrolled: 3-line block ×3, first 2 shown]
	s_or_b64 s[58:59], s[0:1], s[2:3]
	v_mov_b64_e32 v[32:33], v[8:9]
	s_andn2_b64 exec, exec, s[94:95]
	s_cbranch_execz .LBB4_270
.LBB4_7:                                ; =>This Loop Header: Depth=1
                                        ;     Child Loop BB4_12 Depth 2
                                        ;     Child Loop BB4_26 Depth 2
                                        ;     Child Loop BB4_30 Depth 2
                                        ;     Child Loop BB4_65 Depth 2
                                        ;     Child Loop BB4_69 Depth 2
                                        ;     Child Loop BB4_54 Depth 2
                                        ;     Child Loop BB4_59 Depth 2
                                        ;     Child Loop BB4_47 Depth 2
                                        ;     Child Loop BB4_79 Depth 2
                                        ;     Child Loop BB4_92 Depth 2
                                        ;     Child Loop BB4_106 Depth 2
                                        ;     Child Loop BB4_135 Depth 2
                                        ;     Child Loop BB4_151 Depth 2
                                        ;     Child Loop BB4_181 Depth 2
                                        ;     Child Loop BB4_197 Depth 2
                                        ;     Child Loop BB4_226 Depth 2
                                        ;     Child Loop BB4_242 Depth 2
	ds_read_b128 v[4:7], v3 offset:5120
	s_waitcnt lgkmcnt(0)
	v_readfirstlane_b32 s71, v5
	v_readfirstlane_b32 s70, v4
	s_nop 1
	v_cmp_gt_i64_e64 s[0:1], s[70:71], 0
	s_and_b64 vcc, exec, s[0:1]
	s_cbranch_vccnz .LBB4_39
; %bb.8:                                ;   in Loop: Header=BB4_7 Depth=1
	v_readlane_b32 s0, v64, 16
	v_readlane_b32 s1, v64, 17
	s_and_b64 vcc, exec, s[0:1]
	s_cbranch_vccz .LBB4_20
; %bb.9:                                ;   in Loop: Header=BB4_7 Depth=1
	s_mov_b64 s[0:1], 0xc01
	v_cmp_gt_i64_e32 vcc, s[0:1], v[6:7]
	s_mov_b64 s[0:1], 0
	s_mov_b64 s[2:3], 0
	s_cbranch_vccz .LBB4_21
; %bb.10:                               ;   in Loop: Header=BB4_7 Depth=1
	global_load_ushort v6, v3, s[76:77]
	global_load_ubyte v8, v[12:13], off
	v_mov_b64_e32 v[4:5], s[80:81]
	s_mov_b64 s[6:7], 0
	s_waitcnt vmcnt(1)
	v_and_b32_e32 v2, 0xffff, v6
	v_readfirstlane_b32 s2, v6
	v_lshl_add_u64 v[6:7], v[0:1], 0, v[2:3]
	s_and_b32 s8, 0xffff, s2
	v_mad_u64_u32 v[4:5], s[2:3], s62, v6, v[4:5]
	v_mul_lo_u32 v7, s62, v7
	v_mul_lo_u32 v9, s63, v6
	s_mul_i32 s2, s63, s8
	s_mul_hi_u32 s3, s62, s8
	s_mul_i32 s8, s62, s8
	v_add3_u32 v5, v9, v5, v7
	s_add_i32 s9, s3, s2
	v_mov_b64_e32 v[6:7], v[0:1]
	s_branch .LBB4_12
.LBB4_11:                               ;   in Loop: Header=BB4_12 Depth=2
	s_or_b64 exec, exec, s[2:3]
	v_lshl_add_u64 v[4:5], v[4:5], 0, s[8:9]
	v_mov_b32_e32 v8, v9
	s_andn2_b64 exec, exec, s[6:7]
	s_cbranch_execz .LBB4_73
.LBB4_12:                               ;   Parent Loop BB4_7 Depth=1
                                        ; =>  This Inner Loop Header: Depth=2
	v_lshl_add_u64 v[6:7], v[6:7], 0, v[2:3]
	v_cmp_gt_i64_e64 s[2:3], s[56:57], v[6:7]
	v_cmp_le_i64_e32 vcc, s[56:57], v[6:7]
	s_waitcnt lgkmcnt(0)
	v_mov_b32_e32 v10, 0
	v_mov_b32_e32 v9, 0
	s_and_saveexec_b64 s[10:11], s[2:3]
	s_cbranch_execz .LBB4_14
; %bb.13:                               ;   in Loop: Header=BB4_12 Depth=2
	global_load_ubyte v9, v[4:5], off
.LBB4_14:                               ;   in Loop: Header=BB4_12 Depth=2
	s_or_b64 exec, exec, s[10:11]
	s_waitcnt vmcnt(0)
	v_bitop3_b32 v11, v8, s85, v44 bitop3:0x80
	v_cmp_eq_u32_e64 s[14:15], v11, v41
	s_cmp_lg_u64 s[14:15], 0
	s_cselect_b64 s[2:3], -1, 0
	s_and_b64 s[2:3], s[4:5], s[2:3]
	s_and_saveexec_b64 s[10:11], s[2:3]
	s_cbranch_execz .LBB4_18
; %bb.15:                               ;   in Loop: Header=BB4_12 Depth=2
	s_mov_b64 s[16:17], exec
	v_mbcnt_lo_u32_b32 v10, s16, 0
	v_mbcnt_hi_u32_b32 v10, s17, v10
	s_bcnt1_i32_b64 s18, s[14:15]
	v_cmp_eq_u32_e64 s[2:3], 0, v10
                                        ; implicit-def: $vgpr11
	s_and_saveexec_b64 s[12:13], s[2:3]
; %bb.16:                               ;   in Loop: Header=BB4_12 Depth=2
	s_bcnt1_i32_b64 s2, s[16:17]
	s_mul_i32 s2, s18, s2
	v_mov_b32_e32 v11, s2
	ds_add_rtn_u32 v11, v3, v11 offset:5136
; %bb.17:                               ;   in Loop: Header=BB4_12 Depth=2
	s_or_b64 exec, exec, s[12:13]
	s_waitcnt lgkmcnt(0)
	v_readfirstlane_b32 s2, v11
	s_nop 1
	v_mov_b32_e32 v11, s2
	v_mad_u32_u24 v10, s18, v10, v11
.LBB4_18:                               ;   in Loop: Header=BB4_12 Depth=2
	s_or_b64 exec, exec, s[10:11]
	ds_bpermute_b32 v10, v39, v10
	s_and_b64 s[2:3], exec, vcc
	s_or_b64 s[6:7], s[2:3], s[6:7]
	s_and_saveexec_b64 s[2:3], s[14:15]
	s_cbranch_execz .LBB4_11
; %bb.19:                               ;   in Loop: Header=BB4_12 Depth=2
	v_and_b32_e32 v34, s14, v16
	v_and_b32_e32 v11, s15, v17
	v_bcnt_u32_b32 v34, v34, 0
	v_bcnt_u32_b32 v11, v11, v34
	s_waitcnt lgkmcnt(0)
	v_add_u32_e32 v10, v10, v11
	ds_write_b8 v10, v8
	s_branch .LBB4_11
.LBB4_20:                               ;   in Loop: Header=BB4_7 Depth=1
	s_mov_b64 s[0:1], -1
	s_mov_b64 s[2:3], 0
.LBB4_21:                               ;   in Loop: Header=BB4_7 Depth=1
	s_and_b64 vcc, exec, s[0:1]
	s_cbranch_vccz .LBB4_37
.LBB4_22:                               ;   in Loop: Header=BB4_7 Depth=1
	s_mov_b64 s[0:1], exec
	v_readlane_b32 s2, v64, 18
	v_readlane_b32 s3, v64, 19
	s_and_b64 s[2:3], s[0:1], s[2:3]
	s_mov_b64 exec, s[2:3]
	s_cbranch_execz .LBB4_34
; %bb.23:                               ;   in Loop: Header=BB4_7 Depth=1
	global_load_ushort v2, v3, s[76:77]
	global_load_ubyte v36, v[12:13], off
	v_mov_b32_e32 v8, v0
	s_waitcnt vmcnt(1)
	v_readfirstlane_b32 s6, v2
	v_add_u32_sdwa v2, v2, v0 dst_sel:DWORD dst_unused:UNUSED_PAD src0_sel:WORD_0 src1_sel:DWORD
	v_cmp_gt_i64_e32 vcc, s[56:57], v[2:3]
	s_and_saveexec_b64 s[2:3], vcc
	s_cbranch_execz .LBB4_33
; %bb.24:                               ;   in Loop: Header=BB4_7 Depth=1
	s_and_b32 s78, s6, 0xffff
	s_cmp_eq_u32 s78, 1
	v_readlane_b32 s8, v64, 25
	s_cselect_b64 s[6:7], -1, 0
	v_readlane_b32 s9, v64, 26
	s_and_b64 s[10:11], s[8:9], s[6:7]
	s_mov_b64 s[8:9], -1
	v_mov_b64_e32 v[6:7], v[0:1]
	v_mov_b64_e32 v[4:5], v[2:3]
                                        ; implicit-def: $vgpr8_vgpr9
	s_and_saveexec_b64 s[6:7], s[10:11]
	s_cbranch_execz .LBB4_28
; %bb.25:                               ;   in Loop: Header=BB4_7 Depth=1
	v_lshl_add_u64 v[8:9], v[2:3], 0, 3
	v_lshl_add_u64 v[6:7], v[2:3], 0, 2
	;; [unrolled: 1-line block ×3, first 2 shown]
	v_mov_b64_e32 v[10:11], v[8:9]
	s_waitcnt vmcnt(0)
	v_lshlrev_b32_e32 v46, 24, v36
	s_mov_b64 s[8:9], 0
	v_mov_b64_e32 v[34:35], v[18:19]
	v_mov_b32_e32 v37, v0
	v_mov_b64_e32 v[8:9], v[6:7]
	v_mov_b64_e32 v[6:7], v[4:5]
	;; [unrolled: 1-line block ×3, first 2 shown]
	s_mov_b64 s[12:13], s[80:81]
.LBB4_26:                               ;   Parent Loop BB4_7 Depth=1
                                        ; =>  This Inner Loop Header: Depth=2
	v_mov_b64_e32 v[50:51], s[12:13]
	v_mul_lo_u32 v62, v10, s50
	v_mul_lo_u32 v63, v11, s49
	v_mad_u64_u32 v[52:53], s[10:11], v4, s82, v[50:51]
	v_mad_u64_u32 v[54:55], s[10:11], v6, s33, v[50:51]
	;; [unrolled: 1-line block ×4, first 2 shown]
	v_mul_lo_u32 v36, v4, s83
	v_mul_lo_u32 v47, v5, s82
	;; [unrolled: 1-line block ×6, first 2 shown]
	v_add3_u32 v51, v63, v51, v62
	v_add3_u32 v53, v47, v53, v36
	;; [unrolled: 1-line block ×4, first 2 shown]
	global_load_ubyte v36, v[50:51], off
	global_load_ubyte v47, v[54:55], off
	s_nop 0
	global_load_ubyte v50, v[52:53], off
	global_load_ubyte v51, v[56:57], off
	s_mov_b32 s10, 0xc0c0007
	v_lshl_add_u64 v[34:35], v[34:35], 0, -4
	v_cmp_eq_u64_e32 vcc, 0, v[34:35]
	v_lshl_add_u64 v[10:11], v[10:11], 0, 4
	v_lshl_add_u64 v[8:9], v[8:9], 0, 4
	;; [unrolled: 1-line block ×4, first 2 shown]
	s_or_b64 s[8:9], vcc, s[8:9]
	s_waitcnt vmcnt(1)
	v_perm_b32 v52, v50, v47, s51
	s_waitcnt vmcnt(0)
	v_perm_b32 v53, v51, v36, s51
	v_perm_b32 v47, v47, v51, s51
	;; [unrolled: 1-line block ×3, first 2 shown]
	v_lshl_or_b32 v50, v53, 16, v52
	v_lshl_or_b32 v46, v47, 16, v46
	ds_write_b32 v37, v46
	v_add_u32_e32 v37, 4, v37
	v_mov_b32_e32 v46, v50
	s_andn2_b64 exec, exec, s[8:9]
	s_cbranch_execnz .LBB4_26
; %bb.27:                               ;   in Loop: Header=BB4_7 Depth=1
	s_or_b64 exec, exec, s[8:9]
	v_readlane_b32 s8, v64, 27
	v_lshl_add_u64 v[4:5], v[2:3], 0, v[18:19]
	v_readlane_b32 s9, v64, 28
	v_lshl_add_u64 v[8:9], v[4:5], 0, -1
	s_orn2_b64 s[8:9], s[8:9], exec
	v_mov_b64_e32 v[6:7], v[20:21]
.LBB4_28:                               ;   in Loop: Header=BB4_7 Depth=1
	s_or_b64 exec, exec, s[6:7]
	s_and_saveexec_b64 s[6:7], s[8:9]
	s_cbranch_execz .LBB4_32
; %bb.29:                               ;   in Loop: Header=BB4_7 Depth=1
	v_mov_b64_e32 v[8:9], s[80:81]
	v_mad_u64_u32 v[8:9], s[12:13], s62, v4, v[8:9]
	s_sub_u32 s8, 0, s78
	v_mul_lo_u32 v2, s62, v5
	v_mul_lo_u32 v7, s63, v4
	s_mul_i32 s12, s63, s78
	s_mul_hi_u32 s13, s62, s78
	s_mov_b64 s[10:11], 0
	s_subb_u32 s9, 0, 0
	v_add3_u32 v9, v7, v9, v2
	s_add_i32 s13, s13, s12
	s_mul_i32 s12, s62, s78
.LBB4_30:                               ;   Parent Loop BB4_7 Depth=1
                                        ; =>  This Inner Loop Header: Depth=2
	global_load_ubyte v2, v[8:9], off
	v_mov_b64_e32 v[10:11], v[4:5]
	v_lshl_add_u64 v[4:5], v[10:11], 0, s[78:79]
	v_cmp_le_i64_e32 vcc, s[56:57], v[4:5]
	s_waitcnt vmcnt(1)
	ds_write_b8 v6, v36
	v_lshl_add_u64 v[8:9], v[8:9], 0, s[12:13]
	v_mov_b64_e32 v[6:7], v[10:11]
	s_or_b64 s[10:11], vcc, s[10:11]
	s_waitcnt vmcnt(0)
	v_mov_b32_e32 v36, v2
	s_andn2_b64 exec, exec, s[10:11]
	s_cbranch_execnz .LBB4_30
; %bb.31:                               ;   in Loop: Header=BB4_7 Depth=1
	s_or_b64 exec, exec, s[10:11]
	v_lshl_add_u64 v[8:9], s[8:9], 0, v[4:5]
	v_mov_b32_e32 v36, v2
.LBB4_32:                               ;   in Loop: Header=BB4_7 Depth=1
	s_or_b64 exec, exec, s[6:7]
.LBB4_33:                               ;   in Loop: Header=BB4_7 Depth=1
	s_or_b64 exec, exec, s[2:3]
	s_waitcnt vmcnt(0)
	ds_write_b8 v8, v36
.LBB4_34:                               ;   in Loop: Header=BB4_7 Depth=1
	s_or_b64 exec, exec, s[0:1]
	s_waitcnt lgkmcnt(0)
	s_barrier
	s_mov_b64 s[0:1], exec
	v_readlane_b32 s2, v64, 8
	v_readlane_b32 s3, v64, 9
	s_and_b64 s[2:3], s[0:1], s[2:3]
	s_mov_b64 exec, s[2:3]
; %bb.35:                               ;   in Loop: Header=BB4_7 Depth=1
	ds_write_b64 v3, v[48:49] offset:5120
; %bb.36:                               ;   in Loop: Header=BB4_7 Depth=1
	s_or_b64 exec, exec, s[0:1]
	s_mov_b64 s[2:3], -1
	s_waitcnt lgkmcnt(0)
	s_barrier
.LBB4_37:                               ;   in Loop: Header=BB4_7 Depth=1
	s_and_b64 vcc, exec, s[2:3]
	s_cbranch_vccz .LBB4_39
; %bb.38:                               ;   in Loop: Header=BB4_7 Depth=1
	ds_read_b64 v[4:5], v3 offset:5120
	s_waitcnt lgkmcnt(0)
	v_readfirstlane_b32 s70, v4
.LBB4_39:                               ;   in Loop: Header=BB4_7 Depth=1
	s_cmp_lt_i32 s70, 1
	s_mov_b64 s[0:1], -1
                                        ; implicit-def: $vgpr10_vgpr11
                                        ; implicit-def: $vgpr6_vgpr7
	s_cbranch_scc1 .LBB4_49
; %bb.40:                               ;   in Loop: Header=BB4_7 Depth=1
	s_and_b64 vcc, exec, s[0:1]
	s_cbranch_vccnz .LBB4_63
.LBB4_41:                               ;   in Loop: Header=BB4_7 Depth=1
	s_lshl_b32 s2, s65, 6
	s_and_saveexec_b64 s[0:1], s[4:5]
	s_cbranch_execz .LBB4_43
.LBB4_42:                               ;   in Loop: Header=BB4_7 Depth=1
	v_lshl_add_u32 v2, s2, 3, v40
	ds_write_b128 v2, v[4:7]
	ds_write_b128 v2, v[8:11] offset:16
.LBB4_43:                               ;   in Loop: Header=BB4_7 Depth=1
	s_or_b64 exec, exec, s[0:1]
	s_waitcnt lgkmcnt(0)
	s_barrier
	s_mov_b64 s[0:1], exec
	v_readlane_b32 s6, v64, 12
	v_readlane_b32 s7, v64, 13
	s_and_b64 s[6:7], s[0:1], s[6:7]
	s_mov_b64 exec, s[6:7]
	s_cbranch_execz .LBB4_81
; %bb.44:                               ;   in Loop: Header=BB4_7 Depth=1
	v_readlane_b32 s6, v64, 20
	v_readlane_b32 s7, v64, 21
	s_andn2_b64 vcc, exec, s[6:7]
	v_mov_b64_e32 v[4:5], 0
	s_cbranch_vccnz .LBB4_80
; %bb.45:                               ;   in Loop: Header=BB4_7 Depth=1
	v_readlane_b32 s6, v64, 29
	v_readlane_b32 s7, v64, 30
	s_andn2_b64 vcc, exec, s[6:7]
	s_cbranch_vccnz .LBB4_76
; %bb.46:                               ;   in Loop: Header=BB4_7 Depth=1
	v_lshl_add_u32 v2, s65, 9, v42
	v_mov_b64_e32 v[4:5], 0
	s_mov_b32 s3, 0
.LBB4_47:                               ;   Parent Loop BB4_7 Depth=1
                                        ; =>  This Inner Loop Header: Depth=2
	ds_read2_b64 v[6:9], v2 offset1:4
	ds_read2_b64 v[34:37], v2 offset0:8 offset1:12
	ds_read2_b64 v[50:53], v2 offset0:16 offset1:20
	;; [unrolled: 1-line block ×3, first 2 shown]
	s_add_i32 s3, s3, 8
	s_waitcnt lgkmcnt(3)
	v_lshl_add_u64 v[4:5], v[6:7], 0, v[4:5]
	v_lshl_add_u64 v[4:5], v[8:9], 0, v[4:5]
	s_waitcnt lgkmcnt(2)
	v_lshl_add_u64 v[4:5], v[34:35], 0, v[4:5]
	v_lshl_add_u64 v[4:5], v[36:37], 0, v[4:5]
	;; [unrolled: 3-line block ×3, first 2 shown]
	s_waitcnt lgkmcnt(0)
	v_lshl_add_u64 v[4:5], v[54:55], 0, v[4:5]
	v_add_u32_e32 v2, 0x100, v2
	s_cmp_eq_u32 s87, s3
	v_lshl_add_u64 v[4:5], v[56:57], 0, v[4:5]
	s_cbranch_scc0 .LBB4_47
; %bb.48:                               ;   in Loop: Header=BB4_7 Depth=1
	s_mov_b32 s3, s87
	s_branch .LBB4_77
.LBB4_49:                               ;   in Loop: Header=BB4_7 Depth=1
	global_load_ushort v2, v3, s[76:77]
	s_mov_b32 s0, s79
	s_waitcnt vmcnt(0)
	v_readfirstlane_b32 s1, v2
	s_and_b32 s12, s1, 0xffff
	s_lshl_b32 s78, s12, 2
	s_mov_b32 s1, s57
	s_cmp_lg_u64 s[0:1], 0
	s_cbranch_scc0 .LBB4_72
; %bb.50:                               ;   in Loop: Header=BB4_7 Depth=1
	s_add_u32 s0, s78, 0
	s_addc_u32 s1, 0, 0
	s_xor_b64 s[0:1], s[0:1], 0
	v_cvt_f32_u32_e32 v2, s0
	v_cvt_f32_u32_e32 v4, s1
	s_sub_u32 s6, 0, s0
	s_subb_u32 s7, 0, s1
	v_fmac_f32_e32 v2, 0x4f800000, v4
	v_rcp_f32_e32 v2, v2
	s_nop 0
	v_mul_f32_e32 v2, 0x5f7ffffc, v2
	v_mul_f32_e32 v4, 0x2f800000, v2
	v_trunc_f32_e32 v4, v4
	v_fmac_f32_e32 v2, 0xcf800000, v4
	v_cvt_u32_f32_e32 v4, v4
	v_cvt_u32_f32_e32 v2, v2
	v_readfirstlane_b32 s8, v4
	v_readfirstlane_b32 s2, v2
	s_mul_i32 s3, s6, s8
	s_mul_hi_u32 s10, s6, s2
	s_mul_i32 s9, s7, s2
	s_add_i32 s3, s10, s3
	s_mul_i32 s11, s6, s2
	s_add_i32 s3, s3, s9
	s_mul_i32 s10, s2, s3
	s_mul_hi_u32 s13, s2, s11
	s_mul_hi_u32 s9, s2, s3
	s_add_u32 s10, s13, s10
	s_addc_u32 s9, 0, s9
	s_mul_hi_u32 s14, s8, s11
	s_mul_i32 s11, s8, s11
	s_add_u32 s10, s10, s11
	s_mul_hi_u32 s13, s8, s3
	s_addc_u32 s9, s9, s14
	s_addc_u32 s10, s13, 0
	s_mul_i32 s3, s8, s3
	s_add_u32 s3, s9, s3
	s_addc_u32 s9, 0, s10
	s_add_u32 s10, s2, s3
	s_cselect_b64 s[2:3], -1, 0
	s_cmp_lg_u64 s[2:3], 0
	s_addc_u32 s8, s8, s9
	s_mul_i32 s2, s6, s8
	s_mul_hi_u32 s3, s6, s10
	s_add_i32 s2, s3, s2
	s_mul_i32 s7, s7, s10
	s_add_i32 s2, s2, s7
	s_mul_i32 s6, s6, s10
	s_mul_hi_u32 s7, s8, s6
	s_mul_i32 s9, s8, s6
	s_mul_i32 s13, s10, s2
	s_mul_hi_u32 s6, s10, s6
	s_mul_hi_u32 s11, s10, s2
	s_add_u32 s6, s6, s13
	s_addc_u32 s11, 0, s11
	s_add_u32 s6, s6, s9
	s_mul_hi_u32 s3, s8, s2
	s_addc_u32 s6, s11, s7
	s_addc_u32 s3, s3, 0
	s_mul_i32 s2, s8, s2
	s_add_u32 s2, s6, s2
	s_addc_u32 s6, 0, s3
	s_add_u32 s9, s10, s2
	s_cselect_b64 s[2:3], -1, 0
	s_cmp_lg_u64 s[2:3], 0
	s_addc_u32 s8, s8, s6
	s_ashr_i32 s2, s57, 31
	s_add_u32 s6, s56, s2
	s_mov_b32 s3, s2
	s_addc_u32 s7, s57, s2
	s_xor_b64 s[6:7], s[6:7], s[2:3]
	s_mul_i32 s11, s6, s8
	s_mul_hi_u32 s13, s6, s9
	s_mul_hi_u32 s10, s6, s8
	s_add_u32 s11, s13, s11
	s_addc_u32 s10, 0, s10
	s_mul_hi_u32 s14, s7, s9
	s_mul_i32 s9, s7, s9
	s_add_u32 s9, s11, s9
	s_mul_hi_u32 s13, s7, s8
	s_addc_u32 s9, s10, s14
	s_addc_u32 s10, s13, 0
	s_mul_i32 s8, s7, s8
	s_add_u32 s8, s9, s8
	s_addc_u32 s9, 0, s10
	s_mul_i32 s9, s0, s9
	s_mul_hi_u32 s10, s0, s8
	s_add_i32 s9, s10, s9
	s_mul_i32 s10, s1, s8
	s_add_i32 s13, s9, s10
	s_sub_i32 s10, s7, s13
	s_mul_i32 s8, s0, s8
	s_sub_u32 s6, s6, s8
	s_cselect_b64 s[8:9], -1, 0
	s_cmp_lg_u64 s[8:9], 0
	s_subb_u32 s14, s10, s1
	s_sub_u32 s15, s6, s0
	s_cselect_b64 s[10:11], -1, 0
	s_cmp_lg_u64 s[10:11], 0
	s_subb_u32 s16, s14, 0
	s_cmp_ge_u32 s16, s1
	s_cselect_b32 s17, -1, 0
	s_cmp_ge_u32 s15, s0
	s_cselect_b32 s18, -1, 0
	s_cmp_eq_u32 s16, s1
	s_cselect_b32 s17, s18, s17
	s_cmp_lg_u64 s[10:11], 0
	s_subb_u32 s14, s14, s1
	s_sub_u32 s18, s15, s0
	s_cselect_b64 s[10:11], -1, 0
	s_cmp_lg_u64 s[10:11], 0
	s_subb_u32 s10, s14, 0
	s_cmp_lg_u32 s17, 0
	s_cselect_b32 s11, s18, s15
	s_cselect_b32 s10, s10, s16
	s_cmp_lg_u64 s[8:9], 0
	s_subb_u32 s7, s7, s13
	s_cmp_ge_u32 s7, s1
	s_cselect_b32 s8, -1, 0
	s_cmp_ge_u32 s6, s0
	s_cselect_b32 s0, -1, 0
	s_cmp_eq_u32 s7, s1
	s_cselect_b32 s0, s0, s8
	s_cmp_lg_u32 s0, 0
	s_cselect_b32 s1, s10, s7
	s_cselect_b32 s0, s11, s6
	s_xor_b64 s[0:1], s[0:1], s[2:3]
	s_sub_u32 s10, s0, s2
	s_subb_u32 s11, s1, s2
	s_mov_b32 s86, s89
	s_mov_b32 s33, s88
	s_cbranch_execnz .LBB4_52
.LBB4_51:                               ;   in Loop: Header=BB4_7 Depth=1
	v_cvt_f32_u32_e32 v2, s78
	s_sub_i32 s0, 0, s78
	s_mov_b32 s11, s79
	v_rcp_iflag_f32_e32 v2, v2
	s_nop 0
	v_mul_f32_e32 v2, 0x4f7ffffe, v2
	v_cvt_u32_f32_e32 v2, v2
	s_nop 0
	v_readfirstlane_b32 s1, v2
	s_mul_i32 s0, s0, s1
	s_mul_hi_u32 s0, s1, s0
	s_add_i32 s1, s1, s0
	s_mul_hi_u32 s0, s56, s1
	s_mul_i32 s0, s0, s78
	s_sub_i32 s0, s56, s0
	s_sub_i32 s1, s0, s78
	s_cmp_ge_u32 s0, s78
	s_cselect_b32 s0, s1, s0
	s_sub_i32 s1, s0, s78
	s_cmp_ge_u32 s0, s78
	s_cselect_b32 s10, s1, s0
.LBB4_52:                               ;   in Loop: Header=BB4_7 Depth=1
	s_sub_u32 s88, s56, s10
	s_subb_u32 s89, s57, s11
	s_mov_b32 s13, s79
	v_cmp_gt_i64_e32 vcc, s[88:89], v[14:15]
	v_mov_b64_e32 v[4:5], 0
	v_mov_b64_e32 v[6:7], 0
	v_mov_b64_e32 v[8:9], 0
	v_mov_b64_e32 v[10:11], 0
	s_and_saveexec_b64 s[90:91], vcc
	s_cbranch_execz .LBB4_56
; %bb.53:                               ;   in Loop: Header=BB4_7 Depth=1
	s_mul_i32 s0, s93, s12
	s_mul_hi_u32 s1, s92, s12
	s_mov_b32 s75, s55
	s_add_i32 s71, s1, s0
	s_mov_b64 s[30:31], 0
	s_mov_b64 s[76:77], s[80:81]
	;; [unrolled: 1-line block ×6, first 2 shown]
	v_mov_b64_e32 v[34:35], v[14:15]
.LBB4_54:                               ;   Parent Loop BB4_7 Depth=1
                                        ; =>  This Inner Loop Header: Depth=2
	v_lshl_add_u64 v[4:5], s[76:77], 0, v[28:29]
	v_lshl_add_u64 v[6:7], s[76:77], 0, v[26:27]
	;; [unrolled: 1-line block ×4, first 2 shown]
	global_load_ubyte v2, v[4:5], off
	s_nop 0
	global_load_ubyte v4, v[6:7], off
	global_load_ubyte v5, v[8:9], off
	s_nop 0
	global_load_ubyte v6, v[10:11], off
	s_mul_i32 s64, s92, s12
	v_lshl_add_u64 v[34:35], v[34:35], 0, s[78:79]
	v_cmp_le_i64_e32 vcc, s[88:89], v[34:35]
	s_waitcnt vmcnt(3)
	v_and_b32_e32 v7, v44, v2
	v_bfe_u32 v2, v2, s84, 2
	s_waitcnt vmcnt(2)
	v_and_b32_e32 v8, v44, v4
	v_bfe_u32 v4, v4, s84, 2
	v_cmp_eq_u32_e64 s[2:3], v7, v41
	v_cmp_eq_u32_e64 s[20:21], 0, v2
	s_waitcnt vmcnt(1)
	v_and_b32_e32 v9, v44, v5
	v_bfe_u32 v5, v5, s84, 2
	v_cmp_eq_u32_e64 s[14:15], v8, v41
	v_cmp_eq_u32_e64 s[22:23], 0, v4
	s_and_b64 s[20:21], s[2:3], s[20:21]
	s_waitcnt vmcnt(0)
	v_and_b32_e32 v10, v44, v6
	v_bfe_u32 v6, v6, s84, 2
	v_cmp_eq_u32_e64 s[16:17], v9, v41
	v_cmp_eq_u32_e64 s[24:25], 0, v5
	;; [unrolled: 1-line block ×5, first 2 shown]
	v_cndmask_b32_e64 v2, 0, 1, s[20:21]
	s_and_b64 s[20:21], s[14:15], s[22:23]
	v_cmp_eq_u32_e64 s[18:19], v10, v41
	v_cmp_eq_u32_e64 s[26:27], 0, v6
	;; [unrolled: 1-line block ×5, first 2 shown]
	v_cndmask_b32_e64 v4, 0, 1, s[20:21]
	s_and_b64 s[20:21], s[16:17], s[24:25]
	v_cmp_eq_u32_e64 s[36:37], 1, v5
	v_cmp_eq_u32_e64 s[44:45], 2, v5
	;; [unrolled: 1-line block ×3, first 2 shown]
	v_cndmask_b32_e64 v5, 0, 1, s[20:21]
	s_and_b64 s[20:21], s[18:19], s[26:27]
	v_cmp_eq_u32_e64 s[38:39], 1, v6
	v_cmp_eq_u32_e64 s[46:47], 2, v6
	;; [unrolled: 1-line block ×3, first 2 shown]
	v_cndmask_b32_e64 v6, 0, 1, s[20:21]
	v_cmp_ne_u32_e64 s[20:21], 0, v2
	v_cmp_ne_u32_e64 s[22:23], 0, v4
	v_cmp_ne_u32_e64 s[24:25], 0, v5
	v_cmp_ne_u32_e64 s[26:27], 0, v6
	s_bcnt1_i32_b64 s20, s[20:21]
	s_bcnt1_i32_b64 s21, s[22:23]
	s_bcnt1_i32_b64 s22, s[24:25]
	s_bcnt1_i32_b64 s23, s[26:27]
	s_add_u32 s6, s20, s6
	s_addc_u32 s7, 0, s7
	s_add_u32 s6, s6, s21
	s_addc_u32 s7, s7, 0
	s_add_u32 s6, s6, s22
	s_addc_u32 s7, s7, 0
	s_add_u32 s6, s6, s23
	s_addc_u32 s7, s7, 0
	s_and_b64 s[20:21], s[2:3], s[28:29]
	v_cndmask_b32_e64 v2, 0, 1, s[20:21]
	s_and_b64 s[20:21], s[14:15], s[34:35]
	v_cndmask_b32_e64 v6, 0, 1, s[20:21]
	s_and_b64 s[20:21], s[16:17], s[36:37]
	v_cndmask_b32_e64 v7, 0, 1, s[20:21]
	s_and_b64 s[20:21], s[18:19], s[38:39]
	v_cndmask_b32_e64 v8, 0, 1, s[20:21]
	v_cmp_ne_u32_e64 s[20:21], 0, v2
	v_cmp_ne_u32_e64 s[22:23], 0, v6
	v_cmp_ne_u32_e64 s[24:25], 0, v7
	v_cmp_ne_u32_e64 s[26:27], 0, v8
	s_bcnt1_i32_b64 s20, s[20:21]
	s_bcnt1_i32_b64 s21, s[22:23]
	s_bcnt1_i32_b64 s22, s[24:25]
	s_bcnt1_i32_b64 s23, s[26:27]
	s_add_u32 s20, s20, s82
	s_addc_u32 s24, 0, s83
	s_add_u32 s20, s20, s21
	s_addc_u32 s21, s24, 0
	s_add_u32 s20, s20, s22
	s_addc_u32 s21, s21, 0
	s_add_u32 s82, s20, s23
	s_addc_u32 s83, s21, 0
	s_and_b64 s[20:21], s[2:3], s[40:41]
	v_cndmask_b32_e64 v2, 0, 1, s[20:21]
	s_and_b64 s[20:21], s[14:15], s[42:43]
	v_cndmask_b32_e64 v8, 0, 1, s[20:21]
	s_and_b64 s[20:21], s[16:17], s[44:45]
	v_cndmask_b32_e64 v9, 0, 1, s[20:21]
	s_and_b64 s[20:21], s[18:19], s[46:47]
	;; [unrolled: 24-line block ×3, first 2 shown]
	v_cndmask_b32_e64 v36, 0, 1, s[2:3]
	v_cmp_ne_u32_e64 s[2:3], 0, v2
	v_cmp_ne_u32_e64 s[14:15], 0, v10
	;; [unrolled: 1-line block ×4, first 2 shown]
	s_bcnt1_i32_b64 s2, s[2:3]
	s_bcnt1_i32_b64 s3, s[14:15]
	;; [unrolled: 1-line block ×4, first 2 shown]
	s_add_u32 s0, s2, s0
	s_addc_u32 s1, 0, s1
	s_add_u32 s0, s0, s3
	s_addc_u32 s1, s1, 0
	;; [unrolled: 2-line block ×5, first 2 shown]
	v_mov_b64_e32 v[4:5], s[6:7]
	v_mov_b64_e32 v[6:7], s[82:83]
	;; [unrolled: 1-line block ×3, first 2 shown]
	s_or_b64 s[30:31], vcc, s[30:31]
	v_mov_b64_e32 v[10:11], s[0:1]
	s_andn2_b64 exec, exec, s[30:31]
	s_cbranch_execnz .LBB4_54
; %bb.55:                               ;   in Loop: Header=BB4_7 Depth=1
	s_or_b64 exec, exec, s[30:31]
	s_mov_b32 s55, s75
	v_readlane_b32 s74, v64, 34
	v_readlane_b32 s76, v64, 36
	;; [unrolled: 1-line block ×8, first 2 shown]
	s_mov_b32 s51, 0xc0c0004
.LBB4_56:                               ;   in Loop: Header=BB4_7 Depth=1
	s_or_b64 exec, exec, s[90:91]
	v_lshl_add_u64 v[34:35], s[88:89], 0, v[0:1]
	v_cmp_gt_i64_e32 vcc, s[56:57], v[34:35]
	s_and_saveexec_b64 s[0:1], vcc
	s_mov_b32 s88, s33
	v_readlane_b32 s33, v64, 40
	s_mov_b32 s89, s86
	v_readlane_b32 s86, v64, 41
	s_cbranch_execz .LBB4_62
; %bb.57:                               ;   in Loop: Header=BB4_7 Depth=1
	v_mov_b64_e32 v[36:37], s[80:81]
	v_mad_u64_u32 v[46:47], s[2:3], v34, s62, v[36:37]
	v_mul_lo_u32 v2, v34, s63
	v_mul_lo_u32 v50, v35, s62
	v_add3_u32 v47, v50, v47, v2
	global_load_ubyte v2, v[46:47], off
	v_lshl_add_u64 v[46:47], v[30:31], 0, s[12:13]
	v_mov_b32_e32 v50, s11
	v_subrev_co_u32_e32 v46, vcc, s10, v46
	v_mad_u64_u32 v[36:37], s[2:3], s62, v46, v[36:37]
	s_nop 0
	v_subb_co_u32_e32 v47, vcc, v47, v50, vcc
	v_mul_lo_u32 v47, s62, v47
	v_mul_lo_u32 v50, s63, v46
	s_mul_i32 s2, s63, s12
	s_mul_hi_u32 s3, s62, s12
	v_add3_u32 v37, v50, v37, v47
	s_add_i32 s7, s3, s2
	s_mul_i32 s6, s62, s12
	s_mov_b64 s[8:9], 0
	s_branch .LBB4_59
.LBB4_58:                               ;   in Loop: Header=BB4_59 Depth=2
	s_or_b64 exec, exec, s[10:11]
	s_waitcnt vmcnt(0)
	v_and_b32_e32 v47, 0xff, v2
	v_bitop3_b32 v2, v44, v2, s85 bitop3:0x80
	s_and_b64 s[2:3], exec, vcc
	v_cmp_eq_u32_e32 vcc, v2, v41
	v_bfe_u32 v2, v47, s84, 2
	s_or_b64 s[8:9], s[2:3], s[8:9]
	v_cmp_eq_u32_e64 s[2:3], 0, v2
	s_and_b64 s[2:3], vcc, s[2:3]
	v_lshl_add_u64 v[36:37], v[36:37], 0, s[6:7]
	v_cndmask_b32_e64 v47, 0, 1, s[2:3]
	v_cmp_ne_u32_e64 s[2:3], 0, v47
	s_bcnt1_i32_b64 s78, s[2:3]
	v_cmp_eq_u32_e64 s[2:3], 1, v2
	s_and_b64 s[2:3], vcc, s[2:3]
	v_lshl_add_u64 v[4:5], s[78:79], 0, v[4:5]
	v_cndmask_b32_e64 v47, 0, 1, s[2:3]
	v_cmp_ne_u32_e64 s[2:3], 0, v47
	s_bcnt1_i32_b64 s78, s[2:3]
	;; [unrolled: 6-line block ×3, first 2 shown]
	v_cmp_eq_u32_e64 s[2:3], 3, v2
	s_and_b64 s[2:3], vcc, s[2:3]
	v_lshl_add_u64 v[8:9], s[78:79], 0, v[8:9]
	v_cndmask_b32_e64 v2, 0, 1, s[2:3]
	v_cmp_ne_u32_e32 vcc, 0, v2
	s_bcnt1_i32_b64 s78, vcc
	v_lshl_add_u64 v[10:11], s[78:79], 0, v[10:11]
	v_mov_b32_e32 v2, v46
	s_andn2_b64 exec, exec, s[8:9]
	s_cbranch_execz .LBB4_61
.LBB4_59:                               ;   Parent Loop BB4_7 Depth=1
                                        ; =>  This Inner Loop Header: Depth=2
	v_lshl_add_u64 v[34:35], v[34:35], 0, s[12:13]
	v_cmp_gt_i64_e64 s[2:3], s[56:57], v[34:35]
	v_cmp_le_i64_e32 vcc, s[56:57], v[34:35]
	v_mov_b32_e32 v46, 0
	s_and_saveexec_b64 s[10:11], s[2:3]
	s_cbranch_execz .LBB4_58
; %bb.60:                               ;   in Loop: Header=BB4_59 Depth=2
	global_load_ubyte v46, v[36:37], off
	s_branch .LBB4_58
.LBB4_61:                               ;   in Loop: Header=BB4_7 Depth=1
	s_or_b64 exec, exec, s[8:9]
.LBB4_62:                               ;   in Loop: Header=BB4_7 Depth=1
	s_or_b64 exec, exec, s[0:1]
	s_branch .LBB4_41
.LBB4_63:                               ;   in Loop: Header=BB4_7 Depth=1
	global_load_ushort v2, v3, s[76:77]
	v_mov_b64_e32 v[8:9], 0
	s_waitcnt vmcnt(0)
	v_readfirstlane_b32 s0, v2
	s_and_b32 s71, 0xffff, s0
	s_lshl_b32 s78, s71, 2
	v_cvt_f32_u32_e32 v4, s78
	s_sub_i32 s0, 0, s78
	v_rcp_iflag_f32_e32 v6, v4
	v_mov_b64_e32 v[4:5], 0
	v_mul_f32_e32 v6, 0x4f7ffffe, v6
	v_cvt_u32_f32_e32 v10, v6
	v_mov_b64_e32 v[6:7], 0
	v_readfirstlane_b32 s1, v10
	s_mul_i32 s0, s0, s1
	s_mul_hi_u32 s0, s1, s0
	s_add_i32 s1, s1, s0
	s_mul_hi_u32 s0, s70, s1
	s_mul_i32 s1, s0, s78
	s_sub_i32 s1, s70, s1
	s_add_i32 s2, s0, 1
	s_sub_i32 s3, s1, s78
	s_cmp_ge_u32 s1, s78
	s_cselect_b32 s0, s2, s0
	s_cselect_b32 s1, s3, s1
	s_add_i32 s2, s0, 1
	s_cmp_ge_u32 s1, s78
	s_cselect_b32 s0, s2, s0
	s_mul_hi_u32 s1, s71, s0
	s_mul_i32 s0, s71, s0
	s_lshl_b64 s[6:7], s[0:1], 2
	v_cmp_gt_u64_e32 vcc, s[6:7], v[14:15]
	v_mov_b64_e32 v[10:11], 0
	s_and_saveexec_b64 s[8:9], vcc
	s_cbranch_execz .LBB4_67
; %bb.64:                               ;   in Loop: Header=BB4_7 Depth=1
	s_mov_b32 s75, s55
	s_mov_b64 s[10:11], 0
	v_mov_b32_e32 v36, v14
	s_mov_b64 s[12:13], 0
	s_mov_b64 s[30:31], 0
	;; [unrolled: 1-line block ×4, first 2 shown]
	v_mov_b64_e32 v[34:35], v[14:15]
.LBB4_65:                               ;   Parent Loop BB4_7 Depth=1
                                        ; =>  This Inner Loop Header: Depth=2
	ds_read_b32 v4, v36
	v_lshl_add_u64 v[34:35], v[34:35], 0, s[78:79]
	v_cmp_le_u64_e32 vcc, s[6:7], v[34:35]
	v_add_u32_e32 v36, s78, v36
	s_waitcnt lgkmcnt(0)
	v_and_b32_e32 v8, 0xff, v4
	v_lshrrev_b32_e32 v5, 16, v4
	v_lshrrev_b32_e32 v6, 8, v4
	;; [unrolled: 1-line block ×3, first 2 shown]
	v_bfe_u32 v9, v4, 8, 8
	v_bfe_u32 v10, v4, 16, 8
	v_bitop3_b32 v4, v44, v4, s85 bitop3:0x80
	v_bfe_u32 v8, v8, s84, 2
	v_cmp_eq_u32_e64 s[18:19], v4, v41
	v_bitop3_b32 v4, v44, v6, s85 bitop3:0x80
	v_bfe_u32 v9, v9, s84, 2
	v_cmp_eq_u32_e64 s[2:3], 0, v8
	;; [unrolled: 3-line block ×3, first 2 shown]
	v_cmp_eq_u32_e64 s[34:35], 0, v9
	s_and_b64 s[2:3], s[18:19], s[2:3]
	v_and_b32_e32 v6, v44, v7
	v_bfe_u32 v7, v7, s84, 2
	v_cmp_eq_u32_e64 s[16:17], v5, v41
	v_cmp_eq_u32_e64 s[36:37], 0, v10
	v_cndmask_b32_e64 v4, 0, 1, s[2:3]
	s_and_b64 s[2:3], s[20:21], s[34:35]
	v_cmp_eq_u32_e64 s[14:15], v6, v41
	v_cmp_eq_u32_e64 s[38:39], 0, v7
	v_cndmask_b32_e64 v5, 0, 1, s[2:3]
	s_and_b64 s[2:3], s[16:17], s[36:37]
	v_cndmask_b32_e64 v6, 0, 1, s[2:3]
	s_and_b64 s[2:3], s[14:15], s[38:39]
	v_cmp_eq_u32_e64 s[46:47], 1, v7
	v_cmp_eq_u32_e64 s[54:55], 2, v7
	v_cmp_eq_u32_e64 s[22:23], 3, v7
	v_cndmask_b32_e64 v7, 0, 1, s[2:3]
	v_cmp_ne_u32_e64 s[2:3], 0, v4
	v_cmp_ne_u32_e64 s[34:35], 0, v5
	;; [unrolled: 1-line block ×4, first 2 shown]
	s_bcnt1_i32_b64 s1, s[2:3]
	s_bcnt1_i32_b64 s2, s[34:35]
	;; [unrolled: 1-line block ×4, first 2 shown]
	s_add_u32 s1, s1, s82
	s_addc_u32 s35, 0, s83
	s_add_u32 s1, s1, s2
	s_addc_u32 s2, s35, 0
	;; [unrolled: 2-line block ×3, first 2 shown]
	v_cmp_eq_u32_e64 s[40:41], 1, v8
	s_add_u32 s82, s1, s34
	v_cmp_eq_u32_e64 s[42:43], 1, v9
	s_addc_u32 s83, s2, 0
	s_and_b64 s[2:3], s[18:19], s[40:41]
	v_cmp_eq_u32_e64 s[44:45], 1, v10
	v_cndmask_b32_e64 v6, 0, 1, s[2:3]
	s_and_b64 s[2:3], s[20:21], s[42:43]
	v_cndmask_b32_e64 v7, 0, 1, s[2:3]
	s_and_b64 s[2:3], s[16:17], s[44:45]
	v_cmp_eq_u32_e64 s[48:49], 2, v8
	v_cmp_eq_u32_e64 s[28:29], 3, v8
	v_cndmask_b32_e64 v8, 0, 1, s[2:3]
	s_and_b64 s[2:3], s[14:15], s[46:47]
	v_cmp_eq_u32_e64 s[50:51], 2, v9
	v_cmp_eq_u32_e64 s[26:27], 3, v9
	v_cndmask_b32_e64 v9, 0, 1, s[2:3]
	v_cmp_ne_u32_e64 s[2:3], 0, v6
	v_cmp_ne_u32_e64 s[34:35], 0, v7
	;; [unrolled: 1-line block ×4, first 2 shown]
	s_bcnt1_i32_b64 s1, s[2:3]
	s_bcnt1_i32_b64 s2, s[34:35]
	;; [unrolled: 1-line block ×4, first 2 shown]
	s_add_u32 s1, s1, s76
	s_addc_u32 s35, 0, s77
	s_add_u32 s1, s1, s2
	s_addc_u32 s2, s35, 0
	;; [unrolled: 2-line block ×4, first 2 shown]
	s_and_b64 s[2:3], s[18:19], s[48:49]
	v_cmp_eq_u32_e64 s[52:53], 2, v10
	v_cndmask_b32_e64 v8, 0, 1, s[2:3]
	s_and_b64 s[2:3], s[20:21], s[50:51]
	v_cndmask_b32_e64 v9, 0, 1, s[2:3]
	s_and_b64 s[2:3], s[16:17], s[52:53]
	v_cmp_eq_u32_e64 s[24:25], 3, v10
	v_cndmask_b32_e64 v10, 0, 1, s[2:3]
	s_and_b64 s[2:3], s[14:15], s[54:55]
	v_cndmask_b32_e64 v11, 0, 1, s[2:3]
	v_cmp_ne_u32_e64 s[2:3], 0, v8
	v_cmp_ne_u32_e64 s[34:35], 0, v9
	;; [unrolled: 1-line block ×4, first 2 shown]
	s_bcnt1_i32_b64 s1, s[2:3]
	s_bcnt1_i32_b64 s2, s[34:35]
	;; [unrolled: 1-line block ×4, first 2 shown]
	s_add_u32 s1, s1, s30
	s_addc_u32 s30, 0, s31
	s_add_u32 s1, s1, s2
	s_addc_u32 s2, s30, 0
	;; [unrolled: 2-line block ×4, first 2 shown]
	s_and_b64 s[2:3], s[18:19], s[28:29]
	v_cndmask_b32_e64 v10, 0, 1, s[2:3]
	s_and_b64 s[2:3], s[20:21], s[26:27]
	v_cndmask_b32_e64 v11, 0, 1, s[2:3]
	;; [unrolled: 2-line block ×4, first 2 shown]
	v_cmp_ne_u32_e64 s[2:3], 0, v10
	v_cmp_ne_u32_e64 s[14:15], 0, v11
	;; [unrolled: 1-line block ×4, first 2 shown]
	s_bcnt1_i32_b64 s1, s[2:3]
	s_bcnt1_i32_b64 s2, s[14:15]
	;; [unrolled: 1-line block ×4, first 2 shown]
	s_add_u32 s1, s1, s12
	s_addc_u32 s12, 0, s13
	s_add_u32 s1, s1, s2
	s_addc_u32 s2, s12, 0
	;; [unrolled: 2-line block ×4, first 2 shown]
	v_mov_b64_e32 v[4:5], s[82:83]
	v_mov_b64_e32 v[6:7], s[76:77]
	v_mov_b64_e32 v[8:9], s[30:31]
	s_or_b64 s[10:11], vcc, s[10:11]
	v_mov_b64_e32 v[10:11], s[12:13]
	s_andn2_b64 exec, exec, s[10:11]
	s_cbranch_execnz .LBB4_65
; %bb.66:                               ;   in Loop: Header=BB4_7 Depth=1
	s_or_b64 exec, exec, s[10:11]
	s_mov_b32 s55, s75
	v_readlane_b32 s74, v64, 34
	v_readlane_b32 s76, v64, 36
	;; [unrolled: 1-line block ×8, first 2 shown]
	s_mov_b32 s51, 0xc0c0004
.LBB4_67:                               ;   in Loop: Header=BB4_7 Depth=1
	s_or_b64 exec, exec, s[8:9]
	s_and_b32 s8, s70, 0x7fffffff
	s_mov_b32 s9, s79
	v_lshl_add_u64 v[34:35], s[6:7], 0, v[0:1]
	v_and_b32_e32 v2, 0xffff, v2
	v_cmp_gt_u64_e32 vcc, s[8:9], v[34:35]
	s_and_saveexec_b64 s[6:7], vcc
	s_cbranch_execz .LBB4_71
; %bb.68:                               ;   in Loop: Header=BB4_7 Depth=1
	v_lshl_add_u32 v36, s0, 2, v0
	s_mov_b64 s[0:1], 0
.LBB4_69:                               ;   Parent Loop BB4_7 Depth=1
                                        ; =>  This Inner Loop Header: Depth=2
	ds_read_u8 v37, v36
	v_lshl_add_u64 v[34:35], v[34:35], 0, v[2:3]
	v_cmp_le_u64_e32 vcc, s[8:9], v[34:35]
	v_add_u32_e32 v36, s71, v36
	s_waitcnt lgkmcnt(0)
	v_and_b32_e32 v46, v44, v37
	v_bfe_u32 v37, v37, s84, 2
	v_cmp_eq_u32_e64 s[2:3], v46, v41
	v_cmp_eq_u32_e64 s[14:15], 0, v37
	;; [unrolled: 1-line block ×3, first 2 shown]
	s_and_b64 s[10:11], s[2:3], s[14:15]
	v_cmp_eq_u32_e64 s[18:19], 2, v37
	v_cmp_eq_u32_e64 s[20:21], 3, v37
	v_cndmask_b32_e64 v37, 0, 1, s[10:11]
	s_and_b64 s[10:11], s[2:3], s[16:17]
	v_cndmask_b32_e64 v46, 0, 1, s[10:11]
	s_and_b64 s[10:11], s[2:3], s[18:19]
	s_and_b64 s[2:3], s[2:3], s[20:21]
	v_cndmask_b32_e64 v50, 0, 1, s[2:3]
	v_cmp_ne_u32_e64 s[2:3], 0, v37
	v_cndmask_b32_e64 v47, 0, 1, s[10:11]
	v_cmp_ne_u32_e64 s[14:15], 0, v46
	s_bcnt1_i32_b64 s78, s[2:3]
	v_cmp_ne_u32_e64 s[16:17], 0, v47
	v_lshl_add_u64 v[4:5], s[78:79], 0, v[4:5]
	s_bcnt1_i32_b64 s78, s[14:15]
	v_cmp_ne_u32_e64 s[18:19], 0, v50
	v_lshl_add_u64 v[6:7], s[78:79], 0, v[6:7]
	s_bcnt1_i32_b64 s78, s[16:17]
	v_lshl_add_u64 v[8:9], s[78:79], 0, v[8:9]
	s_bcnt1_i32_b64 s78, s[18:19]
	s_or_b64 s[0:1], vcc, s[0:1]
	v_lshl_add_u64 v[10:11], s[78:79], 0, v[10:11]
	s_andn2_b64 exec, exec, s[0:1]
	s_cbranch_execnz .LBB4_69
; %bb.70:                               ;   in Loop: Header=BB4_7 Depth=1
	s_or_b64 exec, exec, s[0:1]
.LBB4_71:                               ;   in Loop: Header=BB4_7 Depth=1
	s_or_b64 exec, exec, s[6:7]
	s_lshl_b32 s2, s65, 6
	s_and_saveexec_b64 s[0:1], s[4:5]
	s_cbranch_execnz .LBB4_42
	s_branch .LBB4_43
.LBB4_72:                               ;   in Loop: Header=BB4_7 Depth=1
                                        ; implicit-def: $sgpr10_sgpr11
	s_mov_b32 s86, s89
	s_mov_b32 s33, s88
	s_branch .LBB4_51
.LBB4_73:                               ;   in Loop: Header=BB4_7 Depth=1
	s_or_b64 exec, exec, s[6:7]
	s_waitcnt lgkmcnt(0)
	s_barrier
	s_mov_b64 s[2:3], exec
	v_readlane_b32 s6, v64, 8
	v_readlane_b32 s7, v64, 9
	s_and_b64 s[6:7], s[2:3], s[6:7]
	s_mov_b64 exec, s[6:7]
	s_cbranch_execz .LBB4_75
; %bb.74:                               ;   in Loop: Header=BB4_7 Depth=1
	ds_read_b32 v4, v3 offset:5136
	s_waitcnt lgkmcnt(0)
	v_ashrrev_i32_e32 v5, 31, v4
	ds_write_b64 v3, v[4:5] offset:5120
.LBB4_75:                               ;   in Loop: Header=BB4_7 Depth=1
	s_or_b64 exec, exec, s[2:3]
	s_waitcnt lgkmcnt(0)
	s_barrier
	s_mov_b64 s[2:3], -1
	s_and_b64 vcc, exec, s[0:1]
	s_cbranch_vccnz .LBB4_22
	s_branch .LBB4_37
.LBB4_76:                               ;   in Loop: Header=BB4_7 Depth=1
	s_mov_b32 s3, 0
	v_mov_b64_e32 v[4:5], 0
.LBB4_77:                               ;   in Loop: Header=BB4_7 Depth=1
	v_readlane_b32 s6, v64, 32
	v_readlane_b32 s7, v64, 33
	s_andn2_b64 vcc, exec, s[6:7]
	s_cbranch_vccnz .LBB4_80
; %bb.78:                               ;   in Loop: Header=BB4_7 Depth=1
	s_lshl_b32 s6, s65, 9
	s_lshl_b32 s3, s3, 5
	s_add_i32 s6, s6, s3
	v_add_u32_e32 v2, s6, v42
	v_readlane_b32 s3, v64, 31
.LBB4_79:                               ;   Parent Loop BB4_7 Depth=1
                                        ; =>  This Inner Loop Header: Depth=2
	ds_read_b64 v[6:7], v2
	s_add_i32 s3, s3, -1
	v_add_u32_e32 v2, 32, v2
	s_cmp_lg_u32 s3, 0
	s_waitcnt lgkmcnt(0)
	v_lshl_add_u64 v[4:5], v[6:7], 0, v[4:5]
	s_cbranch_scc1 .LBB4_79
.LBB4_80:                               ;   in Loop: Header=BB4_7 Depth=1
	v_add_lshl_u32 v2, s2, v38, 3
	ds_write_b64 v2, v[4:5] offset:3072
.LBB4_81:                               ;   in Loop: Header=BB4_7 Depth=1
	s_or_b64 exec, exec, s[0:1]
	s_lshl_b32 s0, s2, 3
	v_mov_b32_e32 v2, s0
	s_waitcnt lgkmcnt(0)
	s_barrier
	ds_read_b128 v[8:11], v2 offset:3088
	ds_read_b128 v[4:7], v2 offset:3072
	s_lshl_b32 s52, 3, s84
	v_cmp_eq_u64_e64 s[2:3], 1, v[32:33]
	s_not_b32 s46, s52
	s_waitcnt lgkmcnt(1)
	v_readfirstlane_b32 s22, v8
	s_waitcnt lgkmcnt(0)
	v_cmp_eq_u64_e32 vcc, 1, v[4:5]
	v_readfirstlane_b32 s23, v9
	v_readfirstlane_b32 s14, v10
	;; [unrolled: 1-line block ×3, first 2 shown]
	s_and_b64 s[12:13], vcc, s[2:3]
	s_mov_b64 s[2:3], -1
	s_mov_b64 s[8:9], -1
                                        ; implicit-def: $sgpr6_sgpr7
                                        ; implicit-def: $sgpr0_sgpr1
	s_and_saveexec_b64 s[16:17], s[12:13]
	s_cbranch_execz .LBB4_113
; %bb.82:                               ;   in Loop: Header=BB4_7 Depth=1
	ds_read_b64 v[8:9], v3 offset:5120
	s_waitcnt lgkmcnt(0)
	s_barrier
	v_readfirstlane_b32 s18, v8
	v_readfirstlane_b32 s19, v9
	s_mov_b64 s[0:1], exec
	v_readlane_b32 s6, v64, 14
	v_readlane_b32 s7, v64, 15
	s_and_b64 s[6:7], s[0:1], s[6:7]
	s_mov_b64 exec, s[6:7]
; %bb.83:                               ;   in Loop: Header=BB4_7 Depth=1
	ds_write_b8 v0, v3 offset:3072
; %bb.84:                               ;   in Loop: Header=BB4_7 Depth=1
	s_or_b64 exec, exec, s[0:1]
	v_cmp_lt_i64_e64 s[8:9], s[18:19], 1
	v_and_b32_e32 v41, s46, v41
	v_or_b32_e32 v44, s52, v44
	s_mov_b64 s[0:1], -1
	s_mov_b64 s[6:7], 0
	s_and_b64 vcc, exec, s[8:9]
	s_mov_b64 s[8:9], 0
	s_mov_b64 s[10:11], -1
	s_waitcnt lgkmcnt(0)
	s_barrier
                                        ; implicit-def: $vgpr45
	s_cbranch_vccz .LBB4_98
; %bb.85:                               ;   in Loop: Header=BB4_7 Depth=1
	s_mov_b32 s54, s79
	s_cmp_lg_u64 s[54:55], 0
	s_cbranch_scc0 .LBB4_139
; %bb.86:                               ;   in Loop: Header=BB4_7 Depth=1
	s_add_u32 s8, s72, 0
	s_addc_u32 s9, 0, 0
	s_xor_b64 s[8:9], s[8:9], 0
	v_cvt_f32_u32_e32 v2, s8
	v_cvt_f32_u32_e32 v8, s9
	s_sub_u32 s20, 0, s8
	s_subb_u32 s21, 0, s9
	v_fmac_f32_e32 v2, 0x4f800000, v8
	v_rcp_f32_e32 v2, v2
	s_nop 0
	v_mul_f32_e32 v2, 0x5f7ffffc, v2
	v_mul_f32_e32 v8, 0x2f800000, v2
	v_trunc_f32_e32 v8, v8
	v_fmac_f32_e32 v2, 0xcf800000, v8
	v_cvt_u32_f32_e32 v8, v8
	v_cvt_u32_f32_e32 v2, v2
	v_readfirstlane_b32 s24, v8
	v_readfirstlane_b32 s10, v2
	s_mul_i32 s11, s20, s24
	s_mul_hi_u32 s26, s20, s10
	s_mul_i32 s25, s21, s10
	s_add_i32 s11, s26, s11
	s_mul_i32 s27, s20, s10
	s_add_i32 s11, s11, s25
	s_mul_i32 s26, s10, s11
	s_mul_hi_u32 s28, s10, s27
	s_mul_hi_u32 s25, s10, s11
	s_add_u32 s26, s28, s26
	s_addc_u32 s25, 0, s25
	s_mul_hi_u32 s29, s24, s27
	s_mul_i32 s27, s24, s27
	s_add_u32 s26, s26, s27
	s_mul_hi_u32 s28, s24, s11
	s_addc_u32 s25, s25, s29
	s_addc_u32 s26, s28, 0
	s_mul_i32 s11, s24, s11
	s_add_u32 s11, s25, s11
	s_addc_u32 s25, 0, s26
	s_add_u32 s26, s10, s11
	s_cselect_b64 s[10:11], -1, 0
	s_cmp_lg_u64 s[10:11], 0
	s_addc_u32 s24, s24, s25
	s_mul_i32 s10, s20, s24
	s_mul_hi_u32 s11, s20, s26
	s_add_i32 s10, s11, s10
	s_mul_i32 s21, s21, s26
	s_add_i32 s10, s10, s21
	s_mul_i32 s20, s20, s26
	s_mul_hi_u32 s21, s24, s20
	s_mul_i32 s25, s24, s20
	s_mul_i32 s28, s26, s10
	s_mul_hi_u32 s20, s26, s20
	s_mul_hi_u32 s27, s26, s10
	s_add_u32 s20, s20, s28
	s_addc_u32 s27, 0, s27
	s_add_u32 s20, s20, s25
	s_mul_hi_u32 s11, s24, s10
	s_addc_u32 s20, s27, s21
	s_addc_u32 s11, s11, 0
	s_mul_i32 s10, s24, s10
	s_add_u32 s10, s20, s10
	s_addc_u32 s20, 0, s11
	s_add_u32 s25, s26, s10
	s_cselect_b64 s[10:11], -1, 0
	s_cmp_lg_u64 s[10:11], 0
	s_addc_u32 s24, s24, s20
	s_ashr_i32 s10, s55, 31
	v_readlane_b32 s20, v64, 23
	s_add_u32 s20, s20, s10
	s_mov_b32 s11, s10
	s_addc_u32 s21, s55, s10
	s_xor_b64 s[20:21], s[20:21], s[10:11]
	s_mul_i32 s27, s20, s24
	s_mul_hi_u32 s28, s20, s25
	s_mul_hi_u32 s26, s20, s24
	s_add_u32 s27, s28, s27
	s_addc_u32 s26, 0, s26
	s_mul_hi_u32 s29, s21, s25
	s_mul_i32 s25, s21, s25
	s_add_u32 s25, s27, s25
	s_mul_hi_u32 s28, s21, s24
	s_addc_u32 s25, s26, s29
	s_addc_u32 s26, s28, 0
	s_mul_i32 s24, s21, s24
	s_add_u32 s24, s25, s24
	s_addc_u32 s25, 0, s26
	s_mul_i32 s25, s8, s25
	s_mul_hi_u32 s26, s8, s24
	s_add_i32 s25, s26, s25
	s_mul_i32 s26, s9, s24
	s_add_i32 s28, s25, s26
	s_sub_i32 s26, s21, s28
	s_mul_i32 s24, s8, s24
	s_sub_u32 s20, s20, s24
	s_cselect_b64 s[24:25], -1, 0
	s_cmp_lg_u64 s[24:25], 0
	s_subb_u32 s29, s26, s9
	s_sub_u32 s30, s20, s8
	s_cselect_b64 s[26:27], -1, 0
	s_cmp_lg_u64 s[26:27], 0
	s_subb_u32 s31, s29, 0
	s_cmp_ge_u32 s31, s9
	s_cselect_b32 s34, -1, 0
	s_cmp_ge_u32 s30, s8
	s_cselect_b32 s35, -1, 0
	s_cmp_eq_u32 s31, s9
	s_cselect_b32 s34, s35, s34
	s_cmp_lg_u64 s[26:27], 0
	s_subb_u32 s29, s29, s9
	s_sub_u32 s35, s30, s8
	s_cselect_b64 s[26:27], -1, 0
	s_cmp_lg_u64 s[26:27], 0
	s_subb_u32 s26, s29, 0
	s_cmp_lg_u32 s34, 0
	s_cselect_b32 s27, s35, s30
	s_cselect_b32 s26, s26, s31
	s_cmp_lg_u64 s[24:25], 0
	s_subb_u32 s21, s21, s28
	s_cmp_ge_u32 s21, s9
	s_cselect_b32 s24, -1, 0
	s_cmp_ge_u32 s20, s8
	s_cselect_b32 s8, -1, 0
	s_cmp_eq_u32 s21, s9
	s_cselect_b32 s8, s8, s24
	s_cmp_lg_u32 s8, 0
	s_cselect_b32 s9, s26, s21
	s_cselect_b32 s8, s27, s20
	s_xor_b64 s[8:9], s[8:9], s[10:11]
	s_sub_u32 s8, s8, s10
	s_subb_u32 s9, s9, s10
	s_cbranch_execnz .LBB4_88
.LBB4_87:                               ;   in Loop: Header=BB4_7 Depth=1
	v_cvt_f32_u32_e32 v2, s72
	s_sub_i32 s8, 0, s72
	v_readlane_b32 s10, v64, 23
	v_rcp_iflag_f32_e32 v2, v2
	s_nop 0
	v_mul_f32_e32 v2, 0x4f7ffffe, v2
	v_cvt_u32_f32_e32 v2, v2
	s_nop 0
	v_readfirstlane_b32 s9, v2
	s_mul_i32 s8, s8, s9
	s_mul_hi_u32 s8, s9, s8
	s_add_i32 s9, s9, s8
	s_mul_hi_u32 s8, s10, s9
	s_mul_i32 s8, s8, s72
	s_sub_i32 s8, s10, s8
	s_sub_i32 s9, s8, s72
	s_cmp_ge_u32 s8, s72
	s_cselect_b32 s8, s9, s8
	s_sub_i32 s9, s8, s72
	s_cmp_ge_u32 s8, s72
	s_cselect_b32 s78, s9, s8
	s_mov_b64 s[8:9], s[78:79]
.LBB4_88:                               ;   in Loop: Header=BB4_7 Depth=1
	v_readlane_b32 s10, v64, 23
	s_sub_u32 s24, s10, s8
	s_subb_u32 s25, s55, s9
	v_cmp_gt_i64_e32 vcc, s[24:25], v[0:1]
	s_mov_b64 s[10:11], 0
	s_mov_b64 s[8:9], 0
                                        ; implicit-def: $vgpr45
	s_and_saveexec_b64 s[20:21], vcc
	s_cbranch_execz .LBB4_97
; %bb.89:                               ;   in Loop: Header=BB4_7 Depth=1
	v_mov_b64_e32 v[8:9], v[12:13]
	v_mov_b64_e32 v[10:11], v[0:1]
                                        ; implicit-def: $sgpr26_sgpr27
	s_branch .LBB4_92
.LBB4_90:                               ;   in Loop: Header=BB4_92 Depth=2
	s_or_b64 exec, exec, s[28:29]
	s_waitcnt lgkmcnt(0)
	s_barrier
	ds_read_u16 v2, v3 offset:3072
	s_mov_b64 s[28:29], -1
	s_waitcnt lgkmcnt(0)
	s_barrier
	v_cmp_ne_u32_sdwa s[30:31], v2, v3 src0_sel:BYTE_0 src1_sel:DWORD
	s_and_b64 vcc, exec, s[30:31]
	s_mov_b64 s[30:31], -1
	s_cbranch_vccz .LBB4_95
.LBB4_91:                               ;   in Loop: Header=BB4_92 Depth=2
	s_and_b64 s[28:29], exec, s[28:29]
	s_or_b64 s[8:9], s[28:29], s[8:9]
	s_andn2_b64 s[26:27], s[26:27], exec
	s_and_b64 s[28:29], s[30:31], exec
	s_or_b64 s[26:27], s[26:27], s[28:29]
	s_andn2_b64 exec, exec, s[8:9]
	s_cbranch_execz .LBB4_96
.LBB4_92:                               ;   Parent Loop BB4_7 Depth=1
                                        ; =>  This Inner Loop Header: Depth=2
	v_cmp_gt_i64_e32 vcc, s[56:57], v[10:11]
	s_and_saveexec_b64 s[28:29], vcc
	s_cbranch_execz .LBB4_90
; %bb.93:                               ;   in Loop: Header=BB4_92 Depth=2
	global_load_ubyte v2, v[8:9], off
	s_waitcnt vmcnt(0)
	v_bitop3_b32 v34, v2, s85, v44 bitop3:0x80
	v_cmp_eq_u32_e32 vcc, v34, v41
	s_and_b64 exec, exec, vcc
	s_cbranch_execz .LBB4_90
; %bb.94:                               ;   in Loop: Header=BB4_92 Depth=2
	v_lshlrev_b16_e32 v2, 8, v2
	v_or_b32_e32 v2, 1, v2
	ds_write_b16 v3, v2 offset:3072
	s_branch .LBB4_90
.LBB4_95:                               ;   in Loop: Header=BB4_92 Depth=2
	v_lshl_add_u64 v[10:11], v[10:11], 0, s[72:73]
	v_cmp_le_i64_e32 vcc, s[24:25], v[10:11]
	v_lshl_add_u64 v[8:9], v[8:9], 0, s[74:75]
	s_mov_b64 s[30:31], 0
	s_orn2_b64 s[28:29], vcc, exec
	s_branch .LBB4_91
.LBB4_96:                               ;   in Loop: Header=BB4_7 Depth=1
	s_or_b64 exec, exec, s[8:9]
	v_lshrrev_b32_sdwa v45, v43, v2 dst_sel:DWORD dst_unused:UNUSED_PAD src0_sel:DWORD src1_sel:WORD_0
	s_and_b64 s[8:9], s[26:27], exec
.LBB4_97:                               ;   in Loop: Header=BB4_7 Depth=1
	s_or_b64 exec, exec, s[20:21]
.LBB4_98:                               ;   in Loop: Header=BB4_7 Depth=1
	s_and_b64 vcc, exec, s[10:11]
	s_cbranch_vccz .LBB4_112
; %bb.99:                               ;   in Loop: Header=BB4_7 Depth=1
	v_readlane_b32 s0, v64, 22
	s_add_u32 s20, s18, s0
	v_readlane_b32 s0, v64, 24
	s_addc_u32 s1, s19, s0
	s_mov_b32 s0, s79
	s_cmp_lg_u64 s[0:1], 0
	s_cbranch_scc0 .LBB4_140
; %bb.100:                              ;   in Loop: Header=BB4_7 Depth=1
	s_add_u32 s6, s72, 0
	s_addc_u32 s7, 0, 0
	s_xor_b64 s[6:7], s[6:7], 0
	v_cvt_f32_u32_e32 v2, s6
	v_cvt_f32_u32_e32 v8, s7
	s_sub_u32 s0, 0, s6
	s_subb_u32 s21, 0, s7
	v_fmac_f32_e32 v2, 0x4f800000, v8
	v_rcp_f32_e32 v2, v2
	s_nop 0
	v_mul_f32_e32 v2, 0x5f7ffffc, v2
	v_mul_f32_e32 v8, 0x2f800000, v2
	v_trunc_f32_e32 v8, v8
	v_fmac_f32_e32 v2, 0xcf800000, v8
	v_cvt_u32_f32_e32 v8, v8
	v_cvt_u32_f32_e32 v2, v2
	v_readfirstlane_b32 s24, v8
	v_readfirstlane_b32 s10, v2
	s_mul_i32 s11, s0, s24
	s_mul_hi_u32 s26, s0, s10
	s_mul_i32 s25, s21, s10
	s_add_i32 s11, s26, s11
	s_mul_i32 s27, s0, s10
	s_add_i32 s11, s11, s25
	s_mul_i32 s26, s10, s11
	s_mul_hi_u32 s28, s10, s27
	s_mul_hi_u32 s25, s10, s11
	s_add_u32 s26, s28, s26
	s_addc_u32 s25, 0, s25
	s_mul_hi_u32 s29, s24, s27
	s_mul_i32 s27, s24, s27
	s_add_u32 s26, s26, s27
	s_mul_hi_u32 s28, s24, s11
	s_addc_u32 s25, s25, s29
	s_addc_u32 s26, s28, 0
	s_mul_i32 s11, s24, s11
	s_add_u32 s11, s25, s11
	s_addc_u32 s25, 0, s26
	s_add_u32 s26, s10, s11
	s_cselect_b64 s[10:11], -1, 0
	s_cmp_lg_u64 s[10:11], 0
	s_addc_u32 s24, s24, s25
	s_mul_i32 s10, s0, s24
	s_mul_hi_u32 s11, s0, s26
	s_add_i32 s10, s11, s10
	s_mul_i32 s21, s21, s26
	s_add_i32 s10, s10, s21
	s_mul_i32 s0, s0, s26
	s_mul_hi_u32 s21, s24, s0
	s_mul_i32 s25, s24, s0
	s_mul_i32 s28, s26, s10
	s_mul_hi_u32 s0, s26, s0
	s_mul_hi_u32 s27, s26, s10
	s_add_u32 s0, s0, s28
	s_addc_u32 s27, 0, s27
	s_add_u32 s0, s0, s25
	s_mul_hi_u32 s11, s24, s10
	s_addc_u32 s0, s27, s21
	s_addc_u32 s11, s11, 0
	s_mul_i32 s10, s24, s10
	s_add_u32 s0, s0, s10
	s_addc_u32 s21, 0, s11
	s_add_u32 s0, s26, s0
	s_cselect_b64 s[10:11], -1, 0
	s_cmp_lg_u64 s[10:11], 0
	s_addc_u32 s21, s24, s21
	s_ashr_i32 s10, s1, 31
	s_add_u32 s24, s20, s10
	s_mov_b32 s11, s10
	s_addc_u32 s25, s1, s10
	s_xor_b64 s[24:25], s[24:25], s[10:11]
	s_mul_i32 s27, s24, s21
	s_mul_hi_u32 s28, s24, s0
	s_mul_hi_u32 s26, s24, s21
	s_add_u32 s27, s28, s27
	s_addc_u32 s26, 0, s26
	s_mul_hi_u32 s29, s25, s0
	s_mul_i32 s0, s25, s0
	s_add_u32 s0, s27, s0
	s_mul_hi_u32 s28, s25, s21
	s_addc_u32 s0, s26, s29
	s_addc_u32 s26, s28, 0
	s_mul_i32 s21, s25, s21
	s_add_u32 s0, s0, s21
	s_addc_u32 s21, 0, s26
	s_mul_i32 s21, s6, s21
	s_mul_hi_u32 s26, s6, s0
	s_add_i32 s21, s26, s21
	s_mul_i32 s26, s7, s0
	s_add_i32 s21, s21, s26
	s_sub_i32 s28, s25, s21
	s_mul_i32 s0, s6, s0
	s_sub_u32 s0, s24, s0
	s_cselect_b64 s[26:27], -1, 0
	s_cmp_lg_u64 s[26:27], 0
	s_subb_u32 s24, s28, s7
	s_sub_u32 s30, s0, s6
	s_cselect_b64 s[28:29], -1, 0
	s_cmp_lg_u64 s[28:29], 0
	s_subb_u32 s31, s24, 0
	s_cmp_ge_u32 s31, s7
	s_cselect_b32 s34, -1, 0
	s_cmp_ge_u32 s30, s6
	s_cselect_b32 s35, -1, 0
	s_cmp_eq_u32 s31, s7
	s_cselect_b32 s34, s35, s34
	s_cmp_lg_u64 s[28:29], 0
	s_subb_u32 s24, s24, s7
	s_sub_u32 s35, s30, s6
	s_cselect_b64 s[28:29], -1, 0
	s_cmp_lg_u64 s[28:29], 0
	s_subb_u32 s24, s24, 0
	s_cmp_lg_u32 s34, 0
	s_cselect_b32 s28, s35, s30
	s_cselect_b32 s24, s24, s31
	s_cmp_lg_u64 s[26:27], 0
	s_subb_u32 s21, s25, s21
	s_cmp_ge_u32 s21, s7
	s_cselect_b32 s25, -1, 0
	s_cmp_ge_u32 s0, s6
	s_cselect_b32 s6, -1, 0
	s_cmp_eq_u32 s21, s7
	s_cselect_b32 s6, s6, s25
	s_cmp_lg_u32 s6, 0
	s_cselect_b32 s7, s24, s21
	s_cselect_b32 s6, s28, s0
	s_xor_b64 s[6:7], s[6:7], s[10:11]
	s_sub_u32 s6, s6, s10
	s_subb_u32 s7, s7, s10
	s_cbranch_execnz .LBB4_102
.LBB4_101:                              ;   in Loop: Header=BB4_7 Depth=1
	v_cvt_f32_u32_e32 v2, s72
	s_sub_i32 s0, 0, s72
	v_rcp_iflag_f32_e32 v2, v2
	s_nop 0
	v_mul_f32_e32 v2, 0x4f7ffffe, v2
	v_cvt_u32_f32_e32 v2, v2
	s_nop 0
	v_readfirstlane_b32 s6, v2
	s_mul_i32 s0, s0, s6
	s_mul_hi_u32 s0, s6, s0
	s_add_i32 s6, s6, s0
	s_mul_hi_u32 s0, s20, s6
	s_mul_i32 s0, s0, s72
	s_sub_i32 s0, s20, s0
	s_sub_i32 s6, s0, s72
	s_cmp_ge_u32 s0, s72
	s_cselect_b32 s0, s6, s0
	s_sub_i32 s6, s0, s72
	s_cmp_ge_u32 s0, s72
	s_cselect_b32 s78, s6, s0
	s_mov_b64 s[6:7], s[78:79]
.LBB4_102:                              ;   in Loop: Header=BB4_7 Depth=1
	s_sub_u32 s6, s20, s6
	s_subb_u32 s7, s1, s7
	v_cmp_gt_i64_e32 vcc, s[6:7], v[0:1]
                                        ; implicit-def: $vgpr45
	s_and_saveexec_b64 s[0:1], vcc
	s_cbranch_execz .LBB4_111
; %bb.103:                              ;   in Loop: Header=BB4_7 Depth=1
	s_mov_b64 s[10:11], 0
	v_mov_b32_e32 v2, v0
	v_mov_b64_e32 v[8:9], v[0:1]
                                        ; implicit-def: $sgpr20_sgpr21
	s_branch .LBB4_106
.LBB4_104:                              ;   in Loop: Header=BB4_106 Depth=2
	s_or_b64 exec, exec, s[24:25]
	s_waitcnt lgkmcnt(0)
	s_barrier
	ds_read_u16 v10, v3 offset:3072
	s_mov_b64 s[24:25], -1
	s_waitcnt lgkmcnt(0)
	s_barrier
	v_cmp_ne_u32_sdwa s[26:27], v10, v3 src0_sel:BYTE_0 src1_sel:DWORD
	s_and_b64 vcc, exec, s[26:27]
	s_mov_b64 s[26:27], -1
	s_cbranch_vccz .LBB4_109
.LBB4_105:                              ;   in Loop: Header=BB4_106 Depth=2
	s_and_b64 s[24:25], exec, s[24:25]
	s_or_b64 s[10:11], s[24:25], s[10:11]
	s_andn2_b64 s[20:21], s[20:21], exec
	s_and_b64 s[24:25], s[26:27], exec
	s_or_b64 s[20:21], s[20:21], s[24:25]
	s_andn2_b64 exec, exec, s[10:11]
	s_cbranch_execz .LBB4_110
.LBB4_106:                              ;   Parent Loop BB4_7 Depth=1
                                        ; =>  This Inner Loop Header: Depth=2
	v_cmp_gt_u64_e32 vcc, s[18:19], v[8:9]
	s_and_saveexec_b64 s[24:25], vcc
	s_cbranch_execz .LBB4_104
; %bb.107:                              ;   in Loop: Header=BB4_106 Depth=2
	ds_read_u8 v10, v2
	s_waitcnt lgkmcnt(0)
	v_bitop3_b32 v11, v10, s85, v44 bitop3:0x80
	v_cmp_eq_u32_e32 vcc, v11, v41
	s_and_b64 exec, exec, vcc
	s_cbranch_execz .LBB4_104
; %bb.108:                              ;   in Loop: Header=BB4_106 Depth=2
	v_lshlrev_b16_e32 v10, 8, v10
	v_or_b32_e32 v10, 1, v10
	ds_write_b16 v3, v10 offset:3072
	s_branch .LBB4_104
.LBB4_109:                              ;   in Loop: Header=BB4_106 Depth=2
	v_lshl_add_u64 v[8:9], v[8:9], 0, s[72:73]
	v_cmp_le_i64_e32 vcc, s[6:7], v[8:9]
	v_add_u32_e32 v2, s72, v2
	s_mov_b64 s[26:27], 0
	s_orn2_b64 s[24:25], vcc, exec
	s_branch .LBB4_105
.LBB4_110:                              ;   in Loop: Header=BB4_7 Depth=1
	s_or_b64 exec, exec, s[10:11]
	s_andn2_b64 s[6:7], s[8:9], exec
	s_and_b64 s[8:9], s[20:21], exec
	v_lshrrev_b32_sdwa v45, v43, v10 dst_sel:DWORD dst_unused:UNUSED_PAD src0_sel:DWORD src1_sel:WORD_0
	s_or_b64 s[8:9], s[6:7], s[8:9]
.LBB4_111:                              ;   in Loop: Header=BB4_7 Depth=1
	s_or_b64 exec, exec, s[0:1]
	s_mov_b64 s[0:1], 0
	s_mov_b64 s[6:7], -1
.LBB4_112:                              ;   in Loop: Header=BB4_7 Depth=1
	s_orn2_b64 s[8:9], s[8:9], exec
.LBB4_113:                              ;   in Loop: Header=BB4_7 Depth=1
	s_or_b64 exec, exec, s[16:17]
	s_andn2_b64 s[10:11], s[66:67], exec
	s_and_b64 s[6:7], s[6:7], exec
	s_or_b64 s[66:67], s[10:11], s[6:7]
	s_andn2_b64 s[6:7], s[60:61], exec
	s_and_b64 s[0:1], s[0:1], exec
	s_andn2_b64 s[68:69], s[68:69], exec
	s_or_b64 s[60:61], s[6:7], s[0:1]
                                        ; implicit-def: $vgpr8_vgpr9
	s_and_saveexec_b64 s[16:17], s[8:9]
	s_cbranch_execz .LBB4_6
; %bb.114:                              ;   in Loop: Header=BB4_7 Depth=1
	s_xor_b64 s[2:3], s[12:13], -1
	v_mov_b32_e32 v2, 1
	s_mov_b64 s[6:7], 0
	v_mov_b64_e32 v[8:9], 1
	s_and_saveexec_b64 s[0:1], s[2:3]
	s_cbranch_execz .LBB4_123
; %bb.115:                              ;   in Loop: Header=BB4_7 Depth=1
	v_cmp_le_i64_e32 vcc, v[32:33], v[4:5]
	s_and_saveexec_b64 s[2:3], vcc
	s_xor_b64 s[2:3], exec, s[2:3]
	s_cbranch_execz .LBB4_120
; %bb.116:                              ;   in Loop: Header=BB4_7 Depth=1
	ds_read_b64 v[8:9], v3 offset:5120
	v_and_b32_e32 v41, s46, v41
	v_or_b32_e32 v44, s52, v44
	s_waitcnt lgkmcnt(0)
	v_cmp_ne_u64_e32 vcc, 0, v[8:9]
	s_cbranch_vccnz .LBB4_120
; %bb.117:                              ;   in Loop: Header=BB4_7 Depth=1
	s_mov_b64 s[6:7], exec
	v_readlane_b32 s8, v64, 8
	v_readlane_b32 s9, v64, 9
	s_and_b64 s[8:9], s[6:7], s[8:9]
	s_mov_b64 exec, s[8:9]
; %bb.118:                              ;   in Loop: Header=BB4_7 Depth=1
	ds_write_b64 v3, v[4:5] offset:5128
; %bb.119:                              ;   in Loop: Header=BB4_7 Depth=1
	s_or_b64 exec, exec, s[6:7]
	s_waitcnt lgkmcnt(0)
	s_barrier
.LBB4_120:                              ;   in Loop: Header=BB4_7 Depth=1
	s_or_saveexec_b64 s[2:3], s[2:3]
	s_mov_b64 s[6:7], 0
	v_mov_b32_e32 v2, 8
	s_xor_b64 exec, exec, s[2:3]
; %bb.121:                              ;   in Loop: Header=BB4_7 Depth=1
	v_sub_co_u32_e32 v32, vcc, v32, v4
	s_mov_b64 s[6:7], exec
	s_nop 0
	v_subb_co_u32_e32 v33, vcc, v33, v5, vcc
	v_mov_b32_e32 v2, 0
; %bb.122:                              ;   in Loop: Header=BB4_7 Depth=1
	s_or_b64 exec, exec, s[2:3]
	s_and_b64 s[6:7], s[6:7], exec
	v_mov_b64_e32 v[8:9], v[32:33]
.LBB4_123:                              ;   in Loop: Header=BB4_7 Depth=1
	s_or_b64 exec, exec, s[0:1]
	s_mov_b64 s[18:19], -1
	s_mov_b64 s[0:1], -1
                                        ; implicit-def: $sgpr2_sgpr3
                                        ; implicit-def: $sgpr24_sgpr25
	s_and_saveexec_b64 s[8:9], s[6:7]
	s_xor_b64 s[20:21], exec, s[8:9]
	s_cbranch_execz .LBB4_265
; %bb.124:                              ;   in Loop: Header=BB4_7 Depth=1
	v_cmp_eq_u64_e32 vcc, 1, v[6:7]
	v_cmp_eq_u64_e64 s[2:3], 1, v[8:9]
	s_and_b64 s[12:13], vcc, s[2:3]
                                        ; implicit-def: $sgpr24_sgpr25
                                        ; implicit-def: $sgpr2_sgpr3
	s_and_saveexec_b64 s[26:27], s[12:13]
	s_cbranch_execz .LBB4_158
; %bb.125:                              ;   in Loop: Header=BB4_7 Depth=1
	ds_read_b64 v[4:5], v3 offset:5120
	s_waitcnt lgkmcnt(0)
	s_barrier
	v_readfirstlane_b32 s28, v4
	v_readfirstlane_b32 s29, v5
	s_mov_b64 s[0:1], exec
	v_readlane_b32 s2, v64, 14
	v_readlane_b32 s3, v64, 15
	s_and_b64 s[2:3], s[0:1], s[2:3]
	s_mov_b64 exec, s[2:3]
; %bb.126:                              ;   in Loop: Header=BB4_7 Depth=1
	ds_write_b8 v0, v3 offset:3072
; %bb.127:                              ;   in Loop: Header=BB4_7 Depth=1
	s_or_b64 exec, exec, s[0:1]
	v_and_b32_e32 v4, s46, v41
	v_cmp_gt_i64_e64 s[0:1], s[28:29], 0
	v_lshl_or_b32 v41, 1, s84, v4
	v_or_b32_e32 v44, s52, v44
	s_mov_b64 s[2:3], -1
	s_mov_b64 s[24:25], 0
	s_and_b64 vcc, exec, s[0:1]
	s_mov_b64 s[0:1], 0
	s_mov_b64 s[6:7], -1
	s_waitcnt lgkmcnt(0)
	s_barrier
                                        ; implicit-def: $vgpr45
	s_cbranch_vccnz .LBB4_143
; %bb.128:                              ;   in Loop: Header=BB4_7 Depth=1
	s_mov_b32 s54, s79
	s_cmp_lg_u64 s[54:55], 0
	s_cbranch_scc0 .LBB4_185
; %bb.129:                              ;   in Loop: Header=BB4_7 Depth=1
	s_add_u32 s0, s72, 0
	s_addc_u32 s1, 0, 0
	s_xor_b64 s[0:1], s[0:1], 0
	v_cvt_f32_u32_e32 v4, s0
	v_cvt_f32_u32_e32 v5, s1
	s_sub_u32 s8, 0, s0
	s_subb_u32 s9, 0, s1
	v_fmac_f32_e32 v4, 0x4f800000, v5
	v_rcp_f32_e32 v4, v4
	s_nop 0
	v_mul_f32_e32 v4, 0x5f7ffffc, v4
	v_mul_f32_e32 v5, 0x2f800000, v4
	v_trunc_f32_e32 v5, v5
	v_fmac_f32_e32 v4, 0xcf800000, v5
	v_cvt_u32_f32_e32 v5, v5
	v_cvt_u32_f32_e32 v4, v4
	v_readfirstlane_b32 s10, v5
	v_readfirstlane_b32 s6, v4
	s_mul_i32 s7, s8, s10
	s_mul_hi_u32 s30, s8, s6
	s_mul_i32 s11, s9, s6
	s_add_i32 s7, s30, s7
	s_mul_i32 s31, s8, s6
	s_add_i32 s7, s7, s11
	s_mul_i32 s30, s6, s7
	s_mul_hi_u32 s34, s6, s31
	s_mul_hi_u32 s11, s6, s7
	s_add_u32 s30, s34, s30
	s_addc_u32 s11, 0, s11
	s_mul_hi_u32 s35, s10, s31
	s_mul_i32 s31, s10, s31
	s_add_u32 s30, s30, s31
	s_mul_hi_u32 s34, s10, s7
	s_addc_u32 s11, s11, s35
	s_addc_u32 s30, s34, 0
	s_mul_i32 s7, s10, s7
	s_add_u32 s7, s11, s7
	s_addc_u32 s11, 0, s30
	s_add_u32 s30, s6, s7
	s_cselect_b64 s[6:7], -1, 0
	s_cmp_lg_u64 s[6:7], 0
	s_addc_u32 s10, s10, s11
	s_mul_i32 s6, s8, s10
	s_mul_hi_u32 s7, s8, s30
	s_add_i32 s6, s7, s6
	s_mul_i32 s9, s9, s30
	s_add_i32 s6, s6, s9
	s_mul_i32 s8, s8, s30
	s_mul_hi_u32 s9, s10, s8
	s_mul_i32 s11, s10, s8
	s_mul_i32 s34, s30, s6
	s_mul_hi_u32 s8, s30, s8
	s_mul_hi_u32 s31, s30, s6
	s_add_u32 s8, s8, s34
	s_addc_u32 s31, 0, s31
	s_add_u32 s8, s8, s11
	s_mul_hi_u32 s7, s10, s6
	s_addc_u32 s8, s31, s9
	s_addc_u32 s7, s7, 0
	s_mul_i32 s6, s10, s6
	s_add_u32 s6, s8, s6
	s_addc_u32 s8, 0, s7
	s_add_u32 s11, s30, s6
	s_cselect_b64 s[6:7], -1, 0
	s_cmp_lg_u64 s[6:7], 0
	s_addc_u32 s10, s10, s8
	s_ashr_i32 s6, s55, 31
	v_readlane_b32 s8, v64, 23
	s_add_u32 s8, s8, s6
	s_mov_b32 s7, s6
	s_addc_u32 s9, s55, s6
	s_xor_b64 s[8:9], s[8:9], s[6:7]
	s_mul_i32 s31, s8, s10
	s_mul_hi_u32 s34, s8, s11
	s_mul_hi_u32 s30, s8, s10
	s_add_u32 s31, s34, s31
	s_addc_u32 s30, 0, s30
	s_mul_hi_u32 s35, s9, s11
	s_mul_i32 s11, s9, s11
	s_add_u32 s11, s31, s11
	s_mul_hi_u32 s34, s9, s10
	s_addc_u32 s11, s30, s35
	s_addc_u32 s30, s34, 0
	s_mul_i32 s10, s9, s10
	s_add_u32 s10, s11, s10
	s_addc_u32 s11, 0, s30
	s_mul_i32 s11, s0, s11
	s_mul_hi_u32 s30, s0, s10
	s_add_i32 s11, s30, s11
	s_mul_i32 s30, s1, s10
	s_add_i32 s34, s11, s30
	s_sub_i32 s30, s9, s34
	s_mul_i32 s10, s0, s10
	s_sub_u32 s8, s8, s10
	s_cselect_b64 s[10:11], -1, 0
	s_cmp_lg_u64 s[10:11], 0
	s_subb_u32 s35, s30, s1
	s_sub_u32 s36, s8, s0
	s_cselect_b64 s[30:31], -1, 0
	s_cmp_lg_u64 s[30:31], 0
	s_subb_u32 s37, s35, 0
	s_cmp_ge_u32 s37, s1
	s_cselect_b32 s38, -1, 0
	s_cmp_ge_u32 s36, s0
	s_cselect_b32 s39, -1, 0
	s_cmp_eq_u32 s37, s1
	s_cselect_b32 s38, s39, s38
	s_cmp_lg_u64 s[30:31], 0
	s_subb_u32 s35, s35, s1
	s_sub_u32 s39, s36, s0
	s_cselect_b64 s[30:31], -1, 0
	s_cmp_lg_u64 s[30:31], 0
	s_subb_u32 s30, s35, 0
	s_cmp_lg_u32 s38, 0
	s_cselect_b32 s31, s39, s36
	s_cselect_b32 s30, s30, s37
	s_cmp_lg_u64 s[10:11], 0
	s_subb_u32 s9, s9, s34
	s_cmp_ge_u32 s9, s1
	s_cselect_b32 s10, -1, 0
	s_cmp_ge_u32 s8, s0
	s_cselect_b32 s0, -1, 0
	s_cmp_eq_u32 s9, s1
	s_cselect_b32 s0, s0, s10
	s_cmp_lg_u32 s0, 0
	s_cselect_b32 s1, s30, s9
	s_cselect_b32 s0, s31, s8
	s_xor_b64 s[0:1], s[0:1], s[6:7]
	s_sub_u32 s0, s0, s6
	s_subb_u32 s1, s1, s6
	s_cbranch_execnz .LBB4_131
.LBB4_130:                              ;   in Loop: Header=BB4_7 Depth=1
	v_cvt_f32_u32_e32 v4, s72
	s_sub_i32 s0, 0, s72
	v_readlane_b32 s6, v64, 23
	v_rcp_iflag_f32_e32 v4, v4
	s_nop 0
	v_mul_f32_e32 v4, 0x4f7ffffe, v4
	v_cvt_u32_f32_e32 v4, v4
	s_nop 0
	v_readfirstlane_b32 s1, v4
	s_mul_i32 s0, s0, s1
	s_mul_hi_u32 s0, s1, s0
	s_add_i32 s1, s1, s0
	s_mul_hi_u32 s0, s6, s1
	s_mul_i32 s0, s0, s72
	s_sub_i32 s0, s6, s0
	s_sub_i32 s1, s0, s72
	s_cmp_ge_u32 s0, s72
	s_cselect_b32 s0, s1, s0
	s_sub_i32 s1, s0, s72
	s_cmp_ge_u32 s0, s72
	s_cselect_b32 s78, s1, s0
	s_mov_b64 s[0:1], s[78:79]
.LBB4_131:                              ;   in Loop: Header=BB4_7 Depth=1
	v_readlane_b32 s6, v64, 23
	s_sub_u32 s10, s6, s0
	s_subb_u32 s11, s55, s1
	v_cmp_gt_i64_e32 vcc, s[10:11], v[0:1]
	s_mov_b64 s[6:7], 0
	s_mov_b64 s[0:1], 0
                                        ; implicit-def: $vgpr45
	s_and_saveexec_b64 s[8:9], vcc
	s_cbranch_execz .LBB4_142
; %bb.132:                              ;   in Loop: Header=BB4_7 Depth=1
	v_mov_b64_e32 v[4:5], v[12:13]
	v_mov_b64_e32 v[10:11], v[0:1]
                                        ; implicit-def: $sgpr30_sgpr31
	s_branch .LBB4_135
.LBB4_133:                              ;   in Loop: Header=BB4_135 Depth=2
	s_or_b64 exec, exec, s[34:35]
	s_waitcnt lgkmcnt(0)
	s_barrier
	ds_read_u16 v32, v3 offset:3072
	s_mov_b64 s[34:35], -1
	s_waitcnt lgkmcnt(0)
	s_barrier
	v_cmp_ne_u32_sdwa s[36:37], v32, v3 src0_sel:BYTE_0 src1_sel:DWORD
	s_and_b64 vcc, exec, s[36:37]
	s_mov_b64 s[36:37], -1
	s_cbranch_vccz .LBB4_138
.LBB4_134:                              ;   in Loop: Header=BB4_135 Depth=2
	s_and_b64 s[34:35], exec, s[34:35]
	s_or_b64 s[0:1], s[34:35], s[0:1]
	s_andn2_b64 s[30:31], s[30:31], exec
	s_and_b64 s[34:35], s[36:37], exec
	s_or_b64 s[30:31], s[30:31], s[34:35]
	s_andn2_b64 exec, exec, s[0:1]
	s_cbranch_execz .LBB4_141
.LBB4_135:                              ;   Parent Loop BB4_7 Depth=1
                                        ; =>  This Inner Loop Header: Depth=2
	v_cmp_gt_i64_e32 vcc, s[56:57], v[10:11]
	s_and_saveexec_b64 s[34:35], vcc
	s_cbranch_execz .LBB4_133
; %bb.136:                              ;   in Loop: Header=BB4_135 Depth=2
	global_load_ubyte v32, v[4:5], off
	s_waitcnt vmcnt(0)
	v_bitop3_b32 v33, v32, s85, v44 bitop3:0x80
	v_cmp_eq_u32_e32 vcc, v33, v41
	s_and_b64 exec, exec, vcc
	s_cbranch_execz .LBB4_133
; %bb.137:                              ;   in Loop: Header=BB4_135 Depth=2
	v_lshlrev_b16_e32 v32, 8, v32
	v_or_b32_e32 v32, 1, v32
	ds_write_b16 v3, v32 offset:3072
	s_branch .LBB4_133
.LBB4_138:                              ;   in Loop: Header=BB4_135 Depth=2
	v_lshl_add_u64 v[10:11], v[10:11], 0, s[72:73]
	v_cmp_le_i64_e32 vcc, s[10:11], v[10:11]
	v_lshl_add_u64 v[4:5], v[4:5], 0, s[74:75]
	s_mov_b64 s[36:37], 0
	s_orn2_b64 s[34:35], vcc, exec
	s_branch .LBB4_134
.LBB4_139:                              ;   in Loop: Header=BB4_7 Depth=1
                                        ; implicit-def: $sgpr8_sgpr9
	s_andn2_b64 vcc, exec, s[10:11]
	s_cbranch_vccz .LBB4_87
	s_branch .LBB4_88
.LBB4_140:                              ;   in Loop: Header=BB4_7 Depth=1
                                        ; implicit-def: $sgpr6_sgpr7
	s_branch .LBB4_101
.LBB4_141:                              ;   in Loop: Header=BB4_7 Depth=1
	s_or_b64 exec, exec, s[0:1]
	v_lshrrev_b32_sdwa v45, v43, v32 dst_sel:DWORD dst_unused:UNUSED_PAD src0_sel:DWORD src1_sel:WORD_0
	s_and_b64 s[0:1], s[30:31], exec
.LBB4_142:                              ;   in Loop: Header=BB4_7 Depth=1
	s_or_b64 exec, exec, s[8:9]
.LBB4_143:                              ;   in Loop: Header=BB4_7 Depth=1
	s_and_b64 vcc, exec, s[6:7]
	s_cbranch_vccz .LBB4_157
; %bb.144:                              ;   in Loop: Header=BB4_7 Depth=1
	v_readlane_b32 s2, v64, 22
	s_add_u32 s10, s28, s2
	v_readlane_b32 s2, v64, 24
	s_addc_u32 s3, s29, s2
	s_mov_b32 s2, s79
	s_cmp_lg_u64 s[2:3], 0
	s_cbranch_scc0 .LBB4_186
; %bb.145:                              ;   in Loop: Header=BB4_7 Depth=1
	s_add_u32 s6, s72, 0
	s_addc_u32 s7, 0, 0
	s_xor_b64 s[6:7], s[6:7], 0
	v_cvt_f32_u32_e32 v4, s6
	v_cvt_f32_u32_e32 v5, s7
	s_sub_u32 s2, 0, s6
	s_subb_u32 s11, 0, s7
	v_fmac_f32_e32 v4, 0x4f800000, v5
	v_rcp_f32_e32 v4, v4
	s_nop 0
	v_mul_f32_e32 v4, 0x5f7ffffc, v4
	v_mul_f32_e32 v5, 0x2f800000, v4
	v_trunc_f32_e32 v5, v5
	v_fmac_f32_e32 v4, 0xcf800000, v5
	v_cvt_u32_f32_e32 v5, v5
	v_cvt_u32_f32_e32 v4, v4
	v_readfirstlane_b32 s24, v5
	v_readfirstlane_b32 s8, v4
	s_mul_i32 s9, s2, s24
	s_mul_hi_u32 s30, s2, s8
	s_mul_i32 s25, s11, s8
	s_add_i32 s9, s30, s9
	s_mul_i32 s31, s2, s8
	s_add_i32 s9, s9, s25
	s_mul_i32 s30, s8, s9
	s_mul_hi_u32 s34, s8, s31
	s_mul_hi_u32 s25, s8, s9
	s_add_u32 s30, s34, s30
	s_addc_u32 s25, 0, s25
	s_mul_hi_u32 s35, s24, s31
	s_mul_i32 s31, s24, s31
	s_add_u32 s30, s30, s31
	s_mul_hi_u32 s34, s24, s9
	s_addc_u32 s25, s25, s35
	s_addc_u32 s30, s34, 0
	s_mul_i32 s9, s24, s9
	s_add_u32 s9, s25, s9
	s_addc_u32 s25, 0, s30
	s_add_u32 s30, s8, s9
	s_cselect_b64 s[8:9], -1, 0
	s_cmp_lg_u64 s[8:9], 0
	s_addc_u32 s24, s24, s25
	s_mul_i32 s8, s2, s24
	s_mul_hi_u32 s9, s2, s30
	s_add_i32 s8, s9, s8
	s_mul_i32 s11, s11, s30
	s_add_i32 s8, s8, s11
	s_mul_i32 s2, s2, s30
	s_mul_hi_u32 s11, s24, s2
	s_mul_i32 s25, s24, s2
	s_mul_i32 s34, s30, s8
	s_mul_hi_u32 s2, s30, s2
	s_mul_hi_u32 s31, s30, s8
	s_add_u32 s2, s2, s34
	s_addc_u32 s31, 0, s31
	s_add_u32 s2, s2, s25
	s_mul_hi_u32 s9, s24, s8
	s_addc_u32 s2, s31, s11
	s_addc_u32 s9, s9, 0
	s_mul_i32 s8, s24, s8
	s_add_u32 s2, s2, s8
	s_addc_u32 s11, 0, s9
	s_add_u32 s2, s30, s2
	s_cselect_b64 s[8:9], -1, 0
	s_cmp_lg_u64 s[8:9], 0
	s_addc_u32 s11, s24, s11
	s_ashr_i32 s8, s3, 31
	s_add_u32 s24, s10, s8
	s_mov_b32 s9, s8
	s_addc_u32 s25, s3, s8
	s_xor_b64 s[24:25], s[24:25], s[8:9]
	s_mul_i32 s31, s24, s11
	s_mul_hi_u32 s34, s24, s2
	s_mul_hi_u32 s30, s24, s11
	s_add_u32 s31, s34, s31
	s_addc_u32 s30, 0, s30
	s_mul_hi_u32 s35, s25, s2
	s_mul_i32 s2, s25, s2
	s_add_u32 s2, s31, s2
	s_mul_hi_u32 s34, s25, s11
	s_addc_u32 s2, s30, s35
	s_addc_u32 s30, s34, 0
	s_mul_i32 s11, s25, s11
	s_add_u32 s2, s2, s11
	s_addc_u32 s11, 0, s30
	s_mul_i32 s11, s6, s11
	s_mul_hi_u32 s30, s6, s2
	s_add_i32 s11, s30, s11
	s_mul_i32 s30, s7, s2
	s_add_i32 s11, s11, s30
	s_sub_i32 s34, s25, s11
	s_mul_i32 s2, s6, s2
	s_sub_u32 s2, s24, s2
	s_cselect_b64 s[30:31], -1, 0
	s_cmp_lg_u64 s[30:31], 0
	s_subb_u32 s24, s34, s7
	s_sub_u32 s36, s2, s6
	s_cselect_b64 s[34:35], -1, 0
	s_cmp_lg_u64 s[34:35], 0
	s_subb_u32 s37, s24, 0
	s_cmp_ge_u32 s37, s7
	s_cselect_b32 s38, -1, 0
	s_cmp_ge_u32 s36, s6
	s_cselect_b32 s39, -1, 0
	s_cmp_eq_u32 s37, s7
	s_cselect_b32 s38, s39, s38
	s_cmp_lg_u64 s[34:35], 0
	s_subb_u32 s24, s24, s7
	s_sub_u32 s39, s36, s6
	s_cselect_b64 s[34:35], -1, 0
	s_cmp_lg_u64 s[34:35], 0
	s_subb_u32 s24, s24, 0
	s_cmp_lg_u32 s38, 0
	s_cselect_b32 s34, s39, s36
	s_cselect_b32 s24, s24, s37
	s_cmp_lg_u64 s[30:31], 0
	s_subb_u32 s11, s25, s11
	s_cmp_ge_u32 s11, s7
	s_cselect_b32 s25, -1, 0
	s_cmp_ge_u32 s2, s6
	s_cselect_b32 s6, -1, 0
	s_cmp_eq_u32 s11, s7
	s_cselect_b32 s6, s6, s25
	s_cmp_lg_u32 s6, 0
	s_cselect_b32 s7, s24, s11
	s_cselect_b32 s6, s34, s2
	s_xor_b64 s[6:7], s[6:7], s[8:9]
	s_sub_u32 s6, s6, s8
	s_subb_u32 s7, s7, s8
	s_cbranch_execnz .LBB4_147
.LBB4_146:                              ;   in Loop: Header=BB4_7 Depth=1
	v_cvt_f32_u32_e32 v4, s72
	s_sub_i32 s2, 0, s72
	v_rcp_iflag_f32_e32 v4, v4
	s_nop 0
	v_mul_f32_e32 v4, 0x4f7ffffe, v4
	v_cvt_u32_f32_e32 v4, v4
	s_nop 0
	v_readfirstlane_b32 s6, v4
	s_mul_i32 s2, s2, s6
	s_mul_hi_u32 s2, s6, s2
	s_add_i32 s6, s6, s2
	s_mul_hi_u32 s2, s10, s6
	s_mul_i32 s2, s2, s72
	s_sub_i32 s2, s10, s2
	s_sub_i32 s6, s2, s72
	s_cmp_ge_u32 s2, s72
	s_cselect_b32 s2, s6, s2
	s_sub_i32 s6, s2, s72
	s_cmp_ge_u32 s2, s72
	s_cselect_b32 s78, s6, s2
	s_mov_b64 s[6:7], s[78:79]
.LBB4_147:                              ;   in Loop: Header=BB4_7 Depth=1
	s_sub_u32 s6, s10, s6
	s_subb_u32 s7, s3, s7
	v_cmp_gt_i64_e32 vcc, s[6:7], v[0:1]
                                        ; implicit-def: $vgpr45
	s_and_saveexec_b64 s[2:3], vcc
	s_cbranch_execz .LBB4_156
; %bb.148:                              ;   in Loop: Header=BB4_7 Depth=1
	s_mov_b64 s[8:9], 0
	v_mov_b32_e32 v10, v0
	v_mov_b64_e32 v[4:5], v[0:1]
                                        ; implicit-def: $sgpr10_sgpr11
	s_branch .LBB4_151
.LBB4_149:                              ;   in Loop: Header=BB4_151 Depth=2
	s_or_b64 exec, exec, s[24:25]
	s_waitcnt lgkmcnt(0)
	s_barrier
	ds_read_u16 v11, v3 offset:3072
	s_mov_b64 s[24:25], -1
	s_waitcnt lgkmcnt(0)
	s_barrier
	v_cmp_eq_u32_sdwa s[30:31], v11, v3 src0_sel:BYTE_0 src1_sel:DWORD
	s_and_b64 vcc, exec, s[30:31]
	s_mov_b64 s[30:31], -1
	s_cbranch_vccnz .LBB4_154
.LBB4_150:                              ;   in Loop: Header=BB4_151 Depth=2
	s_and_b64 s[24:25], exec, s[24:25]
	s_or_b64 s[8:9], s[24:25], s[8:9]
	s_andn2_b64 s[10:11], s[10:11], exec
	s_and_b64 s[24:25], s[30:31], exec
	s_or_b64 s[10:11], s[10:11], s[24:25]
	s_andn2_b64 exec, exec, s[8:9]
	s_cbranch_execz .LBB4_155
.LBB4_151:                              ;   Parent Loop BB4_7 Depth=1
                                        ; =>  This Inner Loop Header: Depth=2
	v_cmp_gt_u64_e32 vcc, s[28:29], v[4:5]
	s_and_saveexec_b64 s[24:25], vcc
	s_cbranch_execz .LBB4_149
; %bb.152:                              ;   in Loop: Header=BB4_151 Depth=2
	ds_read_u8 v11, v10
	s_waitcnt lgkmcnt(0)
	v_bitop3_b32 v32, v11, s85, v44 bitop3:0x80
	v_cmp_eq_u32_e32 vcc, v32, v41
	s_and_b64 exec, exec, vcc
	s_cbranch_execz .LBB4_149
; %bb.153:                              ;   in Loop: Header=BB4_151 Depth=2
	v_lshlrev_b16_e32 v11, 8, v11
	v_or_b32_e32 v11, 1, v11
	ds_write_b16 v3, v11 offset:3072
	s_branch .LBB4_149
.LBB4_154:                              ;   in Loop: Header=BB4_151 Depth=2
	v_lshl_add_u64 v[4:5], v[4:5], 0, s[72:73]
	v_cmp_le_i64_e32 vcc, s[6:7], v[4:5]
	v_add_u32_e32 v10, s72, v10
	s_mov_b64 s[30:31], 0
	s_orn2_b64 s[24:25], vcc, exec
	s_branch .LBB4_150
.LBB4_155:                              ;   in Loop: Header=BB4_7 Depth=1
	s_or_b64 exec, exec, s[8:9]
	s_andn2_b64 s[0:1], s[0:1], exec
	s_and_b64 s[6:7], s[10:11], exec
	v_lshrrev_b32_sdwa v45, v43, v11 dst_sel:DWORD dst_unused:UNUSED_PAD src0_sel:DWORD src1_sel:WORD_0
	s_or_b64 s[0:1], s[0:1], s[6:7]
.LBB4_156:                              ;   in Loop: Header=BB4_7 Depth=1
	s_or_b64 exec, exec, s[2:3]
	s_mov_b64 s[2:3], 0
	s_mov_b64 s[24:25], -1
.LBB4_157:                              ;   in Loop: Header=BB4_7 Depth=1
	s_orn2_b64 s[0:1], s[0:1], exec
.LBB4_158:                              ;   in Loop: Header=BB4_7 Depth=1
	s_or_b64 exec, exec, s[26:27]
	s_mov_b64 s[6:7], 0
	s_and_saveexec_b64 s[26:27], s[0:1]
	s_cbranch_execz .LBB4_264
; %bb.159:                              ;   in Loop: Header=BB4_7 Depth=1
	s_xor_b64 s[8:9], s[12:13], -1
	v_mov_b32_e32 v2, 1
	v_mov_b64_e32 v[4:5], 1
	s_and_saveexec_b64 s[0:1], s[8:9]
	s_cbranch_execz .LBB4_169
; %bb.160:                              ;   in Loop: Header=BB4_7 Depth=1
	v_cmp_le_i64_e32 vcc, v[8:9], v[6:7]
	s_and_saveexec_b64 s[6:7], vcc
	s_xor_b64 s[6:7], exec, s[6:7]
	s_cbranch_execz .LBB4_166
; %bb.161:                              ;   in Loop: Header=BB4_7 Depth=1
	ds_read_b64 v[4:5], v3 offset:5120
	v_and_b32_e32 v2, s46, v41
	v_lshl_or_b32 v41, 1, s84, v2
	v_or_b32_e32 v44, s52, v44
	s_waitcnt lgkmcnt(0)
	v_cmp_ne_u64_e32 vcc, 0, v[4:5]
	s_cbranch_vccnz .LBB4_165
; %bb.162:                              ;   in Loop: Header=BB4_7 Depth=1
	s_mov_b64 s[8:9], exec
	v_readlane_b32 s10, v64, 8
	v_readlane_b32 s11, v64, 9
	s_and_b64 s[10:11], s[8:9], s[10:11]
	s_mov_b64 exec, s[10:11]
; %bb.163:                              ;   in Loop: Header=BB4_7 Depth=1
	ds_write_b64 v3, v[6:7] offset:5128
; %bb.164:                              ;   in Loop: Header=BB4_7 Depth=1
	s_or_b64 exec, exec, s[8:9]
	s_waitcnt lgkmcnt(0)
	s_barrier
.LBB4_165:                              ;   in Loop: Header=BB4_7 Depth=1
                                        ; implicit-def: $vgpr4_vgpr5_vgpr6_vgpr7
.LBB4_166:                              ;   in Loop: Header=BB4_7 Depth=1
	s_or_saveexec_b64 s[6:7], s[6:7]
	s_mov_b64 s[8:9], 0
	v_mov_b32_e32 v2, 8
	s_xor_b64 exec, exec, s[6:7]
; %bb.167:                              ;   in Loop: Header=BB4_7 Depth=1
	v_sub_co_u32_e32 v8, vcc, v8, v6
	s_mov_b64 s[8:9], exec
	s_nop 0
	v_subb_co_u32_e32 v9, vcc, v9, v7, vcc
	v_mov_b32_e32 v2, 0
; %bb.168:                              ;   in Loop: Header=BB4_7 Depth=1
	s_or_b64 exec, exec, s[6:7]
	s_and_b64 s[6:7], s[8:9], exec
	v_mov_b64_e32 v[4:5], v[8:9]
.LBB4_169:                              ;   in Loop: Header=BB4_7 Depth=1
	s_or_b64 exec, exec, s[0:1]
	s_mov_b64 s[0:1], -1
                                        ; implicit-def: $sgpr34_sgpr35
                                        ; implicit-def: $sgpr36_sgpr37
	s_and_saveexec_b64 s[28:29], s[6:7]
	s_cbranch_execz .LBB4_263
; %bb.170:                              ;   in Loop: Header=BB4_7 Depth=1
	s_cmp_eq_u64 s[22:23], 1
	s_cselect_b64 s[0:1], -1, 0
	v_cmp_eq_u64_e32 vcc, 1, v[4:5]
	s_and_b64 s[12:13], s[0:1], vcc
	s_mov_b64 s[0:1], -1
                                        ; implicit-def: $sgpr36_sgpr37
                                        ; implicit-def: $sgpr34_sgpr35
	s_and_saveexec_b64 s[38:39], s[12:13]
	s_cbranch_execz .LBB4_204
; %bb.171:                              ;   in Loop: Header=BB4_7 Depth=1
	ds_read_b64 v[6:7], v3 offset:5120
	s_waitcnt lgkmcnt(0)
	s_barrier
	v_readfirstlane_b32 s40, v6
	v_readfirstlane_b32 s41, v7
	s_mov_b64 s[0:1], exec
	v_readlane_b32 s6, v64, 14
	v_readlane_b32 s7, v64, 15
	s_and_b64 s[6:7], s[0:1], s[6:7]
	s_mov_b64 exec, s[6:7]
; %bb.172:                              ;   in Loop: Header=BB4_7 Depth=1
	ds_write_b8 v0, v3 offset:3072
; %bb.173:                              ;   in Loop: Header=BB4_7 Depth=1
	s_or_b64 exec, exec, s[0:1]
	v_and_b32_e32 v6, s46, v41
	v_cmp_gt_i64_e64 s[0:1], s[40:41], 0
	v_lshl_or_b32 v41, 2, s84, v6
	v_or_b32_e32 v44, s52, v44
	s_mov_b64 s[34:35], -1
	s_mov_b64 s[36:37], 0
	s_and_b64 vcc, exec, s[0:1]
	s_mov_b64 s[0:1], 0
	s_mov_b64 s[6:7], -1
	s_waitcnt lgkmcnt(0)
	s_barrier
                                        ; implicit-def: $vgpr45
	s_cbranch_vccnz .LBB4_189
; %bb.174:                              ;   in Loop: Header=BB4_7 Depth=1
	s_mov_b32 s54, s79
	s_cmp_lg_u64 s[54:55], 0
	s_cbranch_scc0 .LBB4_230
; %bb.175:                              ;   in Loop: Header=BB4_7 Depth=1
	s_add_u32 s0, s72, 0
	s_addc_u32 s1, 0, 0
	s_xor_b64 s[0:1], s[0:1], 0
	v_cvt_f32_u32_e32 v6, s0
	v_cvt_f32_u32_e32 v7, s1
	s_sub_u32 s8, 0, s0
	s_subb_u32 s9, 0, s1
	v_fmac_f32_e32 v6, 0x4f800000, v7
	v_rcp_f32_e32 v6, v6
	s_nop 0
	v_mul_f32_e32 v6, 0x5f7ffffc, v6
	v_mul_f32_e32 v7, 0x2f800000, v6
	v_trunc_f32_e32 v7, v7
	v_fmac_f32_e32 v6, 0xcf800000, v7
	v_cvt_u32_f32_e32 v7, v7
	v_cvt_u32_f32_e32 v6, v6
	v_readfirstlane_b32 s10, v7
	v_readfirstlane_b32 s6, v6
	s_mul_i32 s7, s8, s10
	s_mul_hi_u32 s30, s8, s6
	s_mul_i32 s11, s9, s6
	s_add_i32 s7, s30, s7
	s_mul_i32 s31, s8, s6
	s_add_i32 s7, s7, s11
	s_mul_i32 s30, s6, s7
	s_mul_hi_u32 s42, s6, s31
	s_mul_hi_u32 s11, s6, s7
	s_add_u32 s30, s42, s30
	s_addc_u32 s11, 0, s11
	s_mul_hi_u32 s43, s10, s31
	s_mul_i32 s31, s10, s31
	s_add_u32 s30, s30, s31
	s_mul_hi_u32 s42, s10, s7
	s_addc_u32 s11, s11, s43
	s_addc_u32 s30, s42, 0
	s_mul_i32 s7, s10, s7
	s_add_u32 s7, s11, s7
	s_addc_u32 s11, 0, s30
	s_add_u32 s30, s6, s7
	s_cselect_b64 s[6:7], -1, 0
	s_cmp_lg_u64 s[6:7], 0
	s_addc_u32 s10, s10, s11
	s_mul_i32 s6, s8, s10
	s_mul_hi_u32 s7, s8, s30
	s_add_i32 s6, s7, s6
	s_mul_i32 s9, s9, s30
	s_add_i32 s6, s6, s9
	s_mul_i32 s8, s8, s30
	s_mul_hi_u32 s9, s10, s8
	s_mul_i32 s11, s10, s8
	s_mul_i32 s42, s30, s6
	s_mul_hi_u32 s8, s30, s8
	s_mul_hi_u32 s31, s30, s6
	s_add_u32 s8, s8, s42
	s_addc_u32 s31, 0, s31
	s_add_u32 s8, s8, s11
	s_mul_hi_u32 s7, s10, s6
	s_addc_u32 s8, s31, s9
	s_addc_u32 s7, s7, 0
	s_mul_i32 s6, s10, s6
	s_add_u32 s6, s8, s6
	s_addc_u32 s8, 0, s7
	s_add_u32 s11, s30, s6
	s_cselect_b64 s[6:7], -1, 0
	s_cmp_lg_u64 s[6:7], 0
	s_addc_u32 s10, s10, s8
	s_ashr_i32 s6, s55, 31
	v_readlane_b32 s8, v64, 23
	s_add_u32 s8, s8, s6
	s_mov_b32 s7, s6
	s_addc_u32 s9, s55, s6
	s_xor_b64 s[8:9], s[8:9], s[6:7]
	s_mul_i32 s31, s8, s10
	s_mul_hi_u32 s42, s8, s11
	s_mul_hi_u32 s30, s8, s10
	s_add_u32 s31, s42, s31
	s_addc_u32 s30, 0, s30
	s_mul_hi_u32 s43, s9, s11
	s_mul_i32 s11, s9, s11
	s_add_u32 s11, s31, s11
	s_mul_hi_u32 s42, s9, s10
	s_addc_u32 s11, s30, s43
	s_addc_u32 s30, s42, 0
	s_mul_i32 s10, s9, s10
	s_add_u32 s10, s11, s10
	s_addc_u32 s11, 0, s30
	s_mul_i32 s11, s0, s11
	s_mul_hi_u32 s30, s0, s10
	s_add_i32 s11, s30, s11
	s_mul_i32 s30, s1, s10
	s_add_i32 s42, s11, s30
	s_sub_i32 s30, s9, s42
	s_mul_i32 s10, s0, s10
	s_sub_u32 s8, s8, s10
	s_cselect_b64 s[10:11], -1, 0
	s_cmp_lg_u64 s[10:11], 0
	s_subb_u32 s43, s30, s1
	s_sub_u32 s44, s8, s0
	s_cselect_b64 s[30:31], -1, 0
	s_cmp_lg_u64 s[30:31], 0
	s_subb_u32 s45, s43, 0
	s_cmp_ge_u32 s45, s1
	s_cselect_b32 s47, -1, 0
	s_cmp_ge_u32 s44, s0
	s_cselect_b32 s48, -1, 0
	s_cmp_eq_u32 s45, s1
	s_cselect_b32 s47, s48, s47
	s_cmp_lg_u64 s[30:31], 0
	s_subb_u32 s43, s43, s1
	s_sub_u32 s48, s44, s0
	s_cselect_b64 s[30:31], -1, 0
	s_cmp_lg_u64 s[30:31], 0
	s_subb_u32 s30, s43, 0
	s_cmp_lg_u32 s47, 0
	s_cselect_b32 s31, s48, s44
	s_cselect_b32 s30, s30, s45
	s_cmp_lg_u64 s[10:11], 0
	s_subb_u32 s9, s9, s42
	s_cmp_ge_u32 s9, s1
	s_cselect_b32 s10, -1, 0
	s_cmp_ge_u32 s8, s0
	s_cselect_b32 s0, -1, 0
	s_cmp_eq_u32 s9, s1
	s_cselect_b32 s0, s0, s10
	s_cmp_lg_u32 s0, 0
	s_cselect_b32 s1, s30, s9
	s_cselect_b32 s0, s31, s8
	s_xor_b64 s[0:1], s[0:1], s[6:7]
	s_sub_u32 s0, s0, s6
	s_subb_u32 s1, s1, s6
	s_cbranch_execnz .LBB4_177
.LBB4_176:                              ;   in Loop: Header=BB4_7 Depth=1
	v_cvt_f32_u32_e32 v6, s72
	s_sub_i32 s0, 0, s72
	v_readlane_b32 s6, v64, 23
	v_rcp_iflag_f32_e32 v6, v6
	s_nop 0
	v_mul_f32_e32 v6, 0x4f7ffffe, v6
	v_cvt_u32_f32_e32 v6, v6
	s_nop 0
	v_readfirstlane_b32 s1, v6
	s_mul_i32 s0, s0, s1
	s_mul_hi_u32 s0, s1, s0
	s_add_i32 s1, s1, s0
	s_mul_hi_u32 s0, s6, s1
	s_mul_i32 s0, s0, s72
	s_sub_i32 s0, s6, s0
	s_sub_i32 s1, s0, s72
	s_cmp_ge_u32 s0, s72
	s_cselect_b32 s0, s1, s0
	s_sub_i32 s1, s0, s72
	s_cmp_ge_u32 s0, s72
	s_cselect_b32 s78, s1, s0
	s_mov_b64 s[0:1], s[78:79]
.LBB4_177:                              ;   in Loop: Header=BB4_7 Depth=1
	v_readlane_b32 s6, v64, 23
	s_sub_u32 s10, s6, s0
	s_subb_u32 s11, s55, s1
	v_cmp_gt_i64_e32 vcc, s[10:11], v[0:1]
	s_mov_b64 s[6:7], 0
	s_mov_b64 s[0:1], 0
                                        ; implicit-def: $vgpr45
	s_and_saveexec_b64 s[8:9], vcc
	s_cbranch_execz .LBB4_188
; %bb.178:                              ;   in Loop: Header=BB4_7 Depth=1
	v_mov_b64_e32 v[6:7], v[12:13]
	v_mov_b64_e32 v[8:9], v[0:1]
                                        ; implicit-def: $sgpr30_sgpr31
	s_branch .LBB4_181
.LBB4_179:                              ;   in Loop: Header=BB4_181 Depth=2
	s_or_b64 exec, exec, s[42:43]
	s_waitcnt lgkmcnt(0)
	s_barrier
	ds_read_u16 v10, v3 offset:3072
	s_mov_b64 s[42:43], -1
	s_waitcnt lgkmcnt(0)
	s_barrier
	v_cmp_ne_u32_sdwa s[44:45], v10, v3 src0_sel:BYTE_0 src1_sel:DWORD
	s_and_b64 vcc, exec, s[44:45]
	s_mov_b64 s[44:45], -1
	s_cbranch_vccz .LBB4_184
.LBB4_180:                              ;   in Loop: Header=BB4_181 Depth=2
	s_and_b64 s[42:43], exec, s[42:43]
	s_or_b64 s[0:1], s[42:43], s[0:1]
	s_andn2_b64 s[30:31], s[30:31], exec
	s_and_b64 s[42:43], s[44:45], exec
	s_or_b64 s[30:31], s[30:31], s[42:43]
	s_andn2_b64 exec, exec, s[0:1]
	s_cbranch_execz .LBB4_187
.LBB4_181:                              ;   Parent Loop BB4_7 Depth=1
                                        ; =>  This Inner Loop Header: Depth=2
	v_cmp_gt_i64_e32 vcc, s[56:57], v[8:9]
	s_and_saveexec_b64 s[42:43], vcc
	s_cbranch_execz .LBB4_179
; %bb.182:                              ;   in Loop: Header=BB4_181 Depth=2
	global_load_ubyte v10, v[6:7], off
	s_waitcnt vmcnt(0)
	v_bitop3_b32 v11, v10, s85, v44 bitop3:0x80
	v_cmp_eq_u32_e32 vcc, v11, v41
	s_and_b64 exec, exec, vcc
	s_cbranch_execz .LBB4_179
; %bb.183:                              ;   in Loop: Header=BB4_181 Depth=2
	v_lshlrev_b16_e32 v10, 8, v10
	v_or_b32_e32 v10, 1, v10
	ds_write_b16 v3, v10 offset:3072
	s_branch .LBB4_179
.LBB4_184:                              ;   in Loop: Header=BB4_181 Depth=2
	v_lshl_add_u64 v[8:9], v[8:9], 0, s[72:73]
	v_cmp_le_i64_e32 vcc, s[10:11], v[8:9]
	v_lshl_add_u64 v[6:7], v[6:7], 0, s[74:75]
	s_mov_b64 s[44:45], 0
	s_orn2_b64 s[42:43], vcc, exec
	s_branch .LBB4_180
.LBB4_185:                              ;   in Loop: Header=BB4_7 Depth=1
                                        ; implicit-def: $sgpr0_sgpr1
	s_andn2_b64 vcc, exec, s[6:7]
	s_cbranch_vccz .LBB4_130
	s_branch .LBB4_131
.LBB4_186:                              ;   in Loop: Header=BB4_7 Depth=1
                                        ; implicit-def: $sgpr6_sgpr7
	s_branch .LBB4_146
.LBB4_187:                              ;   in Loop: Header=BB4_7 Depth=1
	s_or_b64 exec, exec, s[0:1]
	v_lshrrev_b32_sdwa v45, v43, v10 dst_sel:DWORD dst_unused:UNUSED_PAD src0_sel:DWORD src1_sel:WORD_0
	s_and_b64 s[0:1], s[30:31], exec
.LBB4_188:                              ;   in Loop: Header=BB4_7 Depth=1
	s_or_b64 exec, exec, s[8:9]
.LBB4_189:                              ;   in Loop: Header=BB4_7 Depth=1
	s_and_b64 vcc, exec, s[6:7]
	s_cbranch_vccz .LBB4_203
; %bb.190:                              ;   in Loop: Header=BB4_7 Depth=1
	v_readlane_b32 s6, v64, 22
	s_add_u32 s30, s40, s6
	v_readlane_b32 s6, v64, 24
	s_addc_u32 s7, s41, s6
	s_mov_b32 s6, s79
	s_cmp_lg_u64 s[6:7], 0
	s_cbranch_scc0 .LBB4_231
; %bb.191:                              ;   in Loop: Header=BB4_7 Depth=1
	s_add_u32 s8, s72, 0
	s_addc_u32 s9, 0, 0
	s_xor_b64 s[8:9], s[8:9], 0
	v_cvt_f32_u32_e32 v6, s8
	v_cvt_f32_u32_e32 v7, s9
	s_sub_u32 s6, 0, s8
	s_subb_u32 s31, 0, s9
	v_fmac_f32_e32 v6, 0x4f800000, v7
	v_rcp_f32_e32 v6, v6
	s_nop 0
	v_mul_f32_e32 v6, 0x5f7ffffc, v6
	v_mul_f32_e32 v7, 0x2f800000, v6
	v_trunc_f32_e32 v7, v7
	v_fmac_f32_e32 v6, 0xcf800000, v7
	v_cvt_u32_f32_e32 v7, v7
	v_cvt_u32_f32_e32 v6, v6
	v_readfirstlane_b32 s34, v7
	v_readfirstlane_b32 s10, v6
	s_mul_i32 s11, s6, s34
	s_mul_hi_u32 s36, s6, s10
	s_mul_i32 s35, s31, s10
	s_add_i32 s11, s36, s11
	s_mul_i32 s37, s6, s10
	s_add_i32 s11, s11, s35
	s_mul_i32 s36, s10, s11
	s_mul_hi_u32 s42, s10, s37
	s_mul_hi_u32 s35, s10, s11
	s_add_u32 s36, s42, s36
	s_addc_u32 s35, 0, s35
	s_mul_hi_u32 s43, s34, s37
	s_mul_i32 s37, s34, s37
	s_add_u32 s36, s36, s37
	s_mul_hi_u32 s42, s34, s11
	s_addc_u32 s35, s35, s43
	s_addc_u32 s36, s42, 0
	s_mul_i32 s11, s34, s11
	s_add_u32 s11, s35, s11
	s_addc_u32 s35, 0, s36
	s_add_u32 s36, s10, s11
	s_cselect_b64 s[10:11], -1, 0
	s_cmp_lg_u64 s[10:11], 0
	s_addc_u32 s34, s34, s35
	s_mul_i32 s10, s6, s34
	s_mul_hi_u32 s11, s6, s36
	s_add_i32 s10, s11, s10
	s_mul_i32 s31, s31, s36
	s_add_i32 s10, s10, s31
	s_mul_i32 s6, s6, s36
	s_mul_hi_u32 s31, s34, s6
	s_mul_i32 s35, s34, s6
	s_mul_i32 s42, s36, s10
	s_mul_hi_u32 s6, s36, s6
	s_mul_hi_u32 s37, s36, s10
	s_add_u32 s6, s6, s42
	s_addc_u32 s37, 0, s37
	s_add_u32 s6, s6, s35
	s_mul_hi_u32 s11, s34, s10
	s_addc_u32 s6, s37, s31
	s_addc_u32 s11, s11, 0
	s_mul_i32 s10, s34, s10
	s_add_u32 s6, s6, s10
	s_addc_u32 s31, 0, s11
	s_add_u32 s6, s36, s6
	s_cselect_b64 s[10:11], -1, 0
	s_cmp_lg_u64 s[10:11], 0
	s_addc_u32 s31, s34, s31
	s_ashr_i32 s10, s7, 31
	s_add_u32 s34, s30, s10
	s_mov_b32 s11, s10
	s_addc_u32 s35, s7, s10
	s_xor_b64 s[34:35], s[34:35], s[10:11]
	s_mul_i32 s37, s34, s31
	s_mul_hi_u32 s42, s34, s6
	s_mul_hi_u32 s36, s34, s31
	s_add_u32 s37, s42, s37
	s_addc_u32 s36, 0, s36
	s_mul_hi_u32 s43, s35, s6
	s_mul_i32 s6, s35, s6
	s_add_u32 s6, s37, s6
	s_mul_hi_u32 s42, s35, s31
	s_addc_u32 s6, s36, s43
	s_addc_u32 s36, s42, 0
	s_mul_i32 s31, s35, s31
	s_add_u32 s6, s6, s31
	s_addc_u32 s31, 0, s36
	s_mul_i32 s31, s8, s31
	s_mul_hi_u32 s36, s8, s6
	s_add_i32 s31, s36, s31
	s_mul_i32 s36, s9, s6
	s_add_i32 s31, s31, s36
	s_sub_i32 s42, s35, s31
	s_mul_i32 s6, s8, s6
	s_sub_u32 s6, s34, s6
	s_cselect_b64 s[36:37], -1, 0
	s_cmp_lg_u64 s[36:37], 0
	s_subb_u32 s34, s42, s9
	s_sub_u32 s44, s6, s8
	s_cselect_b64 s[42:43], -1, 0
	s_cmp_lg_u64 s[42:43], 0
	s_subb_u32 s45, s34, 0
	s_cmp_ge_u32 s45, s9
	s_cselect_b32 s47, -1, 0
	s_cmp_ge_u32 s44, s8
	s_cselect_b32 s48, -1, 0
	s_cmp_eq_u32 s45, s9
	s_cselect_b32 s47, s48, s47
	s_cmp_lg_u64 s[42:43], 0
	s_subb_u32 s34, s34, s9
	s_sub_u32 s48, s44, s8
	s_cselect_b64 s[42:43], -1, 0
	s_cmp_lg_u64 s[42:43], 0
	s_subb_u32 s34, s34, 0
	s_cmp_lg_u32 s47, 0
	s_cselect_b32 s42, s48, s44
	s_cselect_b32 s34, s34, s45
	s_cmp_lg_u64 s[36:37], 0
	s_subb_u32 s31, s35, s31
	s_cmp_ge_u32 s31, s9
	s_cselect_b32 s35, -1, 0
	s_cmp_ge_u32 s6, s8
	s_cselect_b32 s8, -1, 0
	s_cmp_eq_u32 s31, s9
	s_cselect_b32 s8, s8, s35
	s_cmp_lg_u32 s8, 0
	s_cselect_b32 s9, s34, s31
	s_cselect_b32 s8, s42, s6
	s_xor_b64 s[8:9], s[8:9], s[10:11]
	s_sub_u32 s8, s8, s10
	s_subb_u32 s9, s9, s10
	s_cbranch_execnz .LBB4_193
.LBB4_192:                              ;   in Loop: Header=BB4_7 Depth=1
	v_cvt_f32_u32_e32 v6, s72
	s_sub_i32 s6, 0, s72
	v_rcp_iflag_f32_e32 v6, v6
	s_nop 0
	v_mul_f32_e32 v6, 0x4f7ffffe, v6
	v_cvt_u32_f32_e32 v6, v6
	s_nop 0
	v_readfirstlane_b32 s8, v6
	s_mul_i32 s6, s6, s8
	s_mul_hi_u32 s6, s8, s6
	s_add_i32 s8, s8, s6
	s_mul_hi_u32 s6, s30, s8
	s_mul_i32 s6, s6, s72
	s_sub_i32 s6, s30, s6
	s_sub_i32 s8, s6, s72
	s_cmp_ge_u32 s6, s72
	s_cselect_b32 s6, s8, s6
	s_sub_i32 s8, s6, s72
	s_cmp_ge_u32 s6, s72
	s_cselect_b32 s78, s8, s6
	s_mov_b64 s[8:9], s[78:79]
.LBB4_193:                              ;   in Loop: Header=BB4_7 Depth=1
	s_sub_u32 s8, s30, s8
	s_subb_u32 s9, s7, s9
	v_cmp_gt_i64_e32 vcc, s[8:9], v[0:1]
                                        ; implicit-def: $vgpr45
	s_and_saveexec_b64 s[6:7], vcc
	s_cbranch_execz .LBB4_202
; %bb.194:                              ;   in Loop: Header=BB4_7 Depth=1
	s_mov_b64 s[10:11], 0
	v_mov_b32_e32 v8, v0
	v_mov_b64_e32 v[6:7], v[0:1]
                                        ; implicit-def: $sgpr30_sgpr31
	s_branch .LBB4_197
.LBB4_195:                              ;   in Loop: Header=BB4_197 Depth=2
	s_or_b64 exec, exec, s[34:35]
	s_waitcnt lgkmcnt(0)
	s_barrier
	ds_read_u16 v9, v3 offset:3072
	s_mov_b64 s[34:35], -1
	s_waitcnt lgkmcnt(0)
	s_barrier
	v_cmp_eq_u32_sdwa s[36:37], v9, v3 src0_sel:BYTE_0 src1_sel:DWORD
	s_and_b64 vcc, exec, s[36:37]
	s_mov_b64 s[36:37], -1
	s_cbranch_vccnz .LBB4_200
.LBB4_196:                              ;   in Loop: Header=BB4_197 Depth=2
	s_and_b64 s[34:35], exec, s[34:35]
	s_or_b64 s[10:11], s[34:35], s[10:11]
	s_andn2_b64 s[30:31], s[30:31], exec
	s_and_b64 s[34:35], s[36:37], exec
	s_or_b64 s[30:31], s[30:31], s[34:35]
	s_andn2_b64 exec, exec, s[10:11]
	s_cbranch_execz .LBB4_201
.LBB4_197:                              ;   Parent Loop BB4_7 Depth=1
                                        ; =>  This Inner Loop Header: Depth=2
	v_cmp_gt_u64_e32 vcc, s[40:41], v[6:7]
	s_and_saveexec_b64 s[34:35], vcc
	s_cbranch_execz .LBB4_195
; %bb.198:                              ;   in Loop: Header=BB4_197 Depth=2
	ds_read_u8 v9, v8
	s_waitcnt lgkmcnt(0)
	v_bitop3_b32 v10, v9, s85, v44 bitop3:0x80
	v_cmp_eq_u32_e32 vcc, v10, v41
	s_and_b64 exec, exec, vcc
	s_cbranch_execz .LBB4_195
; %bb.199:                              ;   in Loop: Header=BB4_197 Depth=2
	v_lshlrev_b16_e32 v9, 8, v9
	v_or_b32_e32 v9, 1, v9
	ds_write_b16 v3, v9 offset:3072
	s_branch .LBB4_195
.LBB4_200:                              ;   in Loop: Header=BB4_197 Depth=2
	v_lshl_add_u64 v[6:7], v[6:7], 0, s[72:73]
	v_cmp_le_i64_e32 vcc, s[8:9], v[6:7]
	v_add_u32_e32 v8, s72, v8
	s_mov_b64 s[36:37], 0
	s_orn2_b64 s[34:35], vcc, exec
	s_branch .LBB4_196
.LBB4_201:                              ;   in Loop: Header=BB4_7 Depth=1
	s_or_b64 exec, exec, s[10:11]
	s_andn2_b64 s[0:1], s[0:1], exec
	s_and_b64 s[8:9], s[30:31], exec
	v_lshrrev_b32_sdwa v45, v43, v9 dst_sel:DWORD dst_unused:UNUSED_PAD src0_sel:DWORD src1_sel:WORD_0
	s_or_b64 s[0:1], s[0:1], s[8:9]
.LBB4_202:                              ;   in Loop: Header=BB4_7 Depth=1
	s_or_b64 exec, exec, s[6:7]
	s_mov_b64 s[34:35], 0
	s_mov_b64 s[36:37], -1
.LBB4_203:                              ;   in Loop: Header=BB4_7 Depth=1
	s_orn2_b64 s[0:1], s[0:1], exec
.LBB4_204:                              ;   in Loop: Header=BB4_7 Depth=1
	s_or_b64 exec, exec, s[38:39]
	s_mov_b64 s[6:7], 0
	s_and_saveexec_b64 s[38:39], s[0:1]
	s_cbranch_execz .LBB4_262
; %bb.205:                              ;   in Loop: Header=BB4_7 Depth=1
	s_xor_b64 s[8:9], s[12:13], -1
	v_mov_b32_e32 v2, 1
	v_mov_b64_e32 v[6:7], 1
	s_and_saveexec_b64 s[0:1], s[8:9]
	s_cbranch_execz .LBB4_214
; %bb.206:                              ;   in Loop: Header=BB4_7 Depth=1
	v_cmp_ge_i64_e32 vcc, s[22:23], v[4:5]
	s_and_saveexec_b64 s[6:7], vcc
	s_xor_b64 s[6:7], exec, s[6:7]
	s_cbranch_execz .LBB4_211
; %bb.207:                              ;   in Loop: Header=BB4_7 Depth=1
	ds_read_b64 v[6:7], v3 offset:5120
	v_and_b32_e32 v2, s46, v41
	v_lshl_or_b32 v41, 2, s84, v2
	v_or_b32_e32 v44, s52, v44
	s_waitcnt lgkmcnt(0)
	v_cmp_ne_u64_e32 vcc, 0, v[6:7]
	s_cbranch_vccnz .LBB4_211
; %bb.208:                              ;   in Loop: Header=BB4_7 Depth=1
	s_mov_b64 s[8:9], exec
	v_readlane_b32 s10, v64, 8
	v_readlane_b32 s11, v64, 9
	s_and_b64 s[10:11], s[8:9], s[10:11]
	s_mov_b64 exec, s[10:11]
; %bb.209:                              ;   in Loop: Header=BB4_7 Depth=1
	v_mov_b64_e32 v[6:7], s[22:23]
	ds_write_b64 v3, v[6:7] offset:5128
; %bb.210:                              ;   in Loop: Header=BB4_7 Depth=1
	s_or_b64 exec, exec, s[8:9]
	s_waitcnt lgkmcnt(0)
	s_barrier
.LBB4_211:                              ;   in Loop: Header=BB4_7 Depth=1
	s_or_saveexec_b64 s[6:7], s[6:7]
	s_mov_b64 s[8:9], 0
	v_mov_b32_e32 v2, 8
	s_xor_b64 exec, exec, s[6:7]
; %bb.212:                              ;   in Loop: Header=BB4_7 Depth=1
	v_mov_b32_e32 v2, s23
	v_subrev_co_u32_e32 v4, vcc, s22, v4
	s_mov_b64 s[8:9], exec
	s_nop 0
	v_subb_co_u32_e32 v5, vcc, v5, v2, vcc
	v_mov_b32_e32 v2, 0
; %bb.213:                              ;   in Loop: Header=BB4_7 Depth=1
	s_or_b64 exec, exec, s[6:7]
	s_and_b64 s[6:7], s[8:9], exec
	v_mov_b64_e32 v[6:7], v[4:5]
.LBB4_214:                              ;   in Loop: Header=BB4_7 Depth=1
	s_or_b64 exec, exec, s[0:1]
	s_mov_b64 s[0:1], -1
                                        ; implicit-def: $sgpr44_sgpr45
                                        ; implicit-def: $sgpr10_sgpr11
	s_and_saveexec_b64 s[22:23], s[6:7]
	s_cbranch_execz .LBB4_261
; %bb.215:                              ;   in Loop: Header=BB4_7 Depth=1
	s_cmp_eq_u64 s[14:15], 1
	s_cselect_b64 s[0:1], -1, 0
	v_cmp_eq_u64_e32 vcc, 1, v[6:7]
	s_and_b64 s[12:13], s[0:1], vcc
	s_mov_b64 s[6:7], -1
                                        ; implicit-def: $sgpr44_sgpr45
                                        ; implicit-def: $sgpr10_sgpr11
	s_and_saveexec_b64 s[40:41], s[12:13]
	s_cbranch_execz .LBB4_249
; %bb.216:                              ;   in Loop: Header=BB4_7 Depth=1
	ds_read_b64 v[4:5], v3 offset:5120
	s_waitcnt lgkmcnt(0)
	s_barrier
	v_readfirstlane_b32 s42, v4
	v_readfirstlane_b32 s43, v5
	s_mov_b64 s[0:1], exec
	v_readlane_b32 s6, v64, 14
	v_readlane_b32 s7, v64, 15
	s_and_b64 s[6:7], s[0:1], s[6:7]
	s_mov_b64 exec, s[6:7]
; %bb.217:                              ;   in Loop: Header=BB4_7 Depth=1
	ds_write_b8 v0, v3 offset:3072
; %bb.218:                              ;   in Loop: Header=BB4_7 Depth=1
	s_or_b64 exec, exec, s[0:1]
	v_cmp_gt_i64_e64 s[0:1], s[42:43], 0
	v_or_b32_e32 v41, s52, v41
	v_or_b32_e32 v44, s52, v44
	s_mov_b64 s[10:11], -1
	s_mov_b64 s[44:45], 0
	s_and_b64 vcc, exec, s[0:1]
	s_mov_b64 s[0:1], 0
	s_mov_b64 s[6:7], -1
	s_waitcnt lgkmcnt(0)
	s_barrier
                                        ; implicit-def: $vgpr45
	s_cbranch_vccnz .LBB4_234
; %bb.219:                              ;   in Loop: Header=BB4_7 Depth=1
	s_mov_b32 s54, s79
	s_cmp_lg_u64 s[54:55], 0
	s_cbranch_scc0 .LBB4_268
; %bb.220:                              ;   in Loop: Header=BB4_7 Depth=1
	s_add_u32 s0, s72, 0
	s_addc_u32 s1, 0, 0
	s_xor_b64 s[0:1], s[0:1], 0
	v_cvt_f32_u32_e32 v4, s0
	v_cvt_f32_u32_e32 v5, s1
	s_sub_u32 s8, 0, s0
	s_subb_u32 s9, 0, s1
	v_fmac_f32_e32 v4, 0x4f800000, v5
	v_rcp_f32_e32 v4, v4
	s_nop 0
	v_mul_f32_e32 v4, 0x5f7ffffc, v4
	v_mul_f32_e32 v5, 0x2f800000, v4
	v_trunc_f32_e32 v5, v5
	v_fmac_f32_e32 v4, 0xcf800000, v5
	v_cvt_u32_f32_e32 v5, v5
	v_cvt_u32_f32_e32 v4, v4
	v_readfirstlane_b32 s30, v5
	v_readfirstlane_b32 s6, v4
	s_mul_i32 s7, s8, s30
	s_mul_hi_u32 s46, s8, s6
	s_mul_i32 s31, s9, s6
	s_add_i32 s7, s46, s7
	s_mul_i32 s47, s8, s6
	s_add_i32 s7, s7, s31
	s_mul_i32 s46, s6, s7
	s_mul_hi_u32 s48, s6, s47
	s_mul_hi_u32 s31, s6, s7
	s_add_u32 s46, s48, s46
	s_addc_u32 s31, 0, s31
	s_mul_hi_u32 s49, s30, s47
	s_mul_i32 s47, s30, s47
	s_add_u32 s46, s46, s47
	s_mul_hi_u32 s48, s30, s7
	s_addc_u32 s31, s31, s49
	s_addc_u32 s46, s48, 0
	s_mul_i32 s7, s30, s7
	s_add_u32 s7, s31, s7
	s_addc_u32 s31, 0, s46
	s_add_u32 s46, s6, s7
	s_cselect_b64 s[6:7], -1, 0
	s_cmp_lg_u64 s[6:7], 0
	s_addc_u32 s30, s30, s31
	s_mul_i32 s6, s8, s30
	s_mul_hi_u32 s7, s8, s46
	s_add_i32 s6, s7, s6
	s_mul_i32 s9, s9, s46
	s_add_i32 s6, s6, s9
	s_mul_i32 s8, s8, s46
	s_mul_hi_u32 s9, s30, s8
	s_mul_i32 s31, s30, s8
	s_mul_i32 s48, s46, s6
	s_mul_hi_u32 s8, s46, s8
	s_mul_hi_u32 s47, s46, s6
	s_add_u32 s8, s8, s48
	s_addc_u32 s47, 0, s47
	s_add_u32 s8, s8, s31
	s_mul_hi_u32 s7, s30, s6
	s_addc_u32 s8, s47, s9
	s_addc_u32 s7, s7, 0
	s_mul_i32 s6, s30, s6
	s_add_u32 s6, s8, s6
	s_addc_u32 s8, 0, s7
	s_add_u32 s31, s46, s6
	s_cselect_b64 s[6:7], -1, 0
	s_cmp_lg_u64 s[6:7], 0
	s_addc_u32 s30, s30, s8
	s_ashr_i32 s6, s55, 31
	v_readlane_b32 s8, v64, 23
	s_add_u32 s8, s8, s6
	s_mov_b32 s7, s6
	s_addc_u32 s9, s55, s6
	s_xor_b64 s[8:9], s[8:9], s[6:7]
	s_mul_i32 s47, s8, s30
	s_mul_hi_u32 s48, s8, s31
	s_mul_hi_u32 s46, s8, s30
	s_add_u32 s47, s48, s47
	s_addc_u32 s46, 0, s46
	s_mul_hi_u32 s49, s9, s31
	s_mul_i32 s31, s9, s31
	s_add_u32 s31, s47, s31
	s_mul_hi_u32 s48, s9, s30
	s_addc_u32 s31, s46, s49
	s_addc_u32 s46, s48, 0
	s_mul_i32 s30, s9, s30
	s_add_u32 s30, s31, s30
	s_addc_u32 s31, 0, s46
	s_mul_i32 s31, s0, s31
	s_mul_hi_u32 s46, s0, s30
	s_add_i32 s31, s46, s31
	s_mul_i32 s46, s1, s30
	s_add_i32 s48, s31, s46
	s_sub_i32 s46, s9, s48
	s_mul_i32 s30, s0, s30
	s_sub_u32 s8, s8, s30
	s_cselect_b64 s[30:31], -1, 0
	s_cmp_lg_u64 s[30:31], 0
	s_subb_u32 s49, s46, s1
	s_sub_u32 s50, s8, s0
	s_cselect_b64 s[46:47], -1, 0
	s_cmp_lg_u64 s[46:47], 0
	s_subb_u32 s51, s49, 0
	s_cmp_ge_u32 s51, s1
	s_cselect_b32 s53, -1, 0
	s_cmp_ge_u32 s50, s0
	s_cselect_b32 s54, -1, 0
	s_cmp_eq_u32 s51, s1
	s_cselect_b32 s53, s54, s53
	s_cmp_lg_u64 s[46:47], 0
	s_subb_u32 s49, s49, s1
	s_sub_u32 s54, s50, s0
	s_cselect_b64 s[46:47], -1, 0
	s_cmp_lg_u64 s[46:47], 0
	s_subb_u32 s46, s49, 0
	s_cmp_lg_u32 s53, 0
	s_cselect_b32 s47, s54, s50
	s_cselect_b32 s46, s46, s51
	s_cmp_lg_u64 s[30:31], 0
	s_subb_u32 s9, s9, s48
	s_cmp_ge_u32 s9, s1
	s_cselect_b32 s30, -1, 0
	s_cmp_ge_u32 s8, s0
	s_cselect_b32 s0, -1, 0
	s_cmp_eq_u32 s9, s1
	s_cselect_b32 s0, s0, s30
	s_cmp_lg_u32 s0, 0
	s_cselect_b32 s1, s46, s9
	s_cselect_b32 s0, s47, s8
	s_xor_b64 s[0:1], s[0:1], s[6:7]
	s_sub_u32 s0, s0, s6
	s_subb_u32 s1, s1, s6
	s_cbranch_execnz .LBB4_222
.LBB4_221:                              ;   in Loop: Header=BB4_7 Depth=1
	v_cvt_f32_u32_e32 v4, s72
	s_sub_i32 s0, 0, s72
	v_readlane_b32 s6, v64, 23
	v_rcp_iflag_f32_e32 v4, v4
	s_nop 0
	v_mul_f32_e32 v4, 0x4f7ffffe, v4
	v_cvt_u32_f32_e32 v4, v4
	s_nop 0
	v_readfirstlane_b32 s1, v4
	s_mul_i32 s0, s0, s1
	s_mul_hi_u32 s0, s1, s0
	s_add_i32 s1, s1, s0
	s_mul_hi_u32 s0, s6, s1
	s_mul_i32 s0, s0, s72
	s_sub_i32 s0, s6, s0
	s_sub_i32 s1, s0, s72
	s_cmp_ge_u32 s0, s72
	s_cselect_b32 s0, s1, s0
	s_sub_i32 s1, s0, s72
	s_cmp_ge_u32 s0, s72
	s_cselect_b32 s78, s1, s0
	s_mov_b64 s[0:1], s[78:79]
.LBB4_222:                              ;   in Loop: Header=BB4_7 Depth=1
	v_readlane_b32 s6, v64, 23
	s_sub_u32 s30, s6, s0
	s_subb_u32 s31, s55, s1
	v_cmp_gt_i64_e32 vcc, s[30:31], v[0:1]
	s_mov_b64 s[6:7], 0
	s_mov_b64 s[0:1], 0
                                        ; implicit-def: $vgpr45
	s_and_saveexec_b64 s[8:9], vcc
	s_cbranch_execz .LBB4_233
; %bb.223:                              ;   in Loop: Header=BB4_7 Depth=1
	v_mov_b64_e32 v[4:5], v[12:13]
	v_mov_b64_e32 v[8:9], v[0:1]
                                        ; implicit-def: $sgpr46_sgpr47
	s_branch .LBB4_226
.LBB4_224:                              ;   in Loop: Header=BB4_226 Depth=2
	s_or_b64 exec, exec, s[48:49]
	s_waitcnt lgkmcnt(0)
	s_barrier
	ds_read_u16 v10, v3 offset:3072
	s_mov_b64 s[48:49], -1
	s_waitcnt lgkmcnt(0)
	s_barrier
	v_cmp_ne_u32_sdwa s[50:51], v10, v3 src0_sel:BYTE_0 src1_sel:DWORD
	s_and_b64 vcc, exec, s[50:51]
	s_mov_b64 s[50:51], -1
	s_cbranch_vccz .LBB4_229
.LBB4_225:                              ;   in Loop: Header=BB4_226 Depth=2
	s_and_b64 s[48:49], exec, s[48:49]
	s_or_b64 s[0:1], s[48:49], s[0:1]
	s_andn2_b64 s[46:47], s[46:47], exec
	s_and_b64 s[48:49], s[50:51], exec
	s_or_b64 s[46:47], s[46:47], s[48:49]
	s_andn2_b64 exec, exec, s[0:1]
	s_cbranch_execz .LBB4_232
.LBB4_226:                              ;   Parent Loop BB4_7 Depth=1
                                        ; =>  This Inner Loop Header: Depth=2
	v_cmp_gt_i64_e32 vcc, s[56:57], v[8:9]
	s_and_saveexec_b64 s[48:49], vcc
	s_cbranch_execz .LBB4_224
; %bb.227:                              ;   in Loop: Header=BB4_226 Depth=2
	global_load_ubyte v10, v[4:5], off
	s_waitcnt vmcnt(0)
	v_bitop3_b32 v11, v10, s85, v44 bitop3:0x80
	v_cmp_eq_u32_e32 vcc, v11, v41
	s_and_b64 exec, exec, vcc
	s_cbranch_execz .LBB4_224
; %bb.228:                              ;   in Loop: Header=BB4_226 Depth=2
	v_lshlrev_b16_e32 v10, 8, v10
	v_or_b32_e32 v10, 1, v10
	ds_write_b16 v3, v10 offset:3072
	s_branch .LBB4_224
.LBB4_229:                              ;   in Loop: Header=BB4_226 Depth=2
	v_lshl_add_u64 v[8:9], v[8:9], 0, s[72:73]
	v_cmp_le_i64_e32 vcc, s[30:31], v[8:9]
	v_lshl_add_u64 v[4:5], v[4:5], 0, s[74:75]
	s_mov_b64 s[50:51], 0
	s_orn2_b64 s[48:49], vcc, exec
	s_branch .LBB4_225
.LBB4_230:                              ;   in Loop: Header=BB4_7 Depth=1
                                        ; implicit-def: $sgpr0_sgpr1
	s_andn2_b64 vcc, exec, s[6:7]
	s_cbranch_vccz .LBB4_176
	s_branch .LBB4_177
.LBB4_231:                              ;   in Loop: Header=BB4_7 Depth=1
                                        ; implicit-def: $sgpr8_sgpr9
	s_branch .LBB4_192
.LBB4_232:                              ;   in Loop: Header=BB4_7 Depth=1
	s_or_b64 exec, exec, s[0:1]
	v_lshrrev_b32_sdwa v45, v43, v10 dst_sel:DWORD dst_unused:UNUSED_PAD src0_sel:DWORD src1_sel:WORD_0
	s_and_b64 s[0:1], s[46:47], exec
.LBB4_233:                              ;   in Loop: Header=BB4_7 Depth=1
	s_or_b64 exec, exec, s[8:9]
	v_readlane_b32 s49, v64, 42
	v_readlane_b32 s50, v64, 43
	s_mov_b32 s51, 0xc0c0004
.LBB4_234:                              ;   in Loop: Header=BB4_7 Depth=1
	s_and_b64 vcc, exec, s[6:7]
	s_cbranch_vccz .LBB4_248
; %bb.235:                              ;   in Loop: Header=BB4_7 Depth=1
	v_readlane_b32 s6, v64, 22
	s_add_u32 s30, s42, s6
	v_readlane_b32 s6, v64, 24
	s_addc_u32 s7, s43, s6
	s_mov_b32 s6, s79
	s_cmp_lg_u64 s[6:7], 0
	s_cbranch_scc0 .LBB4_269
; %bb.236:                              ;   in Loop: Header=BB4_7 Depth=1
	s_add_u32 s8, s72, 0
	s_addc_u32 s9, 0, 0
	s_xor_b64 s[8:9], s[8:9], 0
	v_cvt_f32_u32_e32 v4, s8
	v_cvt_f32_u32_e32 v5, s9
	s_sub_u32 s6, 0, s8
	s_subb_u32 s31, 0, s9
	v_fmac_f32_e32 v4, 0x4f800000, v5
	v_rcp_f32_e32 v4, v4
	s_nop 0
	v_mul_f32_e32 v4, 0x5f7ffffc, v4
	v_mul_f32_e32 v5, 0x2f800000, v4
	v_trunc_f32_e32 v5, v5
	v_fmac_f32_e32 v4, 0xcf800000, v5
	v_cvt_u32_f32_e32 v5, v5
	v_cvt_u32_f32_e32 v4, v4
	v_readfirstlane_b32 s44, v5
	v_readfirstlane_b32 s10, v4
	s_mul_i32 s11, s6, s44
	s_mul_hi_u32 s46, s6, s10
	s_mul_i32 s45, s31, s10
	s_add_i32 s11, s46, s11
	s_mul_i32 s47, s6, s10
	s_add_i32 s11, s11, s45
	s_mul_i32 s46, s10, s11
	s_mul_hi_u32 s48, s10, s47
	s_mul_hi_u32 s45, s10, s11
	s_add_u32 s46, s48, s46
	s_addc_u32 s45, 0, s45
	s_mul_hi_u32 s49, s44, s47
	s_mul_i32 s47, s44, s47
	s_add_u32 s46, s46, s47
	s_mul_hi_u32 s48, s44, s11
	s_addc_u32 s45, s45, s49
	s_addc_u32 s46, s48, 0
	s_mul_i32 s11, s44, s11
	s_add_u32 s11, s45, s11
	s_addc_u32 s45, 0, s46
	s_add_u32 s46, s10, s11
	s_cselect_b64 s[10:11], -1, 0
	s_cmp_lg_u64 s[10:11], 0
	s_addc_u32 s44, s44, s45
	s_mul_i32 s10, s6, s44
	s_mul_hi_u32 s11, s6, s46
	s_add_i32 s10, s11, s10
	s_mul_i32 s31, s31, s46
	s_add_i32 s10, s10, s31
	s_mul_i32 s6, s6, s46
	s_mul_hi_u32 s31, s44, s6
	s_mul_i32 s45, s44, s6
	s_mul_i32 s48, s46, s10
	s_mul_hi_u32 s6, s46, s6
	s_mul_hi_u32 s47, s46, s10
	s_add_u32 s6, s6, s48
	s_addc_u32 s47, 0, s47
	s_add_u32 s6, s6, s45
	s_mul_hi_u32 s11, s44, s10
	s_addc_u32 s6, s47, s31
	s_addc_u32 s11, s11, 0
	s_mul_i32 s10, s44, s10
	s_add_u32 s6, s6, s10
	s_addc_u32 s31, 0, s11
	s_add_u32 s6, s46, s6
	s_cselect_b64 s[10:11], -1, 0
	s_cmp_lg_u64 s[10:11], 0
	s_addc_u32 s31, s44, s31
	s_ashr_i32 s10, s7, 31
	s_add_u32 s44, s30, s10
	s_mov_b32 s11, s10
	s_addc_u32 s45, s7, s10
	s_xor_b64 s[44:45], s[44:45], s[10:11]
	s_mul_i32 s47, s44, s31
	s_mul_hi_u32 s48, s44, s6
	s_mul_hi_u32 s46, s44, s31
	s_add_u32 s47, s48, s47
	s_addc_u32 s46, 0, s46
	s_mul_hi_u32 s49, s45, s6
	s_mul_i32 s6, s45, s6
	s_add_u32 s6, s47, s6
	s_mul_hi_u32 s48, s45, s31
	s_addc_u32 s6, s46, s49
	s_addc_u32 s46, s48, 0
	s_mul_i32 s31, s45, s31
	s_add_u32 s6, s6, s31
	s_addc_u32 s31, 0, s46
	s_mul_i32 s31, s8, s31
	s_mul_hi_u32 s46, s8, s6
	s_add_i32 s31, s46, s31
	s_mul_i32 s46, s9, s6
	s_add_i32 s31, s31, s46
	s_sub_i32 s48, s45, s31
	s_mul_i32 s6, s8, s6
	s_sub_u32 s6, s44, s6
	s_cselect_b64 s[46:47], -1, 0
	s_cmp_lg_u64 s[46:47], 0
	s_subb_u32 s44, s48, s9
	s_sub_u32 s50, s6, s8
	s_cselect_b64 s[48:49], -1, 0
	s_cmp_lg_u64 s[48:49], 0
	s_subb_u32 s51, s44, 0
	s_cmp_ge_u32 s51, s9
	s_cselect_b32 s53, -1, 0
	s_cmp_ge_u32 s50, s8
	s_cselect_b32 s54, -1, 0
	s_cmp_eq_u32 s51, s9
	s_cselect_b32 s53, s54, s53
	s_cmp_lg_u64 s[48:49], 0
	s_subb_u32 s44, s44, s9
	s_sub_u32 s54, s50, s8
	s_cselect_b64 s[48:49], -1, 0
	s_cmp_lg_u64 s[48:49], 0
	s_subb_u32 s44, s44, 0
	s_cmp_lg_u32 s53, 0
	s_cselect_b32 s48, s54, s50
	s_cselect_b32 s44, s44, s51
	s_cmp_lg_u64 s[46:47], 0
	s_subb_u32 s31, s45, s31
	s_cmp_ge_u32 s31, s9
	s_cselect_b32 s45, -1, 0
	s_cmp_ge_u32 s6, s8
	s_cselect_b32 s8, -1, 0
	s_cmp_eq_u32 s31, s9
	s_cselect_b32 s8, s8, s45
	s_cmp_lg_u32 s8, 0
	s_cselect_b32 s9, s44, s31
	s_cselect_b32 s8, s48, s6
	s_xor_b64 s[8:9], s[8:9], s[10:11]
	s_sub_u32 s8, s8, s10
	v_readlane_b32 s49, v64, 42
	v_readlane_b32 s50, v64, 43
	s_mov_b32 s51, 0xc0c0004
	s_subb_u32 s9, s9, s10
	s_cbranch_execnz .LBB4_238
.LBB4_237:                              ;   in Loop: Header=BB4_7 Depth=1
	v_cvt_f32_u32_e32 v4, s72
	s_sub_i32 s6, 0, s72
	v_rcp_iflag_f32_e32 v4, v4
	s_nop 0
	v_mul_f32_e32 v4, 0x4f7ffffe, v4
	v_cvt_u32_f32_e32 v4, v4
	s_nop 0
	v_readfirstlane_b32 s8, v4
	s_mul_i32 s6, s6, s8
	s_mul_hi_u32 s6, s8, s6
	s_add_i32 s8, s8, s6
	s_mul_hi_u32 s6, s30, s8
	s_mul_i32 s6, s6, s72
	s_sub_i32 s6, s30, s6
	s_sub_i32 s8, s6, s72
	s_cmp_ge_u32 s6, s72
	s_cselect_b32 s6, s8, s6
	s_sub_i32 s8, s6, s72
	s_cmp_ge_u32 s6, s72
	s_cselect_b32 s78, s8, s6
	s_mov_b64 s[8:9], s[78:79]
.LBB4_238:                              ;   in Loop: Header=BB4_7 Depth=1
	s_sub_u32 s8, s30, s8
	s_subb_u32 s9, s7, s9
	v_cmp_gt_i64_e32 vcc, s[8:9], v[0:1]
                                        ; implicit-def: $vgpr45
	s_and_saveexec_b64 s[6:7], vcc
	s_cbranch_execz .LBB4_247
; %bb.239:                              ;   in Loop: Header=BB4_7 Depth=1
	s_mov_b64 s[10:11], 0
	v_mov_b32_e32 v8, v0
	v_mov_b64_e32 v[4:5], v[0:1]
                                        ; implicit-def: $sgpr30_sgpr31
	s_branch .LBB4_242
.LBB4_240:                              ;   in Loop: Header=BB4_242 Depth=2
	s_or_b64 exec, exec, s[44:45]
	s_waitcnt lgkmcnt(0)
	s_barrier
	ds_read_u16 v9, v3 offset:3072
	s_mov_b64 s[44:45], -1
	s_waitcnt lgkmcnt(0)
	s_barrier
	v_cmp_eq_u32_sdwa s[46:47], v9, v3 src0_sel:BYTE_0 src1_sel:DWORD
	s_and_b64 vcc, exec, s[46:47]
	s_mov_b64 s[46:47], -1
	s_cbranch_vccnz .LBB4_245
.LBB4_241:                              ;   in Loop: Header=BB4_242 Depth=2
	s_and_b64 s[44:45], exec, s[44:45]
	s_or_b64 s[10:11], s[44:45], s[10:11]
	s_andn2_b64 s[30:31], s[30:31], exec
	s_and_b64 s[44:45], s[46:47], exec
	s_or_b64 s[30:31], s[30:31], s[44:45]
	s_andn2_b64 exec, exec, s[10:11]
	s_cbranch_execz .LBB4_246
.LBB4_242:                              ;   Parent Loop BB4_7 Depth=1
                                        ; =>  This Inner Loop Header: Depth=2
	v_cmp_gt_u64_e32 vcc, s[42:43], v[4:5]
	s_and_saveexec_b64 s[44:45], vcc
	s_cbranch_execz .LBB4_240
; %bb.243:                              ;   in Loop: Header=BB4_242 Depth=2
	ds_read_u8 v9, v8
	s_waitcnt lgkmcnt(0)
	v_bitop3_b32 v10, v9, s85, v44 bitop3:0x80
	v_cmp_eq_u32_e32 vcc, v10, v41
	s_and_b64 exec, exec, vcc
	s_cbranch_execz .LBB4_240
; %bb.244:                              ;   in Loop: Header=BB4_242 Depth=2
	v_lshlrev_b16_e32 v9, 8, v9
	v_or_b32_e32 v9, 1, v9
	ds_write_b16 v3, v9 offset:3072
	s_branch .LBB4_240
.LBB4_245:                              ;   in Loop: Header=BB4_242 Depth=2
	v_lshl_add_u64 v[4:5], v[4:5], 0, s[72:73]
	v_cmp_le_i64_e32 vcc, s[8:9], v[4:5]
	v_add_u32_e32 v8, s72, v8
	s_mov_b64 s[46:47], 0
	s_orn2_b64 s[44:45], vcc, exec
	s_branch .LBB4_241
.LBB4_246:                              ;   in Loop: Header=BB4_7 Depth=1
	s_or_b64 exec, exec, s[10:11]
	s_andn2_b64 s[0:1], s[0:1], exec
	s_and_b64 s[8:9], s[30:31], exec
	v_lshrrev_b32_sdwa v45, v43, v9 dst_sel:DWORD dst_unused:UNUSED_PAD src0_sel:DWORD src1_sel:WORD_0
	s_or_b64 s[0:1], s[0:1], s[8:9]
.LBB4_247:                              ;   in Loop: Header=BB4_7 Depth=1
	s_or_b64 exec, exec, s[6:7]
	s_mov_b64 s[10:11], 0
	s_mov_b64 s[44:45], -1
.LBB4_248:                              ;   in Loop: Header=BB4_7 Depth=1
	s_orn2_b64 s[6:7], s[0:1], exec
.LBB4_249:                              ;   in Loop: Header=BB4_7 Depth=1
	s_or_b64 exec, exec, s[40:41]
	s_mov_b64 s[8:9], 0
	s_and_saveexec_b64 s[0:1], s[6:7]
	s_cbranch_execz .LBB4_260
; %bb.250:                              ;   in Loop: Header=BB4_7 Depth=1
	s_xor_b64 s[8:9], s[12:13], -1
	v_mov_b64_e32 v[4:5], 1
	v_mov_b32_e32 v2, 1
	s_and_saveexec_b64 s[6:7], s[8:9]
	s_cbranch_execz .LBB4_259
; %bb.251:                              ;   in Loop: Header=BB4_7 Depth=1
	v_cmp_ge_i64_e32 vcc, s[14:15], v[6:7]
	s_and_saveexec_b64 s[8:9], vcc
	s_xor_b64 s[8:9], exec, s[8:9]
	s_cbranch_execz .LBB4_256
; %bb.252:                              ;   in Loop: Header=BB4_7 Depth=1
	ds_read_b64 v[4:5], v3 offset:5120
	v_or_b32_e32 v41, s52, v41
	v_or_b32_e32 v44, s52, v44
	s_waitcnt lgkmcnt(0)
	v_cmp_ne_u64_e32 vcc, 0, v[4:5]
	s_cbranch_vccnz .LBB4_256
; %bb.253:                              ;   in Loop: Header=BB4_7 Depth=1
	s_mov_b64 s[12:13], exec
	v_readlane_b32 s30, v64, 8
	v_readlane_b32 s31, v64, 9
	s_and_b64 s[30:31], s[12:13], s[30:31]
	s_mov_b64 exec, s[30:31]
; %bb.254:                              ;   in Loop: Header=BB4_7 Depth=1
	v_mov_b64_e32 v[4:5], s[14:15]
	ds_write_b64 v3, v[4:5] offset:5128
; %bb.255:                              ;   in Loop: Header=BB4_7 Depth=1
	s_or_b64 exec, exec, s[12:13]
	s_waitcnt lgkmcnt(0)
	s_barrier
.LBB4_256:                              ;   in Loop: Header=BB4_7 Depth=1
	s_andn2_saveexec_b64 s[8:9], s[8:9]
; %bb.257:                              ;   in Loop: Header=BB4_7 Depth=1
	v_mov_b32_e32 v2, s15
	v_subrev_co_u32_e32 v6, vcc, s14, v6
	s_nop 1
	v_subb_co_u32_e32 v7, vcc, v7, v2, vcc
; %bb.258:                              ;   in Loop: Header=BB4_7 Depth=1
	s_or_b64 exec, exec, s[8:9]
	v_mov_b32_e32 v2, 8
	v_mov_b64_e32 v[4:5], v[6:7]
.LBB4_259:                              ;   in Loop: Header=BB4_7 Depth=1
	s_or_b64 exec, exec, s[6:7]
	s_mov_b64 s[8:9], exec
	v_mov_b64_e32 v[6:7], v[4:5]
.LBB4_260:                              ;   in Loop: Header=BB4_7 Depth=1
	s_or_b64 exec, exec, s[0:1]
	s_orn2_b64 s[0:1], s[8:9], exec
.LBB4_261:                              ;   in Loop: Header=BB4_7 Depth=1
	s_or_b64 exec, exec, s[22:23]
	s_andn2_b64 s[6:7], s[36:37], exec
	s_and_b64 s[8:9], s[44:45], exec
	s_or_b64 s[36:37], s[6:7], s[8:9]
	s_andn2_b64 s[6:7], s[34:35], exec
	s_and_b64 s[8:9], s[10:11], exec
	s_or_b64 s[34:35], s[6:7], s[8:9]
	s_and_b64 s[6:7], s[0:1], exec
	v_mov_b64_e32 v[4:5], v[6:7]
.LBB4_262:                              ;   in Loop: Header=BB4_7 Depth=1
	s_or_b64 exec, exec, s[38:39]
	s_orn2_b64 s[0:1], s[6:7], exec
.LBB4_263:                              ;   in Loop: Header=BB4_7 Depth=1
	s_or_b64 exec, exec, s[28:29]
	s_andn2_b64 s[6:7], s[24:25], exec
	s_and_b64 s[8:9], s[36:37], exec
	s_or_b64 s[24:25], s[6:7], s[8:9]
	s_andn2_b64 s[2:3], s[2:3], exec
	s_and_b64 s[6:7], s[34:35], exec
	s_or_b64 s[2:3], s[2:3], s[6:7]
	s_and_b64 s[6:7], s[0:1], exec
	v_mov_b64_e32 v[8:9], v[4:5]
.LBB4_264:                              ;   in Loop: Header=BB4_7 Depth=1
	s_or_b64 exec, exec, s[26:27]
	s_orn2_b64 s[0:1], s[6:7], exec
.LBB4_265:                              ;   in Loop: Header=BB4_7 Depth=1
	s_or_b64 exec, exec, s[20:21]
	s_mov_b64 s[6:7], 0
	s_and_saveexec_b64 s[8:9], s[0:1]
	s_xor_b64 s[0:1], exec, s[8:9]
	s_cbranch_execz .LBB4_5
; %bb.266:                              ;   in Loop: Header=BB4_7 Depth=1
	v_and_b32_e32 v2, 7, v2
	v_cmp_eq_u32_e32 vcc, 0, v2
	s_mov_b64 s[8:9], -1
	s_mov_b64 s[6:7], -1
	s_and_saveexec_b64 s[10:11], vcc
	s_cbranch_execz .LBB4_4
; %bb.267:                              ;   in Loop: Header=BB4_7 Depth=1
	s_xor_b32 s65, s65, 1
	s_add_i32 s12, s84, -2
	s_cmp_eq_u32 s84, 0
	s_cselect_b64 s[8:9], -1, 0
	s_xor_b64 s[6:7], exec, -1
	s_orn2_b64 s[8:9], s[8:9], exec
	s_mov_b32 s84, s12
	s_branch .LBB4_4
.LBB4_268:                              ;   in Loop: Header=BB4_7 Depth=1
                                        ; implicit-def: $sgpr0_sgpr1
	s_andn2_b64 vcc, exec, s[6:7]
	s_cbranch_vccz .LBB4_221
	s_branch .LBB4_222
.LBB4_269:                              ;   in Loop: Header=BB4_7 Depth=1
                                        ; implicit-def: $sgpr8_sgpr9
	s_branch .LBB4_237
.LBB4_270:
	s_or_b64 exec, exec, s[94:95]
	s_xor_b64 s[6:7], s[98:99], -1
	s_xor_b64 s[0:1], s[58:59], -1
	;; [unrolled: 1-line block ×3, first 2 shown]
	s_mov_b64 s[2:3], 0
	s_and_saveexec_b64 s[8:9], s[0:1]
	s_xor_b64 s[0:1], exec, s[8:9]
	s_cbranch_execnz .LBB4_275
; %bb.271:
	s_andn2_saveexec_b64 s[0:1], s[0:1]
	s_cbranch_execnz .LBB4_297
.LBB4_272:
	s_or_b64 exec, exec, s[0:1]
	s_and_saveexec_b64 s[0:1], s[2:3]
.LBB4_273:
	; divergent unreachable
.LBB4_274:
	s_endpgm
.LBB4_275:
	s_and_saveexec_b64 s[2:3], s[6:7]
	s_xor_b64 s[2:3], exec, s[2:3]
	s_cbranch_execz .LBB4_295
; %bb.276:
	s_and_saveexec_b64 s[6:7], s[4:5]
	s_xor_b64 s[4:5], exec, s[6:7]
; %bb.277:
	v_mov_b32_e32 v45, v41
; %bb.278:
	s_or_b64 exec, exec, s[4:5]
	s_mov_b64 s[4:5], exec
	v_readlane_b32 s6, v64, 8
	v_readlane_b32 s7, v64, 9
	s_and_b64 s[6:7], s[4:5], s[6:7]
	v_readlane_b32 s24, v64, 10
	v_readlane_b32 s25, v64, 11
	s_mov_b64 exec, s[6:7]
; %bb.279:
	v_mov_b32_e32 v2, 0
	v_mov_b32_e32 v3, s56
	ds_write_b32 v2, v3 offset:5140
; %bb.280:
	s_or_b64 exec, exec, s[4:5]
	s_waitcnt lgkmcnt(0)
	s_barrier
	s_mov_b64 s[4:5], exec
	v_readlane_b32 s6, v64, 18
	v_readlane_b32 s7, v64, 19
	s_and_b64 s[6:7], s[4:5], s[6:7]
	s_mov_b64 exec, s[6:7]
	s_cbranch_execz .LBB4_292
; %bb.281:
	v_mov_b32_e32 v2, 0
	ds_read_b32 v4, v2 offset:5140
	s_mov_b64 s[6:7], 0
                                        ; implicit-def: $sgpr8_sgpr9
                                        ; implicit-def: $sgpr10_sgpr11
                                        ; implicit-def: $sgpr12_sgpr13
	s_waitcnt lgkmcnt(0)
	v_ashrrev_i32_e32 v5, 31, v4
	s_branch .LBB4_284
.LBB4_282:                              ;   in Loop: Header=BB4_284 Depth=1
	s_or_b64 exec, exec, s[20:21]
	s_andn2_b64 s[12:13], s[12:13], exec
	s_and_b64 s[18:19], s[18:19], exec
	s_andn2_b64 s[10:11], s[10:11], exec
	s_and_b64 s[16:17], s[16:17], exec
	s_or_b64 s[12:13], s[12:13], s[18:19]
	s_or_b64 s[10:11], s[10:11], s[16:17]
.LBB4_283:                              ;   in Loop: Header=BB4_284 Depth=1
	s_or_b64 exec, exec, s[14:15]
	s_and_b64 s[14:15], exec, s[10:11]
	s_or_b64 s[6:7], s[14:15], s[6:7]
	s_andn2_b64 s[8:9], s[8:9], exec
	s_and_b64 s[14:15], s[12:13], exec
	s_or_b64 s[8:9], s[8:9], s[14:15]
	s_andn2_b64 exec, exec, s[6:7]
	s_cbranch_execz .LBB4_287
.LBB4_284:                              ; =>This Inner Loop Header: Depth=1
	v_mov_b64_e32 v[2:3], v[0:1]
	v_cmp_lt_i64_e32 vcc, v[2:3], v[4:5]
	s_or_b64 s[12:13], s[12:13], exec
	s_or_b64 s[10:11], s[10:11], exec
                                        ; implicit-def: $vgpr0_vgpr1
	s_and_saveexec_b64 s[14:15], vcc
	s_cbranch_execz .LBB4_283
; %bb.285:                              ;   in Loop: Header=BB4_284 Depth=1
	global_load_ubyte v0, v[12:13], off
	s_mov_b64 s[16:17], -1
	s_mov_b64 s[18:19], 0
	s_waitcnt vmcnt(0)
	v_cmp_ne_u16_sdwa s[22:23], v0, v45 src0_sel:DWORD src1_sel:BYTE_0
                                        ; implicit-def: $vgpr0_vgpr1
	s_and_saveexec_b64 s[20:21], s[22:23]
	s_cbranch_execz .LBB4_282
; %bb.286:                              ;   in Loop: Header=BB4_284 Depth=1
	v_lshl_add_u64 v[0:1], v[2:3], 0, s[72:73]
	v_cmp_le_i64_e32 vcc, s[56:57], v[0:1]
	s_mov_b64 s[18:19], exec
	v_lshl_add_u64 v[12:13], v[12:13], 0, s[74:75]
	s_orn2_b64 s[16:17], vcc, exec
	s_branch .LBB4_282
.LBB4_287:
	s_or_b64 exec, exec, s[6:7]
	s_xor_b64 s[6:7], s[8:9], -1
	s_and_saveexec_b64 s[8:9], s[6:7]
	s_xor_b64 s[8:9], exec, s[8:9]
	s_cbranch_execz .LBB4_292
; %bb.288:
	s_mov_b64 s[6:7], exec
	s_brev_b32 s8, -2
.LBB4_289:                              ; =>This Inner Loop Header: Depth=1
	s_ff1_i32_b64 s9, s[6:7]
	v_readlane_b32 s12, v2, s9
	s_lshl_b64 s[10:11], 1, s9
	s_min_i32 s8, s8, s12
	s_andn2_b64 s[6:7], s[6:7], s[10:11]
	s_cmp_lg_u64 s[6:7], 0
	s_cbranch_scc1 .LBB4_289
; %bb.290:
	v_mbcnt_lo_u32_b32 v0, exec_lo, 0
	v_mbcnt_hi_u32_b32 v0, exec_hi, v0
	v_cmp_eq_u32_e32 vcc, 0, v0
	s_and_saveexec_b64 s[6:7], vcc
	s_xor_b64 s[6:7], exec, s[6:7]
; %bb.291:
	v_mov_b32_e32 v0, 0
	v_mov_b32_e32 v1, s8
	ds_min_i32 v0, v1 offset:5140
.LBB4_292:
	s_or_b64 exec, exec, s[4:5]
	s_waitcnt lgkmcnt(0)
	s_barrier
	s_mov_b64 s[4:5], exec
	v_readlane_b32 s6, v64, 8
	v_readlane_b32 s7, v64, 9
	s_and_b64 s[6:7], s[4:5], s[6:7]
	s_mov_b64 exec, s[6:7]
	s_cbranch_execz .LBB4_294
; %bb.293:
	v_readlane_b32 s8, v64, 4
	v_readlane_b32 s9, v64, 5
	;; [unrolled: 1-line block ×3, first 2 shown]
	s_mul_i32 s6, s9, s24
	s_mul_hi_u32 s7, s8, s24
	v_readlane_b32 s11, v64, 1
	v_mov_b32_e32 v2, 0
	s_add_i32 s9, s7, s6
	s_mul_i32 s6, s11, s24
	s_mul_hi_u32 s7, s10, s24
	ds_read_b32 v0, v2 offset:5140
	s_mul_i32 s8, s8, s24
	s_add_i32 s7, s7, s6
	s_mul_i32 s6, s10, s24
	v_readlane_b32 s10, v64, 6
	v_readlane_b32 s11, v64, 7
	s_add_u32 s8, s10, s8
	s_addc_u32 s9, s11, s9
	s_lshl_b64 s[6:7], s[6:7], 3
	v_readlane_b32 s10, v64, 2
	v_readlane_b32 s11, v64, 3
	s_add_u32 s6, s10, s6
	s_addc_u32 s7, s11, s7
	s_waitcnt lgkmcnt(0)
	v_ashrrev_i32_e32 v1, 31, v0
	global_store_dwordx2 v2, v[0:1], s[6:7]
	global_store_byte v2, v45, s[8:9]
.LBB4_294:
	s_or_b64 exec, exec, s[4:5]
.LBB4_295:
	s_or_saveexec_b64 s[2:3], s[2:3]
	s_mov_b64 s[4:5], 0
	s_xor_b64 exec, exec, s[2:3]
	s_cbranch_execnz .LBB4_298
.LBB4_296:
	s_or_b64 exec, exec, s[2:3]
	s_and_b64 s[2:3], s[4:5], exec
	s_andn2_saveexec_b64 s[0:1], s[0:1]
	s_cbranch_execz .LBB4_272
.LBB4_297:
	s_or_b64 s[2:3], s[2:3], exec
	s_trap 2
	s_or_b64 exec, exec, s[0:1]
	s_and_saveexec_b64 s[0:1], s[2:3]
	s_cbranch_execnz .LBB4_273
	s_branch .LBB4_274
.LBB4_298:
	s_mov_b64 s[4:5], exec
	s_trap 2
	s_branch .LBB4_296
	.section	.rodata,"a",@progbits
	.p2align	6, 0x0
	.amdhsa_kernel _ZN2at6native12_GLOBAL__N_114gatherKthValueIhlLi1EEEvNS_4cuda6detail10TensorInfoIKT_T0_EES8_S8_S8_S8_NS5_IS6_S8_EENS5_IlS8_EE
		.amdhsa_group_segment_fixed_size 5144
		.amdhsa_private_segment_fixed_size 0
		.amdhsa_kernarg_size 1536
		.amdhsa_user_sgpr_count 2
		.amdhsa_user_sgpr_dispatch_ptr 0
		.amdhsa_user_sgpr_queue_ptr 0
		.amdhsa_user_sgpr_kernarg_segment_ptr 1
		.amdhsa_user_sgpr_dispatch_id 0
		.amdhsa_user_sgpr_kernarg_preload_length 0
		.amdhsa_user_sgpr_kernarg_preload_offset 0
		.amdhsa_user_sgpr_private_segment_size 0
		.amdhsa_uses_dynamic_stack 0
		.amdhsa_enable_private_segment 0
		.amdhsa_system_sgpr_workgroup_id_x 1
		.amdhsa_system_sgpr_workgroup_id_y 1
		.amdhsa_system_sgpr_workgroup_id_z 1
		.amdhsa_system_sgpr_workgroup_info 0
		.amdhsa_system_vgpr_workitem_id 0
		.amdhsa_next_free_vgpr 65
		.amdhsa_next_free_sgpr 100
		.amdhsa_accum_offset 68
		.amdhsa_reserve_vcc 1
		.amdhsa_float_round_mode_32 0
		.amdhsa_float_round_mode_16_64 0
		.amdhsa_float_denorm_mode_32 3
		.amdhsa_float_denorm_mode_16_64 3
		.amdhsa_dx10_clamp 1
		.amdhsa_ieee_mode 1
		.amdhsa_fp16_overflow 0
		.amdhsa_tg_split 0
		.amdhsa_exception_fp_ieee_invalid_op 0
		.amdhsa_exception_fp_denorm_src 0
		.amdhsa_exception_fp_ieee_div_zero 0
		.amdhsa_exception_fp_ieee_overflow 0
		.amdhsa_exception_fp_ieee_underflow 0
		.amdhsa_exception_fp_ieee_inexact 0
		.amdhsa_exception_int_div_zero 0
	.end_amdhsa_kernel
	.section	.text._ZN2at6native12_GLOBAL__N_114gatherKthValueIhlLi1EEEvNS_4cuda6detail10TensorInfoIKT_T0_EES8_S8_S8_S8_NS5_IS6_S8_EENS5_IlS8_EE,"axG",@progbits,_ZN2at6native12_GLOBAL__N_114gatherKthValueIhlLi1EEEvNS_4cuda6detail10TensorInfoIKT_T0_EES8_S8_S8_S8_NS5_IS6_S8_EENS5_IlS8_EE,comdat
.Lfunc_end4:
	.size	_ZN2at6native12_GLOBAL__N_114gatherKthValueIhlLi1EEEvNS_4cuda6detail10TensorInfoIKT_T0_EES8_S8_S8_S8_NS5_IS6_S8_EENS5_IlS8_EE, .Lfunc_end4-_ZN2at6native12_GLOBAL__N_114gatherKthValueIhlLi1EEEvNS_4cuda6detail10TensorInfoIKT_T0_EES8_S8_S8_S8_NS5_IS6_S8_EENS5_IlS8_EE
                                        ; -- End function
	.set _ZN2at6native12_GLOBAL__N_114gatherKthValueIhlLi1EEEvNS_4cuda6detail10TensorInfoIKT_T0_EES8_S8_S8_S8_NS5_IS6_S8_EENS5_IlS8_EE.num_vgpr, 65
	.set _ZN2at6native12_GLOBAL__N_114gatherKthValueIhlLi1EEEvNS_4cuda6detail10TensorInfoIKT_T0_EES8_S8_S8_S8_NS5_IS6_S8_EENS5_IlS8_EE.num_agpr, 0
	.set _ZN2at6native12_GLOBAL__N_114gatherKthValueIhlLi1EEEvNS_4cuda6detail10TensorInfoIKT_T0_EES8_S8_S8_S8_NS5_IS6_S8_EENS5_IlS8_EE.numbered_sgpr, 100
	.set _ZN2at6native12_GLOBAL__N_114gatherKthValueIhlLi1EEEvNS_4cuda6detail10TensorInfoIKT_T0_EES8_S8_S8_S8_NS5_IS6_S8_EENS5_IlS8_EE.num_named_barrier, 0
	.set _ZN2at6native12_GLOBAL__N_114gatherKthValueIhlLi1EEEvNS_4cuda6detail10TensorInfoIKT_T0_EES8_S8_S8_S8_NS5_IS6_S8_EENS5_IlS8_EE.private_seg_size, 0
	.set _ZN2at6native12_GLOBAL__N_114gatherKthValueIhlLi1EEEvNS_4cuda6detail10TensorInfoIKT_T0_EES8_S8_S8_S8_NS5_IS6_S8_EENS5_IlS8_EE.uses_vcc, 1
	.set _ZN2at6native12_GLOBAL__N_114gatherKthValueIhlLi1EEEvNS_4cuda6detail10TensorInfoIKT_T0_EES8_S8_S8_S8_NS5_IS6_S8_EENS5_IlS8_EE.uses_flat_scratch, 0
	.set _ZN2at6native12_GLOBAL__N_114gatherKthValueIhlLi1EEEvNS_4cuda6detail10TensorInfoIKT_T0_EES8_S8_S8_S8_NS5_IS6_S8_EENS5_IlS8_EE.has_dyn_sized_stack, 0
	.set _ZN2at6native12_GLOBAL__N_114gatherKthValueIhlLi1EEEvNS_4cuda6detail10TensorInfoIKT_T0_EES8_S8_S8_S8_NS5_IS6_S8_EENS5_IlS8_EE.has_recursion, 0
	.set _ZN2at6native12_GLOBAL__N_114gatherKthValueIhlLi1EEEvNS_4cuda6detail10TensorInfoIKT_T0_EES8_S8_S8_S8_NS5_IS6_S8_EENS5_IlS8_EE.has_indirect_call, 0
	.section	.AMDGPU.csdata,"",@progbits
; Kernel info:
; codeLenInByte = 16400
; TotalNumSgprs: 106
; NumVgprs: 65
; NumAgprs: 0
; TotalNumVgprs: 65
; ScratchSize: 0
; MemoryBound: 0
; FloatMode: 240
; IeeeMode: 1
; LDSByteSize: 5144 bytes/workgroup (compile time only)
; SGPRBlocks: 13
; VGPRBlocks: 8
; NumSGPRsForWavesPerEU: 106
; NumVGPRsForWavesPerEU: 65
; AccumOffset: 68
; Occupancy: 7
; WaveLimiterHint : 1
; COMPUTE_PGM_RSRC2:SCRATCH_EN: 0
; COMPUTE_PGM_RSRC2:USER_SGPR: 2
; COMPUTE_PGM_RSRC2:TRAP_HANDLER: 0
; COMPUTE_PGM_RSRC2:TGID_X_EN: 1
; COMPUTE_PGM_RSRC2:TGID_Y_EN: 1
; COMPUTE_PGM_RSRC2:TGID_Z_EN: 1
; COMPUTE_PGM_RSRC2:TIDIG_COMP_CNT: 0
; COMPUTE_PGM_RSRC3_GFX90A:ACCUM_OFFSET: 16
; COMPUTE_PGM_RSRC3_GFX90A:TG_SPLIT: 0
	.section	.text._ZN2at6native12_GLOBAL__N_114gatherKthValueIhlLi2EEEvNS_4cuda6detail10TensorInfoIKT_T0_EES8_S8_S8_S8_NS5_IS6_S8_EENS5_IlS8_EE,"axG",@progbits,_ZN2at6native12_GLOBAL__N_114gatherKthValueIhlLi2EEEvNS_4cuda6detail10TensorInfoIKT_T0_EES8_S8_S8_S8_NS5_IS6_S8_EENS5_IlS8_EE,comdat
	.globl	_ZN2at6native12_GLOBAL__N_114gatherKthValueIhlLi2EEEvNS_4cuda6detail10TensorInfoIKT_T0_EES8_S8_S8_S8_NS5_IS6_S8_EENS5_IlS8_EE ; -- Begin function _ZN2at6native12_GLOBAL__N_114gatherKthValueIhlLi2EEEvNS_4cuda6detail10TensorInfoIKT_T0_EES8_S8_S8_S8_NS5_IS6_S8_EENS5_IlS8_EE
	.p2align	8
	.type	_ZN2at6native12_GLOBAL__N_114gatherKthValueIhlLi2EEEvNS_4cuda6detail10TensorInfoIKT_T0_EES8_S8_S8_S8_NS5_IS6_S8_EENS5_IlS8_EE,@function
_ZN2at6native12_GLOBAL__N_114gatherKthValueIhlLi2EEEvNS_4cuda6detail10TensorInfoIKT_T0_EES8_S8_S8_S8_NS5_IS6_S8_EENS5_IlS8_EE: ; @_ZN2at6native12_GLOBAL__N_114gatherKthValueIhlLi2EEEvNS_4cuda6detail10TensorInfoIKT_T0_EES8_S8_S8_S8_NS5_IS6_S8_EENS5_IlS8_EE
; %bb.0:
	s_load_dwordx2 s[12:13], s[0:1], 0x500
	s_load_dwordx8 s[56:63], s[0:1], 0x1a0
	s_add_u32 s10, s0, 0x500
	s_addc_u32 s11, s1, 0
	s_mov_b32 s29, 0
	s_waitcnt lgkmcnt(0)
	s_mul_i32 s4, s13, s4
	s_add_i32 s3, s4, s3
	s_mul_i32 s3, s3, s12
	s_add_i32 s28, s3, s2
	v_mov_b64_e32 v[2:3], s[28:29]
	v_cmp_le_i64_e32 vcc, s[60:61], v[2:3]
	s_cbranch_vccnz .LBB5_283
; %bb.1:
	s_load_dwordx2 s[8:9], s[0:1], 0x10
	s_load_dwordx2 s[24:25], s[0:1], 0x1d0
	s_mov_b32 s4, s29
                                        ; implicit-def: $vgpr66 : SGPR spill to VGPR lane
	s_waitcnt lgkmcnt(0)
	s_mov_b32 s5, s9
	s_cmp_lg_u64 s[4:5], 0
	v_writelane_b32 v66, s24, 0
	s_nop 1
	v_writelane_b32 v66, s25, 1
	s_cbranch_scc0 .LBB5_296
; %bb.2:
	s_ashr_i32 s4, s9, 31
	s_add_u32 s6, s8, s4
	s_mov_b32 s5, s4
	s_addc_u32 s7, s9, s4
	s_xor_b64 s[14:15], s[6:7], s[4:5]
	v_cvt_f32_u32_e32 v1, s14
	v_cvt_f32_u32_e32 v2, s15
	s_sub_u32 s3, 0, s14
	s_subb_u32 s13, 0, s15
	v_fmamk_f32 v1, v2, 0x4f800000, v1
	v_rcp_f32_e32 v1, v1
	s_nop 0
	v_mul_f32_e32 v1, 0x5f7ffffc, v1
	v_mul_f32_e32 v2, 0x2f800000, v1
	v_trunc_f32_e32 v2, v2
	v_fmamk_f32 v1, v2, 0xcf800000, v1
	v_cvt_u32_f32_e32 v2, v2
	v_cvt_u32_f32_e32 v1, v1
	v_readfirstlane_b32 s18, v2
	v_readfirstlane_b32 s16, v1
	s_mul_i32 s17, s3, s18
	s_mul_hi_u32 s20, s3, s16
	s_mul_i32 s19, s13, s16
	s_add_i32 s17, s20, s17
	s_add_i32 s17, s17, s19
	s_mul_i32 s21, s3, s16
	s_mul_i32 s20, s16, s17
	s_mul_hi_u32 s22, s16, s21
	s_mul_hi_u32 s19, s16, s17
	s_add_u32 s20, s22, s20
	s_addc_u32 s19, 0, s19
	s_mul_hi_u32 s23, s18, s21
	s_mul_i32 s21, s18, s21
	s_add_u32 s20, s20, s21
	s_mul_hi_u32 s22, s18, s17
	s_addc_u32 s19, s19, s23
	s_addc_u32 s20, s22, 0
	s_mul_i32 s17, s18, s17
	s_add_u32 s17, s19, s17
	s_addc_u32 s19, 0, s20
	s_add_u32 s20, s16, s17
	s_cselect_b64 s[16:17], -1, 0
	s_cmp_lg_u64 s[16:17], 0
	s_addc_u32 s18, s18, s19
	s_mul_i32 s16, s3, s18
	s_mul_hi_u32 s17, s3, s20
	s_add_i32 s16, s17, s16
	s_mul_i32 s13, s13, s20
	s_add_i32 s16, s16, s13
	s_mul_i32 s3, s3, s20
	s_mul_hi_u32 s17, s18, s3
	s_mul_i32 s19, s18, s3
	s_mul_i32 s22, s20, s16
	s_mul_hi_u32 s3, s20, s3
	s_mul_hi_u32 s21, s20, s16
	s_add_u32 s3, s3, s22
	s_addc_u32 s21, 0, s21
	s_add_u32 s3, s3, s19
	s_mul_hi_u32 s13, s18, s16
	s_addc_u32 s3, s21, s17
	s_addc_u32 s13, s13, 0
	s_mul_i32 s16, s18, s16
	s_add_u32 s3, s3, s16
	s_addc_u32 s13, 0, s13
	s_add_u32 s3, s20, s3
	s_cselect_b64 s[16:17], -1, 0
	s_cmp_lg_u64 s[16:17], 0
	s_addc_u32 s13, s18, s13
	s_add_u32 s16, s28, 0
	s_addc_u32 s17, 0, 0
	s_xor_b64 s[16:17], s[16:17], 0
	s_mul_i32 s19, s16, s13
	s_mul_hi_u32 s20, s16, s3
	s_mul_hi_u32 s18, s16, s13
	s_add_u32 s19, s20, s19
	s_addc_u32 s18, 0, s18
	s_mul_hi_u32 s21, s17, s3
	s_mul_i32 s3, s17, s3
	s_add_u32 s3, s19, s3
	s_mul_hi_u32 s20, s17, s13
	s_addc_u32 s3, s18, s21
	s_addc_u32 s18, s20, 0
	s_mul_i32 s13, s17, s13
	s_add_u32 s3, s3, s13
	s_addc_u32 s13, 0, s18
	s_mul_i32 s18, s14, s13
	s_mul_hi_u32 s19, s14, s3
	s_add_i32 s18, s19, s18
	s_mul_i32 s19, s15, s3
	s_add_i32 s22, s18, s19
	s_sub_i32 s20, s17, s22
	s_mul_i32 s18, s14, s3
	s_sub_u32 s16, s16, s18
	s_cselect_b64 s[18:19], -1, 0
	s_cmp_lg_u64 s[18:19], 0
	s_subb_u32 s23, s20, s15
	s_sub_u32 s24, s16, s14
	s_cselect_b64 s[20:21], -1, 0
	s_cmp_lg_u64 s[20:21], 0
	s_subb_u32 s20, s23, 0
	s_cmp_ge_u32 s20, s15
	s_cselect_b32 s21, -1, 0
	s_cmp_ge_u32 s24, s14
	s_cselect_b32 s23, -1, 0
	s_cmp_eq_u32 s20, s15
	s_cselect_b32 s20, s23, s21
	s_add_u32 s21, s3, 1
	s_addc_u32 s23, s13, 0
	s_add_u32 s24, s3, 2
	s_addc_u32 s25, s13, 0
	s_cmp_lg_u32 s20, 0
	s_cselect_b32 s20, s24, s21
	s_cselect_b32 s21, s25, s23
	s_cmp_lg_u64 s[18:19], 0
	s_subb_u32 s17, s17, s22
	s_cmp_ge_u32 s17, s15
	s_cselect_b32 s18, -1, 0
	s_cmp_ge_u32 s16, s14
	s_cselect_b32 s14, -1, 0
	s_cmp_eq_u32 s17, s15
	s_cselect_b32 s14, s14, s18
	s_load_dwordx2 s[24:25], s[0:1], 0x1d0
	s_cmp_lg_u32 s14, 0
	s_cselect_b32 s15, s21, s13
	s_cselect_b32 s14, s20, s3
	s_xor_b64 s[4:5], 0, s[4:5]
	s_xor_b64 s[14:15], s[14:15], s[4:5]
	s_sub_u32 s16, s14, s4
	s_subb_u32 s17, s15, s5
	s_cbranch_execnz .LBB5_4
.LBB5_3:
	v_cvt_f32_u32_e32 v1, s8
	s_sub_i32 s3, 0, s8
	s_mov_b32 s17, 0
	v_rcp_iflag_f32_e32 v1, v1
	s_nop 0
	v_mul_f32_e32 v1, 0x4f7ffffe, v1
	v_cvt_u32_f32_e32 v1, v1
	s_nop 0
	v_readfirstlane_b32 s4, v1
	s_mul_i32 s3, s3, s4
	s_mul_hi_u32 s3, s4, s3
	s_add_i32 s4, s4, s3
	s_mul_hi_u32 s3, s28, s4
	s_mul_i32 s5, s3, s8
	s_sub_i32 s5, s28, s5
	s_add_i32 s4, s3, 1
	s_sub_i32 s6, s5, s8
	s_cmp_ge_u32 s5, s8
	s_cselect_b32 s3, s4, s3
	s_cselect_b32 s5, s6, s5
	s_add_i32 s4, s3, 1
	s_cmp_ge_u32 s5, s8
	s_cselect_b32 s16, s4, s3
.LBB5_4:
	s_load_dwordx2 s[30:31], s[0:1], 0x370
	s_mov_b32 s4, 0
	s_waitcnt lgkmcnt(0)
	s_mov_b32 s5, s25
	s_cmp_lg_u64 s[4:5], 0
	s_cbranch_scc0 .LBB5_297
; %bb.5:
	s_ashr_i32 s4, s25, 31
	s_add_u32 s6, s24, s4
	s_mov_b32 s5, s4
	s_addc_u32 s7, s25, s4
	s_xor_b64 s[14:15], s[6:7], s[4:5]
	v_cvt_f32_u32_e32 v1, s14
	v_cvt_f32_u32_e32 v2, s15
	s_sub_u32 s3, 0, s14
	s_subb_u32 s13, 0, s15
	v_fmamk_f32 v1, v2, 0x4f800000, v1
	v_rcp_f32_e32 v1, v1
	s_nop 0
	v_mul_f32_e32 v1, 0x5f7ffffc, v1
	v_mul_f32_e32 v2, 0x2f800000, v1
	v_trunc_f32_e32 v2, v2
	v_fmamk_f32 v1, v2, 0xcf800000, v1
	v_cvt_u32_f32_e32 v2, v2
	v_cvt_u32_f32_e32 v1, v1
	v_readfirstlane_b32 s20, v2
	v_readfirstlane_b32 s18, v1
	s_mul_i32 s19, s3, s20
	s_mul_hi_u32 s22, s3, s18
	s_mul_i32 s21, s13, s18
	s_add_i32 s19, s22, s19
	s_add_i32 s19, s19, s21
	s_mul_i32 s23, s3, s18
	s_mul_i32 s22, s18, s19
	s_mul_hi_u32 s24, s18, s23
	s_mul_hi_u32 s21, s18, s19
	s_add_u32 s22, s24, s22
	s_addc_u32 s21, 0, s21
	s_mul_hi_u32 s25, s20, s23
	s_mul_i32 s23, s20, s23
	s_add_u32 s22, s22, s23
	s_mul_hi_u32 s24, s20, s19
	s_addc_u32 s21, s21, s25
	s_addc_u32 s22, s24, 0
	s_mul_i32 s19, s20, s19
	s_add_u32 s19, s21, s19
	s_addc_u32 s21, 0, s22
	s_add_u32 s22, s18, s19
	s_cselect_b64 s[18:19], -1, 0
	s_cmp_lg_u64 s[18:19], 0
	s_addc_u32 s20, s20, s21
	s_mul_i32 s18, s3, s20
	s_mul_hi_u32 s19, s3, s22
	s_add_i32 s18, s19, s18
	s_mul_i32 s13, s13, s22
	s_add_i32 s18, s18, s13
	s_mul_i32 s3, s3, s22
	s_mul_hi_u32 s19, s20, s3
	s_mul_i32 s21, s20, s3
	s_mul_i32 s24, s22, s18
	s_mul_hi_u32 s3, s22, s3
	s_mul_hi_u32 s23, s22, s18
	s_add_u32 s3, s3, s24
	s_addc_u32 s23, 0, s23
	s_add_u32 s3, s3, s21
	s_mul_hi_u32 s13, s20, s18
	s_addc_u32 s3, s23, s19
	s_addc_u32 s13, s13, 0
	s_mul_i32 s18, s20, s18
	s_add_u32 s3, s3, s18
	s_addc_u32 s13, 0, s13
	s_add_u32 s3, s22, s3
	s_cselect_b64 s[18:19], -1, 0
	s_cmp_lg_u64 s[18:19], 0
	s_addc_u32 s13, s20, s13
	s_add_u32 s18, s28, 0
	s_addc_u32 s19, 0, 0
	s_xor_b64 s[18:19], s[18:19], 0
	s_mul_i32 s21, s18, s13
	s_mul_hi_u32 s22, s18, s3
	s_mul_hi_u32 s20, s18, s13
	s_add_u32 s21, s22, s21
	s_addc_u32 s20, 0, s20
	s_mul_hi_u32 s23, s19, s3
	s_mul_i32 s3, s19, s3
	s_add_u32 s3, s21, s3
	s_mul_hi_u32 s22, s19, s13
	s_addc_u32 s3, s20, s23
	s_addc_u32 s20, s22, 0
	s_mul_i32 s13, s19, s13
	s_add_u32 s3, s3, s13
	s_addc_u32 s13, 0, s20
	s_mul_i32 s20, s14, s13
	s_mul_hi_u32 s21, s14, s3
	s_add_i32 s20, s21, s20
	s_mul_i32 s21, s15, s3
	s_add_i32 s24, s20, s21
	s_sub_i32 s22, s19, s24
	s_mul_i32 s20, s14, s3
	s_sub_u32 s18, s18, s20
	s_cselect_b64 s[20:21], -1, 0
	s_cmp_lg_u64 s[20:21], 0
	s_subb_u32 s25, s22, s15
	s_sub_u32 s26, s18, s14
	s_cselect_b64 s[22:23], -1, 0
	s_cmp_lg_u64 s[22:23], 0
	s_subb_u32 s22, s25, 0
	s_cmp_ge_u32 s22, s15
	s_cselect_b32 s23, -1, 0
	s_cmp_ge_u32 s26, s14
	s_cselect_b32 s25, -1, 0
	s_cmp_eq_u32 s22, s15
	s_cselect_b32 s22, s25, s23
	s_add_u32 s23, s3, 1
	s_addc_u32 s25, s13, 0
	s_add_u32 s26, s3, 2
	s_addc_u32 s27, s13, 0
	s_cmp_lg_u32 s22, 0
	s_cselect_b32 s22, s26, s23
	s_cselect_b32 s23, s27, s25
	s_cmp_lg_u64 s[20:21], 0
	s_subb_u32 s19, s19, s24
	s_cmp_ge_u32 s19, s15
	s_cselect_b32 s20, -1, 0
	s_cmp_ge_u32 s18, s14
	s_cselect_b32 s14, -1, 0
	s_cmp_eq_u32 s19, s15
	s_cselect_b32 s14, s14, s20
	s_load_dwordx2 s[24:25], s[0:1], 0x1d0
	s_cmp_lg_u32 s14, 0
	s_cselect_b32 s15, s23, s13
	s_cselect_b32 s14, s22, s3
	s_xor_b64 s[4:5], 0, s[4:5]
	s_xor_b64 s[14:15], s[14:15], s[4:5]
	s_sub_u32 s14, s14, s4
	s_subb_u32 s15, s15, s5
	s_cbranch_execnz .LBB5_7
.LBB5_6:
	s_waitcnt lgkmcnt(0)
	v_cvt_f32_u32_e32 v1, s24
	s_sub_i32 s3, 0, s24
	s_mov_b32 s15, 0
	v_rcp_iflag_f32_e32 v1, v1
	s_nop 0
	v_mul_f32_e32 v1, 0x4f7ffffe, v1
	v_cvt_u32_f32_e32 v1, v1
	s_nop 0
	v_readfirstlane_b32 s4, v1
	s_mul_i32 s3, s3, s4
	s_mul_hi_u32 s3, s4, s3
	s_add_i32 s4, s4, s3
	s_mul_hi_u32 s3, s28, s4
	s_mul_i32 s5, s3, s24
	s_sub_i32 s5, s28, s5
	s_add_i32 s4, s3, 1
	s_sub_i32 s6, s5, s24
	s_cmp_ge_u32 s5, s24
	s_cselect_b32 s3, s4, s3
	s_cselect_b32 s5, s6, s5
	s_add_i32 s4, s3, 1
	s_cmp_ge_u32 s5, s24
	s_cselect_b32 s14, s4, s3
.LBB5_7:
	s_mov_b32 s4, 0
	s_mov_b32 s5, s31
	v_writelane_b32 v66, s14, 2
	s_cmp_lg_u64 s[4:5], 0
	s_nop 0
	v_writelane_b32 v66, s15, 3
	s_cbranch_scc0 .LBB5_298
; %bb.8:
	s_ashr_i32 s6, s31, 31
	s_add_u32 s4, s30, s6
	s_mov_b32 s7, s6
	s_addc_u32 s5, s31, s6
	s_xor_b64 s[14:15], s[4:5], s[6:7]
	v_cvt_f32_u32_e32 v1, s14
	v_cvt_f32_u32_e32 v2, s15
	s_sub_u32 s3, 0, s14
	s_subb_u32 s13, 0, s15
	v_fmamk_f32 v1, v2, 0x4f800000, v1
	v_rcp_f32_e32 v1, v1
	s_nop 0
	v_mul_f32_e32 v1, 0x5f7ffffc, v1
	v_mul_f32_e32 v2, 0x2f800000, v1
	v_trunc_f32_e32 v2, v2
	v_fmamk_f32 v1, v2, 0xcf800000, v1
	v_cvt_u32_f32_e32 v2, v2
	v_cvt_u32_f32_e32 v1, v1
	v_readfirstlane_b32 s20, v2
	v_readfirstlane_b32 s18, v1
	s_mul_i32 s19, s3, s20
	s_mul_hi_u32 s22, s3, s18
	s_mul_i32 s21, s13, s18
	s_add_i32 s19, s22, s19
	s_add_i32 s19, s19, s21
	s_mul_i32 s23, s3, s18
	s_mul_i32 s22, s18, s19
	s_waitcnt lgkmcnt(0)
	s_mul_hi_u32 s24, s18, s23
	s_mul_hi_u32 s21, s18, s19
	s_add_u32 s22, s24, s22
	s_addc_u32 s21, 0, s21
	s_mul_hi_u32 s25, s20, s23
	s_mul_i32 s23, s20, s23
	s_add_u32 s22, s22, s23
	s_mul_hi_u32 s24, s20, s19
	s_addc_u32 s21, s21, s25
	s_addc_u32 s22, s24, 0
	s_mul_i32 s19, s20, s19
	s_add_u32 s19, s21, s19
	s_addc_u32 s21, 0, s22
	s_add_u32 s22, s18, s19
	s_cselect_b64 s[18:19], -1, 0
	s_cmp_lg_u64 s[18:19], 0
	s_addc_u32 s20, s20, s21
	s_mul_i32 s18, s3, s20
	s_mul_hi_u32 s19, s3, s22
	s_add_i32 s18, s19, s18
	s_mul_i32 s13, s13, s22
	s_add_i32 s18, s18, s13
	s_mul_i32 s3, s3, s22
	s_mul_hi_u32 s19, s20, s3
	s_mul_i32 s21, s20, s3
	s_mul_i32 s24, s22, s18
	s_mul_hi_u32 s3, s22, s3
	s_mul_hi_u32 s23, s22, s18
	s_add_u32 s3, s3, s24
	s_addc_u32 s23, 0, s23
	s_add_u32 s3, s3, s21
	s_mul_hi_u32 s13, s20, s18
	s_addc_u32 s3, s23, s19
	s_addc_u32 s13, s13, 0
	s_mul_i32 s18, s20, s18
	s_add_u32 s3, s3, s18
	s_addc_u32 s13, 0, s13
	s_add_u32 s3, s22, s3
	s_cselect_b64 s[18:19], -1, 0
	s_cmp_lg_u64 s[18:19], 0
	s_addc_u32 s13, s20, s13
	s_add_u32 s18, s28, 0
	s_addc_u32 s19, 0, 0
	s_xor_b64 s[18:19], s[18:19], 0
	s_mul_i32 s21, s18, s13
	s_mul_hi_u32 s22, s18, s3
	s_mul_hi_u32 s20, s18, s13
	s_add_u32 s21, s22, s21
	s_addc_u32 s20, 0, s20
	s_mul_hi_u32 s23, s19, s3
	s_mul_i32 s3, s19, s3
	s_add_u32 s3, s21, s3
	s_mul_hi_u32 s22, s19, s13
	s_addc_u32 s3, s20, s23
	s_addc_u32 s20, s22, 0
	s_mul_i32 s13, s19, s13
	s_add_u32 s3, s3, s13
	s_addc_u32 s13, 0, s20
	s_mul_i32 s20, s14, s13
	s_mul_hi_u32 s21, s14, s3
	s_add_i32 s20, s21, s20
	s_mul_i32 s21, s15, s3
	s_add_i32 s24, s20, s21
	s_sub_i32 s22, s19, s24
	s_mul_i32 s20, s14, s3
	s_sub_u32 s18, s18, s20
	s_cselect_b64 s[20:21], -1, 0
	s_cmp_lg_u64 s[20:21], 0
	s_subb_u32 s25, s22, s15
	s_sub_u32 s26, s18, s14
	s_cselect_b64 s[22:23], -1, 0
	s_cmp_lg_u64 s[22:23], 0
	s_subb_u32 s22, s25, 0
	s_cmp_ge_u32 s22, s15
	s_cselect_b32 s23, -1, 0
	s_cmp_ge_u32 s26, s14
	s_cselect_b32 s25, -1, 0
	s_cmp_eq_u32 s22, s15
	s_cselect_b32 s22, s25, s23
	s_add_u32 s23, s3, 1
	s_addc_u32 s25, s13, 0
	s_add_u32 s26, s3, 2
	s_addc_u32 s27, s13, 0
	s_cmp_lg_u32 s22, 0
	s_cselect_b32 s22, s26, s23
	s_cselect_b32 s23, s27, s25
	s_cmp_lg_u64 s[20:21], 0
	s_subb_u32 s19, s19, s24
	s_cmp_ge_u32 s19, s15
	s_cselect_b32 s20, -1, 0
	s_cmp_ge_u32 s18, s14
	s_cselect_b32 s14, -1, 0
	s_cmp_eq_u32 s19, s15
	s_cselect_b32 s14, s14, s20
	s_cmp_lg_u32 s14, 0
	s_cselect_b32 s15, s23, s13
	s_cselect_b32 s14, s22, s3
	s_xor_b64 s[6:7], 0, s[6:7]
	s_xor_b64 s[14:15], s[14:15], s[6:7]
	s_sub_u32 s6, s14, s6
	s_subb_u32 s7, s15, s7
	v_writelane_b32 v66, s6, 4
	s_nop 1
	v_writelane_b32 v66, s7, 5
	s_load_dwordx2 s[18:19], s[0:1], 0x0
	s_cbranch_execnz .LBB5_10
.LBB5_9:
	v_cvt_f32_u32_e32 v1, s30
	s_sub_i32 s3, 0, s30
	s_mov_b32 s7, 0
	v_rcp_iflag_f32_e32 v1, v1
	s_nop 0
	v_mul_f32_e32 v1, 0x4f7ffffe, v1
	v_cvt_u32_f32_e32 v1, v1
	s_nop 0
	v_readfirstlane_b32 s4, v1
	s_mul_i32 s3, s3, s4
	s_mul_hi_u32 s3, s4, s3
	s_add_i32 s4, s4, s3
	s_mul_hi_u32 s3, s28, s4
	s_mul_i32 s5, s3, s30
	s_sub_i32 s5, s28, s5
	s_add_i32 s4, s3, 1
	s_sub_i32 s6, s5, s30
	s_cmp_ge_u32 s5, s30
	s_cselect_b32 s3, s4, s3
	s_cselect_b32 s5, s6, s5
	s_add_i32 s4, s3, 1
	s_cmp_ge_u32 s5, s30
	s_cselect_b32 s6, s4, s3
	v_writelane_b32 v66, s6, 4
	s_nop 1
	v_writelane_b32 v66, s7, 5
.LBB5_10:
	s_load_dwordx2 s[4:5], s[0:1], 0x360
	v_writelane_b32 v66, s30, 6
	s_mov_b32 s87, 0
	v_cmp_eq_u32_e64 s[20:21], 0, v0
	v_writelane_b32 v66, s31, 7
	s_waitcnt lgkmcnt(0)
	v_writelane_b32 v66, s4, 8
	s_nop 1
	v_writelane_b32 v66, s5, 9
	s_load_dwordx2 s[4:5], s[0:1], 0x1c0
	s_waitcnt lgkmcnt(0)
	v_writelane_b32 v66, s4, 10
	s_nop 1
	v_writelane_b32 v66, s5, 11
	s_load_dwordx4 s[4:7], s[0:1], 0xd0
	s_mov_b64 s[14:15], exec
	v_writelane_b32 v66, s20, 12
	s_nop 1
	v_writelane_b32 v66, s21, 13
	s_and_b64 s[20:21], s[14:15], s[20:21]
	s_mov_b64 exec, s[20:21]
	s_cbranch_execz .LBB5_12
; %bb.11:
	v_mov_b32_e32 v2, 0
	v_mov_b32_e32 v4, s56
	;; [unrolled: 1-line block ×4, first 2 shown]
	ds_write_b32 v2, v2 offset:5136
	ds_write_b128 v2, v[2:5] offset:5120
.LBB5_12:
	s_or_b64 exec, exec, s[14:15]
	s_load_dwordx4 s[20:23], s[0:1], 0x430
                                        ; kill: killed $sgpr0 killed $sgpr1
	v_mbcnt_lo_u32_b32 v1, -1, 0
	v_mbcnt_hi_u32_b32 v40, -1, v1
	v_cmp_gt_u32_e32 vcc, 64, v0
	v_mov_b64_e32 v[4:5], 0xc00
	s_waitcnt lgkmcnt(0)
	v_writelane_b32 v66, s20, 14
	v_mov_b32_e32 v3, 0
	v_mov_b32_e32 v1, v3
	v_writelane_b32 v66, s21, 15
	v_writelane_b32 v66, s22, 16
	;; [unrolled: 1-line block ×3, first 2 shown]
	s_load_dwordx4 s[20:23], s[0:1], 0x290
	s_mul_i32 s0, s16, s9
	s_mul_hi_u32 s1, s16, s8
	s_add_i32 s0, s1, s0
	s_mul_i32 s1, s17, s8
	s_add_i32 s0, s0, s1
	s_mul_i32 s1, s16, s8
	s_waitcnt lgkmcnt(0)
	v_writelane_b32 v66, s20, 18
	s_sub_u32 s1, s28, s1
	s_subb_u32 s0, 0, s0
	v_writelane_b32 v66, s21, 19
	s_mul_i32 s3, s1, s7
	s_mul_hi_u32 s7, s1, s6
	v_writelane_b32 v66, s22, 20
	s_add_i32 s3, s7, s3
	s_mul_i32 s0, s0, s6
	v_writelane_b32 v66, s23, 21
	s_mov_b32 s8, s28
	s_add_i32 s3, s3, s0
	s_mul_i32 s6, s1, s6
	s_mul_i32 s0, s16, s5
	s_mul_hi_u32 s1, s16, s4
	v_writelane_b32 v66, s8, 22
	s_add_i32 s0, s1, s0
	s_mul_i32 s1, s17, s4
	v_writelane_b32 v66, s9, 23
	s_add_i32 s7, s0, s1
	s_mul_i32 s8, s16, s4
	s_add_u32 s0, s18, s8
	s_addc_u32 s1, s19, s7
	s_add_u32 s88, s0, s6
	s_addc_u32 s89, s1, s3
	v_cmp_gt_i32_e64 s[0:1], 4, v40
	s_and_b64 s[0:1], vcc, s[0:1]
	v_mov_b64_e32 v[6:7], s[88:89]
	v_writelane_b32 v66, s0, 24
	s_barrier
	s_nop 0
	v_writelane_b32 v66, s1, 25
	v_cmp_gt_u32_e64 s[0:1], 2, v0
	v_lshlrev_b32_e32 v2, 2, v40
	s_nop 0
	v_writelane_b32 v66, s0, 26
	v_and_b32_e32 v41, 0x100, v2
	v_lshrrev_b32_e32 v2, 1, v0
	v_writelane_b32 v66, s1, 27
	v_cmp_gt_i64_e64 s[0:1], s[56:57], v[4:5]
	v_and_b32_e32 v2, 0x1e0, v2
	v_or_b32_e32 v42, 0xc00, v2
	v_writelane_b32 v66, s0, 28
	v_add_u32_e32 v2, 2, v0
	v_cmp_gt_i64_e32 vcc, s[56:57], v[2:3]
	v_writelane_b32 v66, s1, 29
	v_mad_u64_u32 v[4:5], s[0:1], s62, v0, 0
	v_mad_u64_u32 v[14:15], s[0:1], s62, v0, v[6:7]
	v_cmp_gt_i64_e64 s[0:1], s[56:57], v[0:1]
	v_lshlrev_b64 v[6:7], v40, -1
	v_not_b32_e32 v18, v6
	v_writelane_b32 v66, s0, 30
	v_mov_b32_e32 v6, s57
	v_not_b32_e32 v19, v7
	v_writelane_b32 v66, s1, 31
	s_load_dword s0, s[10:11], 0xc
	v_cndmask_b32_e32 v7, 0, v6, vcc
	v_mov_b32_e32 v6, s56
	v_cndmask_b32_e32 v6, v2, v6, vcc
	v_mov_b32_e32 v9, -1
	s_waitcnt lgkmcnt(0)
	s_and_b32 s84, s0, 0xffff
	s_bfe_u32 s0, s0, 0xa0006
	s_cmp_gt_u32 s84, 63
	s_cselect_b64 s[14:15], -1, 0
	s_add_u32 s1, s84, -1
	s_addc_u32 s9, 0, -1
	s_add_u32 s95, s1, s56
	v_writelane_b32 v66, s14, 32
	s_addc_u32 s55, s9, s57
	s_cmp_lt_u32 s2, s12
	v_writelane_b32 v66, s15, 33
	v_writelane_b32 v66, s1, 34
	s_cselect_b32 s1, 12, 18
	v_not_b32_e32 v8, v0
	s_add_u32 s50, s10, s1
	v_lshl_add_u64 v[6:7], v[6:7], 0, v[8:9]
	v_writelane_b32 v66, s9, 35
	s_addc_u32 s51, s11, 0
	v_cmp_lt_u64_e64 s[10:11], 3, v[6:7]
	s_mov_b32 s1, s62
	v_and_b32_e32 v20, -4, v6
	v_writelane_b32 v66, s10, 36
	v_mov_b32_e32 v21, v7
	v_cmp_ne_u64_e64 s[12:13], v[6:7], v[20:21]
	v_writelane_b32 v66, s11, 37
	v_writelane_b32 v66, s1, 38
	s_add_i32 s1, s0, -1
	s_bfe_u32 s2, s84, 0x30006
	s_and_b32 s1, s1, 0xffff
	v_writelane_b32 v66, s12, 39
	s_cmp_gt_u32 s1, 6
	v_lshlrev_b32_e32 v16, 2, v0
	v_writelane_b32 v66, s13, 40
	s_cselect_b64 s[12:13], -1, 0
	v_writelane_b32 v66, s12, 41
	s_and_b32 s82, s0, 0x3f8
	s_cmp_lg_u32 s2, 0
	v_writelane_b32 v66, s13, 42
	v_writelane_b32 v66, s2, 43
	s_cselect_b64 s[0:1], -1, 0
	v_writelane_b32 v66, s0, 44
	v_or_b32_e32 v6, 3, v16
	s_mov_b32 s73, s63
	v_writelane_b32 v66, s1, 45
	s_add_u32 s0, s8, s6
	s_addc_u32 s1, s7, s3
	s_add_u32 s2, s18, s0
	s_addc_u32 s3, s19, s1
	v_mad_u64_u32 v[24:25], s[0:1], s62, v6, 0
	v_mov_b32_e32 v2, v25
	v_writelane_b32 v66, s2, 46
	v_mad_u64_u32 v[6:7], s[0:1], s63, v6, v[2:3]
	s_nop 0
	v_writelane_b32 v66, s3, 47
	v_mov_b32_e32 v25, v6
	v_or_b32_e32 v6, 2, v16
	v_writelane_b32 v66, s50, 48
	v_mad_u64_u32 v[26:27], s[0:1], s62, v6, 0
	s_nop 0
	v_writelane_b32 v66, s51, 49
	v_cmp_eq_u32_e64 s[4:5], 0, v40
	v_mov_b32_e32 v2, v27
	v_writelane_b32 v66, s73, 50
	v_mad_u64_u32 v[6:7], s[0:1], s63, v6, v[2:3]
	v_writelane_b32 v66, s4, 51
	v_mul_lo_u32 v10, s63, v0
	v_mov_b32_e32 v27, v6
	v_mov_b64_e32 v[6:7], s[62:63]
	v_writelane_b32 v66, s5, 52
	v_add_u32_e32 v5, v5, v10
	s_mov_b32 s96, s62
	v_mad_u64_u32 v[28:29], s[0:1], s62, v16, v[6:7]
	v_writelane_b32 v66, s82, 53
	s_mov_b32 s94, s63
	v_mov_b32_e32 v2, v29
	v_lshlrev_b64 v[30:31], 2, v[4:5]
	v_mov_b64_e32 v[4:5], s[2:3]
	v_writelane_b32 v66, s96, 54
	s_mov_b32 s92, s62
	v_mad_u64_u32 v[6:7], s[0:1], s63, v16, v[2:3]
	v_mad_u64_u32 v[12:13], s[0:1], s62, v0, v[4:5]
	v_writelane_b32 v66, s94, 55
	s_mov_b32 s97, s63
	v_mov_b32_e32 v2, 0xc00
	s_mul_i32 s0, s63, s84
	s_mul_hi_u32 s1, s62, s84
	v_writelane_b32 v66, s92, 56
	v_add_u32_e32 v15, v10, v15
	v_mov_b32_e32 v17, v3
	s_mov_b32 s85, s87
	v_lshl_add_u64 v[22:23], v[20:21], 0, v[0:1]
	s_mov_b32 s10, s63
	s_mov_b32 s33, s62
	;; [unrolled: 1-line block ×3, first 2 shown]
	s_lshl_b64 s[66:67], s[62:63], 2
	v_mov_b32_e32 v29, v6
	v_lshl_add_u64 v[32:33], s[56:57], 0, v[0:1]
	v_lshl_or_b32 v43, v40, 3, v2
	v_add_u32_e32 v13, v10, v13
	s_add_i32 s91, s1, s0
	s_mul_i32 s90, s62, s84
	s_mov_b64 s[68:69], 0
	v_mov_b64_e32 v[34:35], s[58:59]
	s_movk_i32 s15, 0xff
	s_mov_b32 s44, 0xc0c0004
	v_mov_b64_e32 v[50:51], s[56:57]
	v_mov_b32_e32 v45, 8
	v_mov_b32_e32 v47, 0
	s_mov_b32 s45, 0
	v_mov_b32_e32 v44, 0
	v_mov_b32_e32 v46, 0
	v_writelane_b32 v66, s97, 57
                                        ; implicit-def: $sgpr74_sgpr75
                                        ; implicit-def: $sgpr80_sgpr81
                                        ; implicit-def: $sgpr12_sgpr13
                                        ; implicit-def: $sgpr78_sgpr79
                                        ; implicit-def: $sgpr76_sgpr77
                                        ; implicit-def: $sgpr98_sgpr99
	v_writelane_b32 v66, s33, 58
	s_branch .LBB5_16
.LBB5_13:                               ;   in Loop: Header=BB5_16 Depth=1
	s_or_b64 exec, exec, s[18:19]
	s_and_b64 s[8:9], s[8:9], exec
	s_andn2_b64 s[24:25], s[24:25], exec
	s_andn2_b64 s[0:1], s[0:1], exec
	s_orn2_b64 s[18:19], s[6:7], exec
.LBB5_14:                               ;   in Loop: Header=BB5_16 Depth=1
	s_or_b64 exec, exec, s[2:3]
	s_andn2_b64 s[2:3], s[60:61], exec
	s_and_b64 s[6:7], s[8:9], exec
	s_or_b64 s[60:61], s[2:3], s[6:7]
	s_andn2_b64 s[2:3], s[78:79], exec
	s_and_b64 s[6:7], s[24:25], exec
	s_or_b64 s[78:79], s[2:3], s[6:7]
	s_andn2_b64 s[2:3], s[98:99], exec
	s_and_b64 s[0:1], s[0:1], exec
	s_or_b64 s[98:99], s[2:3], s[0:1]
	s_orn2_b64 s[0:1], s[18:19], exec
.LBB5_15:                               ;   in Loop: Header=BB5_16 Depth=1
	s_or_b64 exec, exec, s[16:17]
	s_and_b64 s[0:1], exec, s[0:1]
	s_or_b64 s[68:69], s[0:1], s[68:69]
	s_andn2_b64 s[0:1], s[12:13], exec
	s_and_b64 s[2:3], s[60:61], exec
	s_mov_b64 s[6:7], s[98:99]
	s_or_b64 s[12:13], s[0:1], s[2:3]
	s_andn2_b64 s[0:1], s[80:81], exec
	s_and_b64 s[2:3], s[78:79], exec
	s_or_b64 s[80:81], s[0:1], s[2:3]
	s_andn2_b64 s[0:1], s[74:75], exec
	s_and_b64 s[2:3], s[6:7], exec
	s_mov_b64 s[98:99], s[60:61]
	s_mov_b64 s[76:77], s[78:79]
	;; [unrolled: 1-line block ×3, first 2 shown]
	s_or_b64 s[74:75], s[0:1], s[2:3]
	v_mov_b64_e32 v[34:35], v[8:9]
	s_andn2_b64 exec, exec, s[68:69]
	s_cbranch_execz .LBB5_279
.LBB5_16:                               ; =>This Loop Header: Depth=1
                                        ;     Child Loop BB5_21 Depth 2
                                        ;     Child Loop BB5_35 Depth 2
	;; [unrolled: 1-line block ×17, first 2 shown]
	ds_read_b128 v[4:7], v3 offset:5120
	s_waitcnt lgkmcnt(0)
	v_readfirstlane_b32 s61, v5
	v_readfirstlane_b32 s60, v4
	s_nop 1
	v_cmp_gt_i64_e64 s[0:1], s[60:61], 0
	s_and_b64 vcc, exec, s[0:1]
	s_cbranch_vccnz .LBB5_48
; %bb.17:                               ;   in Loop: Header=BB5_16 Depth=1
	v_readlane_b32 s0, v66, 28
	v_readlane_b32 s1, v66, 29
	s_and_b64 vcc, exec, s[0:1]
	s_cbranch_vccz .LBB5_29
; %bb.18:                               ;   in Loop: Header=BB5_16 Depth=1
	s_mov_b64 s[0:1], 0xc01
	v_cmp_gt_i64_e32 vcc, s[0:1], v[6:7]
	s_mov_b64 s[6:7], 0
	s_mov_b64 s[0:1], 0
	s_cbranch_vccz .LBB5_30
; %bb.19:                               ;   in Loop: Header=BB5_16 Depth=1
	global_load_ushort v6, v3, s[50:51]
	global_load_ubyte v8, v[14:15], off
	v_readlane_b32 s0, v66, 46
	v_readlane_b32 s1, v66, 47
	s_mov_b64 s[8:9], 0
	s_waitcnt vmcnt(1)
	v_and_b32_e32 v2, 0xffff, v6
	v_mov_b64_e32 v[4:5], s[0:1]
	v_readfirstlane_b32 s0, v6
	v_lshl_add_u64 v[6:7], v[0:1], 0, v[2:3]
	s_and_b32 s2, 0xffff, s0
	v_mad_u64_u32 v[4:5], s[0:1], s62, v6, v[4:5]
	v_mul_lo_u32 v7, s62, v7
	v_mul_lo_u32 v9, s63, v6
	s_mul_i32 s0, s63, s2
	s_mul_hi_u32 s1, s62, s2
	s_mul_i32 s16, s62, s2
	v_add3_u32 v5, v9, v5, v7
	s_add_i32 s17, s1, s0
	v_mov_b64_e32 v[6:7], v[0:1]
	s_branch .LBB5_21
.LBB5_20:                               ;   in Loop: Header=BB5_21 Depth=2
	s_or_b64 exec, exec, s[2:3]
	v_lshl_add_u64 v[4:5], v[4:5], 0, s[16:17]
	v_mov_b32_e32 v8, v9
	s_andn2_b64 exec, exec, s[8:9]
	s_cbranch_execz .LBB5_82
.LBB5_21:                               ;   Parent Loop BB5_16 Depth=1
                                        ; =>  This Inner Loop Header: Depth=2
	v_lshl_add_u64 v[6:7], v[6:7], 0, v[2:3]
	v_cmp_gt_i64_e64 s[0:1], s[56:57], v[6:7]
	v_cmp_le_i64_e32 vcc, s[56:57], v[6:7]
	s_waitcnt lgkmcnt(0)
	v_mov_b32_e32 v10, 0
	v_mov_b32_e32 v9, 0
	s_and_saveexec_b64 s[2:3], s[0:1]
	s_cbranch_execz .LBB5_23
; %bb.22:                               ;   in Loop: Header=BB5_21 Depth=2
	global_load_ubyte v9, v[4:5], off
.LBB5_23:                               ;   in Loop: Header=BB5_21 Depth=2
	s_or_b64 exec, exec, s[2:3]
	s_waitcnt vmcnt(0)
	v_bitop3_b32 v11, v8, s15, v46 bitop3:0x80
	v_cmp_eq_u32_e64 s[0:1], v11, v44
	s_cmp_lg_u64 s[0:1], 0
	s_cselect_b64 s[2:3], -1, 0
	s_and_b64 s[2:3], s[4:5], s[2:3]
	s_and_saveexec_b64 s[18:19], s[2:3]
	s_cbranch_execz .LBB5_27
; %bb.24:                               ;   in Loop: Header=BB5_21 Depth=2
	s_mov_b64 s[22:23], exec
	v_mbcnt_lo_u32_b32 v10, s22, 0
	v_mbcnt_hi_u32_b32 v10, s23, v10
	s_bcnt1_i32_b64 s24, s[0:1]
	v_cmp_eq_u32_e64 s[2:3], 0, v10
                                        ; implicit-def: $vgpr11
	s_and_saveexec_b64 s[20:21], s[2:3]
; %bb.25:                               ;   in Loop: Header=BB5_21 Depth=2
	s_bcnt1_i32_b64 s2, s[22:23]
	s_mul_i32 s2, s24, s2
	v_mov_b32_e32 v11, s2
	ds_add_rtn_u32 v11, v3, v11 offset:5136
; %bb.26:                               ;   in Loop: Header=BB5_21 Depth=2
	s_or_b64 exec, exec, s[20:21]
	s_waitcnt lgkmcnt(0)
	v_readfirstlane_b32 s2, v11
	s_nop 1
	v_mov_b32_e32 v11, s2
	v_mad_u32_u24 v10, s24, v10, v11
.LBB5_27:                               ;   in Loop: Header=BB5_21 Depth=2
	s_or_b64 exec, exec, s[18:19]
	ds_bpermute_b32 v10, v41, v10
	s_and_b64 s[2:3], exec, vcc
	s_or_b64 s[8:9], s[2:3], s[8:9]
	s_and_saveexec_b64 s[2:3], s[0:1]
	s_cbranch_execz .LBB5_20
; %bb.28:                               ;   in Loop: Header=BB5_21 Depth=2
	v_and_b32_e32 v36, s0, v18
	v_and_b32_e32 v11, s1, v19
	v_bcnt_u32_b32 v36, v36, 0
	v_bcnt_u32_b32 v11, v11, v36
	s_waitcnt lgkmcnt(0)
	v_add_u32_e32 v10, v10, v11
	ds_write_b8 v10, v8
	s_branch .LBB5_20
.LBB5_29:                               ;   in Loop: Header=BB5_16 Depth=1
	s_mov_b64 s[6:7], -1
	s_mov_b64 s[0:1], 0
.LBB5_30:                               ;   in Loop: Header=BB5_16 Depth=1
	s_and_b64 vcc, exec, s[6:7]
	s_cbranch_vccz .LBB5_46
.LBB5_31:                               ;   in Loop: Header=BB5_16 Depth=1
	s_mov_b64 s[0:1], exec
	v_readlane_b32 s2, v66, 30
	v_readlane_b32 s3, v66, 31
	s_and_b64 s[2:3], s[0:1], s[2:3]
	s_mov_b64 exec, s[2:3]
	s_cbranch_execz .LBB5_43
; %bb.32:                               ;   in Loop: Header=BB5_16 Depth=1
	global_load_ushort v2, v3, s[50:51]
	global_load_ubyte v38, v[14:15], off
	v_mov_b32_e32 v8, v0
	s_waitcnt vmcnt(1)
	v_readfirstlane_b32 s6, v2
	v_add_u32_sdwa v2, v2, v0 dst_sel:DWORD dst_unused:UNUSED_PAD src0_sel:WORD_0 src1_sel:DWORD
	v_cmp_gt_i64_e32 vcc, s[56:57], v[2:3]
	s_and_saveexec_b64 s[2:3], vcc
	s_cbranch_execz .LBB5_42
; %bb.33:                               ;   in Loop: Header=BB5_16 Depth=1
	s_and_b32 s86, s6, 0xffff
	s_cmp_eq_u32 s86, 1
	v_readlane_b32 s8, v66, 36
	s_cselect_b64 s[6:7], -1, 0
	v_readlane_b32 s9, v66, 37
	s_and_b64 s[16:17], s[8:9], s[6:7]
	s_mov_b64 s[8:9], -1
	v_mov_b64_e32 v[6:7], v[0:1]
	v_mov_b64_e32 v[4:5], v[2:3]
                                        ; implicit-def: $vgpr8_vgpr9
	s_and_saveexec_b64 s[6:7], s[16:17]
	s_cbranch_execz .LBB5_37
; %bb.34:                               ;   in Loop: Header=BB5_16 Depth=1
	v_lshl_add_u64 v[8:9], v[2:3], 0, 3
	v_lshl_add_u64 v[6:7], v[2:3], 0, 2
	;; [unrolled: 1-line block ×3, first 2 shown]
	v_mov_b64_e32 v[10:11], v[8:9]
	s_waitcnt vmcnt(0)
	v_lshlrev_b32_e32 v48, 24, v38
	s_mov_b64 s[8:9], 0
	v_mov_b64_e32 v[36:37], v[20:21]
	v_mov_b32_e32 v39, v0
	v_mov_b64_e32 v[8:9], v[6:7]
	v_mov_b64_e32 v[6:7], v[4:5]
	;; [unrolled: 1-line block ×3, first 2 shown]
.LBB5_35:                               ;   Parent Loop BB5_16 Depth=1
                                        ; =>  This Inner Loop Header: Depth=2
	v_mov_b64_e32 v[52:53], s[88:89]
	v_readlane_b32 s11, v66, 38
	v_mul_lo_u32 v64, v10, s73
	v_mul_lo_u32 v65, v11, s96
	v_mad_u64_u32 v[54:55], s[16:17], v4, s92, v[52:53]
	v_mad_u64_u32 v[56:57], s[16:17], v6, s33, v[52:53]
	v_mad_u64_u32 v[58:59], s[16:17], v8, s11, v[52:53]
	v_mad_u64_u32 v[52:53], s[16:17], v10, s96, v[52:53]
	v_mul_lo_u32 v38, v4, s10
	v_mul_lo_u32 v49, v5, s92
	;; [unrolled: 1-line block ×6, first 2 shown]
	v_add3_u32 v53, v65, v53, v64
	v_add3_u32 v55, v49, v55, v38
	;; [unrolled: 1-line block ×4, first 2 shown]
	global_load_ubyte v38, v[52:53], off
	global_load_ubyte v49, v[56:57], off
	s_nop 0
	global_load_ubyte v52, v[54:55], off
	global_load_ubyte v53, v[58:59], off
	s_mov_b32 s16, 0xc0c0007
	v_lshl_add_u64 v[36:37], v[36:37], 0, -4
	v_cmp_eq_u64_e32 vcc, 0, v[36:37]
	v_lshl_add_u64 v[10:11], v[10:11], 0, 4
	v_lshl_add_u64 v[8:9], v[8:9], 0, 4
	;; [unrolled: 1-line block ×4, first 2 shown]
	s_or_b64 s[8:9], vcc, s[8:9]
	s_waitcnt vmcnt(1)
	v_perm_b32 v54, v52, v49, s44
	s_waitcnt vmcnt(0)
	v_perm_b32 v55, v53, v38, s44
	v_perm_b32 v49, v49, v53, s44
	v_perm_b32 v48, v48, v52, s16
	v_lshl_or_b32 v52, v55, 16, v54
	v_lshl_or_b32 v48, v49, 16, v48
	ds_write_b32 v39, v48
	v_add_u32_e32 v39, 4, v39
	v_mov_b32_e32 v48, v52
	s_andn2_b64 exec, exec, s[8:9]
	s_cbranch_execnz .LBB5_35
; %bb.36:                               ;   in Loop: Header=BB5_16 Depth=1
	s_or_b64 exec, exec, s[8:9]
	v_readlane_b32 s8, v66, 39
	v_lshl_add_u64 v[4:5], v[2:3], 0, v[20:21]
	v_readlane_b32 s9, v66, 40
	v_lshl_add_u64 v[8:9], v[4:5], 0, -1
	s_orn2_b64 s[8:9], s[8:9], exec
	v_mov_b64_e32 v[6:7], v[22:23]
.LBB5_37:                               ;   in Loop: Header=BB5_16 Depth=1
	s_or_b64 exec, exec, s[6:7]
	s_and_saveexec_b64 s[6:7], s[8:9]
	s_cbranch_execz .LBB5_41
; %bb.38:                               ;   in Loop: Header=BB5_16 Depth=1
	v_readlane_b32 s18, v66, 46
	v_readlane_b32 s19, v66, 47
	s_sub_u32 s8, 0, s86
	v_mul_lo_u32 v2, s62, v5
	v_mov_b64_e32 v[8:9], s[18:19]
	v_mad_u64_u32 v[8:9], s[18:19], s62, v4, v[8:9]
	v_mul_lo_u32 v7, s63, v4
	s_mul_i32 s18, s63, s86
	s_mul_hi_u32 s19, s62, s86
	s_mov_b64 s[16:17], 0
	s_subb_u32 s9, 0, 0
	v_add3_u32 v9, v7, v9, v2
	s_add_i32 s19, s19, s18
	s_mul_i32 s18, s62, s86
.LBB5_39:                               ;   Parent Loop BB5_16 Depth=1
                                        ; =>  This Inner Loop Header: Depth=2
	global_load_ubyte v2, v[8:9], off
	v_mov_b64_e32 v[10:11], v[4:5]
	v_lshl_add_u64 v[4:5], v[10:11], 0, s[86:87]
	v_cmp_le_i64_e32 vcc, s[56:57], v[4:5]
	s_waitcnt vmcnt(1)
	ds_write_b8 v6, v38
	v_lshl_add_u64 v[8:9], v[8:9], 0, s[18:19]
	v_mov_b64_e32 v[6:7], v[10:11]
	s_or_b64 s[16:17], vcc, s[16:17]
	s_waitcnt vmcnt(0)
	v_mov_b32_e32 v38, v2
	s_andn2_b64 exec, exec, s[16:17]
	s_cbranch_execnz .LBB5_39
; %bb.40:                               ;   in Loop: Header=BB5_16 Depth=1
	s_or_b64 exec, exec, s[16:17]
	v_lshl_add_u64 v[8:9], s[8:9], 0, v[4:5]
	v_mov_b32_e32 v38, v2
.LBB5_41:                               ;   in Loop: Header=BB5_16 Depth=1
	s_or_b64 exec, exec, s[6:7]
.LBB5_42:                               ;   in Loop: Header=BB5_16 Depth=1
	s_or_b64 exec, exec, s[2:3]
	s_waitcnt vmcnt(0)
	ds_write_b8 v8, v38
.LBB5_43:                               ;   in Loop: Header=BB5_16 Depth=1
	s_or_b64 exec, exec, s[0:1]
	s_waitcnt lgkmcnt(0)
	s_barrier
	s_mov_b64 s[0:1], exec
	v_readlane_b32 s2, v66, 12
	v_readlane_b32 s3, v66, 13
	s_and_b64 s[2:3], s[0:1], s[2:3]
	s_mov_b64 exec, s[2:3]
; %bb.44:                               ;   in Loop: Header=BB5_16 Depth=1
	ds_write_b64 v3, v[50:51] offset:5120
; %bb.45:                               ;   in Loop: Header=BB5_16 Depth=1
	s_or_b64 exec, exec, s[0:1]
	s_mov_b64 s[0:1], -1
	s_waitcnt lgkmcnt(0)
	s_barrier
.LBB5_46:                               ;   in Loop: Header=BB5_16 Depth=1
	s_and_b64 vcc, exec, s[0:1]
	s_cbranch_vccz .LBB5_48
; %bb.47:                               ;   in Loop: Header=BB5_16 Depth=1
	ds_read_b64 v[4:5], v3 offset:5120
	s_waitcnt lgkmcnt(0)
	v_readfirstlane_b32 s60, v4
.LBB5_48:                               ;   in Loop: Header=BB5_16 Depth=1
	s_cmp_lt_i32 s60, 1
	s_mov_b64 s[0:1], -1
                                        ; implicit-def: $vgpr10_vgpr11
                                        ; implicit-def: $vgpr6_vgpr7
	s_cbranch_scc1 .LBB5_58
; %bb.49:                               ;   in Loop: Header=BB5_16 Depth=1
	s_and_b64 vcc, exec, s[0:1]
	s_cbranch_vccnz .LBB5_72
.LBB5_50:                               ;   in Loop: Header=BB5_16 Depth=1
	s_lshl_b32 s2, s45, 6
	s_and_saveexec_b64 s[0:1], s[4:5]
	s_mov_b64 s[60:61], s[98:99]
	s_cbranch_execz .LBB5_52
.LBB5_51:                               ;   in Loop: Header=BB5_16 Depth=1
	v_lshl_add_u32 v2, s2, 3, v42
	ds_write_b128 v2, v[4:7]
	ds_write_b128 v2, v[8:11] offset:16
.LBB5_52:                               ;   in Loop: Header=BB5_16 Depth=1
	s_or_b64 exec, exec, s[0:1]
	s_waitcnt lgkmcnt(0)
	s_barrier
	s_mov_b64 s[0:1], exec
	v_readlane_b32 s6, v66, 24
	v_readlane_b32 s7, v66, 25
	s_and_b64 s[6:7], s[0:1], s[6:7]
	s_mov_b64 exec, s[6:7]
	s_cbranch_execz .LBB5_90
; %bb.53:                               ;   in Loop: Header=BB5_16 Depth=1
	v_readlane_b32 s6, v66, 32
	v_readlane_b32 s7, v66, 33
	s_andn2_b64 vcc, exec, s[6:7]
	v_mov_b64_e32 v[4:5], 0
	s_cbranch_vccnz .LBB5_89
; %bb.54:                               ;   in Loop: Header=BB5_16 Depth=1
	v_readlane_b32 s6, v66, 41
	v_readlane_b32 s7, v66, 42
	s_andn2_b64 vcc, exec, s[6:7]
	s_cbranch_vccnz .LBB5_85
; %bb.55:                               ;   in Loop: Header=BB5_16 Depth=1
	v_lshl_add_u32 v2, s45, 9, v43
	v_mov_b64_e32 v[4:5], 0
	s_mov_b32 s3, 0
.LBB5_56:                               ;   Parent Loop BB5_16 Depth=1
                                        ; =>  This Inner Loop Header: Depth=2
	ds_read2_b64 v[6:9], v2 offset1:4
	ds_read2_b64 v[36:39], v2 offset0:8 offset1:12
	ds_read2_b64 v[52:55], v2 offset0:16 offset1:20
	;; [unrolled: 1-line block ×3, first 2 shown]
	s_add_i32 s3, s3, 8
	s_waitcnt lgkmcnt(3)
	v_lshl_add_u64 v[4:5], v[6:7], 0, v[4:5]
	v_lshl_add_u64 v[4:5], v[8:9], 0, v[4:5]
	s_waitcnt lgkmcnt(2)
	v_lshl_add_u64 v[4:5], v[36:37], 0, v[4:5]
	v_lshl_add_u64 v[4:5], v[38:39], 0, v[4:5]
	;; [unrolled: 3-line block ×3, first 2 shown]
	s_waitcnt lgkmcnt(0)
	v_lshl_add_u64 v[4:5], v[56:57], 0, v[4:5]
	v_add_u32_e32 v2, 0x100, v2
	s_cmp_eq_u32 s82, s3
	v_lshl_add_u64 v[4:5], v[58:59], 0, v[4:5]
	s_cbranch_scc0 .LBB5_56
; %bb.57:                               ;   in Loop: Header=BB5_16 Depth=1
	s_mov_b32 s3, s82
	s_branch .LBB5_86
.LBB5_58:                               ;   in Loop: Header=BB5_16 Depth=1
	global_load_ushort v2, v3, s[50:51]
	s_mov_b64 s[4:5], s[12:13]
	s_mov_b64 s[12:13], s[74:75]
	s_mov_b32 s0, s87
	s_mov_b64 s[70:71], s[80:81]
	s_waitcnt vmcnt(0)
	v_readfirstlane_b32 s1, v2
	s_and_b32 s74, s1, 0xffff
	s_lshl_b32 s86, s74, 2
	s_mov_b32 s1, s57
	s_cmp_lg_u64 s[0:1], 0
	s_cbranch_scc0 .LBB5_81
; %bb.59:                               ;   in Loop: Header=BB5_16 Depth=1
	s_add_u32 s0, s86, 0
	s_addc_u32 s1, 0, 0
	s_xor_b64 s[0:1], s[0:1], 0
	v_cvt_f32_u32_e32 v2, s0
	v_cvt_f32_u32_e32 v4, s1
	s_sub_u32 s6, 0, s0
	s_subb_u32 s7, 0, s1
	v_fmac_f32_e32 v2, 0x4f800000, v4
	v_rcp_f32_e32 v2, v2
	s_nop 0
	v_mul_f32_e32 v2, 0x5f7ffffc, v2
	v_mul_f32_e32 v4, 0x2f800000, v2
	v_trunc_f32_e32 v4, v4
	v_fmac_f32_e32 v2, 0xcf800000, v4
	v_cvt_u32_f32_e32 v4, v4
	v_cvt_u32_f32_e32 v2, v2
	v_readfirstlane_b32 s8, v4
	v_readfirstlane_b32 s2, v2
	s_mul_i32 s3, s6, s8
	s_mul_hi_u32 s16, s6, s2
	s_mul_i32 s9, s7, s2
	s_add_i32 s3, s16, s3
	s_mul_i32 s17, s6, s2
	s_add_i32 s3, s3, s9
	s_mul_i32 s16, s2, s3
	s_mul_hi_u32 s18, s2, s17
	s_mul_hi_u32 s9, s2, s3
	s_add_u32 s16, s18, s16
	s_addc_u32 s9, 0, s9
	s_mul_hi_u32 s19, s8, s17
	s_mul_i32 s17, s8, s17
	s_add_u32 s16, s16, s17
	s_mul_hi_u32 s18, s8, s3
	s_addc_u32 s9, s9, s19
	s_addc_u32 s16, s18, 0
	s_mul_i32 s3, s8, s3
	s_add_u32 s3, s9, s3
	s_addc_u32 s9, 0, s16
	s_add_u32 s16, s2, s3
	s_cselect_b64 s[2:3], -1, 0
	s_cmp_lg_u64 s[2:3], 0
	s_addc_u32 s8, s8, s9
	s_mul_i32 s2, s6, s8
	s_mul_hi_u32 s3, s6, s16
	s_add_i32 s2, s3, s2
	s_mul_i32 s7, s7, s16
	s_add_i32 s2, s2, s7
	s_mul_i32 s6, s6, s16
	s_mul_hi_u32 s7, s8, s6
	s_mul_i32 s9, s8, s6
	s_mul_i32 s18, s16, s2
	s_mul_hi_u32 s6, s16, s6
	s_mul_hi_u32 s17, s16, s2
	s_add_u32 s6, s6, s18
	s_addc_u32 s17, 0, s17
	s_add_u32 s6, s6, s9
	s_mul_hi_u32 s3, s8, s2
	s_addc_u32 s6, s17, s7
	s_addc_u32 s3, s3, 0
	s_mul_i32 s2, s8, s2
	s_add_u32 s2, s6, s2
	s_addc_u32 s6, 0, s3
	s_add_u32 s9, s16, s2
	s_cselect_b64 s[2:3], -1, 0
	s_cmp_lg_u64 s[2:3], 0
	s_addc_u32 s8, s8, s6
	s_ashr_i32 s2, s57, 31
	s_add_u32 s6, s56, s2
	s_mov_b32 s3, s2
	s_addc_u32 s7, s57, s2
	s_xor_b64 s[6:7], s[6:7], s[2:3]
	s_mul_i32 s17, s6, s8
	s_mul_hi_u32 s18, s6, s9
	s_mul_hi_u32 s16, s6, s8
	s_add_u32 s17, s18, s17
	s_addc_u32 s16, 0, s16
	s_mul_hi_u32 s19, s7, s9
	s_mul_i32 s9, s7, s9
	s_add_u32 s9, s17, s9
	s_mul_hi_u32 s18, s7, s8
	s_addc_u32 s9, s16, s19
	s_addc_u32 s16, s18, 0
	s_mul_i32 s8, s7, s8
	s_add_u32 s8, s9, s8
	s_addc_u32 s9, 0, s16
	s_mul_i32 s9, s0, s9
	s_mul_hi_u32 s16, s0, s8
	s_add_i32 s9, s16, s9
	s_mul_i32 s16, s1, s8
	s_add_i32 s18, s9, s16
	s_sub_i32 s16, s7, s18
	s_mul_i32 s8, s0, s8
	s_sub_u32 s6, s6, s8
	s_cselect_b64 s[8:9], -1, 0
	s_cmp_lg_u64 s[8:9], 0
	s_subb_u32 s19, s16, s1
	s_sub_u32 s20, s6, s0
	s_cselect_b64 s[16:17], -1, 0
	s_cmp_lg_u64 s[16:17], 0
	s_subb_u32 s21, s19, 0
	s_cmp_ge_u32 s21, s1
	s_cselect_b32 s22, -1, 0
	s_cmp_ge_u32 s20, s0
	s_cselect_b32 s23, -1, 0
	s_cmp_eq_u32 s21, s1
	s_cselect_b32 s22, s23, s22
	s_cmp_lg_u64 s[16:17], 0
	s_subb_u32 s19, s19, s1
	s_sub_u32 s23, s20, s0
	s_cselect_b64 s[16:17], -1, 0
	s_cmp_lg_u64 s[16:17], 0
	s_subb_u32 s16, s19, 0
	s_cmp_lg_u32 s22, 0
	s_cselect_b32 s17, s23, s20
	s_cselect_b32 s16, s16, s21
	s_cmp_lg_u64 s[8:9], 0
	s_subb_u32 s7, s7, s18
	s_cmp_ge_u32 s7, s1
	s_cselect_b32 s8, -1, 0
	s_cmp_ge_u32 s6, s0
	s_cselect_b32 s0, -1, 0
	s_cmp_eq_u32 s7, s1
	s_cselect_b32 s0, s0, s8
	s_cmp_lg_u32 s0, 0
	s_cselect_b32 s1, s16, s7
	s_cselect_b32 s0, s17, s6
	s_xor_b64 s[0:1], s[0:1], s[2:3]
	s_sub_u32 s80, s0, s2
	s_subb_u32 s81, s1, s2
	s_cbranch_execnz .LBB5_61
.LBB5_60:                               ;   in Loop: Header=BB5_16 Depth=1
	v_cvt_f32_u32_e32 v2, s86
	s_sub_i32 s0, 0, s86
	s_mov_b32 s81, s87
	v_rcp_iflag_f32_e32 v2, v2
	s_nop 0
	v_mul_f32_e32 v2, 0x4f7ffffe, v2
	v_cvt_u32_f32_e32 v2, v2
	s_nop 0
	v_readfirstlane_b32 s1, v2
	s_mul_i32 s0, s0, s1
	s_mul_hi_u32 s0, s1, s0
	s_add_i32 s1, s1, s0
	s_mul_hi_u32 s0, s56, s1
	s_mul_i32 s0, s0, s86
	s_sub_i32 s0, s56, s0
	s_sub_i32 s1, s0, s86
	s_cmp_ge_u32 s0, s86
	s_cselect_b32 s0, s1, s0
	s_sub_i32 s1, s0, s86
	s_cmp_ge_u32 s0, s86
	s_cselect_b32 s80, s1, s0
.LBB5_61:                               ;   in Loop: Header=BB5_16 Depth=1
	s_sub_u32 s82, s56, s80
	s_subb_u32 s83, s57, s81
	s_mov_b32 s75, s87
	v_cmp_gt_i64_e32 vcc, s[82:83], v[16:17]
	v_mov_b64_e32 v[4:5], 0
	v_mov_b64_e32 v[6:7], 0
	;; [unrolled: 1-line block ×4, first 2 shown]
	s_and_saveexec_b64 s[30:31], vcc
	s_cbranch_execz .LBB5_65
; %bb.62:                               ;   in Loop: Header=BB5_16 Depth=1
	v_writelane_b32 v66, s45, 59
	v_writelane_b32 v66, s54, 60
	s_mov_b32 s33, s10
	s_mov_b32 s97, s95
	v_writelane_b32 v66, s55, 61
	s_mov_b64 s[10:11], s[90:91]
	v_readlane_b32 s0, v66, 26
	v_readlane_b32 s1, v66, 27
	;; [unrolled: 1-line block ×4, first 2 shown]
	s_mul_i32 s0, s67, s74
	s_mul_hi_u32 s1, s66, s74
	s_add_i32 s61, s1, s0
	s_mov_b64 s[72:73], 0
	s_mov_b64 s[92:93], s[88:89]
	;; [unrolled: 1-line block ×6, first 2 shown]
	v_mov_b64_e32 v[36:37], v[16:17]
.LBB5_63:                               ;   Parent Loop BB5_16 Depth=1
                                        ; =>  This Inner Loop Header: Depth=2
	v_lshl_add_u64 v[4:5], s[88:89], 0, v[30:31]
	v_lshl_add_u64 v[6:7], s[88:89], 0, v[28:29]
	;; [unrolled: 1-line block ×4, first 2 shown]
	global_load_ubyte v2, v[4:5], off
	s_nop 0
	global_load_ubyte v4, v[6:7], off
	global_load_ubyte v5, v[8:9], off
	s_nop 0
	global_load_ubyte v6, v[10:11], off
	s_mul_i32 s96, s66, s74
	v_lshl_add_u64 v[36:37], v[36:37], 0, s[86:87]
	v_cmp_le_i64_e32 vcc, s[82:83], v[36:37]
	s_waitcnt vmcnt(3)
	v_and_b32_e32 v7, v46, v2
	v_bfe_u32 v2, v2, s14, 2
	s_waitcnt vmcnt(2)
	v_and_b32_e32 v8, v46, v4
	v_bfe_u32 v4, v4, s14, 2
	v_cmp_eq_u32_e64 s[0:1], v7, v44
	v_cmp_eq_u32_e64 s[20:21], 0, v2
	s_waitcnt vmcnt(1)
	v_and_b32_e32 v9, v46, v5
	v_bfe_u32 v5, v5, s14, 2
	v_cmp_eq_u32_e64 s[2:3], v8, v44
	v_cmp_eq_u32_e64 s[22:23], 0, v4
	s_and_b64 s[20:21], s[0:1], s[20:21]
	s_waitcnt vmcnt(0)
	v_and_b32_e32 v10, v46, v6
	v_bfe_u32 v6, v6, s14, 2
	v_cmp_eq_u32_e64 s[16:17], v9, v44
	v_cmp_eq_u32_e64 s[24:25], 0, v5
	;; [unrolled: 1-line block ×5, first 2 shown]
	v_cndmask_b32_e64 v2, 0, 1, s[20:21]
	s_and_b64 s[20:21], s[2:3], s[22:23]
	v_cmp_eq_u32_e64 s[18:19], v10, v44
	v_cmp_eq_u32_e64 s[26:27], 0, v6
	;; [unrolled: 1-line block ×5, first 2 shown]
	v_cndmask_b32_e64 v4, 0, 1, s[20:21]
	s_and_b64 s[20:21], s[16:17], s[24:25]
	v_cmp_eq_u32_e64 s[36:37], 1, v5
	v_cmp_eq_u32_e64 s[44:45], 2, v5
	;; [unrolled: 1-line block ×3, first 2 shown]
	v_cndmask_b32_e64 v5, 0, 1, s[20:21]
	s_and_b64 s[20:21], s[18:19], s[26:27]
	v_cmp_eq_u32_e64 s[38:39], 1, v6
	v_cmp_eq_u32_e64 s[46:47], 2, v6
	;; [unrolled: 1-line block ×3, first 2 shown]
	v_cndmask_b32_e64 v6, 0, 1, s[20:21]
	v_cmp_ne_u32_e64 s[20:21], 0, v2
	v_cmp_ne_u32_e64 s[22:23], 0, v4
	v_cmp_ne_u32_e64 s[24:25], 0, v5
	v_cmp_ne_u32_e64 s[26:27], 0, v6
	s_bcnt1_i32_b64 s20, s[20:21]
	s_bcnt1_i32_b64 s21, s[22:23]
	s_bcnt1_i32_b64 s22, s[24:25]
	s_bcnt1_i32_b64 s23, s[26:27]
	s_add_u32 s6, s20, s6
	s_addc_u32 s7, 0, s7
	s_add_u32 s6, s6, s21
	s_addc_u32 s7, s7, 0
	s_add_u32 s6, s6, s22
	s_addc_u32 s7, s7, 0
	s_add_u32 s6, s6, s23
	s_addc_u32 s7, s7, 0
	s_and_b64 s[20:21], s[0:1], s[28:29]
	v_cndmask_b32_e64 v2, 0, 1, s[20:21]
	s_and_b64 s[20:21], s[2:3], s[34:35]
	v_cndmask_b32_e64 v6, 0, 1, s[20:21]
	s_and_b64 s[20:21], s[16:17], s[36:37]
	v_cndmask_b32_e64 v7, 0, 1, s[20:21]
	s_and_b64 s[20:21], s[18:19], s[38:39]
	v_cndmask_b32_e64 v8, 0, 1, s[20:21]
	v_cmp_ne_u32_e64 s[20:21], 0, v2
	v_cmp_ne_u32_e64 s[22:23], 0, v6
	v_cmp_ne_u32_e64 s[24:25], 0, v7
	v_cmp_ne_u32_e64 s[26:27], 0, v8
	s_bcnt1_i32_b64 s20, s[20:21]
	s_bcnt1_i32_b64 s21, s[22:23]
	s_bcnt1_i32_b64 s22, s[24:25]
	s_bcnt1_i32_b64 s23, s[26:27]
	s_add_u32 s20, s20, s64
	s_addc_u32 s24, 0, s65
	s_add_u32 s20, s20, s21
	s_addc_u32 s21, s24, 0
	s_add_u32 s20, s20, s22
	s_addc_u32 s21, s21, 0
	s_add_u32 s64, s20, s23
	s_addc_u32 s65, s21, 0
	s_and_b64 s[20:21], s[0:1], s[40:41]
	v_cndmask_b32_e64 v2, 0, 1, s[20:21]
	s_and_b64 s[20:21], s[2:3], s[42:43]
	v_cndmask_b32_e64 v8, 0, 1, s[20:21]
	s_and_b64 s[20:21], s[16:17], s[44:45]
	v_cndmask_b32_e64 v9, 0, 1, s[20:21]
	s_and_b64 s[20:21], s[18:19], s[46:47]
	;; [unrolled: 24-line block ×3, first 2 shown]
	v_cndmask_b32_e64 v38, 0, 1, s[0:1]
	v_cmp_ne_u32_e64 s[0:1], 0, v2
	v_cmp_ne_u32_e64 s[2:3], 0, v10
	;; [unrolled: 1-line block ×4, first 2 shown]
	s_bcnt1_i32_b64 s0, s[0:1]
	s_bcnt1_i32_b64 s1, s[2:3]
	s_bcnt1_i32_b64 s2, s[16:17]
	s_bcnt1_i32_b64 s3, s[18:19]
	s_add_u32 s0, s0, s8
	s_addc_u32 s8, 0, s9
	s_add_u32 s0, s0, s1
	s_addc_u32 s1, s8, 0
	;; [unrolled: 2-line block ×5, first 2 shown]
	v_mov_b64_e32 v[4:5], s[6:7]
	v_mov_b64_e32 v[6:7], s[64:65]
	v_mov_b64_e32 v[8:9], s[94:95]
	s_or_b64 s[72:73], vcc, s[72:73]
	v_mov_b64_e32 v[10:11], s[8:9]
	s_andn2_b64 exec, exec, s[72:73]
	s_cbranch_execnz .LBB5_63
; %bb.64:                               ;   in Loop: Header=BB5_16 Depth=1
	s_or_b64 exec, exec, s[72:73]
	v_readlane_b32 s54, v66, 60
	v_readlane_b32 s50, v66, 48
	s_mov_b64 s[88:89], s[92:93]
	s_mov_b64 s[90:91], s[10:11]
	s_mov_b32 s95, s97
	v_readlane_b32 s55, v66, 61
	v_readlane_b32 s51, v66, 49
	s_mov_b32 s10, s33
	v_readlane_b32 s92, v66, 56
	v_readlane_b32 s33, v66, 58
	;; [unrolled: 1-line block ×5, first 2 shown]
	s_mov_b32 s44, 0xc0c0004
	v_readlane_b32 s45, v66, 59
.LBB5_65:                               ;   in Loop: Header=BB5_16 Depth=1
	s_or_b64 exec, exec, s[30:31]
	v_lshl_add_u64 v[36:37], s[82:83], 0, v[0:1]
	v_cmp_gt_i64_e32 vcc, s[56:57], v[36:37]
	s_and_saveexec_b64 s[2:3], vcc
	v_readlane_b32 s82, v66, 53
	s_cbranch_execz .LBB5_71
; %bb.66:                               ;   in Loop: Header=BB5_16 Depth=1
	v_mov_b64_e32 v[38:39], s[88:89]
	v_mad_u64_u32 v[38:39], s[0:1], v36, s62, v[38:39]
	v_mul_lo_u32 v2, v36, s63
	v_mul_lo_u32 v48, v37, s62
	v_add3_u32 v39, v48, v39, v2
	global_load_ubyte v2, v[38:39], off
	v_lshl_add_u64 v[38:39], v[32:33], 0, s[74:75]
	v_mov_b32_e32 v48, s81
	v_subrev_co_u32_e32 v49, vcc, s80, v38
	v_readlane_b32 s0, v66, 46
	s_nop 0
	v_subb_co_u32_e32 v38, vcc, v39, v48, vcc
	v_readlane_b32 s1, v66, 47
	v_mul_lo_u32 v48, s62, v38
	v_mul_lo_u32 v52, s63, v49
	v_mov_b64_e32 v[38:39], s[0:1]
	v_mad_u64_u32 v[38:39], s[0:1], s62, v49, v[38:39]
	s_mul_i32 s0, s63, s74
	s_mul_hi_u32 s1, s62, s74
	v_add3_u32 v39, v52, v39, v48
	s_add_i32 s7, s1, s0
	s_mul_i32 s6, s62, s74
	s_mov_b64 s[8:9], 0
	s_branch .LBB5_68
.LBB5_67:                               ;   in Loop: Header=BB5_68 Depth=2
	s_or_b64 exec, exec, s[16:17]
	s_waitcnt vmcnt(0)
	v_and_b32_e32 v49, 0xff, v2
	v_bitop3_b32 v2, v46, v2, s15 bitop3:0x80
	s_and_b64 s[0:1], exec, vcc
	v_cmp_eq_u32_e32 vcc, v2, v44
	v_bfe_u32 v2, v49, s14, 2
	s_or_b64 s[8:9], s[0:1], s[8:9]
	v_cmp_eq_u32_e64 s[0:1], 0, v2
	s_and_b64 s[0:1], vcc, s[0:1]
	v_lshl_add_u64 v[38:39], v[38:39], 0, s[6:7]
	v_cndmask_b32_e64 v49, 0, 1, s[0:1]
	v_cmp_ne_u32_e64 s[0:1], 0, v49
	s_bcnt1_i32_b64 s86, s[0:1]
	v_cmp_eq_u32_e64 s[0:1], 1, v2
	s_and_b64 s[0:1], vcc, s[0:1]
	v_lshl_add_u64 v[4:5], s[86:87], 0, v[4:5]
	v_cndmask_b32_e64 v49, 0, 1, s[0:1]
	v_cmp_ne_u32_e64 s[0:1], 0, v49
	s_bcnt1_i32_b64 s86, s[0:1]
	;; [unrolled: 6-line block ×3, first 2 shown]
	v_cmp_eq_u32_e64 s[0:1], 3, v2
	s_and_b64 s[0:1], vcc, s[0:1]
	v_lshl_add_u64 v[8:9], s[86:87], 0, v[8:9]
	v_cndmask_b32_e64 v2, 0, 1, s[0:1]
	v_cmp_ne_u32_e32 vcc, 0, v2
	s_bcnt1_i32_b64 s86, vcc
	v_lshl_add_u64 v[10:11], s[86:87], 0, v[10:11]
	v_mov_b32_e32 v2, v48
	s_andn2_b64 exec, exec, s[8:9]
	s_cbranch_execz .LBB5_70
.LBB5_68:                               ;   Parent Loop BB5_16 Depth=1
                                        ; =>  This Inner Loop Header: Depth=2
	v_lshl_add_u64 v[36:37], v[36:37], 0, s[74:75]
	v_cmp_gt_i64_e64 s[0:1], s[56:57], v[36:37]
	v_cmp_le_i64_e32 vcc, s[56:57], v[36:37]
	v_mov_b32_e32 v48, 0
	s_and_saveexec_b64 s[16:17], s[0:1]
	s_cbranch_execz .LBB5_67
; %bb.69:                               ;   in Loop: Header=BB5_68 Depth=2
	global_load_ubyte v48, v[38:39], off
	s_branch .LBB5_67
.LBB5_70:                               ;   in Loop: Header=BB5_16 Depth=1
	s_or_b64 exec, exec, s[8:9]
.LBB5_71:                               ;   in Loop: Header=BB5_16 Depth=1
	s_or_b64 exec, exec, s[2:3]
	s_mov_b64 s[74:75], s[12:13]
	s_mov_b64 s[12:13], s[4:5]
	v_readlane_b32 s4, v66, 51
	v_readlane_b32 s73, v66, 50
	;; [unrolled: 1-line block ×3, first 2 shown]
	s_mov_b64 s[80:81], s[70:71]
	s_branch .LBB5_50
.LBB5_72:                               ;   in Loop: Header=BB5_16 Depth=1
	global_load_ushort v2, v3, s[50:51]
	v_mov_b64_e32 v[8:9], 0
	s_waitcnt vmcnt(0)
	v_readfirstlane_b32 s0, v2
	s_and_b32 s61, 0xffff, s0
	s_lshl_b32 s86, s61, 2
	v_cvt_f32_u32_e32 v4, s86
	s_sub_i32 s0, 0, s86
	v_rcp_iflag_f32_e32 v6, v4
	v_mov_b64_e32 v[4:5], 0
	v_mul_f32_e32 v6, 0x4f7ffffe, v6
	v_cvt_u32_f32_e32 v10, v6
	v_mov_b64_e32 v[6:7], 0
	v_readfirstlane_b32 s1, v10
	s_mul_i32 s0, s0, s1
	s_mul_hi_u32 s0, s1, s0
	s_add_i32 s1, s1, s0
	s_mul_hi_u32 s0, s60, s1
	s_mul_i32 s1, s0, s86
	s_sub_i32 s1, s60, s1
	s_add_i32 s2, s0, 1
	s_sub_i32 s3, s1, s86
	s_cmp_ge_u32 s1, s86
	s_cselect_b32 s0, s2, s0
	s_cselect_b32 s1, s3, s1
	s_add_i32 s2, s0, 1
	s_cmp_ge_u32 s1, s86
	s_cselect_b32 s0, s2, s0
	s_mul_hi_u32 s7, s61, s0
	s_mul_i32 s6, s61, s0
	s_lshl_b64 s[8:9], s[6:7], 2
	v_cmp_gt_u64_e32 vcc, s[8:9], v[16:17]
	v_mov_b64_e32 v[10:11], 0
	s_and_saveexec_b64 s[30:31], vcc
	s_cbranch_execz .LBB5_76
; %bb.73:                               ;   in Loop: Header=BB5_16 Depth=1
	s_mov_b64 s[70:71], s[80:81]
	s_mov_b64 s[4:5], s[12:13]
	;; [unrolled: 1-line block ×3, first 2 shown]
	s_mov_b32 s58, s45
	s_mov_b32 s11, s55
	s_mov_b64 s[64:65], 0
	v_mov_b32_e32 v38, v16
	s_mov_b64 s[72:73], 0
	s_mov_b64 s[74:75], 0
	;; [unrolled: 1-line block ×4, first 2 shown]
	v_mov_b64_e32 v[36:37], v[16:17]
.LBB5_74:                               ;   Parent Loop BB5_16 Depth=1
                                        ; =>  This Inner Loop Header: Depth=2
	ds_read_b32 v4, v38
	v_lshl_add_u64 v[36:37], v[36:37], 0, s[86:87]
	v_cmp_le_u64_e32 vcc, s[8:9], v[36:37]
	v_add_u32_e32 v38, s86, v38
	s_waitcnt lgkmcnt(0)
	v_and_b32_e32 v8, 0xff, v4
	v_lshrrev_b32_e32 v5, 16, v4
	v_lshrrev_b32_e32 v6, 8, v4
	v_lshrrev_b32_e32 v7, 24, v4
	v_bfe_u32 v9, v4, 8, 8
	v_bfe_u32 v10, v4, 16, 8
	v_bitop3_b32 v4, v46, v4, s15 bitop3:0x80
	v_bfe_u32 v8, v8, s14, 2
	v_cmp_eq_u32_e64 s[18:19], v4, v44
	v_bitop3_b32 v4, v46, v6, s15 bitop3:0x80
	v_bfe_u32 v9, v9, s14, 2
	v_cmp_eq_u32_e64 s[2:3], 0, v8
	;; [unrolled: 3-line block ×3, first 2 shown]
	v_cmp_eq_u32_e64 s[34:35], 0, v9
	s_and_b64 s[2:3], s[18:19], s[2:3]
	v_and_b32_e32 v6, v46, v7
	v_bfe_u32 v7, v7, s14, 2
	v_cmp_eq_u32_e64 s[16:17], v5, v44
	v_cmp_eq_u32_e64 s[36:37], 0, v10
	v_cndmask_b32_e64 v4, 0, 1, s[2:3]
	s_and_b64 s[2:3], s[20:21], s[34:35]
	v_cmp_eq_u32_e64 s[0:1], v6, v44
	v_cmp_eq_u32_e64 s[38:39], 0, v7
	v_cndmask_b32_e64 v5, 0, 1, s[2:3]
	s_and_b64 s[2:3], s[16:17], s[36:37]
	v_cndmask_b32_e64 v6, 0, 1, s[2:3]
	s_and_b64 s[2:3], s[0:1], s[38:39]
	v_cmp_eq_u32_e64 s[46:47], 1, v7
	v_cmp_eq_u32_e64 s[54:55], 2, v7
	;; [unrolled: 1-line block ×3, first 2 shown]
	v_cndmask_b32_e64 v7, 0, 1, s[2:3]
	v_cmp_ne_u32_e64 s[2:3], 0, v4
	v_cmp_ne_u32_e64 s[34:35], 0, v5
	;; [unrolled: 1-line block ×4, first 2 shown]
	s_bcnt1_i32_b64 s2, s[2:3]
	s_bcnt1_i32_b64 s3, s[34:35]
	;; [unrolled: 1-line block ×4, first 2 shown]
	s_add_u32 s2, s2, s82
	s_addc_u32 s35, 0, s83
	s_add_u32 s2, s2, s3
	s_addc_u32 s3, s35, 0
	;; [unrolled: 2-line block ×3, first 2 shown]
	v_cmp_eq_u32_e64 s[40:41], 1, v8
	s_add_u32 s82, s2, s34
	v_cmp_eq_u32_e64 s[42:43], 1, v9
	s_addc_u32 s83, s3, 0
	s_and_b64 s[2:3], s[18:19], s[40:41]
	v_cmp_eq_u32_e64 s[44:45], 1, v10
	v_cndmask_b32_e64 v6, 0, 1, s[2:3]
	s_and_b64 s[2:3], s[20:21], s[42:43]
	v_cndmask_b32_e64 v7, 0, 1, s[2:3]
	s_and_b64 s[2:3], s[16:17], s[44:45]
	v_cmp_eq_u32_e64 s[48:49], 2, v8
	v_cmp_eq_u32_e64 s[28:29], 3, v8
	v_cndmask_b32_e64 v8, 0, 1, s[2:3]
	s_and_b64 s[2:3], s[0:1], s[46:47]
	v_cmp_eq_u32_e64 s[50:51], 2, v9
	v_cmp_eq_u32_e64 s[26:27], 3, v9
	v_cndmask_b32_e64 v9, 0, 1, s[2:3]
	v_cmp_ne_u32_e64 s[2:3], 0, v6
	v_cmp_ne_u32_e64 s[34:35], 0, v7
	;; [unrolled: 1-line block ×4, first 2 shown]
	s_bcnt1_i32_b64 s2, s[2:3]
	s_bcnt1_i32_b64 s3, s[34:35]
	;; [unrolled: 1-line block ×4, first 2 shown]
	s_add_u32 s2, s2, s80
	s_addc_u32 s35, 0, s81
	s_add_u32 s2, s2, s3
	s_addc_u32 s3, s35, 0
	;; [unrolled: 2-line block ×4, first 2 shown]
	s_and_b64 s[2:3], s[18:19], s[48:49]
	v_cmp_eq_u32_e64 s[52:53], 2, v10
	v_cndmask_b32_e64 v8, 0, 1, s[2:3]
	s_and_b64 s[2:3], s[20:21], s[50:51]
	v_cndmask_b32_e64 v9, 0, 1, s[2:3]
	s_and_b64 s[2:3], s[16:17], s[52:53]
	v_cmp_eq_u32_e64 s[24:25], 3, v10
	v_cndmask_b32_e64 v10, 0, 1, s[2:3]
	s_and_b64 s[2:3], s[0:1], s[54:55]
	v_cndmask_b32_e64 v11, 0, 1, s[2:3]
	v_cmp_ne_u32_e64 s[2:3], 0, v8
	v_cmp_ne_u32_e64 s[34:35], 0, v9
	;; [unrolled: 1-line block ×4, first 2 shown]
	s_bcnt1_i32_b64 s2, s[2:3]
	s_bcnt1_i32_b64 s3, s[34:35]
	;; [unrolled: 1-line block ×4, first 2 shown]
	s_add_u32 s2, s2, s74
	s_addc_u32 s35, 0, s75
	s_add_u32 s2, s2, s3
	s_addc_u32 s3, s35, 0
	;; [unrolled: 2-line block ×4, first 2 shown]
	s_and_b64 s[2:3], s[18:19], s[28:29]
	v_cndmask_b32_e64 v10, 0, 1, s[2:3]
	s_and_b64 s[2:3], s[20:21], s[26:27]
	v_cndmask_b32_e64 v11, 0, 1, s[2:3]
	s_and_b64 s[2:3], s[16:17], s[24:25]
	s_and_b64 s[0:1], s[0:1], s[22:23]
	v_cndmask_b32_e64 v39, 0, 1, s[2:3]
	v_cndmask_b32_e64 v48, 0, 1, s[0:1]
	v_cmp_ne_u32_e64 s[0:1], 0, v10
	v_cmp_ne_u32_e64 s[2:3], 0, v11
	;; [unrolled: 1-line block ×4, first 2 shown]
	s_bcnt1_i32_b64 s0, s[0:1]
	s_bcnt1_i32_b64 s1, s[2:3]
	;; [unrolled: 1-line block ×4, first 2 shown]
	s_add_u32 s0, s0, s72
	s_addc_u32 s7, 0, s73
	s_add_u32 s0, s0, s1
	s_addc_u32 s1, s7, 0
	;; [unrolled: 2-line block ×4, first 2 shown]
	v_mov_b64_e32 v[4:5], s[82:83]
	v_mov_b64_e32 v[6:7], s[80:81]
	;; [unrolled: 1-line block ×3, first 2 shown]
	s_or_b64 s[64:65], vcc, s[64:65]
	v_mov_b64_e32 v[10:11], s[72:73]
	s_andn2_b64 exec, exec, s[64:65]
	s_cbranch_execnz .LBB5_74
; %bb.75:                               ;   in Loop: Header=BB5_16 Depth=1
	s_or_b64 exec, exec, s[64:65]
	v_readlane_b32 s50, v66, 48
	s_mov_b64 s[74:75], s[12:13]
	s_mov_b64 s[12:13], s[4:5]
	v_readlane_b32 s4, v66, 51
	s_mov_b32 s55, s11
	v_readlane_b32 s51, v66, 49
	s_mov_b32 s44, 0xc0c0004
	s_mov_b32 s45, s58
	v_readlane_b32 s73, v66, 50
	v_readlane_b32 s5, v66, 52
	s_mov_b64 s[80:81], s[70:71]
	v_readlane_b32 s82, v66, 53
.LBB5_76:                               ;   in Loop: Header=BB5_16 Depth=1
	s_or_b64 exec, exec, s[30:31]
	s_and_b32 s22, s60, 0x7fffffff
	s_mov_b32 s23, s87
	v_lshl_add_u64 v[36:37], s[8:9], 0, v[0:1]
	v_and_b32_e32 v2, 0xffff, v2
	v_cmp_gt_u64_e32 vcc, s[22:23], v[36:37]
	s_and_saveexec_b64 s[8:9], vcc
	s_cbranch_execz .LBB5_80
; %bb.77:                               ;   in Loop: Header=BB5_16 Depth=1
	v_lshl_add_u32 v38, s6, 2, v0
	s_mov_b64 s[6:7], 0
.LBB5_78:                               ;   Parent Loop BB5_16 Depth=1
                                        ; =>  This Inner Loop Header: Depth=2
	ds_read_u8 v39, v38
	v_lshl_add_u64 v[36:37], v[36:37], 0, v[2:3]
	v_cmp_le_u64_e32 vcc, s[22:23], v[36:37]
	v_add_u32_e32 v38, s61, v38
	s_waitcnt lgkmcnt(0)
	v_and_b32_e32 v48, v46, v39
	v_bfe_u32 v39, v39, s14, 2
	v_cmp_eq_u32_e64 s[0:1], v48, v44
	v_cmp_eq_u32_e64 s[2:3], 0, v39
	;; [unrolled: 1-line block ×3, first 2 shown]
	s_and_b64 s[2:3], s[0:1], s[2:3]
	v_cmp_eq_u32_e64 s[18:19], 2, v39
	v_cmp_eq_u32_e64 s[20:21], 3, v39
	v_cndmask_b32_e64 v39, 0, 1, s[2:3]
	s_and_b64 s[2:3], s[0:1], s[16:17]
	v_cndmask_b32_e64 v48, 0, 1, s[2:3]
	s_and_b64 s[2:3], s[0:1], s[18:19]
	s_and_b64 s[0:1], s[0:1], s[20:21]
	v_cndmask_b32_e64 v52, 0, 1, s[0:1]
	v_cmp_ne_u32_e64 s[0:1], 0, v39
	v_cndmask_b32_e64 v49, 0, 1, s[2:3]
	v_cmp_ne_u32_e64 s[2:3], 0, v48
	s_bcnt1_i32_b64 s86, s[0:1]
	v_cmp_ne_u32_e64 s[16:17], 0, v49
	v_lshl_add_u64 v[4:5], s[86:87], 0, v[4:5]
	s_bcnt1_i32_b64 s86, s[2:3]
	v_cmp_ne_u32_e64 s[18:19], 0, v52
	v_lshl_add_u64 v[6:7], s[86:87], 0, v[6:7]
	s_bcnt1_i32_b64 s86, s[16:17]
	v_lshl_add_u64 v[8:9], s[86:87], 0, v[8:9]
	s_bcnt1_i32_b64 s86, s[18:19]
	s_or_b64 s[6:7], vcc, s[6:7]
	v_lshl_add_u64 v[10:11], s[86:87], 0, v[10:11]
	s_andn2_b64 exec, exec, s[6:7]
	s_cbranch_execnz .LBB5_78
; %bb.79:                               ;   in Loop: Header=BB5_16 Depth=1
	s_or_b64 exec, exec, s[6:7]
.LBB5_80:                               ;   in Loop: Header=BB5_16 Depth=1
	s_or_b64 exec, exec, s[8:9]
	s_lshl_b32 s2, s45, 6
	s_and_saveexec_b64 s[0:1], s[4:5]
	s_mov_b64 s[60:61], s[98:99]
	s_cbranch_execnz .LBB5_51
	s_branch .LBB5_52
.LBB5_81:                               ;   in Loop: Header=BB5_16 Depth=1
                                        ; implicit-def: $sgpr80_sgpr81
	s_branch .LBB5_60
.LBB5_82:                               ;   in Loop: Header=BB5_16 Depth=1
	s_or_b64 exec, exec, s[8:9]
	s_waitcnt lgkmcnt(0)
	s_barrier
	s_mov_b64 s[0:1], exec
	v_readlane_b32 s2, v66, 12
	v_readlane_b32 s3, v66, 13
	s_and_b64 s[2:3], s[0:1], s[2:3]
	s_mov_b64 exec, s[2:3]
	s_cbranch_execz .LBB5_84
; %bb.83:                               ;   in Loop: Header=BB5_16 Depth=1
	ds_read_b32 v4, v3 offset:5136
	s_waitcnt lgkmcnt(0)
	v_ashrrev_i32_e32 v5, 31, v4
	ds_write_b64 v3, v[4:5] offset:5120
.LBB5_84:                               ;   in Loop: Header=BB5_16 Depth=1
	s_or_b64 exec, exec, s[0:1]
	s_waitcnt lgkmcnt(0)
	s_barrier
	s_mov_b64 s[0:1], -1
	s_and_b64 vcc, exec, s[6:7]
	s_cbranch_vccnz .LBB5_31
	s_branch .LBB5_46
.LBB5_85:                               ;   in Loop: Header=BB5_16 Depth=1
	s_mov_b32 s3, 0
	v_mov_b64_e32 v[4:5], 0
.LBB5_86:                               ;   in Loop: Header=BB5_16 Depth=1
	v_readlane_b32 s6, v66, 44
	v_readlane_b32 s7, v66, 45
	s_andn2_b64 vcc, exec, s[6:7]
	s_cbranch_vccnz .LBB5_89
; %bb.87:                               ;   in Loop: Header=BB5_16 Depth=1
	s_lshl_b32 s6, s45, 9
	s_lshl_b32 s3, s3, 5
	s_add_i32 s6, s6, s3
	v_add_u32_e32 v2, s6, v43
	v_readlane_b32 s3, v66, 43
.LBB5_88:                               ;   Parent Loop BB5_16 Depth=1
                                        ; =>  This Inner Loop Header: Depth=2
	ds_read_b64 v[6:7], v2
	s_add_i32 s3, s3, -1
	v_add_u32_e32 v2, 32, v2
	s_cmp_lg_u32 s3, 0
	s_waitcnt lgkmcnt(0)
	v_lshl_add_u64 v[4:5], v[6:7], 0, v[4:5]
	s_cbranch_scc1 .LBB5_88
.LBB5_89:                               ;   in Loop: Header=BB5_16 Depth=1
	v_add_lshl_u32 v2, s2, v40, 3
	ds_write_b64 v2, v[4:5] offset:3072
.LBB5_90:                               ;   in Loop: Header=BB5_16 Depth=1
	s_or_b64 exec, exec, s[0:1]
	s_lshl_b32 s0, s2, 3
	v_mov_b32_e32 v2, s0
	s_waitcnt lgkmcnt(0)
	s_barrier
	ds_read_b128 v[8:11], v2 offset:3088
	ds_read_b128 v[4:7], v2 offset:3072
	s_lshl_b32 s64, 3, s14
	v_cmp_eq_u64_e64 s[0:1], 1, v[34:35]
	s_not_b32 s52, s64
	s_waitcnt lgkmcnt(1)
	v_readfirstlane_b32 s22, v8
	s_waitcnt lgkmcnt(0)
	v_cmp_eq_u64_e32 vcc, 1, v[4:5]
	v_readfirstlane_b32 s23, v9
	v_readfirstlane_b32 s2, v10
	;; [unrolled: 1-line block ×3, first 2 shown]
	s_and_b64 s[18:19], vcc, s[0:1]
	s_mov_b64 s[0:1], -1
	s_mov_b64 s[20:21], -1
                                        ; implicit-def: $sgpr8_sgpr9
                                        ; implicit-def: $sgpr6_sgpr7
	s_and_saveexec_b64 s[16:17], s[18:19]
	s_cbranch_execz .LBB5_122
; %bb.91:                               ;   in Loop: Header=BB5_16 Depth=1
	ds_read_b64 v[8:9], v3 offset:5120
	s_waitcnt lgkmcnt(0)
	s_barrier
	v_readfirstlane_b32 s20, v8
	v_readfirstlane_b32 s21, v9
	s_mov_b64 s[6:7], exec
	v_readlane_b32 s8, v66, 26
	v_readlane_b32 s9, v66, 27
	s_and_b64 s[8:9], s[6:7], s[8:9]
	s_mov_b64 exec, s[8:9]
; %bb.92:                               ;   in Loop: Header=BB5_16 Depth=1
	ds_write_b8 v0, v3 offset:3072
; %bb.93:                               ;   in Loop: Header=BB5_16 Depth=1
	s_or_b64 exec, exec, s[6:7]
	v_cmp_lt_i64_e64 s[24:25], s[20:21], 1
	v_and_b32_e32 v44, s52, v44
	v_or_b32_e32 v46, s64, v46
	s_mov_b64 s[6:7], -1
	s_mov_b64 s[8:9], 0
	s_and_b64 vcc, exec, s[24:25]
	s_mov_b64 s[24:25], 0
	s_mov_b64 s[26:27], -1
	s_waitcnt lgkmcnt(0)
	s_barrier
                                        ; implicit-def: $vgpr47
	s_cbranch_vccz .LBB5_107
; %bb.94:                               ;   in Loop: Header=BB5_16 Depth=1
	s_mov_b32 s54, s87
	s_cmp_lg_u64 s[54:55], 0
	s_cbranch_scc0 .LBB5_148
; %bb.95:                               ;   in Loop: Header=BB5_16 Depth=1
	s_add_u32 s24, s84, 0
	s_addc_u32 s25, 0, 0
	s_xor_b64 s[24:25], s[24:25], 0
	v_cvt_f32_u32_e32 v2, s24
	v_cvt_f32_u32_e32 v8, s25
	s_sub_u32 s28, 0, s24
	s_subb_u32 s29, 0, s25
	v_fmac_f32_e32 v2, 0x4f800000, v8
	v_rcp_f32_e32 v2, v2
	s_nop 0
	v_mul_f32_e32 v2, 0x5f7ffffc, v2
	v_mul_f32_e32 v8, 0x2f800000, v2
	v_trunc_f32_e32 v8, v8
	v_fmac_f32_e32 v2, 0xcf800000, v8
	v_cvt_u32_f32_e32 v8, v8
	v_cvt_u32_f32_e32 v2, v2
	v_readfirstlane_b32 s30, v8
	v_readfirstlane_b32 s26, v2
	s_mul_i32 s27, s28, s30
	s_mul_hi_u32 s34, s28, s26
	s_mul_i32 s31, s29, s26
	s_add_i32 s27, s34, s27
	s_mul_i32 s35, s28, s26
	s_add_i32 s27, s27, s31
	s_mul_i32 s34, s26, s27
	s_mul_hi_u32 s36, s26, s35
	s_mul_hi_u32 s31, s26, s27
	s_add_u32 s34, s36, s34
	s_addc_u32 s31, 0, s31
	s_mul_hi_u32 s37, s30, s35
	s_mul_i32 s35, s30, s35
	s_add_u32 s34, s34, s35
	s_mul_hi_u32 s36, s30, s27
	s_addc_u32 s31, s31, s37
	s_addc_u32 s34, s36, 0
	s_mul_i32 s27, s30, s27
	s_add_u32 s27, s31, s27
	s_addc_u32 s31, 0, s34
	s_add_u32 s34, s26, s27
	s_cselect_b64 s[26:27], -1, 0
	s_cmp_lg_u64 s[26:27], 0
	s_addc_u32 s30, s30, s31
	s_mul_i32 s26, s28, s30
	s_mul_hi_u32 s27, s28, s34
	s_add_i32 s26, s27, s26
	s_mul_i32 s29, s29, s34
	s_add_i32 s26, s26, s29
	s_mul_i32 s28, s28, s34
	s_mul_hi_u32 s29, s30, s28
	s_mul_i32 s31, s30, s28
	s_mul_i32 s36, s34, s26
	s_mul_hi_u32 s28, s34, s28
	s_mul_hi_u32 s35, s34, s26
	s_add_u32 s28, s28, s36
	s_addc_u32 s35, 0, s35
	s_add_u32 s28, s28, s31
	s_mul_hi_u32 s27, s30, s26
	s_addc_u32 s28, s35, s29
	s_addc_u32 s27, s27, 0
	s_mul_i32 s26, s30, s26
	s_add_u32 s26, s28, s26
	s_addc_u32 s28, 0, s27
	s_add_u32 s31, s34, s26
	s_cselect_b64 s[26:27], -1, 0
	s_cmp_lg_u64 s[26:27], 0
	s_addc_u32 s30, s30, s28
	s_ashr_i32 s26, s55, 31
	s_add_u32 s28, s95, s26
	s_mov_b32 s27, s26
	s_addc_u32 s29, s55, s26
	s_xor_b64 s[28:29], s[28:29], s[26:27]
	s_mul_i32 s35, s28, s30
	s_mul_hi_u32 s36, s28, s31
	s_mul_hi_u32 s34, s28, s30
	s_add_u32 s35, s36, s35
	s_addc_u32 s34, 0, s34
	s_mul_hi_u32 s37, s29, s31
	s_mul_i32 s31, s29, s31
	s_add_u32 s31, s35, s31
	s_mul_hi_u32 s36, s29, s30
	s_addc_u32 s31, s34, s37
	s_addc_u32 s34, s36, 0
	s_mul_i32 s30, s29, s30
	s_add_u32 s30, s31, s30
	s_addc_u32 s31, 0, s34
	s_mul_i32 s31, s24, s31
	s_mul_hi_u32 s34, s24, s30
	s_add_i32 s31, s34, s31
	s_mul_i32 s34, s25, s30
	s_add_i32 s36, s31, s34
	s_sub_i32 s34, s29, s36
	s_mul_i32 s30, s24, s30
	s_sub_u32 s28, s28, s30
	s_cselect_b64 s[30:31], -1, 0
	s_cmp_lg_u64 s[30:31], 0
	s_subb_u32 s37, s34, s25
	s_sub_u32 s38, s28, s24
	s_cselect_b64 s[34:35], -1, 0
	s_cmp_lg_u64 s[34:35], 0
	s_subb_u32 s39, s37, 0
	s_cmp_ge_u32 s39, s25
	s_cselect_b32 s40, -1, 0
	s_cmp_ge_u32 s38, s24
	s_cselect_b32 s41, -1, 0
	s_cmp_eq_u32 s39, s25
	s_cselect_b32 s40, s41, s40
	s_cmp_lg_u64 s[34:35], 0
	s_subb_u32 s37, s37, s25
	s_sub_u32 s41, s38, s24
	s_cselect_b64 s[34:35], -1, 0
	s_cmp_lg_u64 s[34:35], 0
	s_subb_u32 s34, s37, 0
	s_cmp_lg_u32 s40, 0
	s_cselect_b32 s35, s41, s38
	s_cselect_b32 s34, s34, s39
	s_cmp_lg_u64 s[30:31], 0
	s_subb_u32 s29, s29, s36
	s_cmp_ge_u32 s29, s25
	s_cselect_b32 s30, -1, 0
	s_cmp_ge_u32 s28, s24
	s_cselect_b32 s24, -1, 0
	s_cmp_eq_u32 s29, s25
	s_cselect_b32 s24, s24, s30
	s_cmp_lg_u32 s24, 0
	s_cselect_b32 s25, s34, s29
	s_cselect_b32 s24, s35, s28
	s_xor_b64 s[24:25], s[24:25], s[26:27]
	s_sub_u32 s24, s24, s26
	s_subb_u32 s25, s25, s26
	s_cbranch_execnz .LBB5_97
.LBB5_96:                               ;   in Loop: Header=BB5_16 Depth=1
	v_cvt_f32_u32_e32 v2, s84
	s_sub_i32 s24, 0, s84
	v_rcp_iflag_f32_e32 v2, v2
	s_nop 0
	v_mul_f32_e32 v2, 0x4f7ffffe, v2
	v_cvt_u32_f32_e32 v2, v2
	s_nop 0
	v_readfirstlane_b32 s25, v2
	s_mul_i32 s24, s24, s25
	s_mul_hi_u32 s24, s25, s24
	s_add_i32 s25, s25, s24
	s_mul_hi_u32 s24, s95, s25
	s_mul_i32 s24, s24, s84
	s_sub_i32 s24, s95, s24
	s_sub_i32 s25, s24, s84
	s_cmp_ge_u32 s24, s84
	s_cselect_b32 s24, s25, s24
	s_sub_i32 s25, s24, s84
	s_cmp_ge_u32 s24, s84
	s_cselect_b32 s86, s25, s24
	s_mov_b64 s[24:25], s[86:87]
.LBB5_97:                               ;   in Loop: Header=BB5_16 Depth=1
	s_sub_u32 s30, s95, s24
	s_subb_u32 s31, s55, s25
	v_cmp_gt_i64_e32 vcc, s[30:31], v[0:1]
	s_mov_b64 s[26:27], 0
	s_mov_b64 s[24:25], 0
                                        ; implicit-def: $vgpr47
	s_and_saveexec_b64 s[28:29], vcc
	s_cbranch_execz .LBB5_106
; %bb.98:                               ;   in Loop: Header=BB5_16 Depth=1
	v_mov_b64_e32 v[8:9], v[12:13]
	v_mov_b64_e32 v[10:11], v[0:1]
                                        ; implicit-def: $sgpr34_sgpr35
	s_branch .LBB5_101
.LBB5_99:                               ;   in Loop: Header=BB5_101 Depth=2
	s_or_b64 exec, exec, s[36:37]
	s_waitcnt lgkmcnt(0)
	s_barrier
	ds_read_u16 v2, v3 offset:3072
	s_mov_b64 s[36:37], -1
	s_waitcnt lgkmcnt(0)
	s_barrier
	v_cmp_ne_u32_sdwa s[38:39], v2, v3 src0_sel:BYTE_0 src1_sel:DWORD
	s_and_b64 vcc, exec, s[38:39]
	s_mov_b64 s[38:39], -1
	s_cbranch_vccz .LBB5_104
.LBB5_100:                              ;   in Loop: Header=BB5_101 Depth=2
	s_and_b64 s[36:37], exec, s[36:37]
	s_or_b64 s[24:25], s[36:37], s[24:25]
	s_andn2_b64 s[34:35], s[34:35], exec
	s_and_b64 s[36:37], s[38:39], exec
	s_or_b64 s[34:35], s[34:35], s[36:37]
	s_andn2_b64 exec, exec, s[24:25]
	s_cbranch_execz .LBB5_105
.LBB5_101:                              ;   Parent Loop BB5_16 Depth=1
                                        ; =>  This Inner Loop Header: Depth=2
	v_cmp_gt_i64_e32 vcc, s[56:57], v[10:11]
	s_and_saveexec_b64 s[36:37], vcc
	s_cbranch_execz .LBB5_99
; %bb.102:                              ;   in Loop: Header=BB5_101 Depth=2
	global_load_ubyte v2, v[8:9], off
	s_waitcnt vmcnt(0)
	v_bitop3_b32 v36, v2, s15, v46 bitop3:0x80
	v_cmp_eq_u32_e32 vcc, v36, v44
	s_and_b64 exec, exec, vcc
	s_cbranch_execz .LBB5_99
; %bb.103:                              ;   in Loop: Header=BB5_101 Depth=2
	v_lshlrev_b16_e32 v2, 8, v2
	v_or_b32_e32 v2, 1, v2
	ds_write_b16 v3, v2 offset:3072
	s_branch .LBB5_99
.LBB5_104:                              ;   in Loop: Header=BB5_101 Depth=2
	v_lshl_add_u64 v[10:11], v[10:11], 0, s[84:85]
	v_cmp_le_i64_e32 vcc, s[30:31], v[10:11]
	v_lshl_add_u64 v[8:9], v[8:9], 0, s[90:91]
	s_mov_b64 s[38:39], 0
	s_orn2_b64 s[36:37], vcc, exec
	s_branch .LBB5_100
.LBB5_105:                              ;   in Loop: Header=BB5_16 Depth=1
	s_or_b64 exec, exec, s[24:25]
	v_lshrrev_b32_sdwa v47, v45, v2 dst_sel:DWORD dst_unused:UNUSED_PAD src0_sel:DWORD src1_sel:WORD_0
	s_and_b64 s[24:25], s[34:35], exec
.LBB5_106:                              ;   in Loop: Header=BB5_16 Depth=1
	s_or_b64 exec, exec, s[28:29]
.LBB5_107:                              ;   in Loop: Header=BB5_16 Depth=1
	s_and_b64 vcc, exec, s[26:27]
	s_cbranch_vccz .LBB5_121
; %bb.108:                              ;   in Loop: Header=BB5_16 Depth=1
	v_readlane_b32 s6, v66, 34
	s_add_u32 s28, s20, s6
	v_readlane_b32 s6, v66, 35
	s_addc_u32 s7, s21, s6
	s_mov_b32 s6, s87
	s_cmp_lg_u64 s[6:7], 0
	s_cbranch_scc0 .LBB5_149
; %bb.109:                              ;   in Loop: Header=BB5_16 Depth=1
	s_add_u32 s8, s84, 0
	s_addc_u32 s9, 0, 0
	s_xor_b64 s[8:9], s[8:9], 0
	v_cvt_f32_u32_e32 v2, s8
	v_cvt_f32_u32_e32 v8, s9
	s_sub_u32 s6, 0, s8
	s_subb_u32 s29, 0, s9
	v_fmac_f32_e32 v2, 0x4f800000, v8
	v_rcp_f32_e32 v2, v2
	s_nop 0
	v_mul_f32_e32 v2, 0x5f7ffffc, v2
	v_mul_f32_e32 v8, 0x2f800000, v2
	v_trunc_f32_e32 v8, v8
	v_fmac_f32_e32 v2, 0xcf800000, v8
	v_cvt_u32_f32_e32 v8, v8
	v_cvt_u32_f32_e32 v2, v2
	v_readfirstlane_b32 s30, v8
	v_readfirstlane_b32 s26, v2
	s_mul_i32 s27, s6, s30
	s_mul_hi_u32 s34, s6, s26
	s_mul_i32 s31, s29, s26
	s_add_i32 s27, s34, s27
	s_mul_i32 s35, s6, s26
	s_add_i32 s27, s27, s31
	s_mul_i32 s34, s26, s27
	s_mul_hi_u32 s36, s26, s35
	s_mul_hi_u32 s31, s26, s27
	s_add_u32 s34, s36, s34
	s_addc_u32 s31, 0, s31
	s_mul_hi_u32 s37, s30, s35
	s_mul_i32 s35, s30, s35
	s_add_u32 s34, s34, s35
	s_mul_hi_u32 s36, s30, s27
	s_addc_u32 s31, s31, s37
	s_addc_u32 s34, s36, 0
	s_mul_i32 s27, s30, s27
	s_add_u32 s27, s31, s27
	s_addc_u32 s31, 0, s34
	s_add_u32 s34, s26, s27
	s_cselect_b64 s[26:27], -1, 0
	s_cmp_lg_u64 s[26:27], 0
	s_addc_u32 s30, s30, s31
	s_mul_i32 s26, s6, s30
	s_mul_hi_u32 s27, s6, s34
	s_add_i32 s26, s27, s26
	s_mul_i32 s29, s29, s34
	s_add_i32 s26, s26, s29
	s_mul_i32 s6, s6, s34
	s_mul_hi_u32 s29, s30, s6
	s_mul_i32 s31, s30, s6
	s_mul_i32 s36, s34, s26
	s_mul_hi_u32 s6, s34, s6
	s_mul_hi_u32 s35, s34, s26
	s_add_u32 s6, s6, s36
	s_addc_u32 s35, 0, s35
	s_add_u32 s6, s6, s31
	s_mul_hi_u32 s27, s30, s26
	s_addc_u32 s6, s35, s29
	s_addc_u32 s27, s27, 0
	s_mul_i32 s26, s30, s26
	s_add_u32 s6, s6, s26
	s_addc_u32 s29, 0, s27
	s_add_u32 s6, s34, s6
	s_cselect_b64 s[26:27], -1, 0
	s_cmp_lg_u64 s[26:27], 0
	s_addc_u32 s29, s30, s29
	s_ashr_i32 s26, s7, 31
	s_add_u32 s30, s28, s26
	s_mov_b32 s27, s26
	s_addc_u32 s31, s7, s26
	s_xor_b64 s[30:31], s[30:31], s[26:27]
	s_mul_i32 s35, s30, s29
	s_mul_hi_u32 s36, s30, s6
	s_mul_hi_u32 s34, s30, s29
	s_add_u32 s35, s36, s35
	s_addc_u32 s34, 0, s34
	s_mul_hi_u32 s37, s31, s6
	s_mul_i32 s6, s31, s6
	s_add_u32 s6, s35, s6
	s_mul_hi_u32 s36, s31, s29
	s_addc_u32 s6, s34, s37
	s_addc_u32 s34, s36, 0
	s_mul_i32 s29, s31, s29
	s_add_u32 s6, s6, s29
	s_addc_u32 s29, 0, s34
	s_mul_i32 s29, s8, s29
	s_mul_hi_u32 s34, s8, s6
	s_add_i32 s29, s34, s29
	s_mul_i32 s34, s9, s6
	s_add_i32 s29, s29, s34
	s_sub_i32 s36, s31, s29
	s_mul_i32 s6, s8, s6
	s_sub_u32 s6, s30, s6
	s_cselect_b64 s[34:35], -1, 0
	s_cmp_lg_u64 s[34:35], 0
	s_subb_u32 s30, s36, s9
	s_sub_u32 s38, s6, s8
	s_cselect_b64 s[36:37], -1, 0
	s_cmp_lg_u64 s[36:37], 0
	s_subb_u32 s39, s30, 0
	s_cmp_ge_u32 s39, s9
	s_cselect_b32 s40, -1, 0
	s_cmp_ge_u32 s38, s8
	s_cselect_b32 s41, -1, 0
	s_cmp_eq_u32 s39, s9
	s_cselect_b32 s40, s41, s40
	s_cmp_lg_u64 s[36:37], 0
	s_subb_u32 s30, s30, s9
	s_sub_u32 s41, s38, s8
	s_cselect_b64 s[36:37], -1, 0
	s_cmp_lg_u64 s[36:37], 0
	s_subb_u32 s30, s30, 0
	s_cmp_lg_u32 s40, 0
	s_cselect_b32 s36, s41, s38
	s_cselect_b32 s30, s30, s39
	s_cmp_lg_u64 s[34:35], 0
	s_subb_u32 s29, s31, s29
	s_cmp_ge_u32 s29, s9
	s_cselect_b32 s31, -1, 0
	s_cmp_ge_u32 s6, s8
	s_cselect_b32 s8, -1, 0
	s_cmp_eq_u32 s29, s9
	s_cselect_b32 s8, s8, s31
	s_cmp_lg_u32 s8, 0
	s_cselect_b32 s9, s30, s29
	s_cselect_b32 s8, s36, s6
	s_xor_b64 s[8:9], s[8:9], s[26:27]
	s_sub_u32 s8, s8, s26
	s_subb_u32 s9, s9, s26
	s_cbranch_execnz .LBB5_111
.LBB5_110:                              ;   in Loop: Header=BB5_16 Depth=1
	v_cvt_f32_u32_e32 v2, s84
	s_sub_i32 s6, 0, s84
	v_rcp_iflag_f32_e32 v2, v2
	s_nop 0
	v_mul_f32_e32 v2, 0x4f7ffffe, v2
	v_cvt_u32_f32_e32 v2, v2
	s_nop 0
	v_readfirstlane_b32 s8, v2
	s_mul_i32 s6, s6, s8
	s_mul_hi_u32 s6, s8, s6
	s_add_i32 s8, s8, s6
	s_mul_hi_u32 s6, s28, s8
	s_mul_i32 s6, s6, s84
	s_sub_i32 s6, s28, s6
	s_sub_i32 s8, s6, s84
	s_cmp_ge_u32 s6, s84
	s_cselect_b32 s6, s8, s6
	s_sub_i32 s8, s6, s84
	s_cmp_ge_u32 s6, s84
	s_cselect_b32 s86, s8, s6
	s_mov_b64 s[8:9], s[86:87]
.LBB5_111:                              ;   in Loop: Header=BB5_16 Depth=1
	s_sub_u32 s8, s28, s8
	s_subb_u32 s9, s7, s9
	v_cmp_gt_i64_e32 vcc, s[8:9], v[0:1]
                                        ; implicit-def: $vgpr47
	s_and_saveexec_b64 s[6:7], vcc
	s_cbranch_execz .LBB5_120
; %bb.112:                              ;   in Loop: Header=BB5_16 Depth=1
	s_mov_b64 s[26:27], 0
	v_mov_b32_e32 v2, v0
	v_mov_b64_e32 v[8:9], v[0:1]
                                        ; implicit-def: $sgpr28_sgpr29
	s_branch .LBB5_115
.LBB5_113:                              ;   in Loop: Header=BB5_115 Depth=2
	s_or_b64 exec, exec, s[30:31]
	s_waitcnt lgkmcnt(0)
	s_barrier
	ds_read_u16 v10, v3 offset:3072
	s_mov_b64 s[30:31], -1
	s_waitcnt lgkmcnt(0)
	s_barrier
	v_cmp_ne_u32_sdwa s[34:35], v10, v3 src0_sel:BYTE_0 src1_sel:DWORD
	s_and_b64 vcc, exec, s[34:35]
	s_mov_b64 s[34:35], -1
	s_cbranch_vccz .LBB5_118
.LBB5_114:                              ;   in Loop: Header=BB5_115 Depth=2
	s_and_b64 s[30:31], exec, s[30:31]
	s_or_b64 s[26:27], s[30:31], s[26:27]
	s_andn2_b64 s[28:29], s[28:29], exec
	s_and_b64 s[30:31], s[34:35], exec
	s_or_b64 s[28:29], s[28:29], s[30:31]
	s_andn2_b64 exec, exec, s[26:27]
	s_cbranch_execz .LBB5_119
.LBB5_115:                              ;   Parent Loop BB5_16 Depth=1
                                        ; =>  This Inner Loop Header: Depth=2
	v_cmp_gt_u64_e32 vcc, s[20:21], v[8:9]
	s_and_saveexec_b64 s[30:31], vcc
	s_cbranch_execz .LBB5_113
; %bb.116:                              ;   in Loop: Header=BB5_115 Depth=2
	ds_read_u8 v10, v2
	s_waitcnt lgkmcnt(0)
	v_bitop3_b32 v11, v10, s15, v46 bitop3:0x80
	v_cmp_eq_u32_e32 vcc, v11, v44
	s_and_b64 exec, exec, vcc
	s_cbranch_execz .LBB5_113
; %bb.117:                              ;   in Loop: Header=BB5_115 Depth=2
	v_lshlrev_b16_e32 v10, 8, v10
	v_or_b32_e32 v10, 1, v10
	ds_write_b16 v3, v10 offset:3072
	s_branch .LBB5_113
.LBB5_118:                              ;   in Loop: Header=BB5_115 Depth=2
	v_lshl_add_u64 v[8:9], v[8:9], 0, s[84:85]
	v_cmp_le_i64_e32 vcc, s[8:9], v[8:9]
	v_add_u32_e32 v2, s84, v2
	s_mov_b64 s[34:35], 0
	s_orn2_b64 s[30:31], vcc, exec
	s_branch .LBB5_114
.LBB5_119:                              ;   in Loop: Header=BB5_16 Depth=1
	s_or_b64 exec, exec, s[26:27]
	s_andn2_b64 s[8:9], s[24:25], exec
	s_and_b64 s[20:21], s[28:29], exec
	v_lshrrev_b32_sdwa v47, v45, v10 dst_sel:DWORD dst_unused:UNUSED_PAD src0_sel:DWORD src1_sel:WORD_0
	s_or_b64 s[24:25], s[8:9], s[20:21]
.LBB5_120:                              ;   in Loop: Header=BB5_16 Depth=1
	s_or_b64 exec, exec, s[6:7]
	s_mov_b64 s[6:7], 0
	s_mov_b64 s[8:9], -1
.LBB5_121:                              ;   in Loop: Header=BB5_16 Depth=1
	s_orn2_b64 s[20:21], s[24:25], exec
.LBB5_122:                              ;   in Loop: Header=BB5_16 Depth=1
	s_or_b64 exec, exec, s[16:17]
	s_andn2_b64 s[16:17], s[76:77], exec
	s_and_b64 s[8:9], s[8:9], exec
	s_or_b64 s[16:17], s[16:17], s[8:9]
	s_andn2_b64 s[8:9], s[78:79], exec
	s_and_b64 s[6:7], s[6:7], exec
	s_andn2_b64 s[60:61], s[60:61], exec
	s_mov_b64 s[78:79], s[16:17]
	s_or_b64 s[98:99], s[8:9], s[6:7]
                                        ; implicit-def: $vgpr8_vgpr9
	s_and_saveexec_b64 s[16:17], s[20:21]
	s_cbranch_execz .LBB5_15
; %bb.123:                              ;   in Loop: Header=BB5_16 Depth=1
	s_xor_b64 s[6:7], s[18:19], -1
	v_mov_b32_e32 v2, 1
	s_mov_b64 s[8:9], 0
	v_mov_b64_e32 v[8:9], 1
	s_and_saveexec_b64 s[0:1], s[6:7]
	s_cbranch_execz .LBB5_132
; %bb.124:                              ;   in Loop: Header=BB5_16 Depth=1
	v_cmp_le_i64_e32 vcc, v[34:35], v[4:5]
	s_and_saveexec_b64 s[6:7], vcc
	s_xor_b64 s[6:7], exec, s[6:7]
	s_cbranch_execz .LBB5_129
; %bb.125:                              ;   in Loop: Header=BB5_16 Depth=1
	ds_read_b64 v[8:9], v3 offset:5120
	v_and_b32_e32 v44, s52, v44
	v_or_b32_e32 v46, s64, v46
	s_waitcnt lgkmcnt(0)
	v_cmp_ne_u64_e32 vcc, 0, v[8:9]
	s_cbranch_vccnz .LBB5_129
; %bb.126:                              ;   in Loop: Header=BB5_16 Depth=1
	s_mov_b64 s[8:9], exec
	v_readlane_b32 s18, v66, 12
	v_readlane_b32 s19, v66, 13
	s_and_b64 s[18:19], s[8:9], s[18:19]
	s_mov_b64 exec, s[18:19]
; %bb.127:                              ;   in Loop: Header=BB5_16 Depth=1
	ds_write_b64 v3, v[4:5] offset:5128
; %bb.128:                              ;   in Loop: Header=BB5_16 Depth=1
	s_or_b64 exec, exec, s[8:9]
	s_waitcnt lgkmcnt(0)
	s_barrier
.LBB5_129:                              ;   in Loop: Header=BB5_16 Depth=1
	s_or_saveexec_b64 s[6:7], s[6:7]
	s_mov_b64 s[8:9], 0
	v_mov_b32_e32 v2, 8
	s_xor_b64 exec, exec, s[6:7]
; %bb.130:                              ;   in Loop: Header=BB5_16 Depth=1
	v_sub_co_u32_e32 v34, vcc, v34, v4
	s_mov_b64 s[8:9], exec
	s_nop 0
	v_subb_co_u32_e32 v35, vcc, v35, v5, vcc
	v_mov_b32_e32 v2, 0
; %bb.131:                              ;   in Loop: Header=BB5_16 Depth=1
	s_or_b64 exec, exec, s[6:7]
	s_and_b64 s[8:9], s[8:9], exec
	v_mov_b64_e32 v[8:9], v[34:35]
.LBB5_132:                              ;   in Loop: Header=BB5_16 Depth=1
	s_or_b64 exec, exec, s[0:1]
	s_mov_b64 s[18:19], -1
	s_mov_b64 s[6:7], -1
                                        ; implicit-def: $sgpr0_sgpr1
                                        ; implicit-def: $sgpr24_sgpr25
	s_and_saveexec_b64 s[20:21], s[8:9]
	s_xor_b64 s[20:21], exec, s[20:21]
	s_cbranch_execz .LBB5_274
; %bb.133:                              ;   in Loop: Header=BB5_16 Depth=1
	v_cmp_eq_u64_e32 vcc, 1, v[6:7]
	v_cmp_eq_u64_e64 s[0:1], 1, v[8:9]
	s_and_b64 s[28:29], vcc, s[0:1]
                                        ; implicit-def: $sgpr24_sgpr25
                                        ; implicit-def: $sgpr0_sgpr1
	s_and_saveexec_b64 s[26:27], s[28:29]
	s_cbranch_execz .LBB5_167
; %bb.134:                              ;   in Loop: Header=BB5_16 Depth=1
	ds_read_b64 v[4:5], v3 offset:5120
	s_waitcnt lgkmcnt(0)
	s_barrier
	v_readfirstlane_b32 s34, v4
	v_readfirstlane_b32 s35, v5
	s_mov_b64 s[0:1], exec
	v_readlane_b32 s6, v66, 26
	v_readlane_b32 s7, v66, 27
	s_and_b64 s[6:7], s[0:1], s[6:7]
	s_mov_b64 exec, s[6:7]
; %bb.135:                              ;   in Loop: Header=BB5_16 Depth=1
	ds_write_b8 v0, v3 offset:3072
; %bb.136:                              ;   in Loop: Header=BB5_16 Depth=1
	s_or_b64 exec, exec, s[0:1]
	v_and_b32_e32 v4, s52, v44
	v_cmp_gt_i64_e64 s[6:7], s[34:35], 0
	v_lshl_or_b32 v44, 1, s14, v4
	v_or_b32_e32 v46, s64, v46
	s_mov_b64 s[0:1], -1
	s_mov_b64 s[24:25], 0
	s_and_b64 vcc, exec, s[6:7]
	s_mov_b64 s[6:7], 0
	s_mov_b64 s[8:9], -1
	s_waitcnt lgkmcnt(0)
	s_barrier
                                        ; implicit-def: $vgpr47
	s_cbranch_vccnz .LBB5_152
; %bb.137:                              ;   in Loop: Header=BB5_16 Depth=1
	s_mov_b32 s54, s87
	s_mov_b32 s11, s45
	s_cmp_lg_u64 s[54:55], 0
	s_cbranch_scc0 .LBB5_194
; %bb.138:                              ;   in Loop: Header=BB5_16 Depth=1
	s_add_u32 s6, s84, 0
	s_addc_u32 s7, 0, 0
	s_xor_b64 s[6:7], s[6:7], 0
	v_cvt_f32_u32_e32 v4, s6
	v_cvt_f32_u32_e32 v5, s7
	s_sub_u32 s30, 0, s6
	s_subb_u32 s31, 0, s7
	v_fmac_f32_e32 v4, 0x4f800000, v5
	v_rcp_f32_e32 v4, v4
	s_nop 0
	v_mul_f32_e32 v4, 0x5f7ffffc, v4
	v_mul_f32_e32 v5, 0x2f800000, v4
	v_trunc_f32_e32 v5, v5
	v_fmac_f32_e32 v4, 0xcf800000, v5
	v_cvt_u32_f32_e32 v5, v5
	v_cvt_u32_f32_e32 v4, v4
	v_readfirstlane_b32 s36, v5
	v_readfirstlane_b32 s8, v4
	s_mul_i32 s9, s30, s36
	s_mul_hi_u32 s38, s30, s8
	s_mul_i32 s37, s31, s8
	s_add_i32 s9, s38, s9
	s_mul_i32 s39, s30, s8
	s_add_i32 s9, s9, s37
	s_mul_i32 s38, s8, s9
	s_mul_hi_u32 s40, s8, s39
	s_mul_hi_u32 s37, s8, s9
	s_add_u32 s38, s40, s38
	s_addc_u32 s37, 0, s37
	s_mul_hi_u32 s41, s36, s39
	s_mul_i32 s39, s36, s39
	s_add_u32 s38, s38, s39
	s_mul_hi_u32 s40, s36, s9
	s_addc_u32 s37, s37, s41
	s_addc_u32 s38, s40, 0
	s_mul_i32 s9, s36, s9
	s_add_u32 s9, s37, s9
	s_addc_u32 s37, 0, s38
	s_add_u32 s38, s8, s9
	s_cselect_b64 s[8:9], -1, 0
	s_cmp_lg_u64 s[8:9], 0
	s_addc_u32 s36, s36, s37
	s_mul_i32 s8, s30, s36
	s_mul_hi_u32 s9, s30, s38
	s_add_i32 s8, s9, s8
	s_mul_i32 s31, s31, s38
	s_add_i32 s8, s8, s31
	s_mul_i32 s30, s30, s38
	s_mul_hi_u32 s31, s36, s30
	s_mul_i32 s37, s36, s30
	s_mul_i32 s40, s38, s8
	s_mul_hi_u32 s30, s38, s30
	s_mul_hi_u32 s39, s38, s8
	s_add_u32 s30, s30, s40
	s_addc_u32 s39, 0, s39
	s_add_u32 s30, s30, s37
	s_mul_hi_u32 s9, s36, s8
	s_addc_u32 s30, s39, s31
	s_addc_u32 s9, s9, 0
	s_mul_i32 s8, s36, s8
	s_add_u32 s8, s30, s8
	s_addc_u32 s30, 0, s9
	s_add_u32 s37, s38, s8
	s_cselect_b64 s[8:9], -1, 0
	s_cmp_lg_u64 s[8:9], 0
	s_addc_u32 s36, s36, s30
	s_ashr_i32 s8, s55, 31
	s_add_u32 s30, s95, s8
	s_mov_b32 s9, s8
	s_addc_u32 s31, s55, s8
	s_xor_b64 s[30:31], s[30:31], s[8:9]
	s_mul_i32 s39, s30, s36
	s_mul_hi_u32 s40, s30, s37
	s_mul_hi_u32 s38, s30, s36
	s_add_u32 s39, s40, s39
	s_addc_u32 s38, 0, s38
	s_mul_hi_u32 s41, s31, s37
	s_mul_i32 s37, s31, s37
	s_add_u32 s37, s39, s37
	s_mul_hi_u32 s40, s31, s36
	s_addc_u32 s37, s38, s41
	s_addc_u32 s38, s40, 0
	s_mul_i32 s36, s31, s36
	s_add_u32 s36, s37, s36
	s_addc_u32 s37, 0, s38
	s_mul_i32 s37, s6, s37
	s_mul_hi_u32 s38, s6, s36
	s_add_i32 s37, s38, s37
	s_mul_i32 s38, s7, s36
	s_add_i32 s40, s37, s38
	s_sub_i32 s38, s31, s40
	s_mul_i32 s36, s6, s36
	s_sub_u32 s30, s30, s36
	s_cselect_b64 s[36:37], -1, 0
	s_cmp_lg_u64 s[36:37], 0
	s_subb_u32 s41, s38, s7
	s_sub_u32 s42, s30, s6
	s_cselect_b64 s[38:39], -1, 0
	s_cmp_lg_u64 s[38:39], 0
	s_subb_u32 s43, s41, 0
	s_cmp_ge_u32 s43, s7
	s_cselect_b32 s44, -1, 0
	s_cmp_ge_u32 s42, s6
	s_cselect_b32 s45, -1, 0
	s_cmp_eq_u32 s43, s7
	s_cselect_b32 s44, s45, s44
	s_cmp_lg_u64 s[38:39], 0
	s_subb_u32 s41, s41, s7
	s_sub_u32 s45, s42, s6
	s_cselect_b64 s[38:39], -1, 0
	s_cmp_lg_u64 s[38:39], 0
	s_subb_u32 s38, s41, 0
	s_cmp_lg_u32 s44, 0
	s_cselect_b32 s39, s45, s42
	s_cselect_b32 s38, s38, s43
	s_cmp_lg_u64 s[36:37], 0
	s_subb_u32 s31, s31, s40
	s_cmp_ge_u32 s31, s7
	s_cselect_b32 s36, -1, 0
	s_cmp_ge_u32 s30, s6
	s_cselect_b32 s6, -1, 0
	s_cmp_eq_u32 s31, s7
	s_cselect_b32 s6, s6, s36
	s_cmp_lg_u32 s6, 0
	s_cselect_b32 s7, s38, s31
	s_cselect_b32 s6, s39, s30
	s_xor_b64 s[6:7], s[6:7], s[8:9]
	s_sub_u32 s6, s6, s8
	s_subb_u32 s7, s7, s8
	s_cbranch_execnz .LBB5_140
.LBB5_139:                              ;   in Loop: Header=BB5_16 Depth=1
	v_cvt_f32_u32_e32 v4, s84
	s_sub_i32 s6, 0, s84
	v_rcp_iflag_f32_e32 v4, v4
	s_nop 0
	v_mul_f32_e32 v4, 0x4f7ffffe, v4
	v_cvt_u32_f32_e32 v4, v4
	s_nop 0
	v_readfirstlane_b32 s7, v4
	s_mul_i32 s6, s6, s7
	s_mul_hi_u32 s6, s7, s6
	s_add_i32 s7, s7, s6
	s_mul_hi_u32 s6, s95, s7
	s_mul_i32 s6, s6, s84
	s_sub_i32 s6, s95, s6
	s_sub_i32 s7, s6, s84
	s_cmp_ge_u32 s6, s84
	s_cselect_b32 s6, s7, s6
	s_sub_i32 s7, s6, s84
	s_cmp_ge_u32 s6, s84
	s_cselect_b32 s86, s7, s6
	s_mov_b64 s[6:7], s[86:87]
.LBB5_140:                              ;   in Loop: Header=BB5_16 Depth=1
	s_sub_u32 s36, s95, s6
	s_subb_u32 s37, s55, s7
	v_cmp_gt_i64_e32 vcc, s[36:37], v[0:1]
	s_mov_b64 s[8:9], 0
	s_mov_b64 s[6:7], 0
                                        ; implicit-def: $vgpr47
	s_and_saveexec_b64 s[30:31], vcc
	s_mov_b32 s44, 0xc0c0004
	s_mov_b32 s45, s11
	s_cbranch_execz .LBB5_151
; %bb.141:                              ;   in Loop: Header=BB5_16 Depth=1
	v_mov_b64_e32 v[4:5], v[12:13]
	v_mov_b64_e32 v[10:11], v[0:1]
                                        ; implicit-def: $sgpr38_sgpr39
	s_branch .LBB5_144
.LBB5_142:                              ;   in Loop: Header=BB5_144 Depth=2
	s_or_b64 exec, exec, s[40:41]
	s_waitcnt lgkmcnt(0)
	s_barrier
	ds_read_u16 v34, v3 offset:3072
	s_mov_b64 s[40:41], -1
	s_waitcnt lgkmcnt(0)
	s_barrier
	v_cmp_ne_u32_sdwa s[42:43], v34, v3 src0_sel:BYTE_0 src1_sel:DWORD
	s_and_b64 vcc, exec, s[42:43]
	s_mov_b64 s[42:43], -1
	s_cbranch_vccz .LBB5_147
.LBB5_143:                              ;   in Loop: Header=BB5_144 Depth=2
	s_and_b64 s[40:41], exec, s[40:41]
	s_or_b64 s[6:7], s[40:41], s[6:7]
	s_andn2_b64 s[38:39], s[38:39], exec
	s_and_b64 s[40:41], s[42:43], exec
	s_or_b64 s[38:39], s[38:39], s[40:41]
	s_andn2_b64 exec, exec, s[6:7]
	s_cbranch_execz .LBB5_150
.LBB5_144:                              ;   Parent Loop BB5_16 Depth=1
                                        ; =>  This Inner Loop Header: Depth=2
	v_cmp_gt_i64_e32 vcc, s[56:57], v[10:11]
	s_and_saveexec_b64 s[40:41], vcc
	s_cbranch_execz .LBB5_142
; %bb.145:                              ;   in Loop: Header=BB5_144 Depth=2
	global_load_ubyte v34, v[4:5], off
	s_waitcnt vmcnt(0)
	v_bitop3_b32 v35, v34, s15, v46 bitop3:0x80
	v_cmp_eq_u32_e32 vcc, v35, v44
	s_and_b64 exec, exec, vcc
	s_cbranch_execz .LBB5_142
; %bb.146:                              ;   in Loop: Header=BB5_144 Depth=2
	v_lshlrev_b16_e32 v34, 8, v34
	v_or_b32_e32 v34, 1, v34
	ds_write_b16 v3, v34 offset:3072
	s_branch .LBB5_142
.LBB5_147:                              ;   in Loop: Header=BB5_144 Depth=2
	v_lshl_add_u64 v[10:11], v[10:11], 0, s[84:85]
	v_cmp_le_i64_e32 vcc, s[36:37], v[10:11]
	v_lshl_add_u64 v[4:5], v[4:5], 0, s[90:91]
	s_mov_b64 s[42:43], 0
	s_orn2_b64 s[40:41], vcc, exec
	s_branch .LBB5_143
.LBB5_148:                              ;   in Loop: Header=BB5_16 Depth=1
                                        ; implicit-def: $sgpr24_sgpr25
	s_andn2_b64 vcc, exec, s[26:27]
	s_cbranch_vccz .LBB5_96
	s_branch .LBB5_97
.LBB5_149:                              ;   in Loop: Header=BB5_16 Depth=1
                                        ; implicit-def: $sgpr8_sgpr9
	s_branch .LBB5_110
.LBB5_150:                              ;   in Loop: Header=BB5_16 Depth=1
	s_or_b64 exec, exec, s[6:7]
	v_lshrrev_b32_sdwa v47, v45, v34 dst_sel:DWORD dst_unused:UNUSED_PAD src0_sel:DWORD src1_sel:WORD_0
	s_and_b64 s[6:7], s[38:39], exec
.LBB5_151:                              ;   in Loop: Header=BB5_16 Depth=1
	s_or_b64 exec, exec, s[30:31]
.LBB5_152:                              ;   in Loop: Header=BB5_16 Depth=1
	s_and_b64 vcc, exec, s[8:9]
	s_cbranch_vccz .LBB5_166
; %bb.153:                              ;   in Loop: Header=BB5_16 Depth=1
	v_readlane_b32 s0, v66, 34
	s_add_u32 s30, s34, s0
	v_readlane_b32 s0, v66, 35
	s_addc_u32 s1, s35, s0
	s_mov_b32 s0, s87
	s_cmp_lg_u64 s[0:1], 0
	s_cbranch_scc0 .LBB5_195
; %bb.154:                              ;   in Loop: Header=BB5_16 Depth=1
	s_add_u32 s8, s84, 0
	s_addc_u32 s9, 0, 0
	s_xor_b64 s[8:9], s[8:9], 0
	v_cvt_f32_u32_e32 v4, s8
	v_cvt_f32_u32_e32 v5, s9
	s_sub_u32 s0, 0, s8
	s_subb_u32 s31, 0, s9
	s_mov_b32 s11, s45
	v_fmac_f32_e32 v4, 0x4f800000, v5
	v_rcp_f32_e32 v4, v4
	s_nop 0
	v_mul_f32_e32 v4, 0x5f7ffffc, v4
	v_mul_f32_e32 v5, 0x2f800000, v4
	v_trunc_f32_e32 v5, v5
	v_fmac_f32_e32 v4, 0xcf800000, v5
	v_cvt_u32_f32_e32 v5, v5
	v_cvt_u32_f32_e32 v4, v4
	v_readfirstlane_b32 s36, v5
	v_readfirstlane_b32 s24, v4
	s_mul_i32 s25, s0, s36
	s_mul_hi_u32 s38, s0, s24
	s_mul_i32 s37, s31, s24
	s_add_i32 s25, s38, s25
	s_mul_i32 s39, s0, s24
	s_add_i32 s25, s25, s37
	s_mul_i32 s38, s24, s25
	s_mul_hi_u32 s40, s24, s39
	s_mul_hi_u32 s37, s24, s25
	s_add_u32 s38, s40, s38
	s_addc_u32 s37, 0, s37
	s_mul_hi_u32 s41, s36, s39
	s_mul_i32 s39, s36, s39
	s_add_u32 s38, s38, s39
	s_mul_hi_u32 s40, s36, s25
	s_addc_u32 s37, s37, s41
	s_addc_u32 s38, s40, 0
	s_mul_i32 s25, s36, s25
	s_add_u32 s25, s37, s25
	s_addc_u32 s37, 0, s38
	s_add_u32 s38, s24, s25
	s_cselect_b64 s[24:25], -1, 0
	s_cmp_lg_u64 s[24:25], 0
	s_addc_u32 s36, s36, s37
	s_mul_i32 s24, s0, s36
	s_mul_hi_u32 s25, s0, s38
	s_add_i32 s24, s25, s24
	s_mul_i32 s31, s31, s38
	s_add_i32 s24, s24, s31
	s_mul_i32 s0, s0, s38
	s_mul_hi_u32 s31, s36, s0
	s_mul_i32 s37, s36, s0
	s_mul_i32 s40, s38, s24
	s_mul_hi_u32 s0, s38, s0
	s_mul_hi_u32 s39, s38, s24
	s_add_u32 s0, s0, s40
	s_addc_u32 s39, 0, s39
	s_add_u32 s0, s0, s37
	s_mul_hi_u32 s25, s36, s24
	s_addc_u32 s0, s39, s31
	s_addc_u32 s25, s25, 0
	s_mul_i32 s24, s36, s24
	s_add_u32 s0, s0, s24
	s_addc_u32 s31, 0, s25
	s_add_u32 s0, s38, s0
	s_cselect_b64 s[24:25], -1, 0
	s_cmp_lg_u64 s[24:25], 0
	s_addc_u32 s31, s36, s31
	s_ashr_i32 s24, s1, 31
	s_add_u32 s36, s30, s24
	s_mov_b32 s25, s24
	s_addc_u32 s37, s1, s24
	s_xor_b64 s[36:37], s[36:37], s[24:25]
	s_mul_i32 s39, s36, s31
	s_mul_hi_u32 s40, s36, s0
	s_mul_hi_u32 s38, s36, s31
	s_add_u32 s39, s40, s39
	s_addc_u32 s38, 0, s38
	s_mul_hi_u32 s41, s37, s0
	s_mul_i32 s0, s37, s0
	s_add_u32 s0, s39, s0
	s_mul_hi_u32 s40, s37, s31
	s_addc_u32 s0, s38, s41
	s_addc_u32 s38, s40, 0
	s_mul_i32 s31, s37, s31
	s_add_u32 s0, s0, s31
	s_addc_u32 s31, 0, s38
	s_mul_i32 s31, s8, s31
	s_mul_hi_u32 s38, s8, s0
	s_add_i32 s31, s38, s31
	s_mul_i32 s38, s9, s0
	s_add_i32 s31, s31, s38
	s_sub_i32 s40, s37, s31
	s_mul_i32 s0, s8, s0
	s_sub_u32 s0, s36, s0
	s_cselect_b64 s[38:39], -1, 0
	s_cmp_lg_u64 s[38:39], 0
	s_subb_u32 s36, s40, s9
	s_sub_u32 s42, s0, s8
	s_cselect_b64 s[40:41], -1, 0
	s_cmp_lg_u64 s[40:41], 0
	s_subb_u32 s43, s36, 0
	s_cmp_ge_u32 s43, s9
	s_cselect_b32 s44, -1, 0
	s_cmp_ge_u32 s42, s8
	s_cselect_b32 s45, -1, 0
	s_cmp_eq_u32 s43, s9
	s_cselect_b32 s44, s45, s44
	s_cmp_lg_u64 s[40:41], 0
	s_subb_u32 s36, s36, s9
	s_sub_u32 s45, s42, s8
	s_cselect_b64 s[40:41], -1, 0
	s_cmp_lg_u64 s[40:41], 0
	s_subb_u32 s36, s36, 0
	s_cmp_lg_u32 s44, 0
	s_cselect_b32 s40, s45, s42
	s_cselect_b32 s36, s36, s43
	s_cmp_lg_u64 s[38:39], 0
	s_subb_u32 s31, s37, s31
	s_cmp_ge_u32 s31, s9
	s_cselect_b32 s37, -1, 0
	s_cmp_ge_u32 s0, s8
	s_cselect_b32 s8, -1, 0
	s_cmp_eq_u32 s31, s9
	s_cselect_b32 s8, s8, s37
	s_cmp_lg_u32 s8, 0
	s_cselect_b32 s9, s36, s31
	s_cselect_b32 s8, s40, s0
	s_xor_b64 s[8:9], s[8:9], s[24:25]
	s_sub_u32 s8, s8, s24
	s_mov_b32 s44, 0xc0c0004
	s_mov_b32 s45, s11
	s_subb_u32 s9, s9, s24
	s_cbranch_execnz .LBB5_156
.LBB5_155:                              ;   in Loop: Header=BB5_16 Depth=1
	v_cvt_f32_u32_e32 v4, s84
	s_sub_i32 s0, 0, s84
	v_rcp_iflag_f32_e32 v4, v4
	s_nop 0
	v_mul_f32_e32 v4, 0x4f7ffffe, v4
	v_cvt_u32_f32_e32 v4, v4
	s_nop 0
	v_readfirstlane_b32 s8, v4
	s_mul_i32 s0, s0, s8
	s_mul_hi_u32 s0, s8, s0
	s_add_i32 s8, s8, s0
	s_mul_hi_u32 s0, s30, s8
	s_mul_i32 s0, s0, s84
	s_sub_i32 s0, s30, s0
	s_sub_i32 s8, s0, s84
	s_cmp_ge_u32 s0, s84
	s_cselect_b32 s0, s8, s0
	s_sub_i32 s8, s0, s84
	s_cmp_ge_u32 s0, s84
	s_cselect_b32 s86, s8, s0
	s_mov_b64 s[8:9], s[86:87]
.LBB5_156:                              ;   in Loop: Header=BB5_16 Depth=1
	s_sub_u32 s8, s30, s8
	s_subb_u32 s9, s1, s9
	v_cmp_gt_i64_e32 vcc, s[8:9], v[0:1]
                                        ; implicit-def: $vgpr47
	s_and_saveexec_b64 s[0:1], vcc
	s_cbranch_execz .LBB5_165
; %bb.157:                              ;   in Loop: Header=BB5_16 Depth=1
	s_mov_b64 s[24:25], 0
	v_mov_b32_e32 v10, v0
	v_mov_b64_e32 v[4:5], v[0:1]
                                        ; implicit-def: $sgpr30_sgpr31
	s_branch .LBB5_160
.LBB5_158:                              ;   in Loop: Header=BB5_160 Depth=2
	s_or_b64 exec, exec, s[36:37]
	s_waitcnt lgkmcnt(0)
	s_barrier
	ds_read_u16 v11, v3 offset:3072
	s_mov_b64 s[36:37], -1
	s_waitcnt lgkmcnt(0)
	s_barrier
	v_cmp_eq_u32_sdwa s[38:39], v11, v3 src0_sel:BYTE_0 src1_sel:DWORD
	s_and_b64 vcc, exec, s[38:39]
	s_mov_b64 s[38:39], -1
	s_cbranch_vccnz .LBB5_163
.LBB5_159:                              ;   in Loop: Header=BB5_160 Depth=2
	s_and_b64 s[36:37], exec, s[36:37]
	s_or_b64 s[24:25], s[36:37], s[24:25]
	s_andn2_b64 s[30:31], s[30:31], exec
	s_and_b64 s[36:37], s[38:39], exec
	s_or_b64 s[30:31], s[30:31], s[36:37]
	s_andn2_b64 exec, exec, s[24:25]
	s_cbranch_execz .LBB5_164
.LBB5_160:                              ;   Parent Loop BB5_16 Depth=1
                                        ; =>  This Inner Loop Header: Depth=2
	v_cmp_gt_u64_e32 vcc, s[34:35], v[4:5]
	s_and_saveexec_b64 s[36:37], vcc
	s_cbranch_execz .LBB5_158
; %bb.161:                              ;   in Loop: Header=BB5_160 Depth=2
	ds_read_u8 v11, v10
	s_waitcnt lgkmcnt(0)
	v_bitop3_b32 v34, v11, s15, v46 bitop3:0x80
	v_cmp_eq_u32_e32 vcc, v34, v44
	s_and_b64 exec, exec, vcc
	s_cbranch_execz .LBB5_158
; %bb.162:                              ;   in Loop: Header=BB5_160 Depth=2
	v_lshlrev_b16_e32 v11, 8, v11
	v_or_b32_e32 v11, 1, v11
	ds_write_b16 v3, v11 offset:3072
	s_branch .LBB5_158
.LBB5_163:                              ;   in Loop: Header=BB5_160 Depth=2
	v_lshl_add_u64 v[4:5], v[4:5], 0, s[84:85]
	v_cmp_le_i64_e32 vcc, s[8:9], v[4:5]
	v_add_u32_e32 v10, s84, v10
	s_mov_b64 s[38:39], 0
	s_orn2_b64 s[36:37], vcc, exec
	s_branch .LBB5_159
.LBB5_164:                              ;   in Loop: Header=BB5_16 Depth=1
	s_or_b64 exec, exec, s[24:25]
	s_andn2_b64 s[6:7], s[6:7], exec
	s_and_b64 s[8:9], s[30:31], exec
	v_lshrrev_b32_sdwa v47, v45, v11 dst_sel:DWORD dst_unused:UNUSED_PAD src0_sel:DWORD src1_sel:WORD_0
	s_or_b64 s[6:7], s[6:7], s[8:9]
.LBB5_165:                              ;   in Loop: Header=BB5_16 Depth=1
	s_or_b64 exec, exec, s[0:1]
	s_mov_b64 s[0:1], 0
	s_mov_b64 s[24:25], -1
.LBB5_166:                              ;   in Loop: Header=BB5_16 Depth=1
	s_orn2_b64 s[6:7], s[6:7], exec
.LBB5_167:                              ;   in Loop: Header=BB5_16 Depth=1
	s_or_b64 exec, exec, s[26:27]
	s_mov_b64 s[8:9], 0
	s_and_saveexec_b64 s[26:27], s[6:7]
	s_cbranch_execz .LBB5_273
; %bb.168:                              ;   in Loop: Header=BB5_16 Depth=1
	s_xor_b64 s[28:29], s[28:29], -1
	v_mov_b32_e32 v2, 1
	v_mov_b64_e32 v[4:5], 1
	s_and_saveexec_b64 s[6:7], s[28:29]
	s_cbranch_execz .LBB5_178
; %bb.169:                              ;   in Loop: Header=BB5_16 Depth=1
	v_cmp_le_i64_e32 vcc, v[8:9], v[6:7]
	s_and_saveexec_b64 s[8:9], vcc
	s_xor_b64 s[8:9], exec, s[8:9]
	s_cbranch_execz .LBB5_175
; %bb.170:                              ;   in Loop: Header=BB5_16 Depth=1
	ds_read_b64 v[4:5], v3 offset:5120
	v_and_b32_e32 v2, s52, v44
	v_lshl_or_b32 v44, 1, s14, v2
	v_or_b32_e32 v46, s64, v46
	s_waitcnt lgkmcnt(0)
	v_cmp_ne_u64_e32 vcc, 0, v[4:5]
	s_cbranch_vccnz .LBB5_174
; %bb.171:                              ;   in Loop: Header=BB5_16 Depth=1
	s_mov_b64 s[28:29], exec
	v_readlane_b32 s30, v66, 12
	v_readlane_b32 s31, v66, 13
	s_and_b64 s[30:31], s[28:29], s[30:31]
	s_mov_b64 exec, s[30:31]
; %bb.172:                              ;   in Loop: Header=BB5_16 Depth=1
	ds_write_b64 v3, v[6:7] offset:5128
; %bb.173:                              ;   in Loop: Header=BB5_16 Depth=1
	s_or_b64 exec, exec, s[28:29]
	s_waitcnt lgkmcnt(0)
	s_barrier
.LBB5_174:                              ;   in Loop: Header=BB5_16 Depth=1
                                        ; implicit-def: $vgpr4_vgpr5_vgpr6_vgpr7
.LBB5_175:                              ;   in Loop: Header=BB5_16 Depth=1
	s_or_saveexec_b64 s[8:9], s[8:9]
	s_mov_b64 s[28:29], 0
	v_mov_b32_e32 v2, 8
	s_xor_b64 exec, exec, s[8:9]
; %bb.176:                              ;   in Loop: Header=BB5_16 Depth=1
	v_sub_co_u32_e32 v8, vcc, v8, v6
	s_mov_b64 s[28:29], exec
	s_nop 0
	v_subb_co_u32_e32 v9, vcc, v9, v7, vcc
	v_mov_b32_e32 v2, 0
; %bb.177:                              ;   in Loop: Header=BB5_16 Depth=1
	s_or_b64 exec, exec, s[8:9]
	s_and_b64 s[8:9], s[28:29], exec
	v_mov_b64_e32 v[4:5], v[8:9]
.LBB5_178:                              ;   in Loop: Header=BB5_16 Depth=1
	s_or_b64 exec, exec, s[6:7]
	s_mov_b64 s[6:7], -1
                                        ; implicit-def: $sgpr34_sgpr35
                                        ; implicit-def: $sgpr36_sgpr37
	s_and_saveexec_b64 s[28:29], s[8:9]
	s_cbranch_execz .LBB5_272
; %bb.179:                              ;   in Loop: Header=BB5_16 Depth=1
	s_cmp_eq_u64 s[22:23], 1
	s_cselect_b64 s[6:7], -1, 0
	v_cmp_eq_u64_e32 vcc, 1, v[4:5]
	s_and_b64 s[40:41], s[6:7], vcc
	s_mov_b64 s[6:7], -1
                                        ; implicit-def: $sgpr36_sgpr37
                                        ; implicit-def: $sgpr34_sgpr35
	s_and_saveexec_b64 s[38:39], s[40:41]
	s_cbranch_execz .LBB5_213
; %bb.180:                              ;   in Loop: Header=BB5_16 Depth=1
	ds_read_b64 v[6:7], v3 offset:5120
	s_waitcnt lgkmcnt(0)
	s_barrier
	v_readfirstlane_b32 s42, v6
	v_readfirstlane_b32 s43, v7
	s_mov_b64 s[6:7], exec
	v_readlane_b32 s8, v66, 26
	v_readlane_b32 s9, v66, 27
	s_and_b64 s[8:9], s[6:7], s[8:9]
	s_mov_b64 exec, s[8:9]
; %bb.181:                              ;   in Loop: Header=BB5_16 Depth=1
	ds_write_b8 v0, v3 offset:3072
; %bb.182:                              ;   in Loop: Header=BB5_16 Depth=1
	s_or_b64 exec, exec, s[6:7]
	v_and_b32_e32 v6, s52, v44
	v_cmp_gt_i64_e64 s[6:7], s[42:43], 0
	v_lshl_or_b32 v44, 2, s14, v6
	v_or_b32_e32 v46, s64, v46
	s_mov_b64 s[34:35], -1
	s_mov_b64 s[36:37], 0
	s_and_b64 vcc, exec, s[6:7]
	s_mov_b64 s[6:7], 0
	s_mov_b64 s[8:9], -1
	s_waitcnt lgkmcnt(0)
	s_barrier
                                        ; implicit-def: $vgpr47
	s_cbranch_vccnz .LBB5_198
; %bb.183:                              ;   in Loop: Header=BB5_16 Depth=1
	s_mov_b32 s54, s87
	s_mov_b32 s58, s45
	s_cmp_lg_u64 s[54:55], 0
	s_cbranch_scc0 .LBB5_239
; %bb.184:                              ;   in Loop: Header=BB5_16 Depth=1
	s_add_u32 s6, s84, 0
	s_addc_u32 s7, 0, 0
	s_xor_b64 s[6:7], s[6:7], 0
	v_cvt_f32_u32_e32 v6, s6
	v_cvt_f32_u32_e32 v7, s7
	s_sub_u32 s30, 0, s6
	s_subb_u32 s31, 0, s7
	s_mov_b32 s11, s55
	v_fmac_f32_e32 v6, 0x4f800000, v7
	v_rcp_f32_e32 v6, v6
	s_nop 0
	v_mul_f32_e32 v6, 0x5f7ffffc, v6
	v_mul_f32_e32 v7, 0x2f800000, v6
	v_trunc_f32_e32 v7, v7
	v_fmac_f32_e32 v6, 0xcf800000, v7
	v_cvt_u32_f32_e32 v7, v7
	v_cvt_u32_f32_e32 v6, v6
	v_readfirstlane_b32 s44, v7
	v_readfirstlane_b32 s8, v6
	s_mul_i32 s9, s30, s44
	s_mul_hi_u32 s46, s30, s8
	s_mul_i32 s45, s31, s8
	s_add_i32 s9, s46, s9
	s_mul_i32 s47, s30, s8
	s_add_i32 s9, s9, s45
	s_mul_i32 s46, s8, s9
	s_mul_hi_u32 s48, s8, s47
	s_mul_hi_u32 s45, s8, s9
	s_add_u32 s46, s48, s46
	s_addc_u32 s45, 0, s45
	s_mul_hi_u32 s49, s44, s47
	s_mul_i32 s47, s44, s47
	s_add_u32 s46, s46, s47
	s_mul_hi_u32 s48, s44, s9
	s_addc_u32 s45, s45, s49
	s_addc_u32 s46, s48, 0
	s_mul_i32 s9, s44, s9
	s_add_u32 s9, s45, s9
	s_addc_u32 s45, 0, s46
	s_add_u32 s46, s8, s9
	s_cselect_b64 s[8:9], -1, 0
	s_cmp_lg_u64 s[8:9], 0
	s_addc_u32 s44, s44, s45
	s_mul_i32 s8, s30, s44
	s_mul_hi_u32 s9, s30, s46
	s_add_i32 s8, s9, s8
	s_mul_i32 s31, s31, s46
	s_add_i32 s8, s8, s31
	s_mul_i32 s30, s30, s46
	s_mul_hi_u32 s31, s44, s30
	s_mul_i32 s45, s44, s30
	s_mul_i32 s48, s46, s8
	s_mul_hi_u32 s30, s46, s30
	s_mul_hi_u32 s47, s46, s8
	s_add_u32 s30, s30, s48
	s_addc_u32 s47, 0, s47
	s_add_u32 s30, s30, s45
	s_mul_hi_u32 s9, s44, s8
	s_addc_u32 s30, s47, s31
	s_addc_u32 s9, s9, 0
	s_mul_i32 s8, s44, s8
	s_add_u32 s8, s30, s8
	s_addc_u32 s30, 0, s9
	s_add_u32 s45, s46, s8
	s_cselect_b64 s[8:9], -1, 0
	s_cmp_lg_u64 s[8:9], 0
	s_addc_u32 s44, s44, s30
	s_ashr_i32 s8, s55, 31
	s_add_u32 s30, s95, s8
	s_mov_b32 s9, s8
	s_addc_u32 s31, s55, s8
	s_xor_b64 s[30:31], s[30:31], s[8:9]
	s_mul_i32 s47, s30, s44
	s_mul_hi_u32 s48, s30, s45
	s_mul_hi_u32 s46, s30, s44
	s_add_u32 s47, s48, s47
	s_addc_u32 s46, 0, s46
	s_mul_hi_u32 s49, s31, s45
	s_mul_i32 s45, s31, s45
	s_add_u32 s45, s47, s45
	s_mul_hi_u32 s48, s31, s44
	s_addc_u32 s45, s46, s49
	s_addc_u32 s46, s48, 0
	s_mul_i32 s44, s31, s44
	s_add_u32 s44, s45, s44
	s_addc_u32 s45, 0, s46
	s_mul_i32 s45, s6, s45
	s_mul_hi_u32 s46, s6, s44
	s_add_i32 s45, s46, s45
	s_mul_i32 s46, s7, s44
	s_add_i32 s48, s45, s46
	s_sub_i32 s46, s31, s48
	s_mul_i32 s44, s6, s44
	s_sub_u32 s30, s30, s44
	s_cselect_b64 s[44:45], -1, 0
	s_cmp_lg_u64 s[44:45], 0
	s_subb_u32 s49, s46, s7
	s_sub_u32 s50, s30, s6
	s_cselect_b64 s[46:47], -1, 0
	s_cmp_lg_u64 s[46:47], 0
	s_subb_u32 s51, s49, 0
	s_cmp_ge_u32 s51, s7
	s_cselect_b32 s53, -1, 0
	s_cmp_ge_u32 s50, s6
	s_cselect_b32 s54, -1, 0
	s_cmp_eq_u32 s51, s7
	s_cselect_b32 s53, s54, s53
	s_cmp_lg_u64 s[46:47], 0
	s_subb_u32 s49, s49, s7
	s_sub_u32 s54, s50, s6
	s_cselect_b64 s[46:47], -1, 0
	s_cmp_lg_u64 s[46:47], 0
	s_subb_u32 s46, s49, 0
	s_cmp_lg_u32 s53, 0
	s_cselect_b32 s47, s54, s50
	s_cselect_b32 s46, s46, s51
	s_cmp_lg_u64 s[44:45], 0
	s_subb_u32 s31, s31, s48
	s_cmp_ge_u32 s31, s7
	s_cselect_b32 s44, -1, 0
	s_cmp_ge_u32 s30, s6
	s_cselect_b32 s6, -1, 0
	s_cmp_eq_u32 s31, s7
	s_cselect_b32 s6, s6, s44
	s_cmp_lg_u32 s6, 0
	s_cselect_b32 s7, s46, s31
	s_cselect_b32 s6, s47, s30
	s_xor_b64 s[6:7], s[6:7], s[8:9]
	s_sub_u32 s6, s6, s8
	s_subb_u32 s7, s7, s8
	s_cbranch_execnz .LBB5_186
.LBB5_185:                              ;   in Loop: Header=BB5_16 Depth=1
	v_cvt_f32_u32_e32 v6, s84
	s_sub_i32 s6, 0, s84
	v_rcp_iflag_f32_e32 v6, v6
	s_nop 0
	v_mul_f32_e32 v6, 0x4f7ffffe, v6
	v_cvt_u32_f32_e32 v6, v6
	s_nop 0
	v_readfirstlane_b32 s7, v6
	s_mul_i32 s6, s6, s7
	s_mul_hi_u32 s6, s7, s6
	s_add_i32 s7, s7, s6
	s_mul_hi_u32 s6, s95, s7
	s_mul_i32 s6, s6, s84
	s_sub_i32 s6, s95, s6
	s_sub_i32 s7, s6, s84
	s_cmp_ge_u32 s6, s84
	s_cselect_b32 s6, s7, s6
	s_sub_i32 s7, s6, s84
	s_cmp_ge_u32 s6, s84
	s_cselect_b32 s86, s7, s6
	s_mov_b64 s[6:7], s[86:87]
.LBB5_186:                              ;   in Loop: Header=BB5_16 Depth=1
	s_sub_u32 s44, s95, s6
	s_subb_u32 s45, s11, s7
	s_mov_b32 s55, s11
	v_cmp_gt_i64_e32 vcc, s[44:45], v[0:1]
	s_mov_b64 s[8:9], 0
	s_mov_b64 s[6:7], 0
                                        ; implicit-def: $vgpr47
	s_and_saveexec_b64 s[30:31], vcc
	s_cbranch_execz .LBB5_197
; %bb.187:                              ;   in Loop: Header=BB5_16 Depth=1
	v_mov_b64_e32 v[6:7], v[12:13]
	v_mov_b64_e32 v[8:9], v[0:1]
                                        ; implicit-def: $sgpr46_sgpr47
	s_branch .LBB5_190
.LBB5_188:                              ;   in Loop: Header=BB5_190 Depth=2
	s_or_b64 exec, exec, s[48:49]
	s_waitcnt lgkmcnt(0)
	s_barrier
	ds_read_u16 v10, v3 offset:3072
	s_mov_b64 s[48:49], -1
	s_waitcnt lgkmcnt(0)
	s_barrier
	v_cmp_ne_u32_sdwa s[50:51], v10, v3 src0_sel:BYTE_0 src1_sel:DWORD
	s_and_b64 vcc, exec, s[50:51]
	s_mov_b64 s[50:51], -1
	s_cbranch_vccz .LBB5_193
.LBB5_189:                              ;   in Loop: Header=BB5_190 Depth=2
	s_and_b64 s[48:49], exec, s[48:49]
	s_or_b64 s[6:7], s[48:49], s[6:7]
	s_andn2_b64 s[46:47], s[46:47], exec
	s_and_b64 s[48:49], s[50:51], exec
	s_or_b64 s[46:47], s[46:47], s[48:49]
	s_andn2_b64 exec, exec, s[6:7]
	s_cbranch_execz .LBB5_196
.LBB5_190:                              ;   Parent Loop BB5_16 Depth=1
                                        ; =>  This Inner Loop Header: Depth=2
	v_cmp_gt_i64_e32 vcc, s[56:57], v[8:9]
	s_and_saveexec_b64 s[48:49], vcc
	s_cbranch_execz .LBB5_188
; %bb.191:                              ;   in Loop: Header=BB5_190 Depth=2
	global_load_ubyte v10, v[6:7], off
	s_waitcnt vmcnt(0)
	v_bitop3_b32 v11, v10, s15, v46 bitop3:0x80
	v_cmp_eq_u32_e32 vcc, v11, v44
	s_and_b64 exec, exec, vcc
	s_cbranch_execz .LBB5_188
; %bb.192:                              ;   in Loop: Header=BB5_190 Depth=2
	v_lshlrev_b16_e32 v10, 8, v10
	v_or_b32_e32 v10, 1, v10
	ds_write_b16 v3, v10 offset:3072
	s_branch .LBB5_188
.LBB5_193:                              ;   in Loop: Header=BB5_190 Depth=2
	v_lshl_add_u64 v[8:9], v[8:9], 0, s[84:85]
	v_cmp_le_i64_e32 vcc, s[44:45], v[8:9]
	v_lshl_add_u64 v[6:7], v[6:7], 0, s[90:91]
	s_mov_b64 s[50:51], 0
	s_orn2_b64 s[48:49], vcc, exec
	s_branch .LBB5_189
.LBB5_194:                              ;   in Loop: Header=BB5_16 Depth=1
                                        ; implicit-def: $sgpr6_sgpr7
	s_andn2_b64 vcc, exec, s[8:9]
	s_cbranch_vccz .LBB5_139
	s_branch .LBB5_140
.LBB5_195:                              ;   in Loop: Header=BB5_16 Depth=1
                                        ; implicit-def: $sgpr8_sgpr9
	s_branch .LBB5_155
.LBB5_196:                              ;   in Loop: Header=BB5_16 Depth=1
	s_or_b64 exec, exec, s[6:7]
	v_lshrrev_b32_sdwa v47, v45, v10 dst_sel:DWORD dst_unused:UNUSED_PAD src0_sel:DWORD src1_sel:WORD_0
	s_and_b64 s[6:7], s[46:47], exec
.LBB5_197:                              ;   in Loop: Header=BB5_16 Depth=1
	s_or_b64 exec, exec, s[30:31]
	v_readlane_b32 s50, v66, 48
	v_readlane_b32 s51, v66, 49
	s_mov_b32 s44, 0xc0c0004
	s_mov_b32 s45, s58
.LBB5_198:                              ;   in Loop: Header=BB5_16 Depth=1
	s_and_b64 vcc, exec, s[8:9]
	s_cbranch_vccz .LBB5_212
; %bb.199:                              ;   in Loop: Header=BB5_16 Depth=1
	v_readlane_b32 s8, v66, 34
	s_add_u32 s36, s42, s8
	v_readlane_b32 s8, v66, 35
	s_addc_u32 s9, s43, s8
	s_mov_b32 s8, s87
	s_cmp_lg_u64 s[8:9], 0
	s_cbranch_scc0 .LBB5_240
; %bb.200:                              ;   in Loop: Header=BB5_16 Depth=1
	s_add_u32 s30, s84, 0
	s_addc_u32 s31, 0, 0
	s_xor_b64 s[30:31], s[30:31], 0
	v_cvt_f32_u32_e32 v6, s30
	v_cvt_f32_u32_e32 v7, s31
	s_sub_u32 s8, 0, s30
	s_subb_u32 s37, 0, s31
	s_mov_b32 s11, s45
	v_fmac_f32_e32 v6, 0x4f800000, v7
	v_rcp_f32_e32 v6, v6
	s_nop 0
	v_mul_f32_e32 v6, 0x5f7ffffc, v6
	v_mul_f32_e32 v7, 0x2f800000, v6
	v_trunc_f32_e32 v7, v7
	v_fmac_f32_e32 v6, 0xcf800000, v7
	v_cvt_u32_f32_e32 v7, v7
	v_cvt_u32_f32_e32 v6, v6
	v_readfirstlane_b32 s44, v7
	v_readfirstlane_b32 s34, v6
	s_mul_i32 s35, s8, s44
	s_mul_hi_u32 s46, s8, s34
	s_mul_i32 s45, s37, s34
	s_add_i32 s35, s46, s35
	s_mul_i32 s47, s8, s34
	s_add_i32 s35, s35, s45
	s_mul_i32 s46, s34, s35
	s_mul_hi_u32 s48, s34, s47
	s_mul_hi_u32 s45, s34, s35
	s_add_u32 s46, s48, s46
	s_addc_u32 s45, 0, s45
	s_mul_hi_u32 s49, s44, s47
	s_mul_i32 s47, s44, s47
	s_add_u32 s46, s46, s47
	s_mul_hi_u32 s48, s44, s35
	s_addc_u32 s45, s45, s49
	s_addc_u32 s46, s48, 0
	s_mul_i32 s35, s44, s35
	s_add_u32 s35, s45, s35
	s_addc_u32 s45, 0, s46
	s_add_u32 s46, s34, s35
	s_cselect_b64 s[34:35], -1, 0
	s_cmp_lg_u64 s[34:35], 0
	s_addc_u32 s44, s44, s45
	s_mul_i32 s34, s8, s44
	s_mul_hi_u32 s35, s8, s46
	s_add_i32 s34, s35, s34
	s_mul_i32 s37, s37, s46
	s_add_i32 s34, s34, s37
	s_mul_i32 s8, s8, s46
	s_mul_hi_u32 s37, s44, s8
	s_mul_i32 s45, s44, s8
	s_mul_i32 s48, s46, s34
	s_mul_hi_u32 s8, s46, s8
	s_mul_hi_u32 s47, s46, s34
	s_add_u32 s8, s8, s48
	s_addc_u32 s47, 0, s47
	s_add_u32 s8, s8, s45
	s_mul_hi_u32 s35, s44, s34
	s_addc_u32 s8, s47, s37
	s_addc_u32 s35, s35, 0
	s_mul_i32 s34, s44, s34
	s_add_u32 s8, s8, s34
	s_addc_u32 s37, 0, s35
	s_add_u32 s8, s46, s8
	s_cselect_b64 s[34:35], -1, 0
	s_cmp_lg_u64 s[34:35], 0
	s_addc_u32 s37, s44, s37
	s_ashr_i32 s34, s9, 31
	s_add_u32 s44, s36, s34
	s_mov_b32 s35, s34
	s_addc_u32 s45, s9, s34
	s_xor_b64 s[44:45], s[44:45], s[34:35]
	s_mul_i32 s47, s44, s37
	s_mul_hi_u32 s48, s44, s8
	s_mul_hi_u32 s46, s44, s37
	s_add_u32 s47, s48, s47
	s_addc_u32 s46, 0, s46
	s_mul_hi_u32 s49, s45, s8
	s_mul_i32 s8, s45, s8
	s_add_u32 s8, s47, s8
	s_mul_hi_u32 s48, s45, s37
	s_addc_u32 s8, s46, s49
	s_addc_u32 s46, s48, 0
	s_mul_i32 s37, s45, s37
	s_add_u32 s8, s8, s37
	s_addc_u32 s37, 0, s46
	s_mul_i32 s37, s30, s37
	s_mul_hi_u32 s46, s30, s8
	s_add_i32 s37, s46, s37
	s_mul_i32 s46, s31, s8
	s_add_i32 s37, s37, s46
	s_sub_i32 s48, s45, s37
	s_mul_i32 s8, s30, s8
	s_sub_u32 s8, s44, s8
	s_cselect_b64 s[46:47], -1, 0
	s_cmp_lg_u64 s[46:47], 0
	s_subb_u32 s44, s48, s31
	s_sub_u32 s50, s8, s30
	s_cselect_b64 s[48:49], -1, 0
	s_cmp_lg_u64 s[48:49], 0
	s_subb_u32 s51, s44, 0
	s_cmp_ge_u32 s51, s31
	s_cselect_b32 s53, -1, 0
	s_cmp_ge_u32 s50, s30
	s_cselect_b32 s54, -1, 0
	s_cmp_eq_u32 s51, s31
	s_cselect_b32 s53, s54, s53
	s_cmp_lg_u64 s[48:49], 0
	s_subb_u32 s44, s44, s31
	s_sub_u32 s54, s50, s30
	s_cselect_b64 s[48:49], -1, 0
	s_cmp_lg_u64 s[48:49], 0
	s_subb_u32 s44, s44, 0
	s_cmp_lg_u32 s53, 0
	s_cselect_b32 s48, s54, s50
	s_cselect_b32 s44, s44, s51
	s_cmp_lg_u64 s[46:47], 0
	s_subb_u32 s37, s45, s37
	s_cmp_ge_u32 s37, s31
	s_cselect_b32 s45, -1, 0
	s_cmp_ge_u32 s8, s30
	s_cselect_b32 s30, -1, 0
	s_cmp_eq_u32 s37, s31
	s_cselect_b32 s30, s30, s45
	s_cmp_lg_u32 s30, 0
	s_cselect_b32 s31, s44, s37
	s_cselect_b32 s30, s48, s8
	s_xor_b64 s[30:31], s[30:31], s[34:35]
	v_readlane_b32 s50, v66, 48
	s_sub_u32 s30, s30, s34
	v_readlane_b32 s51, v66, 49
	s_mov_b32 s45, s11
	s_mov_b32 s44, 0xc0c0004
	s_subb_u32 s31, s31, s34
	s_cbranch_execnz .LBB5_202
.LBB5_201:                              ;   in Loop: Header=BB5_16 Depth=1
	v_cvt_f32_u32_e32 v6, s84
	s_sub_i32 s8, 0, s84
	v_rcp_iflag_f32_e32 v6, v6
	s_nop 0
	v_mul_f32_e32 v6, 0x4f7ffffe, v6
	v_cvt_u32_f32_e32 v6, v6
	s_nop 0
	v_readfirstlane_b32 s30, v6
	s_mul_i32 s8, s8, s30
	s_mul_hi_u32 s8, s30, s8
	s_add_i32 s30, s30, s8
	s_mul_hi_u32 s8, s36, s30
	s_mul_i32 s8, s8, s84
	s_sub_i32 s8, s36, s8
	s_sub_i32 s30, s8, s84
	s_cmp_ge_u32 s8, s84
	s_cselect_b32 s8, s30, s8
	s_sub_i32 s30, s8, s84
	s_cmp_ge_u32 s8, s84
	s_cselect_b32 s86, s30, s8
	s_mov_b64 s[30:31], s[86:87]
.LBB5_202:                              ;   in Loop: Header=BB5_16 Depth=1
	s_sub_u32 s30, s36, s30
	s_subb_u32 s31, s9, s31
	v_cmp_gt_i64_e32 vcc, s[30:31], v[0:1]
                                        ; implicit-def: $vgpr47
	s_and_saveexec_b64 s[8:9], vcc
	s_cbranch_execz .LBB5_211
; %bb.203:                              ;   in Loop: Header=BB5_16 Depth=1
	s_mov_b32 s11, s45
	s_mov_b64 s[34:35], 0
	v_mov_b32_e32 v8, v0
	v_mov_b64_e32 v[6:7], v[0:1]
                                        ; implicit-def: $sgpr36_sgpr37
	s_branch .LBB5_206
.LBB5_204:                              ;   in Loop: Header=BB5_206 Depth=2
	s_or_b64 exec, exec, s[44:45]
	s_waitcnt lgkmcnt(0)
	s_barrier
	ds_read_u16 v9, v3 offset:3072
	s_mov_b64 s[44:45], -1
	s_waitcnt lgkmcnt(0)
	s_barrier
	v_cmp_eq_u32_sdwa s[46:47], v9, v3 src0_sel:BYTE_0 src1_sel:DWORD
	s_and_b64 vcc, exec, s[46:47]
	s_mov_b64 s[46:47], -1
	s_cbranch_vccnz .LBB5_209
.LBB5_205:                              ;   in Loop: Header=BB5_206 Depth=2
	s_and_b64 s[44:45], exec, s[44:45]
	s_or_b64 s[34:35], s[44:45], s[34:35]
	s_andn2_b64 s[36:37], s[36:37], exec
	s_and_b64 s[44:45], s[46:47], exec
	s_or_b64 s[36:37], s[36:37], s[44:45]
	s_andn2_b64 exec, exec, s[34:35]
	s_cbranch_execz .LBB5_210
.LBB5_206:                              ;   Parent Loop BB5_16 Depth=1
                                        ; =>  This Inner Loop Header: Depth=2
	v_cmp_gt_u64_e32 vcc, s[42:43], v[6:7]
	s_and_saveexec_b64 s[44:45], vcc
	s_cbranch_execz .LBB5_204
; %bb.207:                              ;   in Loop: Header=BB5_206 Depth=2
	ds_read_u8 v9, v8
	s_waitcnt lgkmcnt(0)
	v_bitop3_b32 v10, v9, s15, v46 bitop3:0x80
	v_cmp_eq_u32_e32 vcc, v10, v44
	s_and_b64 exec, exec, vcc
	s_cbranch_execz .LBB5_204
; %bb.208:                              ;   in Loop: Header=BB5_206 Depth=2
	v_lshlrev_b16_e32 v9, 8, v9
	v_or_b32_e32 v9, 1, v9
	ds_write_b16 v3, v9 offset:3072
	s_branch .LBB5_204
.LBB5_209:                              ;   in Loop: Header=BB5_206 Depth=2
	v_lshl_add_u64 v[6:7], v[6:7], 0, s[84:85]
	v_cmp_le_i64_e32 vcc, s[30:31], v[6:7]
	v_add_u32_e32 v8, s84, v8
	s_mov_b64 s[46:47], 0
	s_orn2_b64 s[44:45], vcc, exec
	s_branch .LBB5_205
.LBB5_210:                              ;   in Loop: Header=BB5_16 Depth=1
	s_or_b64 exec, exec, s[34:35]
	s_andn2_b64 s[6:7], s[6:7], exec
	s_and_b64 s[30:31], s[36:37], exec
	v_lshrrev_b32_sdwa v47, v45, v9 dst_sel:DWORD dst_unused:UNUSED_PAD src0_sel:DWORD src1_sel:WORD_0
	s_or_b64 s[6:7], s[6:7], s[30:31]
	s_mov_b32 s44, 0xc0c0004
	s_mov_b32 s45, s11
.LBB5_211:                              ;   in Loop: Header=BB5_16 Depth=1
	s_or_b64 exec, exec, s[8:9]
	s_mov_b64 s[34:35], 0
	s_mov_b64 s[36:37], -1
.LBB5_212:                              ;   in Loop: Header=BB5_16 Depth=1
	s_orn2_b64 s[6:7], s[6:7], exec
.LBB5_213:                              ;   in Loop: Header=BB5_16 Depth=1
	s_or_b64 exec, exec, s[38:39]
	s_mov_b64 s[8:9], 0
	s_and_saveexec_b64 s[38:39], s[6:7]
	s_cbranch_execz .LBB5_271
; %bb.214:                              ;   in Loop: Header=BB5_16 Depth=1
	s_xor_b64 s[30:31], s[40:41], -1
	v_mov_b32_e32 v2, 1
	v_mov_b64_e32 v[6:7], 1
	s_and_saveexec_b64 s[6:7], s[30:31]
	s_cbranch_execz .LBB5_223
; %bb.215:                              ;   in Loop: Header=BB5_16 Depth=1
	v_cmp_ge_i64_e32 vcc, s[22:23], v[4:5]
	s_and_saveexec_b64 s[8:9], vcc
	s_xor_b64 s[8:9], exec, s[8:9]
	s_cbranch_execz .LBB5_220
; %bb.216:                              ;   in Loop: Header=BB5_16 Depth=1
	ds_read_b64 v[6:7], v3 offset:5120
	v_and_b32_e32 v2, s52, v44
	v_lshl_or_b32 v44, 2, s14, v2
	v_or_b32_e32 v46, s64, v46
	s_waitcnt lgkmcnt(0)
	v_cmp_ne_u64_e32 vcc, 0, v[6:7]
	s_cbranch_vccnz .LBB5_220
; %bb.217:                              ;   in Loop: Header=BB5_16 Depth=1
	s_mov_b64 s[30:31], exec
	v_readlane_b32 s40, v66, 12
	v_readlane_b32 s41, v66, 13
	s_and_b64 s[40:41], s[30:31], s[40:41]
	s_mov_b64 exec, s[40:41]
; %bb.218:                              ;   in Loop: Header=BB5_16 Depth=1
	v_mov_b64_e32 v[6:7], s[22:23]
	ds_write_b64 v3, v[6:7] offset:5128
; %bb.219:                              ;   in Loop: Header=BB5_16 Depth=1
	s_or_b64 exec, exec, s[30:31]
	s_waitcnt lgkmcnt(0)
	s_barrier
.LBB5_220:                              ;   in Loop: Header=BB5_16 Depth=1
	s_or_saveexec_b64 s[8:9], s[8:9]
	s_mov_b64 s[30:31], 0
	v_mov_b32_e32 v2, 8
	s_xor_b64 exec, exec, s[8:9]
; %bb.221:                              ;   in Loop: Header=BB5_16 Depth=1
	v_mov_b32_e32 v2, s23
	v_subrev_co_u32_e32 v4, vcc, s22, v4
	s_mov_b64 s[30:31], exec
	s_nop 0
	v_subb_co_u32_e32 v5, vcc, v5, v2, vcc
	v_mov_b32_e32 v2, 0
; %bb.222:                              ;   in Loop: Header=BB5_16 Depth=1
	s_or_b64 exec, exec, s[8:9]
	s_and_b64 s[8:9], s[30:31], exec
	v_mov_b64_e32 v[6:7], v[4:5]
.LBB5_223:                              ;   in Loop: Header=BB5_16 Depth=1
	s_or_b64 exec, exec, s[6:7]
	s_mov_b64 s[6:7], -1
                                        ; implicit-def: $sgpr48_sgpr49
                                        ; implicit-def: $sgpr46_sgpr47
	s_and_saveexec_b64 s[22:23], s[8:9]
	s_cbranch_execz .LBB5_270
; %bb.224:                              ;   in Loop: Header=BB5_16 Depth=1
	s_cmp_eq_u64 s[2:3], 1
	s_cselect_b64 s[6:7], -1, 0
	v_cmp_eq_u64_e32 vcc, 1, v[6:7]
	s_and_b64 s[40:41], s[6:7], vcc
	s_mov_b64 s[8:9], -1
                                        ; implicit-def: $sgpr48_sgpr49
                                        ; implicit-def: $sgpr46_sgpr47
	s_and_saveexec_b64 s[42:43], s[40:41]
	s_cbranch_execz .LBB5_258
; %bb.225:                              ;   in Loop: Header=BB5_16 Depth=1
	ds_read_b64 v[4:5], v3 offset:5120
	s_mov_b32 s58, s45
	s_waitcnt lgkmcnt(0)
	s_barrier
	v_readfirstlane_b32 s44, v4
	v_readfirstlane_b32 s45, v5
	s_mov_b64 s[6:7], exec
	v_readlane_b32 s8, v66, 26
	v_readlane_b32 s9, v66, 27
	s_and_b64 s[8:9], s[6:7], s[8:9]
	s_mov_b64 exec, s[8:9]
; %bb.226:                              ;   in Loop: Header=BB5_16 Depth=1
	ds_write_b8 v0, v3 offset:3072
; %bb.227:                              ;   in Loop: Header=BB5_16 Depth=1
	s_or_b64 exec, exec, s[6:7]
	v_cmp_gt_i64_e64 s[6:7], s[44:45], 0
	v_or_b32_e32 v44, s64, v44
	v_or_b32_e32 v46, s64, v46
	s_mov_b64 s[46:47], -1
	s_mov_b64 s[48:49], 0
	s_and_b64 vcc, exec, s[6:7]
	s_mov_b64 s[6:7], 0
	s_mov_b64 s[8:9], -1
	s_waitcnt lgkmcnt(0)
	s_barrier
                                        ; implicit-def: $vgpr47
	s_cbranch_vccnz .LBB5_243
; %bb.228:                              ;   in Loop: Header=BB5_16 Depth=1
	s_mov_b32 s54, s87
	s_mov_b64 s[70:71], s[60:61]
	s_cmp_lg_u64 s[54:55], 0
	s_mov_b32 s61, s55
	s_cbranch_scc0 .LBB5_277
; %bb.229:                              ;   in Loop: Header=BB5_16 Depth=1
	s_add_u32 s6, s84, 0
	s_addc_u32 s7, 0, 0
	s_xor_b64 s[6:7], s[6:7], 0
	v_cvt_f32_u32_e32 v4, s6
	v_cvt_f32_u32_e32 v5, s7
	s_sub_u32 s30, 0, s6
	s_subb_u32 s31, 0, s7
	s_mov_b32 s11, s61
	v_fmac_f32_e32 v4, 0x4f800000, v5
	v_rcp_f32_e32 v4, v4
	s_nop 0
	v_mul_f32_e32 v4, 0x5f7ffffc, v4
	v_mul_f32_e32 v5, 0x2f800000, v4
	v_trunc_f32_e32 v5, v5
	v_fmac_f32_e32 v4, 0xcf800000, v5
	v_cvt_u32_f32_e32 v5, v5
	v_cvt_u32_f32_e32 v4, v4
	v_readfirstlane_b32 s50, v5
	v_readfirstlane_b32 s8, v4
	s_mul_i32 s9, s30, s50
	s_mul_hi_u32 s52, s30, s8
	s_mul_i32 s51, s31, s8
	s_add_i32 s9, s52, s9
	s_mul_i32 s53, s30, s8
	s_add_i32 s9, s9, s51
	s_mul_i32 s52, s8, s9
	s_mul_hi_u32 s54, s8, s53
	s_mul_hi_u32 s51, s8, s9
	s_add_u32 s52, s54, s52
	s_addc_u32 s51, 0, s51
	s_mul_hi_u32 s55, s50, s53
	s_mul_i32 s53, s50, s53
	s_add_u32 s52, s52, s53
	s_mul_hi_u32 s54, s50, s9
	s_addc_u32 s51, s51, s55
	s_addc_u32 s52, s54, 0
	s_mul_i32 s9, s50, s9
	s_add_u32 s9, s51, s9
	s_addc_u32 s51, 0, s52
	s_add_u32 s52, s8, s9
	s_cselect_b64 s[8:9], -1, 0
	s_cmp_lg_u64 s[8:9], 0
	s_addc_u32 s50, s50, s51
	s_mul_i32 s8, s30, s50
	s_mul_hi_u32 s9, s30, s52
	s_add_i32 s8, s9, s8
	s_mul_i32 s31, s31, s52
	s_add_i32 s8, s8, s31
	s_mul_i32 s30, s30, s52
	s_mul_hi_u32 s31, s50, s30
	s_mul_i32 s51, s50, s30
	s_mul_i32 s54, s52, s8
	s_mul_hi_u32 s30, s52, s30
	s_mul_hi_u32 s53, s52, s8
	s_add_u32 s30, s30, s54
	s_addc_u32 s53, 0, s53
	s_add_u32 s30, s30, s51
	s_mul_hi_u32 s9, s50, s8
	s_addc_u32 s30, s53, s31
	s_addc_u32 s9, s9, 0
	s_mul_i32 s8, s50, s8
	s_add_u32 s8, s30, s8
	s_addc_u32 s30, 0, s9
	s_add_u32 s51, s52, s8
	s_cselect_b64 s[8:9], -1, 0
	s_cmp_lg_u64 s[8:9], 0
	s_addc_u32 s50, s50, s30
	s_ashr_i32 s8, s61, 31
	s_add_u32 s30, s95, s8
	s_mov_b32 s9, s8
	s_addc_u32 s31, s61, s8
	s_xor_b64 s[30:31], s[30:31], s[8:9]
	s_mul_i32 s53, s30, s50
	s_mul_hi_u32 s54, s30, s51
	s_mul_hi_u32 s52, s30, s50
	s_add_u32 s53, s54, s53
	s_addc_u32 s52, 0, s52
	s_mul_hi_u32 s55, s31, s51
	s_mul_i32 s51, s31, s51
	s_add_u32 s51, s53, s51
	s_mul_hi_u32 s54, s31, s50
	s_addc_u32 s51, s52, s55
	s_addc_u32 s52, s54, 0
	s_mul_i32 s50, s31, s50
	s_add_u32 s50, s51, s50
	s_addc_u32 s51, 0, s52
	s_mul_i32 s51, s6, s51
	s_mul_hi_u32 s52, s6, s50
	s_add_i32 s51, s52, s51
	s_mul_i32 s52, s7, s50
	s_add_i32 s54, s51, s52
	s_sub_i32 s52, s31, s54
	s_mul_i32 s50, s6, s50
	s_sub_u32 s30, s30, s50
	s_cselect_b64 s[50:51], -1, 0
	s_cmp_lg_u64 s[50:51], 0
	s_subb_u32 s55, s52, s7
	s_sub_u32 s60, s30, s6
	s_cselect_b64 s[52:53], -1, 0
	s_cmp_lg_u64 s[52:53], 0
	s_subb_u32 s61, s55, 0
	s_cmp_ge_u32 s61, s7
	s_cselect_b32 s65, -1, 0
	s_cmp_ge_u32 s60, s6
	s_cselect_b32 s72, -1, 0
	s_cmp_eq_u32 s61, s7
	s_cselect_b32 s65, s72, s65
	s_cmp_lg_u64 s[52:53], 0
	s_subb_u32 s55, s55, s7
	s_sub_u32 s72, s60, s6
	s_cselect_b64 s[52:53], -1, 0
	s_cmp_lg_u64 s[52:53], 0
	s_subb_u32 s52, s55, 0
	s_cmp_lg_u32 s65, 0
	s_cselect_b32 s53, s72, s60
	s_cselect_b32 s52, s52, s61
	s_cmp_lg_u64 s[50:51], 0
	s_subb_u32 s31, s31, s54
	s_cmp_ge_u32 s31, s7
	s_cselect_b32 s50, -1, 0
	s_cmp_ge_u32 s30, s6
	s_cselect_b32 s6, -1, 0
	s_cmp_eq_u32 s31, s7
	s_cselect_b32 s6, s6, s50
	s_cmp_lg_u32 s6, 0
	s_cselect_b32 s7, s52, s31
	s_cselect_b32 s6, s53, s30
	s_xor_b64 s[6:7], s[6:7], s[8:9]
	s_sub_u32 s6, s6, s8
	s_subb_u32 s7, s7, s8
	s_mov_b64 s[60:61], s[70:71]
	s_cbranch_execnz .LBB5_231
.LBB5_230:                              ;   in Loop: Header=BB5_16 Depth=1
	v_cvt_f32_u32_e32 v4, s84
	s_sub_i32 s6, 0, s84
	v_rcp_iflag_f32_e32 v4, v4
	s_nop 0
	v_mul_f32_e32 v4, 0x4f7ffffe, v4
	v_cvt_u32_f32_e32 v4, v4
	s_nop 0
	v_readfirstlane_b32 s7, v4
	s_mul_i32 s6, s6, s7
	s_mul_hi_u32 s6, s7, s6
	s_add_i32 s7, s7, s6
	s_mul_hi_u32 s6, s95, s7
	s_mul_i32 s6, s6, s84
	s_sub_i32 s6, s95, s6
	s_sub_i32 s7, s6, s84
	s_cmp_ge_u32 s6, s84
	s_cselect_b32 s6, s7, s6
	s_sub_i32 s7, s6, s84
	s_cmp_ge_u32 s6, s84
	s_cselect_b32 s86, s7, s6
	s_mov_b64 s[6:7], s[86:87]
.LBB5_231:                              ;   in Loop: Header=BB5_16 Depth=1
	s_sub_u32 s50, s95, s6
	s_subb_u32 s51, s11, s7
	s_mov_b32 s55, s11
	v_cmp_gt_i64_e32 vcc, s[50:51], v[0:1]
	s_mov_b64 s[8:9], 0
	s_mov_b64 s[6:7], 0
                                        ; implicit-def: $vgpr47
	s_and_saveexec_b64 s[30:31], vcc
	s_cbranch_execz .LBB5_242
; %bb.232:                              ;   in Loop: Header=BB5_16 Depth=1
	s_mov_b32 s11, s55
	v_mov_b64_e32 v[4:5], v[12:13]
	v_mov_b64_e32 v[8:9], v[0:1]
                                        ; implicit-def: $sgpr52_sgpr53
	s_branch .LBB5_235
.LBB5_233:                              ;   in Loop: Header=BB5_235 Depth=2
	s_or_b64 exec, exec, s[54:55]
	s_waitcnt lgkmcnt(0)
	s_barrier
	ds_read_u16 v10, v3 offset:3072
	s_mov_b64 s[54:55], -1
	s_waitcnt lgkmcnt(0)
	s_barrier
	v_cmp_ne_u32_sdwa s[60:61], v10, v3 src0_sel:BYTE_0 src1_sel:DWORD
	s_and_b64 vcc, exec, s[60:61]
	s_mov_b64 s[60:61], -1
	s_cbranch_vccz .LBB5_238
.LBB5_234:                              ;   in Loop: Header=BB5_235 Depth=2
	s_and_b64 s[54:55], exec, s[54:55]
	s_or_b64 s[6:7], s[54:55], s[6:7]
	s_andn2_b64 s[52:53], s[52:53], exec
	s_and_b64 s[54:55], s[60:61], exec
	s_or_b64 s[52:53], s[52:53], s[54:55]
	s_andn2_b64 exec, exec, s[6:7]
	s_cbranch_execz .LBB5_241
.LBB5_235:                              ;   Parent Loop BB5_16 Depth=1
                                        ; =>  This Inner Loop Header: Depth=2
	v_cmp_gt_i64_e32 vcc, s[56:57], v[8:9]
	s_and_saveexec_b64 s[54:55], vcc
	s_cbranch_execz .LBB5_233
; %bb.236:                              ;   in Loop: Header=BB5_235 Depth=2
	global_load_ubyte v10, v[4:5], off
	s_waitcnt vmcnt(0)
	v_bitop3_b32 v11, v10, s15, v46 bitop3:0x80
	v_cmp_eq_u32_e32 vcc, v11, v44
	s_and_b64 exec, exec, vcc
	s_cbranch_execz .LBB5_233
; %bb.237:                              ;   in Loop: Header=BB5_235 Depth=2
	v_lshlrev_b16_e32 v10, 8, v10
	v_or_b32_e32 v10, 1, v10
	ds_write_b16 v3, v10 offset:3072
	s_branch .LBB5_233
.LBB5_238:                              ;   in Loop: Header=BB5_235 Depth=2
	v_lshl_add_u64 v[8:9], v[8:9], 0, s[84:85]
	v_cmp_le_i64_e32 vcc, s[50:51], v[8:9]
	v_lshl_add_u64 v[4:5], v[4:5], 0, s[90:91]
	s_mov_b64 s[60:61], 0
	s_orn2_b64 s[54:55], vcc, exec
	s_branch .LBB5_234
.LBB5_239:                              ;   in Loop: Header=BB5_16 Depth=1
	s_mov_b32 s11, s55
                                        ; implicit-def: $sgpr6_sgpr7
	s_andn2_b64 vcc, exec, s[8:9]
	s_cbranch_vccz .LBB5_185
	s_branch .LBB5_186
.LBB5_240:                              ;   in Loop: Header=BB5_16 Depth=1
                                        ; implicit-def: $sgpr30_sgpr31
	s_branch .LBB5_201
.LBB5_241:                              ;   in Loop: Header=BB5_16 Depth=1
	s_or_b64 exec, exec, s[6:7]
	v_lshrrev_b32_sdwa v47, v45, v10 dst_sel:DWORD dst_unused:UNUSED_PAD src0_sel:DWORD src1_sel:WORD_0
	s_and_b64 s[6:7], s[52:53], exec
	s_mov_b32 s55, s11
	s_mov_b64 s[60:61], s[70:71]
.LBB5_242:                              ;   in Loop: Header=BB5_16 Depth=1
	s_or_b64 exec, exec, s[30:31]
	v_readlane_b32 s50, v66, 48
	v_readlane_b32 s51, v66, 49
.LBB5_243:                              ;   in Loop: Header=BB5_16 Depth=1
	s_and_b64 vcc, exec, s[8:9]
	s_cbranch_vccz .LBB5_257
; %bb.244:                              ;   in Loop: Header=BB5_16 Depth=1
	v_readlane_b32 s8, v66, 34
	s_add_u32 s48, s44, s8
	v_readlane_b32 s8, v66, 35
	s_addc_u32 s9, s45, s8
	s_mov_b32 s8, s87
	s_mov_b32 s11, s55
	s_cmp_lg_u64 s[8:9], 0
	s_cbranch_scc0 .LBB5_278
; %bb.245:                              ;   in Loop: Header=BB5_16 Depth=1
	s_add_u32 s30, s84, 0
	s_addc_u32 s31, 0, 0
	s_xor_b64 s[30:31], s[30:31], 0
	v_cvt_f32_u32_e32 v4, s30
	v_cvt_f32_u32_e32 v5, s31
	s_sub_u32 s8, 0, s30
	s_subb_u32 s49, 0, s31
	s_mov_b64 s[70:71], s[60:61]
	v_fmac_f32_e32 v4, 0x4f800000, v5
	v_rcp_f32_e32 v4, v4
	s_nop 0
	v_mul_f32_e32 v4, 0x5f7ffffc, v4
	v_mul_f32_e32 v5, 0x2f800000, v4
	v_trunc_f32_e32 v5, v5
	v_fmac_f32_e32 v4, 0xcf800000, v5
	v_cvt_u32_f32_e32 v5, v5
	v_cvt_u32_f32_e32 v4, v4
	v_readfirstlane_b32 s50, v5
	v_readfirstlane_b32 s46, v4
	s_mul_i32 s47, s8, s50
	s_mul_hi_u32 s52, s8, s46
	s_mul_i32 s51, s49, s46
	s_add_i32 s47, s52, s47
	s_mul_i32 s53, s8, s46
	s_add_i32 s47, s47, s51
	s_mul_i32 s52, s46, s47
	s_mul_hi_u32 s54, s46, s53
	s_mul_hi_u32 s51, s46, s47
	s_add_u32 s52, s54, s52
	s_addc_u32 s51, 0, s51
	s_mul_hi_u32 s55, s50, s53
	s_mul_i32 s53, s50, s53
	s_add_u32 s52, s52, s53
	s_mul_hi_u32 s54, s50, s47
	s_addc_u32 s51, s51, s55
	s_addc_u32 s52, s54, 0
	s_mul_i32 s47, s50, s47
	s_add_u32 s47, s51, s47
	s_addc_u32 s51, 0, s52
	s_add_u32 s52, s46, s47
	s_cselect_b64 s[46:47], -1, 0
	s_cmp_lg_u64 s[46:47], 0
	s_addc_u32 s50, s50, s51
	s_mul_i32 s46, s8, s50
	s_mul_hi_u32 s47, s8, s52
	s_add_i32 s46, s47, s46
	s_mul_i32 s49, s49, s52
	s_add_i32 s46, s46, s49
	s_mul_i32 s8, s8, s52
	s_mul_hi_u32 s49, s50, s8
	s_mul_i32 s51, s50, s8
	s_mul_i32 s54, s52, s46
	s_mul_hi_u32 s8, s52, s8
	s_mul_hi_u32 s53, s52, s46
	s_add_u32 s8, s8, s54
	s_addc_u32 s53, 0, s53
	s_add_u32 s8, s8, s51
	s_mul_hi_u32 s47, s50, s46
	s_addc_u32 s8, s53, s49
	s_addc_u32 s47, s47, 0
	s_mul_i32 s46, s50, s46
	s_add_u32 s8, s8, s46
	s_addc_u32 s49, 0, s47
	s_add_u32 s8, s52, s8
	s_cselect_b64 s[46:47], -1, 0
	s_cmp_lg_u64 s[46:47], 0
	s_addc_u32 s49, s50, s49
	s_ashr_i32 s46, s9, 31
	s_add_u32 s50, s48, s46
	s_mov_b32 s47, s46
	s_addc_u32 s51, s9, s46
	s_xor_b64 s[50:51], s[50:51], s[46:47]
	s_mul_i32 s53, s50, s49
	s_mul_hi_u32 s54, s50, s8
	s_mul_hi_u32 s52, s50, s49
	s_add_u32 s53, s54, s53
	s_addc_u32 s52, 0, s52
	s_mul_hi_u32 s55, s51, s8
	s_mul_i32 s8, s51, s8
	s_add_u32 s8, s53, s8
	s_mul_hi_u32 s54, s51, s49
	s_addc_u32 s8, s52, s55
	s_addc_u32 s52, s54, 0
	s_mul_i32 s49, s51, s49
	s_add_u32 s8, s8, s49
	s_addc_u32 s49, 0, s52
	s_mul_i32 s49, s30, s49
	s_mul_hi_u32 s52, s30, s8
	s_add_i32 s49, s52, s49
	s_mul_i32 s52, s31, s8
	s_add_i32 s49, s49, s52
	s_sub_i32 s54, s51, s49
	s_mul_i32 s8, s30, s8
	s_sub_u32 s8, s50, s8
	s_cselect_b64 s[52:53], -1, 0
	s_cmp_lg_u64 s[52:53], 0
	s_subb_u32 s50, s54, s31
	s_sub_u32 s60, s8, s30
	s_cselect_b64 s[54:55], -1, 0
	s_cmp_lg_u64 s[54:55], 0
	s_subb_u32 s61, s50, 0
	s_cmp_ge_u32 s61, s31
	s_cselect_b32 s65, -1, 0
	s_cmp_ge_u32 s60, s30
	s_cselect_b32 s72, -1, 0
	s_cmp_eq_u32 s61, s31
	s_cselect_b32 s65, s72, s65
	s_cmp_lg_u64 s[54:55], 0
	s_subb_u32 s50, s50, s31
	s_sub_u32 s72, s60, s30
	s_cselect_b64 s[54:55], -1, 0
	s_cmp_lg_u64 s[54:55], 0
	s_subb_u32 s50, s50, 0
	s_cmp_lg_u32 s65, 0
	s_cselect_b32 s54, s72, s60
	s_cselect_b32 s50, s50, s61
	s_cmp_lg_u64 s[52:53], 0
	s_subb_u32 s49, s51, s49
	s_cmp_ge_u32 s49, s31
	s_cselect_b32 s51, -1, 0
	s_cmp_ge_u32 s8, s30
	s_cselect_b32 s30, -1, 0
	s_cmp_eq_u32 s49, s31
	s_cselect_b32 s30, s30, s51
	s_cmp_lg_u32 s30, 0
	s_cselect_b32 s31, s50, s49
	s_cselect_b32 s30, s54, s8
	s_xor_b64 s[30:31], s[30:31], s[46:47]
	v_readlane_b32 s50, v66, 48
	s_sub_u32 s30, s30, s46
	s_mov_b64 s[60:61], s[70:71]
	v_readlane_b32 s51, v66, 49
	s_subb_u32 s31, s31, s46
	s_cbranch_execnz .LBB5_247
.LBB5_246:                              ;   in Loop: Header=BB5_16 Depth=1
	v_cvt_f32_u32_e32 v4, s84
	s_sub_i32 s8, 0, s84
	v_rcp_iflag_f32_e32 v4, v4
	s_nop 0
	v_mul_f32_e32 v4, 0x4f7ffffe, v4
	v_cvt_u32_f32_e32 v4, v4
	s_nop 0
	v_readfirstlane_b32 s30, v4
	s_mul_i32 s8, s8, s30
	s_mul_hi_u32 s8, s30, s8
	s_add_i32 s30, s30, s8
	s_mul_hi_u32 s8, s48, s30
	s_mul_i32 s8, s8, s84
	s_sub_i32 s8, s48, s8
	s_sub_i32 s30, s8, s84
	s_cmp_ge_u32 s8, s84
	s_cselect_b32 s8, s30, s8
	s_sub_i32 s30, s8, s84
	s_cmp_ge_u32 s8, s84
	s_cselect_b32 s86, s30, s8
	s_mov_b64 s[30:31], s[86:87]
.LBB5_247:                              ;   in Loop: Header=BB5_16 Depth=1
	s_sub_u32 s30, s48, s30
	s_subb_u32 s31, s9, s31
	v_cmp_gt_i64_e32 vcc, s[30:31], v[0:1]
                                        ; implicit-def: $vgpr47
	s_and_saveexec_b64 s[8:9], vcc
	s_mov_b32 s55, s11
	s_cbranch_execz .LBB5_256
; %bb.248:                              ;   in Loop: Header=BB5_16 Depth=1
	s_mov_b64 s[46:47], 0
	v_mov_b32_e32 v8, v0
	v_mov_b64_e32 v[4:5], v[0:1]
                                        ; implicit-def: $sgpr48_sgpr49
	s_branch .LBB5_251
.LBB5_249:                              ;   in Loop: Header=BB5_251 Depth=2
	s_or_b64 exec, exec, s[50:51]
	s_waitcnt lgkmcnt(0)
	s_barrier
	ds_read_u16 v9, v3 offset:3072
	s_mov_b64 s[50:51], -1
	s_waitcnt lgkmcnt(0)
	s_barrier
	v_cmp_eq_u32_sdwa s[52:53], v9, v3 src0_sel:BYTE_0 src1_sel:DWORD
	s_and_b64 vcc, exec, s[52:53]
	s_mov_b64 s[52:53], -1
	s_cbranch_vccnz .LBB5_254
.LBB5_250:                              ;   in Loop: Header=BB5_251 Depth=2
	s_and_b64 s[50:51], exec, s[50:51]
	s_or_b64 s[46:47], s[50:51], s[46:47]
	s_andn2_b64 s[48:49], s[48:49], exec
	s_and_b64 s[50:51], s[52:53], exec
	s_or_b64 s[48:49], s[48:49], s[50:51]
	s_andn2_b64 exec, exec, s[46:47]
	s_cbranch_execz .LBB5_255
.LBB5_251:                              ;   Parent Loop BB5_16 Depth=1
                                        ; =>  This Inner Loop Header: Depth=2
	v_cmp_gt_u64_e32 vcc, s[44:45], v[4:5]
	s_and_saveexec_b64 s[50:51], vcc
	s_cbranch_execz .LBB5_249
; %bb.252:                              ;   in Loop: Header=BB5_251 Depth=2
	ds_read_u8 v9, v8
	s_waitcnt lgkmcnt(0)
	v_bitop3_b32 v10, v9, s15, v46 bitop3:0x80
	v_cmp_eq_u32_e32 vcc, v10, v44
	s_and_b64 exec, exec, vcc
	s_cbranch_execz .LBB5_249
; %bb.253:                              ;   in Loop: Header=BB5_251 Depth=2
	v_lshlrev_b16_e32 v9, 8, v9
	v_or_b32_e32 v9, 1, v9
	ds_write_b16 v3, v9 offset:3072
	s_branch .LBB5_249
.LBB5_254:                              ;   in Loop: Header=BB5_251 Depth=2
	v_lshl_add_u64 v[4:5], v[4:5], 0, s[84:85]
	v_cmp_le_i64_e32 vcc, s[30:31], v[4:5]
	v_add_u32_e32 v8, s84, v8
	s_mov_b64 s[52:53], 0
	s_orn2_b64 s[50:51], vcc, exec
	s_branch .LBB5_250
.LBB5_255:                              ;   in Loop: Header=BB5_16 Depth=1
	s_or_b64 exec, exec, s[46:47]
	s_andn2_b64 s[6:7], s[6:7], exec
	s_and_b64 s[30:31], s[48:49], exec
	v_readlane_b32 s50, v66, 48
	v_lshrrev_b32_sdwa v47, v45, v9 dst_sel:DWORD dst_unused:UNUSED_PAD src0_sel:DWORD src1_sel:WORD_0
	s_or_b64 s[6:7], s[6:7], s[30:31]
	v_readlane_b32 s51, v66, 49
.LBB5_256:                              ;   in Loop: Header=BB5_16 Depth=1
	s_or_b64 exec, exec, s[8:9]
	s_mov_b64 s[46:47], 0
	s_mov_b64 s[48:49], -1
.LBB5_257:                              ;   in Loop: Header=BB5_16 Depth=1
	s_orn2_b64 s[8:9], s[6:7], exec
	s_mov_b32 s44, 0xc0c0004
	s_mov_b32 s45, s58
.LBB5_258:                              ;   in Loop: Header=BB5_16 Depth=1
	s_or_b64 exec, exec, s[42:43]
	s_mov_b64 s[30:31], 0
	s_and_saveexec_b64 s[6:7], s[8:9]
	s_cbranch_execz .LBB5_269
; %bb.259:                              ;   in Loop: Header=BB5_16 Depth=1
	s_xor_b64 s[30:31], s[40:41], -1
	v_mov_b64_e32 v[4:5], 1
	v_mov_b32_e32 v2, 1
	s_and_saveexec_b64 s[8:9], s[30:31]
	s_cbranch_execz .LBB5_268
; %bb.260:                              ;   in Loop: Header=BB5_16 Depth=1
	v_cmp_ge_i64_e32 vcc, s[2:3], v[6:7]
	s_and_saveexec_b64 s[30:31], vcc
	s_xor_b64 s[30:31], exec, s[30:31]
	s_cbranch_execz .LBB5_265
; %bb.261:                              ;   in Loop: Header=BB5_16 Depth=1
	ds_read_b64 v[4:5], v3 offset:5120
	v_or_b32_e32 v44, s64, v44
	v_or_b32_e32 v46, s64, v46
	s_waitcnt lgkmcnt(0)
	v_cmp_ne_u64_e32 vcc, 0, v[4:5]
	s_cbranch_vccnz .LBB5_265
; %bb.262:                              ;   in Loop: Header=BB5_16 Depth=1
	s_mov_b64 s[40:41], exec
	v_readlane_b32 s42, v66, 12
	v_readlane_b32 s43, v66, 13
	s_and_b64 s[42:43], s[40:41], s[42:43]
	s_mov_b64 exec, s[42:43]
; %bb.263:                              ;   in Loop: Header=BB5_16 Depth=1
	v_mov_b64_e32 v[4:5], s[2:3]
	ds_write_b64 v3, v[4:5] offset:5128
; %bb.264:                              ;   in Loop: Header=BB5_16 Depth=1
	s_or_b64 exec, exec, s[40:41]
	s_waitcnt lgkmcnt(0)
	s_barrier
.LBB5_265:                              ;   in Loop: Header=BB5_16 Depth=1
	s_andn2_saveexec_b64 s[30:31], s[30:31]
; %bb.266:                              ;   in Loop: Header=BB5_16 Depth=1
	v_mov_b32_e32 v2, s3
	v_subrev_co_u32_e32 v6, vcc, s2, v6
	s_nop 1
	v_subb_co_u32_e32 v7, vcc, v7, v2, vcc
; %bb.267:                              ;   in Loop: Header=BB5_16 Depth=1
	s_or_b64 exec, exec, s[30:31]
	v_mov_b32_e32 v2, 8
	v_mov_b64_e32 v[4:5], v[6:7]
.LBB5_268:                              ;   in Loop: Header=BB5_16 Depth=1
	s_or_b64 exec, exec, s[8:9]
	s_mov_b64 s[30:31], exec
	v_mov_b64_e32 v[6:7], v[4:5]
.LBB5_269:                              ;   in Loop: Header=BB5_16 Depth=1
	s_or_b64 exec, exec, s[6:7]
	s_orn2_b64 s[6:7], s[30:31], exec
.LBB5_270:                              ;   in Loop: Header=BB5_16 Depth=1
	s_or_b64 exec, exec, s[22:23]
	s_andn2_b64 s[2:3], s[36:37], exec
	s_and_b64 s[8:9], s[48:49], exec
	s_or_b64 s[36:37], s[2:3], s[8:9]
	s_andn2_b64 s[2:3], s[34:35], exec
	s_and_b64 s[8:9], s[46:47], exec
	s_or_b64 s[34:35], s[2:3], s[8:9]
	s_and_b64 s[8:9], s[6:7], exec
	v_mov_b64_e32 v[4:5], v[6:7]
.LBB5_271:                              ;   in Loop: Header=BB5_16 Depth=1
	s_or_b64 exec, exec, s[38:39]
	s_orn2_b64 s[6:7], s[8:9], exec
.LBB5_272:                              ;   in Loop: Header=BB5_16 Depth=1
	s_or_b64 exec, exec, s[28:29]
	s_andn2_b64 s[2:3], s[24:25], exec
	s_and_b64 s[8:9], s[36:37], exec
	s_or_b64 s[24:25], s[2:3], s[8:9]
	s_andn2_b64 s[0:1], s[0:1], exec
	s_and_b64 s[2:3], s[34:35], exec
	s_or_b64 s[0:1], s[0:1], s[2:3]
	s_and_b64 s[8:9], s[6:7], exec
	v_mov_b64_e32 v[8:9], v[4:5]
.LBB5_273:                              ;   in Loop: Header=BB5_16 Depth=1
	s_or_b64 exec, exec, s[26:27]
	s_orn2_b64 s[6:7], s[8:9], exec
.LBB5_274:                              ;   in Loop: Header=BB5_16 Depth=1
	s_or_b64 exec, exec, s[20:21]
	s_mov_b64 s[8:9], 0
	s_and_saveexec_b64 s[2:3], s[6:7]
	s_xor_b64 s[2:3], exec, s[2:3]
	s_cbranch_execz .LBB5_14
; %bb.275:                              ;   in Loop: Header=BB5_16 Depth=1
	v_and_b32_e32 v2, 7, v2
	v_cmp_eq_u32_e32 vcc, 0, v2
	s_mov_b64 s[6:7], -1
	s_mov_b64 s[8:9], -1
	s_and_saveexec_b64 s[18:19], vcc
	s_cbranch_execz .LBB5_13
; %bb.276:                              ;   in Loop: Header=BB5_16 Depth=1
	s_xor_b32 s45, s45, 1
	s_add_i32 s20, s14, -2
	s_cmp_eq_u32 s14, 0
	s_cselect_b64 s[6:7], -1, 0
	s_xor_b64 s[8:9], exec, -1
	s_orn2_b64 s[6:7], s[6:7], exec
	s_mov_b32 s14, s20
	s_branch .LBB5_13
.LBB5_277:                              ;   in Loop: Header=BB5_16 Depth=1
	s_mov_b32 s11, s61
                                        ; implicit-def: $sgpr6_sgpr7
	s_andn2_b64 vcc, exec, s[8:9]
	s_mov_b64 s[60:61], s[70:71]
	s_cbranch_vccz .LBB5_230
	s_branch .LBB5_231
.LBB5_278:                              ;   in Loop: Header=BB5_16 Depth=1
                                        ; implicit-def: $sgpr30_sgpr31
	s_branch .LBB5_246
.LBB5_279:
	s_or_b64 exec, exec, s[68:69]
	s_xor_b64 s[6:7], s[80:81], -1
	s_xor_b64 s[0:1], s[74:75], -1
	;; [unrolled: 1-line block ×3, first 2 shown]
	s_mov_b64 s[2:3], 0
	s_and_saveexec_b64 s[8:9], s[0:1]
	s_xor_b64 s[0:1], exec, s[8:9]
	s_cbranch_execnz .LBB5_284
; %bb.280:
	s_andn2_saveexec_b64 s[0:1], s[0:1]
	s_cbranch_execnz .LBB5_309
.LBB5_281:
	s_or_b64 exec, exec, s[0:1]
	s_and_saveexec_b64 s[0:1], s[2:3]
.LBB5_282:
	; divergent unreachable
.LBB5_283:
	s_endpgm
.LBB5_284:
	s_and_saveexec_b64 s[2:3], s[6:7]
	s_xor_b64 s[2:3], exec, s[2:3]
	s_cbranch_execz .LBB5_307
; %bb.285:
	s_and_saveexec_b64 s[6:7], s[4:5]
	s_xor_b64 s[4:5], exec, s[6:7]
; %bb.286:
	v_mov_b32_e32 v47, v44
; %bb.287:
	s_or_b64 exec, exec, s[4:5]
	s_mov_b64 s[4:5], exec
	v_readlane_b32 s6, v66, 12
	v_readlane_b32 s7, v66, 13
	;; [unrolled: 1-line block ×3, first 2 shown]
	s_and_b64 s[6:7], s[4:5], s[6:7]
	v_readlane_b32 s24, v66, 22
	v_readlane_b32 s27, v66, 7
	;; [unrolled: 1-line block ×3, first 2 shown]
	s_mov_b64 exec, s[6:7]
; %bb.288:
	v_mov_b32_e32 v2, 0
	v_mov_b32_e32 v3, s56
	ds_write_b32 v2, v3 offset:5140
; %bb.289:
	s_or_b64 exec, exec, s[4:5]
	s_waitcnt lgkmcnt(0)
	s_barrier
	s_mov_b64 s[4:5], exec
	v_readlane_b32 s6, v66, 30
	v_readlane_b32 s7, v66, 31
	s_and_b64 s[6:7], s[4:5], s[6:7]
	s_mov_b64 exec, s[6:7]
	s_cbranch_execz .LBB5_304
; %bb.290:
	v_mov_b32_e32 v2, 0
	ds_read_b32 v4, v2 offset:5140
	s_mov_b64 s[6:7], 0
                                        ; implicit-def: $sgpr8_sgpr9
                                        ; implicit-def: $sgpr10_sgpr11
                                        ; implicit-def: $sgpr12_sgpr13
	s_waitcnt lgkmcnt(0)
	v_ashrrev_i32_e32 v5, 31, v4
	s_branch .LBB5_293
.LBB5_291:                              ;   in Loop: Header=BB5_293 Depth=1
	s_or_b64 exec, exec, s[20:21]
	s_andn2_b64 s[12:13], s[12:13], exec
	s_and_b64 s[18:19], s[18:19], exec
	s_andn2_b64 s[10:11], s[10:11], exec
	s_and_b64 s[16:17], s[16:17], exec
	s_or_b64 s[12:13], s[12:13], s[18:19]
	s_or_b64 s[10:11], s[10:11], s[16:17]
.LBB5_292:                              ;   in Loop: Header=BB5_293 Depth=1
	s_or_b64 exec, exec, s[14:15]
	s_and_b64 s[14:15], exec, s[10:11]
	s_or_b64 s[6:7], s[14:15], s[6:7]
	s_andn2_b64 s[8:9], s[8:9], exec
	s_and_b64 s[14:15], s[12:13], exec
	s_or_b64 s[8:9], s[8:9], s[14:15]
	s_andn2_b64 exec, exec, s[6:7]
	s_cbranch_execz .LBB5_299
.LBB5_293:                              ; =>This Inner Loop Header: Depth=1
	v_mov_b64_e32 v[2:3], v[0:1]
	v_cmp_lt_i64_e32 vcc, v[2:3], v[4:5]
	s_or_b64 s[12:13], s[12:13], exec
	s_or_b64 s[10:11], s[10:11], exec
                                        ; implicit-def: $vgpr0_vgpr1
	s_and_saveexec_b64 s[14:15], vcc
	s_cbranch_execz .LBB5_292
; %bb.294:                              ;   in Loop: Header=BB5_293 Depth=1
	global_load_ubyte v0, v[12:13], off
	s_mov_b64 s[16:17], -1
	s_mov_b64 s[18:19], 0
	s_waitcnt vmcnt(0)
	v_cmp_ne_u16_sdwa s[22:23], v0, v47 src0_sel:DWORD src1_sel:BYTE_0
                                        ; implicit-def: $vgpr0_vgpr1
	s_and_saveexec_b64 s[20:21], s[22:23]
	s_cbranch_execz .LBB5_291
; %bb.295:                              ;   in Loop: Header=BB5_293 Depth=1
	v_lshl_add_u64 v[0:1], v[2:3], 0, s[84:85]
	v_cmp_le_i64_e32 vcc, s[56:57], v[0:1]
	s_mov_b64 s[18:19], exec
	v_lshl_add_u64 v[12:13], v[12:13], 0, s[90:91]
	s_orn2_b64 s[16:17], vcc, exec
	s_branch .LBB5_291
.LBB5_296:
                                        ; implicit-def: $sgpr16_sgpr17
	s_branch .LBB5_3
.LBB5_297:
                                        ; implicit-def: $sgpr14_sgpr15
	s_branch .LBB5_6
.LBB5_298:
                                        ; implicit-def: $sgpr6_sgpr7
                                        ; kill: killed $sgpr6_sgpr7
	s_load_dwordx2 s[18:19], s[0:1], 0x0
	s_branch .LBB5_9
.LBB5_299:
	s_or_b64 exec, exec, s[6:7]
	s_xor_b64 s[6:7], s[8:9], -1
	s_and_saveexec_b64 s[8:9], s[6:7]
	s_xor_b64 s[8:9], exec, s[8:9]
	s_cbranch_execz .LBB5_304
; %bb.300:
	s_mov_b64 s[6:7], exec
	s_brev_b32 s8, -2
.LBB5_301:                              ; =>This Inner Loop Header: Depth=1
	s_ff1_i32_b64 s9, s[6:7]
	v_readlane_b32 s12, v2, s9
	s_lshl_b64 s[10:11], 1, s9
	s_min_i32 s8, s8, s12
	s_andn2_b64 s[6:7], s[6:7], s[10:11]
	s_cmp_lg_u64 s[6:7], 0
	s_cbranch_scc1 .LBB5_301
; %bb.302:
	v_mbcnt_lo_u32_b32 v0, exec_lo, 0
	v_mbcnt_hi_u32_b32 v0, exec_hi, v0
	v_cmp_eq_u32_e32 vcc, 0, v0
	s_and_saveexec_b64 s[6:7], vcc
	s_xor_b64 s[6:7], exec, s[6:7]
; %bb.303:
	v_mov_b32_e32 v0, 0
	v_mov_b32_e32 v1, s8
	ds_min_i32 v0, v1 offset:5140
.LBB5_304:
	s_or_b64 exec, exec, s[4:5]
	s_waitcnt lgkmcnt(0)
	s_barrier
	s_mov_b64 s[4:5], exec
	v_readlane_b32 s6, v66, 12
	v_readlane_b32 s7, v66, 13
	s_and_b64 s[6:7], s[4:5], s[6:7]
	s_mov_b64 exec, s[6:7]
	s_cbranch_execz .LBB5_306
; %bb.305:
	v_readlane_b32 s8, v66, 0
	v_readlane_b32 s9, v66, 1
	;; [unrolled: 1-line block ×4, first 2 shown]
	s_mul_i32 s6, s14, s9
	s_mul_hi_u32 s7, s14, s8
	s_add_i32 s6, s7, s6
	s_mul_i32 s7, s15, s8
	s_add_i32 s6, s6, s7
	s_mul_i32 s7, s14, s8
	v_readlane_b32 s16, v66, 18
	s_sub_u32 s7, s24, s7
	v_readlane_b32 s18, v66, 20
	v_readlane_b32 s19, v66, 21
	s_subb_u32 s6, 0, s6
	s_mul_i32 s8, s7, s19
	s_mul_hi_u32 s9, s7, s18
	v_readlane_b32 s17, v66, 19
	s_add_i32 s8, s9, s8
	s_mul_i32 s6, s6, s18
	s_add_i32 s11, s8, s6
	s_mul_i32 s10, s7, s18
	s_mul_i32 s6, s14, s17
	s_mul_hi_u32 s7, s14, s16
	s_add_i32 s6, s7, s6
	s_mul_i32 s7, s15, s16
	s_mul_i32 s13, s14, s16
	v_readlane_b32 s14, v66, 4
	s_add_i32 s12, s6, s7
	v_readlane_b32 s15, v66, 5
	s_mul_i32 s6, s14, s27
	s_mul_hi_u32 s7, s14, s26
	s_add_i32 s6, s7, s6
	s_mul_i32 s7, s15, s26
	s_add_i32 s6, s6, s7
	s_mul_i32 s7, s14, s26
	v_readlane_b32 s16, v66, 14
	s_sub_u32 s8, s24, s7
	v_readlane_b32 s18, v66, 16
	v_readlane_b32 s19, v66, 17
	s_subb_u32 s6, 0, s6
	s_mul_i32 s7, s8, s19
	s_mul_hi_u32 s9, s8, s18
	v_readlane_b32 s17, v66, 15
	s_add_i32 s7, s9, s7
	s_mul_i32 s6, s6, s18
	s_add_i32 s7, s7, s6
	s_mul_i32 s6, s8, s18
	s_mul_i32 s8, s14, s17
	s_mul_hi_u32 s9, s14, s16
	s_add_i32 s8, s9, s8
	s_mul_i32 s9, s15, s16
	s_add_i32 s9, s8, s9
	s_mul_i32 s8, s14, s16
	v_readlane_b32 s14, v66, 10
	v_readlane_b32 s15, v66, 11
	s_add_u32 s13, s14, s13
	s_addc_u32 s12, s15, s12
	v_mov_b32_e32 v2, 0
	s_add_u32 s10, s13, s10
	ds_read_b32 v0, v2 offset:5140
	s_addc_u32 s11, s12, s11
	s_lshl_b64 s[8:9], s[8:9], 3
	v_readlane_b32 s12, v66, 8
	v_readlane_b32 s13, v66, 9
	s_add_u32 s8, s12, s8
	s_addc_u32 s9, s13, s9
	s_lshl_b64 s[6:7], s[6:7], 3
	s_add_u32 s6, s8, s6
	s_addc_u32 s7, s9, s7
	s_waitcnt lgkmcnt(0)
	v_ashrrev_i32_e32 v1, 31, v0
	global_store_dwordx2 v2, v[0:1], s[6:7]
	global_store_byte v2, v47, s[10:11]
.LBB5_306:
	s_or_b64 exec, exec, s[4:5]
.LBB5_307:
	s_or_saveexec_b64 s[2:3], s[2:3]
	s_mov_b64 s[4:5], 0
	s_xor_b64 exec, exec, s[2:3]
	s_cbranch_execnz .LBB5_310
.LBB5_308:
	s_or_b64 exec, exec, s[2:3]
	s_and_b64 s[2:3], s[4:5], exec
	s_andn2_saveexec_b64 s[0:1], s[0:1]
	s_cbranch_execz .LBB5_281
.LBB5_309:
	s_or_b64 s[2:3], s[2:3], exec
	s_trap 2
	s_or_b64 exec, exec, s[0:1]
	s_and_saveexec_b64 s[0:1], s[2:3]
	s_cbranch_execnz .LBB5_282
	s_branch .LBB5_283
.LBB5_310:
	s_mov_b64 s[4:5], exec
	s_trap 2
	s_branch .LBB5_308
	.section	.rodata,"a",@progbits
	.p2align	6, 0x0
	.amdhsa_kernel _ZN2at6native12_GLOBAL__N_114gatherKthValueIhlLi2EEEvNS_4cuda6detail10TensorInfoIKT_T0_EES8_S8_S8_S8_NS5_IS6_S8_EENS5_IlS8_EE
		.amdhsa_group_segment_fixed_size 5144
		.amdhsa_private_segment_fixed_size 0
		.amdhsa_kernarg_size 1536
		.amdhsa_user_sgpr_count 2
		.amdhsa_user_sgpr_dispatch_ptr 0
		.amdhsa_user_sgpr_queue_ptr 0
		.amdhsa_user_sgpr_kernarg_segment_ptr 1
		.amdhsa_user_sgpr_dispatch_id 0
		.amdhsa_user_sgpr_kernarg_preload_length 0
		.amdhsa_user_sgpr_kernarg_preload_offset 0
		.amdhsa_user_sgpr_private_segment_size 0
		.amdhsa_uses_dynamic_stack 0
		.amdhsa_enable_private_segment 0
		.amdhsa_system_sgpr_workgroup_id_x 1
		.amdhsa_system_sgpr_workgroup_id_y 1
		.amdhsa_system_sgpr_workgroup_id_z 1
		.amdhsa_system_sgpr_workgroup_info 0
		.amdhsa_system_vgpr_workitem_id 0
		.amdhsa_next_free_vgpr 67
		.amdhsa_next_free_sgpr 100
		.amdhsa_accum_offset 68
		.amdhsa_reserve_vcc 1
		.amdhsa_float_round_mode_32 0
		.amdhsa_float_round_mode_16_64 0
		.amdhsa_float_denorm_mode_32 3
		.amdhsa_float_denorm_mode_16_64 3
		.amdhsa_dx10_clamp 1
		.amdhsa_ieee_mode 1
		.amdhsa_fp16_overflow 0
		.amdhsa_tg_split 0
		.amdhsa_exception_fp_ieee_invalid_op 0
		.amdhsa_exception_fp_denorm_src 0
		.amdhsa_exception_fp_ieee_div_zero 0
		.amdhsa_exception_fp_ieee_overflow 0
		.amdhsa_exception_fp_ieee_underflow 0
		.amdhsa_exception_fp_ieee_inexact 0
		.amdhsa_exception_int_div_zero 0
	.end_amdhsa_kernel
	.section	.text._ZN2at6native12_GLOBAL__N_114gatherKthValueIhlLi2EEEvNS_4cuda6detail10TensorInfoIKT_T0_EES8_S8_S8_S8_NS5_IS6_S8_EENS5_IlS8_EE,"axG",@progbits,_ZN2at6native12_GLOBAL__N_114gatherKthValueIhlLi2EEEvNS_4cuda6detail10TensorInfoIKT_T0_EES8_S8_S8_S8_NS5_IS6_S8_EENS5_IlS8_EE,comdat
.Lfunc_end5:
	.size	_ZN2at6native12_GLOBAL__N_114gatherKthValueIhlLi2EEEvNS_4cuda6detail10TensorInfoIKT_T0_EES8_S8_S8_S8_NS5_IS6_S8_EENS5_IlS8_EE, .Lfunc_end5-_ZN2at6native12_GLOBAL__N_114gatherKthValueIhlLi2EEEvNS_4cuda6detail10TensorInfoIKT_T0_EES8_S8_S8_S8_NS5_IS6_S8_EENS5_IlS8_EE
                                        ; -- End function
	.set _ZN2at6native12_GLOBAL__N_114gatherKthValueIhlLi2EEEvNS_4cuda6detail10TensorInfoIKT_T0_EES8_S8_S8_S8_NS5_IS6_S8_EENS5_IlS8_EE.num_vgpr, 67
	.set _ZN2at6native12_GLOBAL__N_114gatherKthValueIhlLi2EEEvNS_4cuda6detail10TensorInfoIKT_T0_EES8_S8_S8_S8_NS5_IS6_S8_EENS5_IlS8_EE.num_agpr, 0
	.set _ZN2at6native12_GLOBAL__N_114gatherKthValueIhlLi2EEEvNS_4cuda6detail10TensorInfoIKT_T0_EES8_S8_S8_S8_NS5_IS6_S8_EENS5_IlS8_EE.numbered_sgpr, 100
	.set _ZN2at6native12_GLOBAL__N_114gatherKthValueIhlLi2EEEvNS_4cuda6detail10TensorInfoIKT_T0_EES8_S8_S8_S8_NS5_IS6_S8_EENS5_IlS8_EE.num_named_barrier, 0
	.set _ZN2at6native12_GLOBAL__N_114gatherKthValueIhlLi2EEEvNS_4cuda6detail10TensorInfoIKT_T0_EES8_S8_S8_S8_NS5_IS6_S8_EENS5_IlS8_EE.private_seg_size, 0
	.set _ZN2at6native12_GLOBAL__N_114gatherKthValueIhlLi2EEEvNS_4cuda6detail10TensorInfoIKT_T0_EES8_S8_S8_S8_NS5_IS6_S8_EENS5_IlS8_EE.uses_vcc, 1
	.set _ZN2at6native12_GLOBAL__N_114gatherKthValueIhlLi2EEEvNS_4cuda6detail10TensorInfoIKT_T0_EES8_S8_S8_S8_NS5_IS6_S8_EENS5_IlS8_EE.uses_flat_scratch, 0
	.set _ZN2at6native12_GLOBAL__N_114gatherKthValueIhlLi2EEEvNS_4cuda6detail10TensorInfoIKT_T0_EES8_S8_S8_S8_NS5_IS6_S8_EENS5_IlS8_EE.has_dyn_sized_stack, 0
	.set _ZN2at6native12_GLOBAL__N_114gatherKthValueIhlLi2EEEvNS_4cuda6detail10TensorInfoIKT_T0_EES8_S8_S8_S8_NS5_IS6_S8_EENS5_IlS8_EE.has_recursion, 0
	.set _ZN2at6native12_GLOBAL__N_114gatherKthValueIhlLi2EEEvNS_4cuda6detail10TensorInfoIKT_T0_EES8_S8_S8_S8_NS5_IS6_S8_EENS5_IlS8_EE.has_indirect_call, 0
	.section	.AMDGPU.csdata,"",@progbits
; Kernel info:
; codeLenInByte = 19212
; TotalNumSgprs: 106
; NumVgprs: 67
; NumAgprs: 0
; TotalNumVgprs: 67
; ScratchSize: 0
; MemoryBound: 0
; FloatMode: 240
; IeeeMode: 1
; LDSByteSize: 5144 bytes/workgroup (compile time only)
; SGPRBlocks: 13
; VGPRBlocks: 8
; NumSGPRsForWavesPerEU: 106
; NumVGPRsForWavesPerEU: 67
; AccumOffset: 68
; Occupancy: 7
; WaveLimiterHint : 1
; COMPUTE_PGM_RSRC2:SCRATCH_EN: 0
; COMPUTE_PGM_RSRC2:USER_SGPR: 2
; COMPUTE_PGM_RSRC2:TRAP_HANDLER: 0
; COMPUTE_PGM_RSRC2:TGID_X_EN: 1
; COMPUTE_PGM_RSRC2:TGID_Y_EN: 1
; COMPUTE_PGM_RSRC2:TGID_Z_EN: 1
; COMPUTE_PGM_RSRC2:TIDIG_COMP_CNT: 0
; COMPUTE_PGM_RSRC3_GFX90A:ACCUM_OFFSET: 16
; COMPUTE_PGM_RSRC3_GFX90A:TG_SPLIT: 0
	.section	.text._ZN2at6native12_GLOBAL__N_114gatherKthValueIhlLi3EEEvNS_4cuda6detail10TensorInfoIKT_T0_EES8_S8_S8_S8_NS5_IS6_S8_EENS5_IlS8_EE,"axG",@progbits,_ZN2at6native12_GLOBAL__N_114gatherKthValueIhlLi3EEEvNS_4cuda6detail10TensorInfoIKT_T0_EES8_S8_S8_S8_NS5_IS6_S8_EENS5_IlS8_EE,comdat
	.globl	_ZN2at6native12_GLOBAL__N_114gatherKthValueIhlLi3EEEvNS_4cuda6detail10TensorInfoIKT_T0_EES8_S8_S8_S8_NS5_IS6_S8_EENS5_IlS8_EE ; -- Begin function _ZN2at6native12_GLOBAL__N_114gatherKthValueIhlLi3EEEvNS_4cuda6detail10TensorInfoIKT_T0_EES8_S8_S8_S8_NS5_IS6_S8_EENS5_IlS8_EE
	.p2align	8
	.type	_ZN2at6native12_GLOBAL__N_114gatherKthValueIhlLi3EEEvNS_4cuda6detail10TensorInfoIKT_T0_EES8_S8_S8_S8_NS5_IS6_S8_EENS5_IlS8_EE,@function
_ZN2at6native12_GLOBAL__N_114gatherKthValueIhlLi3EEEvNS_4cuda6detail10TensorInfoIKT_T0_EES8_S8_S8_S8_NS5_IS6_S8_EENS5_IlS8_EE: ; @_ZN2at6native12_GLOBAL__N_114gatherKthValueIhlLi3EEEvNS_4cuda6detail10TensorInfoIKT_T0_EES8_S8_S8_S8_NS5_IS6_S8_EENS5_IlS8_EE
; %bb.0:
	s_load_dwordx2 s[14:15], s[0:1], 0x500
	s_load_dwordx8 s[56:63], s[0:1], 0x1a0
	s_add_u32 s12, s0, 0x500
	s_addc_u32 s13, s1, 0
	s_mov_b32 s43, 0
	s_waitcnt lgkmcnt(0)
	s_mul_i32 s4, s15, s4
	s_add_i32 s3, s4, s3
	s_mul_i32 s3, s3, s14
	s_add_i32 s42, s3, s2
	v_mov_b64_e32 v[2:3], s[42:43]
	v_cmp_le_i64_e32 vcc, s[60:61], v[2:3]
	s_cbranch_vccnz .LBB6_304
; %bb.1:
	s_load_dwordx4 s[4:7], s[0:1], 0x10
	s_mov_b32 s8, s43
	s_waitcnt lgkmcnt(0)
	s_mov_b32 s9, s7
	s_cmp_lg_u64 s[8:9], 0
	s_cbranch_scc0 .LBB6_18
; %bb.2:
	s_ashr_i32 s8, s7, 31
	s_add_u32 s10, s6, s8
	s_mov_b32 s9, s8
	s_addc_u32 s11, s7, s8
	s_xor_b64 s[16:17], s[10:11], s[8:9]
	v_cvt_f32_u32_e32 v1, s16
	v_cvt_f32_u32_e32 v2, s17
	s_sub_u32 s3, 0, s16
	s_subb_u32 s15, 0, s17
	v_fmamk_f32 v1, v2, 0x4f800000, v1
	v_rcp_f32_e32 v1, v1
	s_nop 0
	v_mul_f32_e32 v1, 0x5f7ffffc, v1
	v_mul_f32_e32 v2, 0x2f800000, v1
	v_trunc_f32_e32 v2, v2
	v_fmamk_f32 v1, v2, 0xcf800000, v1
	v_cvt_u32_f32_e32 v2, v2
	v_cvt_u32_f32_e32 v1, v1
	v_readfirstlane_b32 s20, v2
	v_readfirstlane_b32 s18, v1
	s_mul_i32 s19, s3, s20
	s_mul_hi_u32 s22, s3, s18
	s_mul_i32 s21, s15, s18
	s_add_i32 s19, s22, s19
	s_add_i32 s19, s19, s21
	s_mul_i32 s23, s3, s18
	s_mul_i32 s22, s18, s19
	s_mul_hi_u32 s24, s18, s23
	s_mul_hi_u32 s21, s18, s19
	s_add_u32 s22, s24, s22
	s_addc_u32 s21, 0, s21
	s_mul_hi_u32 s25, s20, s23
	s_mul_i32 s23, s20, s23
	s_add_u32 s22, s22, s23
	s_mul_hi_u32 s24, s20, s19
	s_addc_u32 s21, s21, s25
	s_addc_u32 s22, s24, 0
	s_mul_i32 s19, s20, s19
	s_add_u32 s19, s21, s19
	s_addc_u32 s21, 0, s22
	s_add_u32 s22, s18, s19
	s_cselect_b64 s[18:19], -1, 0
	s_cmp_lg_u64 s[18:19], 0
	s_addc_u32 s20, s20, s21
	s_mul_i32 s18, s3, s20
	s_mul_hi_u32 s19, s3, s22
	s_add_i32 s18, s19, s18
	s_mul_i32 s15, s15, s22
	s_add_i32 s18, s18, s15
	s_mul_i32 s3, s3, s22
	s_mul_hi_u32 s19, s20, s3
	s_mul_i32 s21, s20, s3
	s_mul_i32 s24, s22, s18
	s_mul_hi_u32 s3, s22, s3
	s_mul_hi_u32 s23, s22, s18
	s_add_u32 s3, s3, s24
	s_addc_u32 s23, 0, s23
	s_add_u32 s3, s3, s21
	s_mul_hi_u32 s15, s20, s18
	s_addc_u32 s3, s23, s19
	s_addc_u32 s15, s15, 0
	s_mul_i32 s18, s20, s18
	s_add_u32 s3, s3, s18
	s_addc_u32 s15, 0, s15
	s_add_u32 s3, s22, s3
	s_cselect_b64 s[18:19], -1, 0
	s_cmp_lg_u64 s[18:19], 0
	s_addc_u32 s15, s20, s15
	s_add_u32 s18, s42, 0
	s_addc_u32 s19, 0, 0
	s_xor_b64 s[18:19], s[18:19], 0
	s_mul_i32 s21, s18, s15
	s_mul_hi_u32 s22, s18, s3
	s_mul_hi_u32 s20, s18, s15
	s_add_u32 s21, s22, s21
	s_addc_u32 s20, 0, s20
	s_mul_hi_u32 s23, s19, s3
	s_mul_i32 s3, s19, s3
	s_add_u32 s3, s21, s3
	s_mul_hi_u32 s22, s19, s15
	s_addc_u32 s3, s20, s23
	s_addc_u32 s20, s22, 0
	s_mul_i32 s15, s19, s15
	s_add_u32 s3, s3, s15
	s_addc_u32 s15, 0, s20
	s_mul_i32 s20, s16, s15
	s_mul_hi_u32 s21, s16, s3
	s_add_i32 s20, s21, s20
	s_mul_i32 s21, s17, s3
	s_add_i32 s24, s20, s21
	s_sub_i32 s22, s19, s24
	s_mul_i32 s20, s16, s3
	s_sub_u32 s18, s18, s20
	s_cselect_b64 s[20:21], -1, 0
	s_cmp_lg_u64 s[20:21], 0
	s_subb_u32 s25, s22, s17
	s_sub_u32 s26, s18, s16
	s_cselect_b64 s[22:23], -1, 0
	s_cmp_lg_u64 s[22:23], 0
	s_subb_u32 s22, s25, 0
	s_cmp_ge_u32 s22, s17
	s_cselect_b32 s23, -1, 0
	s_cmp_ge_u32 s26, s16
	s_cselect_b32 s25, -1, 0
	s_cmp_eq_u32 s22, s17
	s_cselect_b32 s22, s25, s23
	s_add_u32 s23, s3, 1
	s_addc_u32 s25, s15, 0
	s_add_u32 s26, s3, 2
	s_addc_u32 s27, s15, 0
	s_cmp_lg_u32 s22, 0
	s_cselect_b32 s22, s26, s23
	s_cselect_b32 s23, s27, s25
	s_cmp_lg_u64 s[20:21], 0
	s_subb_u32 s19, s19, s24
	s_cmp_ge_u32 s19, s17
	s_cselect_b32 s20, -1, 0
	s_cmp_ge_u32 s18, s16
	s_cselect_b32 s16, -1, 0
	s_cmp_eq_u32 s19, s17
	s_cselect_b32 s16, s16, s20
	s_cmp_lg_u32 s16, 0
	s_cselect_b32 s17, s23, s15
	s_cselect_b32 s16, s22, s3
	s_xor_b64 s[8:9], 0, s[8:9]
	s_xor_b64 s[16:17], s[16:17], s[8:9]
	s_sub_u32 s16, s16, s8
	s_subb_u32 s17, s17, s9
	s_cbranch_execnz .LBB6_4
.LBB6_3:
	v_cvt_f32_u32_e32 v1, s6
	s_sub_i32 s3, 0, s6
	s_mov_b32 s17, 0
	v_rcp_iflag_f32_e32 v1, v1
	s_nop 0
	v_mul_f32_e32 v1, 0x4f7ffffe, v1
	v_cvt_u32_f32_e32 v1, v1
	s_nop 0
	v_readfirstlane_b32 s8, v1
	s_mul_i32 s3, s3, s8
	s_mul_hi_u32 s3, s8, s3
	s_add_i32 s8, s8, s3
	s_mul_hi_u32 s3, s42, s8
	s_mul_i32 s9, s3, s6
	s_sub_i32 s9, s42, s9
	s_add_i32 s8, s3, 1
	s_sub_i32 s10, s9, s6
	s_cmp_ge_u32 s9, s6
	s_cselect_b32 s3, s8, s3
	s_cselect_b32 s9, s10, s9
	s_add_i32 s8, s3, 1
	s_cmp_ge_u32 s9, s6
	s_cselect_b32 s16, s8, s3
.LBB6_4:
	s_or_b64 s[8:9], s[16:17], s[4:5]
	s_mov_b32 s8, 0
	s_cmp_lg_u64 s[8:9], 0
	s_cbranch_scc0 .LBB6_19
; %bb.5:
	s_ashr_i32 s10, s5, 31
	s_add_u32 s8, s4, s10
	s_mov_b32 s11, s10
	s_addc_u32 s9, s5, s10
	s_xor_b64 s[18:19], s[8:9], s[10:11]
	v_cvt_f32_u32_e32 v1, s18
	v_cvt_f32_u32_e32 v2, s19
	s_sub_u32 s3, 0, s18
	s_subb_u32 s15, 0, s19
	v_fmamk_f32 v1, v2, 0x4f800000, v1
	v_rcp_f32_e32 v1, v1
	s_nop 0
	v_mul_f32_e32 v1, 0x5f7ffffc, v1
	v_mul_f32_e32 v2, 0x2f800000, v1
	v_trunc_f32_e32 v2, v2
	v_fmamk_f32 v1, v2, 0xcf800000, v1
	v_cvt_u32_f32_e32 v2, v2
	v_cvt_u32_f32_e32 v1, v1
	v_readfirstlane_b32 s22, v2
	v_readfirstlane_b32 s20, v1
	s_mul_i32 s21, s3, s22
	s_mul_hi_u32 s24, s3, s20
	s_mul_i32 s23, s15, s20
	s_add_i32 s21, s24, s21
	s_add_i32 s21, s21, s23
	s_mul_i32 s25, s3, s20
	s_mul_i32 s24, s20, s21
	s_mul_hi_u32 s26, s20, s25
	s_mul_hi_u32 s23, s20, s21
	s_add_u32 s24, s26, s24
	s_addc_u32 s23, 0, s23
	s_mul_hi_u32 s27, s22, s25
	s_mul_i32 s25, s22, s25
	s_add_u32 s24, s24, s25
	s_mul_hi_u32 s26, s22, s21
	s_addc_u32 s23, s23, s27
	s_addc_u32 s24, s26, 0
	s_mul_i32 s21, s22, s21
	s_add_u32 s21, s23, s21
	s_addc_u32 s23, 0, s24
	s_add_u32 s24, s20, s21
	s_cselect_b64 s[20:21], -1, 0
	s_cmp_lg_u64 s[20:21], 0
	s_addc_u32 s22, s22, s23
	s_mul_i32 s20, s3, s22
	s_mul_hi_u32 s21, s3, s24
	s_add_i32 s20, s21, s20
	s_mul_i32 s15, s15, s24
	s_add_i32 s20, s20, s15
	s_mul_i32 s3, s3, s24
	s_mul_hi_u32 s21, s22, s3
	s_mul_i32 s23, s22, s3
	s_mul_i32 s26, s24, s20
	s_mul_hi_u32 s3, s24, s3
	s_mul_hi_u32 s25, s24, s20
	s_add_u32 s3, s3, s26
	s_addc_u32 s25, 0, s25
	s_add_u32 s3, s3, s23
	s_mul_hi_u32 s15, s22, s20
	s_addc_u32 s3, s25, s21
	s_addc_u32 s15, s15, 0
	s_mul_i32 s20, s22, s20
	s_add_u32 s3, s3, s20
	s_addc_u32 s15, 0, s15
	s_add_u32 s3, s24, s3
	s_cselect_b64 s[20:21], -1, 0
	s_cmp_lg_u64 s[20:21], 0
	s_addc_u32 s15, s22, s15
	s_ashr_i32 s20, s17, 31
	s_add_u32 s22, s16, s20
	s_mov_b32 s21, s20
	s_addc_u32 s23, s17, s20
	s_xor_b64 s[22:23], s[22:23], s[20:21]
	s_mul_i32 s25, s22, s15
	s_mul_hi_u32 s26, s22, s3
	s_mul_hi_u32 s24, s22, s15
	s_add_u32 s25, s26, s25
	s_addc_u32 s24, 0, s24
	s_mul_hi_u32 s27, s23, s3
	s_mul_i32 s3, s23, s3
	s_add_u32 s3, s25, s3
	s_mul_hi_u32 s26, s23, s15
	s_addc_u32 s3, s24, s27
	s_addc_u32 s24, s26, 0
	s_mul_i32 s15, s23, s15
	s_add_u32 s3, s3, s15
	s_addc_u32 s15, 0, s24
	s_mul_i32 s24, s18, s15
	s_mul_hi_u32 s25, s18, s3
	s_add_i32 s24, s25, s24
	s_mul_i32 s25, s19, s3
	s_add_i32 s28, s24, s25
	s_sub_i32 s26, s23, s28
	s_mul_i32 s24, s18, s3
	s_sub_u32 s22, s22, s24
	s_cselect_b64 s[24:25], -1, 0
	s_cmp_lg_u64 s[24:25], 0
	s_subb_u32 s29, s26, s19
	s_sub_u32 s30, s22, s18
	s_cselect_b64 s[26:27], -1, 0
	s_cmp_lg_u64 s[26:27], 0
	s_subb_u32 s26, s29, 0
	s_cmp_ge_u32 s26, s19
	s_cselect_b32 s27, -1, 0
	s_cmp_ge_u32 s30, s18
	s_cselect_b32 s29, -1, 0
	s_cmp_eq_u32 s26, s19
	s_cselect_b32 s26, s29, s27
	s_add_u32 s27, s3, 1
	s_addc_u32 s29, s15, 0
	s_add_u32 s30, s3, 2
	s_addc_u32 s31, s15, 0
	s_cmp_lg_u32 s26, 0
	s_cselect_b32 s26, s30, s27
	s_cselect_b32 s27, s31, s29
	s_cmp_lg_u64 s[24:25], 0
	s_subb_u32 s23, s23, s28
	s_cmp_ge_u32 s23, s19
	s_cselect_b32 s24, -1, 0
	s_cmp_ge_u32 s22, s18
	s_cselect_b32 s18, -1, 0
	s_cmp_eq_u32 s23, s19
	s_cselect_b32 s18, s18, s24
	s_cmp_lg_u32 s18, 0
	s_cselect_b32 s19, s27, s15
	s_cselect_b32 s18, s26, s3
	s_xor_b64 s[10:11], s[20:21], s[10:11]
	s_xor_b64 s[18:19], s[18:19], s[10:11]
	s_sub_u32 s18, s18, s10
	s_subb_u32 s19, s19, s11
	s_load_dwordx4 s[24:27], s[0:1], 0x1d0
	s_cbranch_execnz .LBB6_7
.LBB6_6:
	v_cvt_f32_u32_e32 v1, s4
	s_sub_i32 s3, 0, s4
	s_mov_b32 s19, 0
	v_rcp_iflag_f32_e32 v1, v1
	s_nop 0
	v_mul_f32_e32 v1, 0x4f7ffffe, v1
	v_cvt_u32_f32_e32 v1, v1
	s_nop 0
	v_readfirstlane_b32 s8, v1
	s_mul_i32 s3, s3, s8
	s_mul_hi_u32 s3, s8, s3
	s_add_i32 s8, s8, s3
	s_mul_hi_u32 s3, s16, s8
	s_mul_i32 s9, s3, s4
	s_sub_i32 s9, s16, s9
	s_add_i32 s8, s3, 1
	s_sub_i32 s10, s9, s4
	s_cmp_ge_u32 s9, s4
	s_cselect_b32 s3, s8, s3
	s_cselect_b32 s9, s10, s9
	s_add_i32 s8, s3, 1
	s_cmp_ge_u32 s9, s4
	s_cselect_b32 s18, s8, s3
.LBB6_7:
                                        ; implicit-def: $vgpr67 : SGPR spill to VGPR lane
	s_waitcnt lgkmcnt(0)
	s_mov_b32 s9, s27
	v_writelane_b32 v67, s24, 0
	s_mov_b32 s8, 0
	s_cmp_lg_u64 s[8:9], 0
	v_writelane_b32 v67, s25, 1
	v_writelane_b32 v67, s26, 2
	v_writelane_b32 v67, s27, 3
	s_cbranch_scc0 .LBB6_20
; %bb.8:
	s_ashr_i32 s8, s27, 31
	s_add_u32 s10, s26, s8
	s_mov_b32 s9, s8
	s_addc_u32 s11, s27, s8
	s_xor_b64 s[20:21], s[10:11], s[8:9]
	v_cvt_f32_u32_e32 v1, s20
	v_cvt_f32_u32_e32 v2, s21
	s_sub_u32 s3, 0, s20
	s_subb_u32 s15, 0, s21
	v_fmamk_f32 v1, v2, 0x4f800000, v1
	v_rcp_f32_e32 v1, v1
	s_nop 0
	v_mul_f32_e32 v1, 0x5f7ffffc, v1
	v_mul_f32_e32 v2, 0x2f800000, v1
	v_trunc_f32_e32 v2, v2
	v_fmamk_f32 v1, v2, 0xcf800000, v1
	v_cvt_u32_f32_e32 v2, v2
	v_cvt_u32_f32_e32 v1, v1
	v_readfirstlane_b32 s24, v2
	v_readfirstlane_b32 s22, v1
	s_mul_i32 s23, s3, s24
	s_mul_hi_u32 s26, s3, s22
	s_mul_i32 s25, s15, s22
	s_add_i32 s23, s26, s23
	s_add_i32 s23, s23, s25
	s_mul_i32 s27, s3, s22
	s_mul_i32 s26, s22, s23
	s_mul_hi_u32 s28, s22, s27
	s_mul_hi_u32 s25, s22, s23
	s_add_u32 s26, s28, s26
	s_addc_u32 s25, 0, s25
	s_mul_hi_u32 s29, s24, s27
	s_mul_i32 s27, s24, s27
	s_add_u32 s26, s26, s27
	s_mul_hi_u32 s28, s24, s23
	s_addc_u32 s25, s25, s29
	s_addc_u32 s26, s28, 0
	s_mul_i32 s23, s24, s23
	s_add_u32 s23, s25, s23
	s_addc_u32 s25, 0, s26
	s_add_u32 s26, s22, s23
	s_cselect_b64 s[22:23], -1, 0
	s_cmp_lg_u64 s[22:23], 0
	s_addc_u32 s24, s24, s25
	s_mul_i32 s22, s3, s24
	s_mul_hi_u32 s23, s3, s26
	s_add_i32 s22, s23, s22
	s_mul_i32 s15, s15, s26
	s_add_i32 s22, s22, s15
	s_mul_i32 s3, s3, s26
	s_mul_hi_u32 s23, s24, s3
	s_mul_i32 s25, s24, s3
	s_mul_i32 s28, s26, s22
	s_mul_hi_u32 s3, s26, s3
	s_mul_hi_u32 s27, s26, s22
	s_add_u32 s3, s3, s28
	s_addc_u32 s27, 0, s27
	s_add_u32 s3, s3, s25
	s_mul_hi_u32 s15, s24, s22
	s_addc_u32 s3, s27, s23
	s_addc_u32 s15, s15, 0
	s_mul_i32 s22, s24, s22
	s_add_u32 s3, s3, s22
	s_addc_u32 s15, 0, s15
	s_add_u32 s3, s26, s3
	s_cselect_b64 s[22:23], -1, 0
	s_cmp_lg_u64 s[22:23], 0
	s_addc_u32 s15, s24, s15
	s_add_u32 s22, s42, 0
	s_addc_u32 s23, 0, 0
	s_xor_b64 s[22:23], s[22:23], 0
	s_mul_i32 s25, s22, s15
	s_mul_hi_u32 s26, s22, s3
	s_mul_hi_u32 s24, s22, s15
	s_add_u32 s25, s26, s25
	s_addc_u32 s24, 0, s24
	s_mul_hi_u32 s27, s23, s3
	s_mul_i32 s3, s23, s3
	s_add_u32 s3, s25, s3
	s_mul_hi_u32 s26, s23, s15
	s_addc_u32 s3, s24, s27
	s_addc_u32 s24, s26, 0
	s_mul_i32 s15, s23, s15
	s_add_u32 s3, s3, s15
	s_addc_u32 s15, 0, s24
	s_mul_i32 s24, s20, s15
	s_mul_hi_u32 s25, s20, s3
	s_add_i32 s24, s25, s24
	s_mul_i32 s25, s21, s3
	s_add_i32 s28, s24, s25
	s_sub_i32 s26, s23, s28
	s_mul_i32 s24, s20, s3
	s_sub_u32 s22, s22, s24
	s_cselect_b64 s[24:25], -1, 0
	s_cmp_lg_u64 s[24:25], 0
	s_subb_u32 s29, s26, s21
	s_sub_u32 s30, s22, s20
	s_cselect_b64 s[26:27], -1, 0
	s_cmp_lg_u64 s[26:27], 0
	s_subb_u32 s26, s29, 0
	s_cmp_ge_u32 s26, s21
	s_cselect_b32 s27, -1, 0
	s_cmp_ge_u32 s30, s20
	s_cselect_b32 s29, -1, 0
	s_cmp_eq_u32 s26, s21
	s_cselect_b32 s26, s29, s27
	s_add_u32 s27, s3, 1
	s_addc_u32 s29, s15, 0
	s_add_u32 s30, s3, 2
	s_addc_u32 s31, s15, 0
	s_cmp_lg_u32 s26, 0
	s_cselect_b32 s26, s30, s27
	s_cselect_b32 s27, s31, s29
	s_cmp_lg_u64 s[24:25], 0
	s_subb_u32 s23, s23, s28
	s_cmp_ge_u32 s23, s21
	s_cselect_b32 s24, -1, 0
	s_cmp_ge_u32 s22, s20
	s_cselect_b32 s20, -1, 0
	s_cmp_eq_u32 s23, s21
	s_cselect_b32 s20, s20, s24
	s_cmp_lg_u32 s20, 0
	s_cselect_b32 s21, s27, s15
	s_cselect_b32 s20, s26, s3
	s_load_dwordx4 s[24:27], s[0:1], 0x1d0
	s_xor_b64 s[8:9], 0, s[8:9]
	s_xor_b64 s[20:21], s[20:21], s[8:9]
	s_sub_u32 s30, s20, s8
	s_subb_u32 s31, s21, s9
	s_cbranch_execnz .LBB6_10
.LBB6_9:
	s_waitcnt lgkmcnt(0)
	v_cvt_f32_u32_e32 v1, s26
	s_sub_i32 s3, 0, s26
	s_mov_b32 s31, 0
	v_rcp_iflag_f32_e32 v1, v1
	s_nop 0
	v_mul_f32_e32 v1, 0x4f7ffffe, v1
	v_cvt_u32_f32_e32 v1, v1
	s_nop 0
	v_readfirstlane_b32 s8, v1
	s_mul_i32 s3, s3, s8
	s_mul_hi_u32 s3, s8, s3
	s_add_i32 s8, s8, s3
	s_mul_hi_u32 s3, s42, s8
	s_mul_i32 s9, s3, s26
	s_sub_i32 s9, s42, s9
	s_add_i32 s8, s3, 1
	s_sub_i32 s10, s9, s26
	s_cmp_ge_u32 s9, s26
	s_cselect_b32 s3, s8, s3
	s_cselect_b32 s9, s10, s9
	s_add_i32 s8, s3, 1
	s_cmp_ge_u32 s9, s26
	s_cselect_b32 s30, s8, s3
.LBB6_10:
	s_waitcnt lgkmcnt(0)
	s_or_b64 s[8:9], s[30:31], s[24:25]
	s_mov_b32 s8, 0
	s_cmp_lg_u64 s[8:9], 0
	v_writelane_b32 v67, s30, 4
	s_nop 1
	v_writelane_b32 v67, s31, 5
	s_cbranch_scc0 .LBB6_21
; %bb.11:
	s_ashr_i32 s10, s25, 31
	s_add_u32 s8, s24, s10
	s_mov_b32 s11, s10
	s_addc_u32 s9, s25, s10
	s_xor_b64 s[20:21], s[8:9], s[10:11]
	v_cvt_f32_u32_e32 v1, s20
	v_cvt_f32_u32_e32 v2, s21
	s_sub_u32 s3, 0, s20
	s_subb_u32 s15, 0, s21
	v_fmamk_f32 v1, v2, 0x4f800000, v1
	v_rcp_f32_e32 v1, v1
	s_nop 0
	v_mul_f32_e32 v1, 0x5f7ffffc, v1
	v_mul_f32_e32 v2, 0x2f800000, v1
	v_trunc_f32_e32 v2, v2
	v_fmamk_f32 v1, v2, 0xcf800000, v1
	v_cvt_u32_f32_e32 v2, v2
	v_cvt_u32_f32_e32 v1, v1
	v_readfirstlane_b32 s24, v2
	v_readfirstlane_b32 s22, v1
	s_mul_i32 s23, s3, s24
	s_mul_hi_u32 s26, s3, s22
	s_mul_i32 s25, s15, s22
	s_add_i32 s23, s26, s23
	s_add_i32 s23, s23, s25
	s_mul_i32 s27, s3, s22
	s_mul_i32 s26, s22, s23
	s_mul_hi_u32 s28, s22, s27
	s_mul_hi_u32 s25, s22, s23
	s_add_u32 s26, s28, s26
	s_addc_u32 s25, 0, s25
	s_mul_hi_u32 s29, s24, s27
	s_mul_i32 s27, s24, s27
	s_add_u32 s26, s26, s27
	s_mul_hi_u32 s28, s24, s23
	s_addc_u32 s25, s25, s29
	s_addc_u32 s26, s28, 0
	s_mul_i32 s23, s24, s23
	s_add_u32 s23, s25, s23
	s_addc_u32 s25, 0, s26
	s_add_u32 s26, s22, s23
	s_cselect_b64 s[22:23], -1, 0
	s_cmp_lg_u64 s[22:23], 0
	s_addc_u32 s24, s24, s25
	s_mul_i32 s22, s3, s24
	s_mul_hi_u32 s23, s3, s26
	s_add_i32 s22, s23, s22
	s_mul_i32 s15, s15, s26
	s_add_i32 s22, s22, s15
	s_mul_i32 s3, s3, s26
	s_mul_hi_u32 s23, s24, s3
	s_mul_i32 s25, s24, s3
	s_mul_i32 s28, s26, s22
	s_mul_hi_u32 s3, s26, s3
	s_mul_hi_u32 s27, s26, s22
	s_add_u32 s3, s3, s28
	s_addc_u32 s27, 0, s27
	s_add_u32 s3, s3, s25
	s_mul_hi_u32 s15, s24, s22
	s_addc_u32 s3, s27, s23
	s_addc_u32 s15, s15, 0
	s_mul_i32 s22, s24, s22
	s_add_u32 s3, s3, s22
	s_addc_u32 s15, 0, s15
	s_add_u32 s3, s26, s3
	s_cselect_b64 s[22:23], -1, 0
	s_cmp_lg_u64 s[22:23], 0
	s_addc_u32 s15, s24, s15
	s_ashr_i32 s22, s31, 31
	s_add_u32 s24, s30, s22
	s_mov_b32 s23, s22
	s_addc_u32 s25, s31, s22
	s_xor_b64 s[24:25], s[24:25], s[22:23]
	s_mul_i32 s27, s24, s15
	s_mul_hi_u32 s28, s24, s3
	s_mul_hi_u32 s26, s24, s15
	s_add_u32 s27, s28, s27
	s_addc_u32 s26, 0, s26
	s_mul_hi_u32 s29, s25, s3
	s_mul_i32 s3, s25, s3
	s_add_u32 s3, s27, s3
	s_mul_hi_u32 s28, s25, s15
	s_addc_u32 s3, s26, s29
	s_addc_u32 s26, s28, 0
	s_mul_i32 s15, s25, s15
	s_add_u32 s3, s3, s15
	s_addc_u32 s15, 0, s26
	s_mul_i32 s26, s20, s15
	s_mul_hi_u32 s27, s20, s3
	s_add_i32 s26, s27, s26
	s_mul_i32 s27, s21, s3
	s_add_i32 s30, s26, s27
	s_sub_i32 s28, s25, s30
	s_mul_i32 s26, s20, s3
	s_sub_u32 s24, s24, s26
	s_cselect_b64 s[26:27], -1, 0
	s_cmp_lg_u64 s[26:27], 0
	s_subb_u32 s31, s28, s21
	s_sub_u32 s33, s24, s20
	s_cselect_b64 s[28:29], -1, 0
	s_cmp_lg_u64 s[28:29], 0
	s_subb_u32 s28, s31, 0
	s_cmp_ge_u32 s28, s21
	s_cselect_b32 s29, -1, 0
	s_cmp_ge_u32 s33, s20
	s_cselect_b32 s31, -1, 0
	s_cmp_eq_u32 s28, s21
	s_cselect_b32 s28, s31, s29
	s_add_u32 s29, s3, 1
	s_addc_u32 s31, s15, 0
	s_add_u32 s33, s3, 2
	s_addc_u32 s34, s15, 0
	s_cmp_lg_u32 s28, 0
	s_cselect_b32 s28, s33, s29
	s_cselect_b32 s29, s34, s31
	s_cmp_lg_u64 s[26:27], 0
	s_subb_u32 s25, s25, s30
	s_cmp_ge_u32 s25, s21
	s_cselect_b32 s26, -1, 0
	s_cmp_ge_u32 s24, s20
	s_cselect_b32 s20, -1, 0
	s_cmp_eq_u32 s25, s21
	s_cselect_b32 s20, s20, s26
	s_cmp_lg_u32 s20, 0
	s_cselect_b32 s21, s29, s15
	s_cselect_b32 s20, s28, s3
	s_xor_b64 s[10:11], s[22:23], s[10:11]
	s_load_dwordx4 s[24:27], s[0:1], 0x1d0
	s_xor_b64 s[20:21], s[20:21], s[10:11]
	s_sub_u32 s10, s20, s10
	s_subb_u32 s11, s21, s11
	v_writelane_b32 v67, s10, 6
	s_nop 1
	v_writelane_b32 v67, s11, 7
	s_load_dwordx4 s[28:31], s[0:1], 0x370
	s_cbranch_execnz .LBB6_13
.LBB6_12:
	s_waitcnt lgkmcnt(0)
	v_cvt_f32_u32_e32 v1, s24
	s_sub_i32 s3, 0, s24
	v_readlane_b32 s10, v67, 4
	s_mov_b32 s21, 0
	v_rcp_iflag_f32_e32 v1, v1
	v_readlane_b32 s11, v67, 5
	v_mul_f32_e32 v1, 0x4f7ffffe, v1
	v_cvt_u32_f32_e32 v1, v1
	s_nop 0
	v_readfirstlane_b32 s8, v1
	s_mul_i32 s3, s3, s8
	s_mul_hi_u32 s3, s8, s3
	s_add_i32 s8, s8, s3
	s_mul_hi_u32 s3, s10, s8
	s_mul_i32 s9, s3, s24
	s_sub_i32 s9, s10, s9
	s_add_i32 s8, s3, 1
	s_sub_i32 s10, s9, s24
	s_cmp_ge_u32 s9, s24
	s_cselect_b32 s3, s8, s3
	s_cselect_b32 s9, s10, s9
	s_add_i32 s8, s3, 1
	s_cmp_ge_u32 s9, s24
	s_cselect_b32 s20, s8, s3
	v_writelane_b32 v67, s20, 6
	s_nop 1
	v_writelane_b32 v67, s21, 7
.LBB6_13:
	s_waitcnt lgkmcnt(0)
	s_mov_b32 s9, s31
	v_writelane_b32 v67, s28, 8
	s_mov_b32 s8, 0
	s_cmp_lg_u64 s[8:9], 0
	v_writelane_b32 v67, s29, 9
	v_writelane_b32 v67, s30, 10
	v_writelane_b32 v67, s31, 11
	s_cbranch_scc0 .LBB6_22
; %bb.14:
	s_ashr_i32 s8, s31, 31
	s_add_u32 s10, s30, s8
	s_mov_b32 s9, s8
	s_addc_u32 s11, s31, s8
	s_xor_b64 s[20:21], s[10:11], s[8:9]
	v_cvt_f32_u32_e32 v1, s20
	v_cvt_f32_u32_e32 v2, s21
	s_sub_u32 s3, 0, s20
	s_subb_u32 s15, 0, s21
	v_fmamk_f32 v1, v2, 0x4f800000, v1
	v_rcp_f32_e32 v1, v1
	s_nop 0
	v_mul_f32_e32 v1, 0x5f7ffffc, v1
	v_mul_f32_e32 v2, 0x2f800000, v1
	v_trunc_f32_e32 v2, v2
	v_fmamk_f32 v1, v2, 0xcf800000, v1
	v_cvt_u32_f32_e32 v2, v2
	v_cvt_u32_f32_e32 v1, v1
	v_readfirstlane_b32 s24, v2
	v_readfirstlane_b32 s22, v1
	s_mul_i32 s23, s3, s24
	s_mul_hi_u32 s26, s3, s22
	s_mul_i32 s25, s15, s22
	s_add_i32 s23, s26, s23
	s_add_i32 s23, s23, s25
	s_mul_i32 s27, s3, s22
	s_mul_i32 s26, s22, s23
	s_mul_hi_u32 s28, s22, s27
	s_mul_hi_u32 s25, s22, s23
	s_add_u32 s26, s28, s26
	s_addc_u32 s25, 0, s25
	s_mul_hi_u32 s29, s24, s27
	s_mul_i32 s27, s24, s27
	s_add_u32 s26, s26, s27
	s_mul_hi_u32 s28, s24, s23
	s_addc_u32 s25, s25, s29
	s_addc_u32 s26, s28, 0
	s_mul_i32 s23, s24, s23
	s_add_u32 s23, s25, s23
	s_addc_u32 s25, 0, s26
	s_add_u32 s26, s22, s23
	s_cselect_b64 s[22:23], -1, 0
	s_cmp_lg_u64 s[22:23], 0
	s_addc_u32 s24, s24, s25
	s_mul_i32 s22, s3, s24
	s_mul_hi_u32 s23, s3, s26
	s_add_i32 s22, s23, s22
	s_mul_i32 s15, s15, s26
	s_add_i32 s22, s22, s15
	s_mul_i32 s3, s3, s26
	s_mul_hi_u32 s23, s24, s3
	s_mul_i32 s25, s24, s3
	s_mul_i32 s28, s26, s22
	s_mul_hi_u32 s3, s26, s3
	s_mul_hi_u32 s27, s26, s22
	s_add_u32 s3, s3, s28
	s_addc_u32 s27, 0, s27
	s_add_u32 s3, s3, s25
	s_mul_hi_u32 s15, s24, s22
	s_addc_u32 s3, s27, s23
	s_addc_u32 s15, s15, 0
	s_mul_i32 s22, s24, s22
	s_add_u32 s3, s3, s22
	s_addc_u32 s15, 0, s15
	s_add_u32 s3, s26, s3
	s_cselect_b64 s[22:23], -1, 0
	s_cmp_lg_u64 s[22:23], 0
	s_addc_u32 s15, s24, s15
	s_add_u32 s22, s42, 0
	s_addc_u32 s23, 0, 0
	s_xor_b64 s[22:23], s[22:23], 0
	s_mul_i32 s25, s22, s15
	s_mul_hi_u32 s26, s22, s3
	s_mul_hi_u32 s24, s22, s15
	s_add_u32 s25, s26, s25
	s_addc_u32 s24, 0, s24
	s_mul_hi_u32 s27, s23, s3
	s_mul_i32 s3, s23, s3
	s_add_u32 s3, s25, s3
	s_mul_hi_u32 s26, s23, s15
	s_addc_u32 s3, s24, s27
	s_addc_u32 s24, s26, 0
	s_mul_i32 s15, s23, s15
	s_add_u32 s3, s3, s15
	s_addc_u32 s15, 0, s24
	s_mul_i32 s24, s20, s15
	s_mul_hi_u32 s25, s20, s3
	s_add_i32 s24, s25, s24
	s_mul_i32 s25, s21, s3
	s_add_i32 s28, s24, s25
	s_sub_i32 s26, s23, s28
	s_mul_i32 s24, s20, s3
	s_sub_u32 s22, s22, s24
	s_cselect_b64 s[24:25], -1, 0
	s_cmp_lg_u64 s[24:25], 0
	s_subb_u32 s29, s26, s21
	s_sub_u32 s30, s22, s20
	s_cselect_b64 s[26:27], -1, 0
	s_cmp_lg_u64 s[26:27], 0
	s_subb_u32 s26, s29, 0
	s_cmp_ge_u32 s26, s21
	s_cselect_b32 s27, -1, 0
	s_cmp_ge_u32 s30, s20
	s_cselect_b32 s29, -1, 0
	s_cmp_eq_u32 s26, s21
	s_cselect_b32 s26, s29, s27
	s_add_u32 s27, s3, 1
	s_addc_u32 s29, s15, 0
	s_add_u32 s30, s3, 2
	s_addc_u32 s31, s15, 0
	s_cmp_lg_u32 s26, 0
	s_cselect_b32 s26, s30, s27
	s_cselect_b32 s27, s31, s29
	s_cmp_lg_u64 s[24:25], 0
	s_subb_u32 s23, s23, s28
	s_cmp_ge_u32 s23, s21
	s_cselect_b32 s24, -1, 0
	s_cmp_ge_u32 s22, s20
	s_cselect_b32 s20, -1, 0
	s_cmp_eq_u32 s23, s21
	s_cselect_b32 s20, s20, s24
	s_load_dwordx4 s[28:31], s[0:1], 0x370
	s_cmp_lg_u32 s20, 0
	s_cselect_b32 s21, s27, s15
	s_cselect_b32 s20, s26, s3
	s_xor_b64 s[8:9], 0, s[8:9]
	s_xor_b64 s[20:21], s[20:21], s[8:9]
	s_sub_u32 s38, s20, s8
	s_subb_u32 s39, s21, s9
	s_cbranch_execnz .LBB6_16
.LBB6_15:
	s_waitcnt lgkmcnt(0)
	v_cvt_f32_u32_e32 v1, s30
	s_sub_i32 s3, 0, s30
	s_mov_b32 s39, 0
	v_rcp_iflag_f32_e32 v1, v1
	s_nop 0
	v_mul_f32_e32 v1, 0x4f7ffffe, v1
	v_cvt_u32_f32_e32 v1, v1
	s_nop 0
	v_readfirstlane_b32 s8, v1
	s_mul_i32 s3, s3, s8
	s_mul_hi_u32 s3, s8, s3
	s_add_i32 s8, s8, s3
	s_mul_hi_u32 s3, s42, s8
	s_mul_i32 s9, s3, s30
	s_sub_i32 s9, s42, s9
	s_add_i32 s8, s3, 1
	s_sub_i32 s10, s9, s30
	s_cmp_ge_u32 s9, s30
	s_cselect_b32 s3, s8, s3
	s_cselect_b32 s9, s10, s9
	s_add_i32 s8, s3, 1
	s_cmp_ge_u32 s9, s30
	s_cselect_b32 s38, s8, s3
.LBB6_16:
	s_load_dwordx2 s[20:21], s[0:1], 0xe0
	s_load_dwordx4 s[8:11], s[0:1], 0xd0
	s_waitcnt lgkmcnt(0)
	s_or_b64 s[22:23], s[38:39], s[28:29]
	s_mov_b32 s22, 0
	s_cmp_lg_u64 s[22:23], 0
	v_writelane_b32 v67, s38, 12
	s_nop 1
	v_writelane_b32 v67, s39, 13
	s_cbranch_scc0 .LBB6_23
; %bb.17:
	s_ashr_i32 s22, s29, 31
	s_add_u32 s24, s28, s22
	s_mov_b32 s23, s22
	s_addc_u32 s25, s29, s22
	s_xor_b64 s[26:27], s[24:25], s[22:23]
	v_cvt_f32_u32_e32 v1, s26
	v_cvt_f32_u32_e32 v2, s27
	s_sub_u32 s3, 0, s26
	s_subb_u32 s15, 0, s27
	s_mov_b64 s[24:25], 0
	v_fmamk_f32 v1, v2, 0x4f800000, v1
	v_rcp_f32_e32 v1, v1
	s_nop 0
	v_mul_f32_e32 v1, 0x5f7ffffc, v1
	v_mul_f32_e32 v2, 0x2f800000, v1
	v_trunc_f32_e32 v2, v2
	v_fmamk_f32 v1, v2, 0xcf800000, v1
	v_cvt_u32_f32_e32 v2, v2
	v_cvt_u32_f32_e32 v1, v1
	v_readfirstlane_b32 s30, v2
	v_readfirstlane_b32 s28, v1
	s_mul_i32 s29, s3, s30
	s_mul_hi_u32 s33, s3, s28
	s_mul_i32 s31, s15, s28
	s_add_i32 s29, s33, s29
	s_add_i32 s29, s29, s31
	s_mul_i32 s34, s3, s28
	s_mul_i32 s33, s28, s29
	s_mul_hi_u32 s35, s28, s34
	s_mul_hi_u32 s31, s28, s29
	s_add_u32 s33, s35, s33
	s_addc_u32 s31, 0, s31
	s_mul_hi_u32 s36, s30, s34
	s_mul_i32 s34, s30, s34
	s_add_u32 s33, s33, s34
	s_mul_hi_u32 s35, s30, s29
	s_addc_u32 s31, s31, s36
	s_addc_u32 s33, s35, 0
	s_mul_i32 s29, s30, s29
	s_add_u32 s29, s31, s29
	s_addc_u32 s31, 0, s33
	s_add_u32 s33, s28, s29
	s_cselect_b64 s[28:29], -1, 0
	s_cmp_lg_u64 s[28:29], 0
	s_addc_u32 s30, s30, s31
	s_mul_i32 s28, s3, s30
	s_mul_hi_u32 s29, s3, s33
	s_add_i32 s28, s29, s28
	s_mul_i32 s15, s15, s33
	s_add_i32 s28, s28, s15
	s_mul_i32 s3, s3, s33
	s_mul_hi_u32 s29, s30, s3
	s_mul_i32 s31, s30, s3
	s_mul_i32 s35, s33, s28
	s_mul_hi_u32 s3, s33, s3
	s_mul_hi_u32 s34, s33, s28
	s_add_u32 s3, s3, s35
	s_addc_u32 s34, 0, s34
	s_add_u32 s3, s3, s31
	s_mul_hi_u32 s15, s30, s28
	s_addc_u32 s3, s34, s29
	s_addc_u32 s15, s15, 0
	s_mul_i32 s28, s30, s28
	s_add_u32 s3, s3, s28
	s_addc_u32 s15, 0, s15
	s_add_u32 s3, s33, s3
	s_cselect_b64 s[28:29], -1, 0
	s_cmp_lg_u64 s[28:29], 0
	s_addc_u32 s15, s30, s15
	s_ashr_i32 s28, s39, 31
	s_add_u32 s30, s38, s28
	s_mov_b32 s29, s28
	s_addc_u32 s31, s39, s28
	s_xor_b64 s[30:31], s[30:31], s[28:29]
	s_mul_i32 s34, s30, s15
	s_mul_hi_u32 s35, s30, s3
	s_mul_hi_u32 s33, s30, s15
	s_add_u32 s34, s35, s34
	s_addc_u32 s33, 0, s33
	s_mul_hi_u32 s36, s31, s3
	s_mul_i32 s3, s31, s3
	s_add_u32 s3, s34, s3
	s_mul_hi_u32 s35, s31, s15
	s_addc_u32 s3, s33, s36
	s_addc_u32 s33, s35, 0
	s_mul_i32 s15, s31, s15
	s_add_u32 s3, s3, s15
	s_addc_u32 s15, 0, s33
	s_mul_i32 s33, s26, s15
	s_mul_hi_u32 s34, s26, s3
	s_add_i32 s33, s34, s33
	s_mul_i32 s34, s27, s3
	s_add_i32 s33, s33, s34
	s_sub_i32 s36, s31, s33
	s_mul_i32 s34, s26, s3
	s_sub_u32 s30, s30, s34
	s_cselect_b64 s[34:35], -1, 0
	s_cmp_lg_u64 s[34:35], 0
	s_subb_u32 s38, s36, s27
	s_sub_u32 s39, s30, s26
	s_cselect_b64 s[36:37], -1, 0
	s_cmp_lg_u64 s[36:37], 0
	s_subb_u32 s36, s38, 0
	s_cmp_ge_u32 s36, s27
	s_cselect_b32 s37, -1, 0
	s_cmp_ge_u32 s39, s26
	s_cselect_b32 s38, -1, 0
	s_cmp_eq_u32 s36, s27
	s_cselect_b32 s36, s38, s37
	s_add_u32 s37, s3, 1
	s_addc_u32 s38, s15, 0
	s_add_u32 s39, s3, 2
	s_addc_u32 s40, s15, 0
	s_cmp_lg_u32 s36, 0
	s_cselect_b32 s36, s39, s37
	s_cselect_b32 s37, s40, s38
	s_cmp_lg_u64 s[34:35], 0
	s_subb_u32 s31, s31, s33
	s_cmp_ge_u32 s31, s27
	s_cselect_b32 s33, -1, 0
	s_cmp_ge_u32 s30, s26
	s_cselect_b32 s26, -1, 0
	s_cmp_eq_u32 s31, s27
	s_cselect_b32 s26, s26, s33
	s_cmp_lg_u32 s26, 0
	s_cselect_b32 s27, s37, s15
	s_cselect_b32 s26, s36, s3
	s_xor_b64 s[22:23], s[28:29], s[22:23]
	s_load_dwordx4 s[28:31], s[0:1], 0x370
	s_xor_b64 s[26:27], s[26:27], s[22:23]
	s_sub_u32 s22, s26, s22
	s_subb_u32 s23, s27, s23
	v_writelane_b32 v67, s22, 26
	s_nop 1
	v_writelane_b32 v67, s23, 27
	s_branch .LBB6_24
.LBB6_18:
                                        ; implicit-def: $sgpr16_sgpr17
	s_branch .LBB6_3
.LBB6_19:
                                        ; implicit-def: $sgpr18_sgpr19
	s_load_dwordx4 s[24:27], s[0:1], 0x1d0
	s_branch .LBB6_6
.LBB6_20:
                                        ; implicit-def: $sgpr30_sgpr31
	s_branch .LBB6_9
.LBB6_21:
                                        ; implicit-def: $sgpr10_sgpr11
                                        ; kill: killed $sgpr10_sgpr11
	s_load_dwordx4 s[28:31], s[0:1], 0x370
	s_branch .LBB6_12
.LBB6_22:
                                        ; implicit-def: $sgpr38_sgpr39
	s_branch .LBB6_15
.LBB6_23:
	s_mov_b64 s[24:25], -1
                                        ; implicit-def: $sgpr22_sgpr23
                                        ; kill: killed $sgpr22_sgpr23
.LBB6_24:
	s_load_dwordx2 s[22:23], s[0:1], 0x440
	s_load_dwordx4 s[36:39], s[0:1], 0x430
	s_andn2_b64 vcc, exec, s[24:25]
	s_waitcnt lgkmcnt(0)
	v_writelane_b32 v67, s22, 14
	s_nop 1
	v_writelane_b32 v67, s23, 15
	s_load_dwordx2 s[22:23], s[0:1], 0x2a0
	v_writelane_b32 v67, s36, 16
	s_nop 1
	v_writelane_b32 v67, s37, 17
	v_writelane_b32 v67, s38, 18
	;; [unrolled: 1-line block ×3, first 2 shown]
	s_load_dwordx4 s[36:39], s[0:1], 0x290
	s_waitcnt lgkmcnt(0)
	v_writelane_b32 v67, s22, 20
	s_nop 1
	v_writelane_b32 v67, s23, 21
	s_load_dwordx2 s[22:23], s[0:1], 0x0
	v_writelane_b32 v67, s36, 22
	s_nop 1
	v_writelane_b32 v67, s37, 23
	v_writelane_b32 v67, s38, 24
	;; [unrolled: 1-line block ×3, first 2 shown]
	s_cbranch_vccnz .LBB6_26
; %bb.25:
	v_cvt_f32_u32_e32 v1, s28
	s_sub_i32 s3, 0, s28
	v_readlane_b32 s26, v67, 12
	s_mov_b32 s29, 0
	v_rcp_iflag_f32_e32 v1, v1
	v_readlane_b32 s27, v67, 13
	v_mul_f32_e32 v1, 0x4f7ffffe, v1
	v_cvt_u32_f32_e32 v1, v1
	s_nop 0
	v_readfirstlane_b32 s15, v1
	s_mul_i32 s3, s3, s15
	s_mul_hi_u32 s3, s15, s3
	s_add_i32 s15, s15, s3
	s_mul_hi_u32 s3, s26, s15
	s_mul_i32 s24, s3, s28
	s_sub_i32 s24, s26, s24
	s_add_i32 s15, s3, 1
	s_sub_i32 s25, s24, s28
	s_cmp_ge_u32 s24, s28
	s_cselect_b32 s3, s15, s3
	s_cselect_b32 s24, s25, s24
	s_add_i32 s15, s3, 1
	s_cmp_ge_u32 s24, s28
	s_cselect_b32 s28, s15, s3
	v_writelane_b32 v67, s28, 26
	s_nop 1
	v_writelane_b32 v67, s29, 27
.LBB6_26:
	s_load_dwordx2 s[24:25], s[0:1], 0x360
	s_mov_b32 s99, 0
	s_load_dwordx2 s[0:1], s[0:1], 0x1c0
	s_waitcnt lgkmcnt(0)
	v_writelane_b32 v67, s24, 28
	s_nop 1
	v_writelane_b32 v67, s25, 29
	v_writelane_b32 v67, s0, 30
	v_cmp_eq_u32_e64 s[24:25], 0, v0
	s_nop 0
	v_writelane_b32 v67, s1, 31
	s_mov_b64 s[0:1], exec
	v_writelane_b32 v67, s24, 32
	s_nop 1
	v_writelane_b32 v67, s25, 33
	s_and_b64 s[24:25], s[0:1], s[24:25]
	s_mov_b64 exec, s[24:25]
	s_cbranch_execz .LBB6_28
; %bb.27:
	v_mov_b32_e32 v2, 0
	v_mov_b32_e32 v4, s56
	;; [unrolled: 1-line block ×4, first 2 shown]
	ds_write_b32 v2, v2 offset:5136
	ds_write_b128 v2, v[2:5] offset:5120
.LBB6_28:
	s_or_b64 exec, exec, s[0:1]
	s_mul_i32 s0, s18, s5
	s_mul_hi_u32 s1, s18, s4
	s_add_i32 s0, s1, s0
	s_mul_i32 s1, s19, s4
	s_add_i32 s0, s0, s1
	s_mul_i32 s1, s18, s4
	s_sub_u32 s1, s16, s1
	s_subb_u32 s0, s17, s0
	s_mul_i32 s3, s1, s11
	s_mul_hi_u32 s4, s1, s10
	s_add_i32 s3, s4, s3
	s_mul_i32 s0, s0, s10
	s_add_i32 s3, s3, s0
	s_mul_i32 s10, s1, s10
	s_mul_i32 s0, s18, s9
	s_mul_hi_u32 s1, s18, s8
	s_add_i32 s0, s1, s0
	s_mul_i32 s1, s19, s8
	s_add_i32 s9, s0, s1
	s_mul_i32 s0, s16, s7
	s_mul_hi_u32 s1, s16, s6
	s_add_i32 s0, s1, s0
	s_mul_i32 s1, s17, s6
	s_add_i32 s0, s0, s1
	s_mul_i32 s1, s16, s6
	s_mov_b32 s4, s42
	v_writelane_b32 v67, s4, 34
	s_sub_u32 s1, s42, s1
	s_subb_u32 s0, 0, s0
	v_writelane_b32 v67, s5, 35
	s_mul_i32 s4, s1, s21
	s_mul_hi_u32 s5, s1, s20
	s_add_i32 s4, s5, s4
	s_mul_i32 s0, s0, s20
	s_mul_i32 s8, s18, s8
	s_add_i32 s11, s4, s0
	s_add_u32 s0, s22, s8
	s_mul_i32 s15, s1, s20
	s_addc_u32 s1, s23, s9
	s_add_u32 s0, s0, s10
	v_mbcnt_lo_u32_b32 v1, -1, 0
	s_addc_u32 s1, s1, s3
	v_mbcnt_hi_u32_b32 v40, -1, v1
	s_add_u32 s90, s0, s15
	v_cmp_gt_u32_e32 vcc, 64, v0
	v_cmp_gt_i32_e64 s[6:7], 4, v40
	s_addc_u32 s91, s1, s11
	s_and_b64 s[0:1], vcc, s[6:7]
	v_writelane_b32 v67, s0, 36
	v_mov_b64_e32 v[4:5], 0xc00
	v_mov_b32_e32 v3, 0
	v_writelane_b32 v67, s1, 37
	v_cmp_gt_u32_e64 s[0:1], 2, v0
	v_mov_b64_e32 v[6:7], s[90:91]
	v_mov_b32_e32 v1, v3
	v_writelane_b32 v67, s0, 38
	s_waitcnt lgkmcnt(0)
	s_barrier
	v_writelane_b32 v67, s1, 39
	v_cmp_gt_i64_e64 s[0:1], s[56:57], v[4:5]
	v_lshlrev_b32_e32 v2, 2, v40
	s_nop 0
	v_writelane_b32 v67, s0, 40
	v_and_b32_e32 v41, 0x100, v2
	v_lshrrev_b32_e32 v2, 1, v0
	v_writelane_b32 v67, s1, 41
	v_mad_u64_u32 v[4:5], s[0:1], s62, v0, 0
	v_mad_u64_u32 v[14:15], s[0:1], s62, v0, v[6:7]
	v_cmp_gt_i64_e64 s[0:1], s[56:57], v[0:1]
	v_and_b32_e32 v2, 0x1e0, v2
	v_lshlrev_b64 v[6:7], v40, -1
	v_writelane_b32 v67, s0, 42
	v_or_b32_e32 v42, 0xc00, v2
	v_add_u32_e32 v2, 2, v0
	v_writelane_b32 v67, s1, 43
	s_load_dword s0, s[12:13], 0xc
	v_not_b32_e32 v18, v6
	v_mov_b32_e32 v6, s57
	v_cmp_gt_i64_e32 vcc, s[56:57], v[2:3]
	v_not_b32_e32 v19, v7
	s_waitcnt lgkmcnt(0)
	s_and_b32 s96, s0, 0xffff
	s_bfe_u32 s1, s0, 0xa0006
	s_cmp_gt_u32 s96, 63
	s_cselect_b64 s[6:7], -1, 0
	v_writelane_b32 v67, s6, 44
	s_add_u32 s0, s96, -1
	v_cndmask_b32_e32 v7, 0, v6, vcc
	v_writelane_b32 v67, s7, 45
	s_addc_u32 s6, 0, -1
	v_mov_b32_e32 v6, s56
	s_add_u32 s88, s0, s56
	v_cndmask_b32_e32 v6, v2, v6, vcc
	v_mov_b32_e32 v9, -1
	v_not_b32_e32 v8, v0
	v_writelane_b32 v67, s0, 46
	s_addc_u32 s95, s6, s57
	v_lshl_add_u64 v[6:7], v[6:7], 0, v[8:9]
	v_writelane_b32 v67, s6, 47
	s_cmp_lt_u32 s2, s14
	v_cmp_lt_u64_e64 s[6:7], 3, v[6:7]
	s_cselect_b32 s0, 12, 18
	v_and_b32_e32 v20, -4, v6
	v_writelane_b32 v67, s6, 48
	v_mov_b32_e32 v21, v7
	s_add_u32 s54, s12, s0
	v_writelane_b32 v67, s7, 49
	v_cmp_ne_u64_e64 s[6:7], v[6:7], v[20:21]
	s_addc_u32 s55, s13, 0
	s_add_i32 s0, s1, -1
	v_writelane_b32 v67, s6, 50
	s_and_b32 s2, s0, 0xffff
	v_lshlrev_b32_e32 v16, 2, v0
	v_writelane_b32 v67, s7, 51
	s_bfe_u32 s6, s96, 0x30006
	s_cmp_gt_u32 s2, 6
	s_cselect_b64 s[12:13], -1, 0
	v_writelane_b32 v67, s12, 52
	s_and_b32 s33, s1, 0x3f8
	s_cmp_lg_u32 s6, 0
	v_writelane_b32 v67, s13, 53
	v_writelane_b32 v67, s6, 54
	s_cselect_b64 s[6:7], -1, 0
	s_add_u32 s1, s8, s15
	s_addc_u32 s2, s9, s11
	s_add_u32 s1, s1, s10
	v_writelane_b32 v67, s6, 55
	s_addc_u32 s2, s2, s3
	v_or_b32_e32 v6, 3, v16
	v_writelane_b32 v67, s7, 56
	s_add_u32 s6, s22, s1
	s_addc_u32 s7, s23, s2
	v_mad_u64_u32 v[24:25], s[2:3], s62, v6, 0
	v_mov_b32_e32 v2, v25
	v_mad_u64_u32 v[6:7], s[2:3], s63, v6, v[2:3]
	v_mov_b32_e32 v25, v6
	v_or_b32_e32 v6, 2, v16
	v_mad_u64_u32 v[26:27], s[2:3], s62, v6, 0
	v_mov_b32_e32 v2, v27
	s_mov_b32 s49, s63
	v_mad_u64_u32 v[6:7], s[2:3], s63, v6, v[2:3]
                                        ; implicit-def: $vgpr66 : SGPR spill to VGPR lane
	v_mul_lo_u32 v10, s63, v0
	s_mov_b32 s73, s63
	v_mov_b32_e32 v27, v6
	v_mov_b64_e32 v[6:7], s[62:63]
	v_writelane_b32 v67, s6, 57
	v_writelane_b32 v66, s49, 0
	v_add_u32_e32 v5, v5, v10
	s_mov_b32 s72, s62
	v_mad_u64_u32 v[28:29], s[2:3], s62, v16, v[6:7]
	v_writelane_b32 v67, s7, 58
	v_writelane_b32 v66, s73, 1
	s_mov_b32 s94, s62
	v_mov_b32_e32 v2, v29
	v_lshlrev_b64 v[30:31], 2, v[4:5]
	v_mov_b64_e32 v[4:5], s[6:7]
	v_writelane_b32 v67, s54, 59
	v_writelane_b32 v66, s72, 2
	v_cmp_eq_u32_e64 s[4:5], 0, v40
	s_mov_b32 s53, s63
	v_mad_u64_u32 v[6:7], s[2:3], s63, v16, v[2:3]
	v_mad_u64_u32 v[12:13], s[2:3], s62, v0, v[4:5]
	v_writelane_b32 v67, s55, 60
	v_writelane_b32 v66, s94, 3
	s_mov_b32 s52, s62
	v_mov_b32_e32 v2, 0xc00
	s_mul_i32 s1, s63, s96
	s_mul_hi_u32 s2, s62, s96
	v_writelane_b32 v67, s53, 61
	v_writelane_b32 v66, s4, 4
	v_add_u32_e32 v15, v10, v15
	v_mov_b32_e32 v17, v3
	s_mov_b32 s97, s99
	v_lshl_add_u64 v[22:23], v[20:21], 0, v[0:1]
	s_mov_b32 s48, s63
	s_mov_b32 s67, s62
	;; [unrolled: 1-line block ×3, first 2 shown]
	s_lshl_b64 s[10:11], s[62:63], 2
	v_mov_b32_e32 v29, v6
	v_lshl_add_u64 v[32:33], s[56:57], 0, v[0:1]
	v_lshl_or_b32 v43, v40, 3, v2
	v_add_u32_e32 v13, v10, v13
	s_add_i32 s93, s2, s1
	s_mul_i32 s92, s62, s96
	s_mov_b64 s[82:83], 0
	v_mov_b64_e32 v[34:35], s[58:59]
	s_movk_i32 s1, 0xff
	s_mov_b32 s58, 0xc0c0004
	v_mov_b64_e32 v[50:51], s[56:57]
	v_mov_b32_e32 v45, 8
	v_mov_b32_e32 v47, 0
	;; [unrolled: 1-line block ×4, first 2 shown]
	s_mov_b32 s59, 0
	v_writelane_b32 v67, s52, 62
	v_writelane_b32 v66, s5, 5
                                        ; implicit-def: $sgpr68_sgpr69
                                        ; implicit-def: $sgpr86_sgpr87
                                        ; implicit-def: $sgpr60_sgpr61
                                        ; implicit-def: $sgpr78_sgpr79
                                        ; implicit-def: $sgpr84_sgpr85
                                        ; implicit-def: $sgpr74_sgpr75
	v_writelane_b32 v67, s48, 63
	v_writelane_b32 v66, s67, 6
	s_branch .LBB6_32
.LBB6_29:                               ;   in Loop: Header=BB6_32 Depth=1
	s_or_b64 exec, exec, s[14:15]
	s_and_b64 s[8:9], s[8:9], exec
	s_andn2_b64 s[24:25], s[24:25], exec
	s_andn2_b64 s[2:3], s[2:3], exec
	s_orn2_b64 s[18:19], s[12:13], exec
.LBB6_30:                               ;   in Loop: Header=BB6_32 Depth=1
	s_or_b64 exec, exec, s[6:7]
	s_andn2_b64 s[6:7], s[74:75], exec
	s_and_b64 s[8:9], s[8:9], exec
	s_or_b64 s[74:75], s[6:7], s[8:9]
	s_andn2_b64 s[6:7], s[84:85], exec
	s_and_b64 s[8:9], s[24:25], exec
	s_or_b64 s[84:85], s[6:7], s[8:9]
	;; [unrolled: 3-line block ×3, first 2 shown]
	s_orn2_b64 s[2:3], s[18:19], exec
.LBB6_31:                               ;   in Loop: Header=BB6_32 Depth=1
	s_or_b64 exec, exec, s[16:17]
	s_and_b64 s[2:3], exec, s[2:3]
	s_or_b64 s[82:83], s[2:3], s[82:83]
	s_andn2_b64 s[2:3], s[60:61], exec
	s_and_b64 s[6:7], s[74:75], exec
	s_or_b64 s[60:61], s[2:3], s[6:7]
	s_andn2_b64 s[2:3], s[86:87], exec
	s_and_b64 s[6:7], s[84:85], exec
	;; [unrolled: 3-line block ×3, first 2 shown]
	s_or_b64 s[68:69], s[2:3], s[6:7]
	v_mov_b64_e32 v[34:35], v[8:9]
	s_andn2_b64 exec, exec, s[82:83]
	s_cbranch_execz .LBB6_300
.LBB6_32:                               ; =>This Loop Header: Depth=1
                                        ;     Child Loop BB6_37 Depth 2
                                        ;     Child Loop BB6_51 Depth 2
	;; [unrolled: 1-line block ×17, first 2 shown]
	ds_read_b128 v[4:7], v3 offset:5120
	s_waitcnt lgkmcnt(0)
	v_readfirstlane_b32 s31, v5
	v_readfirstlane_b32 s30, v4
	s_nop 1
	v_cmp_gt_i64_e64 s[2:3], s[30:31], 0
	s_and_b64 vcc, exec, s[2:3]
	s_cbranch_vccnz .LBB6_64
; %bb.33:                               ;   in Loop: Header=BB6_32 Depth=1
	v_readlane_b32 s2, v67, 40
	v_readlane_b32 s3, v67, 41
	s_and_b64 vcc, exec, s[2:3]
	s_cbranch_vccz .LBB6_45
; %bb.34:                               ;   in Loop: Header=BB6_32 Depth=1
	s_mov_b64 s[2:3], 0xc01
	v_cmp_gt_i64_e32 vcc, s[2:3], v[6:7]
	s_mov_b64 s[6:7], 0
	s_mov_b64 s[2:3], 0
	s_cbranch_vccz .LBB6_46
; %bb.35:                               ;   in Loop: Header=BB6_32 Depth=1
	global_load_ushort v6, v3, s[54:55]
	global_load_ubyte v8, v[14:15], off
	v_readlane_b32 s2, v67, 57
	v_readlane_b32 s3, v67, 58
	s_mov_b64 s[8:9], 0
	s_waitcnt vmcnt(1)
	v_and_b32_e32 v2, 0xffff, v6
	v_mov_b64_e32 v[4:5], s[2:3]
	v_readfirstlane_b32 s2, v6
	v_lshl_add_u64 v[6:7], v[0:1], 0, v[2:3]
	s_and_b32 s12, 0xffff, s2
	v_mad_u64_u32 v[4:5], s[2:3], s62, v6, v[4:5]
	v_mul_lo_u32 v7, s62, v7
	v_mul_lo_u32 v9, s63, v6
	s_mul_i32 s2, s63, s12
	s_mul_hi_u32 s3, s62, s12
	s_mul_i32 s12, s62, s12
	v_add3_u32 v5, v9, v5, v7
	s_add_i32 s13, s3, s2
	v_mov_b64_e32 v[6:7], v[0:1]
	s_branch .LBB6_37
.LBB6_36:                               ;   in Loop: Header=BB6_37 Depth=2
	s_or_b64 exec, exec, s[2:3]
	v_lshl_add_u64 v[4:5], v[4:5], 0, s[12:13]
	v_mov_b32_e32 v8, v9
	s_andn2_b64 exec, exec, s[8:9]
	s_cbranch_execz .LBB6_99
.LBB6_37:                               ;   Parent Loop BB6_32 Depth=1
                                        ; =>  This Inner Loop Header: Depth=2
	v_lshl_add_u64 v[6:7], v[6:7], 0, v[2:3]
	v_cmp_gt_i64_e64 s[2:3], s[56:57], v[6:7]
	v_cmp_le_i64_e32 vcc, s[56:57], v[6:7]
	s_waitcnt lgkmcnt(0)
	v_mov_b32_e32 v10, 0
	v_mov_b32_e32 v9, 0
	s_and_saveexec_b64 s[14:15], s[2:3]
	s_cbranch_execz .LBB6_39
; %bb.38:                               ;   in Loop: Header=BB6_37 Depth=2
	global_load_ubyte v9, v[4:5], off
.LBB6_39:                               ;   in Loop: Header=BB6_37 Depth=2
	s_or_b64 exec, exec, s[14:15]
	s_waitcnt vmcnt(0)
	v_bitop3_b32 v11, v8, s1, v46 bitop3:0x80
	v_cmp_eq_u32_e64 s[14:15], v11, v44
	s_cmp_lg_u64 s[14:15], 0
	s_cselect_b64 s[2:3], -1, 0
	s_and_b64 s[2:3], s[4:5], s[2:3]
	s_and_saveexec_b64 s[16:17], s[2:3]
	s_cbranch_execz .LBB6_43
; %bb.40:                               ;   in Loop: Header=BB6_37 Depth=2
	s_mov_b64 s[20:21], exec
	v_mbcnt_lo_u32_b32 v10, s20, 0
	v_mbcnt_hi_u32_b32 v10, s21, v10
	s_bcnt1_i32_b64 s22, s[14:15]
	v_cmp_eq_u32_e64 s[2:3], 0, v10
                                        ; implicit-def: $vgpr11
	s_and_saveexec_b64 s[18:19], s[2:3]
; %bb.41:                               ;   in Loop: Header=BB6_37 Depth=2
	s_bcnt1_i32_b64 s2, s[20:21]
	s_mul_i32 s2, s22, s2
	v_mov_b32_e32 v11, s2
	ds_add_rtn_u32 v11, v3, v11 offset:5136
; %bb.42:                               ;   in Loop: Header=BB6_37 Depth=2
	s_or_b64 exec, exec, s[18:19]
	s_waitcnt lgkmcnt(0)
	v_readfirstlane_b32 s2, v11
	s_nop 1
	v_mov_b32_e32 v11, s2
	v_mad_u32_u24 v10, s22, v10, v11
.LBB6_43:                               ;   in Loop: Header=BB6_37 Depth=2
	s_or_b64 exec, exec, s[16:17]
	ds_bpermute_b32 v10, v41, v10
	s_and_b64 s[2:3], exec, vcc
	s_or_b64 s[8:9], s[2:3], s[8:9]
	s_and_saveexec_b64 s[2:3], s[14:15]
	s_cbranch_execz .LBB6_36
; %bb.44:                               ;   in Loop: Header=BB6_37 Depth=2
	v_and_b32_e32 v36, s14, v18
	v_and_b32_e32 v11, s15, v19
	v_bcnt_u32_b32 v36, v36, 0
	v_bcnt_u32_b32 v11, v11, v36
	s_waitcnt lgkmcnt(0)
	v_add_u32_e32 v10, v10, v11
	ds_write_b8 v10, v8
	s_branch .LBB6_36
.LBB6_45:                               ;   in Loop: Header=BB6_32 Depth=1
	s_mov_b64 s[6:7], -1
	s_mov_b64 s[2:3], 0
.LBB6_46:                               ;   in Loop: Header=BB6_32 Depth=1
	s_and_b64 vcc, exec, s[6:7]
	s_cbranch_vccz .LBB6_62
.LBB6_47:                               ;   in Loop: Header=BB6_32 Depth=1
	s_mov_b64 s[2:3], exec
	v_readlane_b32 s6, v67, 42
	v_readlane_b32 s7, v67, 43
	s_and_b64 s[6:7], s[2:3], s[6:7]
	s_mov_b64 exec, s[6:7]
	s_cbranch_execz .LBB6_59
; %bb.48:                               ;   in Loop: Header=BB6_32 Depth=1
	global_load_ushort v2, v3, s[54:55]
	global_load_ubyte v38, v[14:15], off
	v_mov_b32_e32 v8, v0
	s_waitcnt vmcnt(1)
	v_readfirstlane_b32 s8, v2
	v_add_u32_sdwa v2, v2, v0 dst_sel:DWORD dst_unused:UNUSED_PAD src0_sel:WORD_0 src1_sel:DWORD
	v_cmp_gt_i64_e32 vcc, s[56:57], v[2:3]
	s_and_saveexec_b64 s[6:7], vcc
	s_cbranch_execz .LBB6_58
; %bb.49:                               ;   in Loop: Header=BB6_32 Depth=1
	s_and_b32 s98, s8, 0xffff
	s_cmp_eq_u32 s98, 1
	v_readlane_b32 s12, v67, 48
	s_cselect_b64 s[8:9], -1, 0
	v_readlane_b32 s13, v67, 49
	s_and_b64 s[14:15], s[12:13], s[8:9]
	s_mov_b64 s[12:13], -1
	v_mov_b64_e32 v[6:7], v[0:1]
	v_mov_b64_e32 v[4:5], v[2:3]
                                        ; implicit-def: $vgpr8_vgpr9
	s_and_saveexec_b64 s[8:9], s[14:15]
	s_cbranch_execz .LBB6_53
; %bb.50:                               ;   in Loop: Header=BB6_32 Depth=1
	v_lshl_add_u64 v[8:9], v[2:3], 0, 3
	v_lshl_add_u64 v[6:7], v[2:3], 0, 2
	;; [unrolled: 1-line block ×3, first 2 shown]
	v_mov_b64_e32 v[10:11], v[8:9]
	s_waitcnt vmcnt(0)
	v_lshlrev_b32_e32 v48, 24, v38
	s_mov_b64 s[12:13], 0
	v_mov_b64_e32 v[36:37], v[20:21]
	v_mov_b32_e32 v39, v0
	v_mov_b64_e32 v[8:9], v[6:7]
	v_mov_b64_e32 v[6:7], v[4:5]
	;; [unrolled: 1-line block ×3, first 2 shown]
.LBB6_51:                               ;   Parent Loop BB6_32 Depth=1
                                        ; =>  This Inner Loop Header: Depth=2
	v_mov_b64_e32 v[52:53], s[90:91]
	v_mul_lo_u32 v64, v10, s73
	v_mul_lo_u32 v65, v11, s67
	v_mad_u64_u32 v[54:55], s[14:15], v4, s72, v[52:53]
	v_mad_u64_u32 v[56:57], s[14:15], v6, s52, v[52:53]
	;; [unrolled: 1-line block ×4, first 2 shown]
	v_mul_lo_u32 v38, v4, s53
	v_mul_lo_u32 v49, v5, s72
	;; [unrolled: 1-line block ×6, first 2 shown]
	v_add3_u32 v53, v65, v53, v64
	v_add3_u32 v55, v49, v55, v38
	;; [unrolled: 1-line block ×4, first 2 shown]
	global_load_ubyte v38, v[52:53], off
	global_load_ubyte v49, v[56:57], off
	s_nop 0
	global_load_ubyte v52, v[54:55], off
	global_load_ubyte v53, v[58:59], off
	s_mov_b32 s14, 0xc0c0007
	v_lshl_add_u64 v[36:37], v[36:37], 0, -4
	v_cmp_eq_u64_e32 vcc, 0, v[36:37]
	v_lshl_add_u64 v[10:11], v[10:11], 0, 4
	v_lshl_add_u64 v[8:9], v[8:9], 0, 4
	;; [unrolled: 1-line block ×4, first 2 shown]
	s_or_b64 s[12:13], vcc, s[12:13]
	s_waitcnt vmcnt(1)
	v_perm_b32 v54, v52, v49, s58
	s_waitcnt vmcnt(0)
	v_perm_b32 v55, v53, v38, s58
	v_perm_b32 v49, v49, v53, s58
	;; [unrolled: 1-line block ×3, first 2 shown]
	v_lshl_or_b32 v52, v55, 16, v54
	v_lshl_or_b32 v48, v49, 16, v48
	ds_write_b32 v39, v48
	v_add_u32_e32 v39, 4, v39
	v_mov_b32_e32 v48, v52
	s_andn2_b64 exec, exec, s[12:13]
	s_cbranch_execnz .LBB6_51
; %bb.52:                               ;   in Loop: Header=BB6_32 Depth=1
	s_or_b64 exec, exec, s[12:13]
	v_readlane_b32 s12, v67, 50
	v_lshl_add_u64 v[4:5], v[2:3], 0, v[20:21]
	v_readlane_b32 s13, v67, 51
	v_lshl_add_u64 v[8:9], v[4:5], 0, -1
	s_orn2_b64 s[12:13], s[12:13], exec
	v_mov_b64_e32 v[6:7], v[22:23]
.LBB6_53:                               ;   in Loop: Header=BB6_32 Depth=1
	s_or_b64 exec, exec, s[8:9]
	s_and_saveexec_b64 s[8:9], s[12:13]
	s_cbranch_execz .LBB6_57
; %bb.54:                               ;   in Loop: Header=BB6_32 Depth=1
	v_readlane_b32 s16, v67, 57
	v_readlane_b32 s17, v67, 58
	s_sub_u32 s12, 0, s98
	v_mul_lo_u32 v2, s62, v5
	v_mov_b64_e32 v[8:9], s[16:17]
	v_mad_u64_u32 v[8:9], s[16:17], s62, v4, v[8:9]
	v_mul_lo_u32 v7, s63, v4
	s_mul_i32 s16, s63, s98
	s_mul_hi_u32 s17, s62, s98
	s_mov_b64 s[14:15], 0
	s_subb_u32 s13, 0, 0
	v_add3_u32 v9, v7, v9, v2
	s_add_i32 s17, s17, s16
	s_mul_i32 s16, s62, s98
.LBB6_55:                               ;   Parent Loop BB6_32 Depth=1
                                        ; =>  This Inner Loop Header: Depth=2
	global_load_ubyte v2, v[8:9], off
	v_mov_b64_e32 v[10:11], v[4:5]
	v_lshl_add_u64 v[4:5], v[10:11], 0, s[98:99]
	v_cmp_le_i64_e32 vcc, s[56:57], v[4:5]
	s_waitcnt vmcnt(1)
	ds_write_b8 v6, v38
	v_lshl_add_u64 v[8:9], v[8:9], 0, s[16:17]
	v_mov_b64_e32 v[6:7], v[10:11]
	s_or_b64 s[14:15], vcc, s[14:15]
	s_waitcnt vmcnt(0)
	v_mov_b32_e32 v38, v2
	s_andn2_b64 exec, exec, s[14:15]
	s_cbranch_execnz .LBB6_55
; %bb.56:                               ;   in Loop: Header=BB6_32 Depth=1
	s_or_b64 exec, exec, s[14:15]
	v_lshl_add_u64 v[8:9], s[12:13], 0, v[4:5]
	v_mov_b32_e32 v38, v2
.LBB6_57:                               ;   in Loop: Header=BB6_32 Depth=1
	s_or_b64 exec, exec, s[8:9]
.LBB6_58:                               ;   in Loop: Header=BB6_32 Depth=1
	s_or_b64 exec, exec, s[6:7]
	s_waitcnt vmcnt(0)
	ds_write_b8 v8, v38
.LBB6_59:                               ;   in Loop: Header=BB6_32 Depth=1
	s_or_b64 exec, exec, s[2:3]
	s_waitcnt lgkmcnt(0)
	s_barrier
	s_mov_b64 s[2:3], exec
	v_readlane_b32 s6, v67, 32
	v_readlane_b32 s7, v67, 33
	s_and_b64 s[6:7], s[2:3], s[6:7]
	s_mov_b64 exec, s[6:7]
; %bb.60:                               ;   in Loop: Header=BB6_32 Depth=1
	ds_write_b64 v3, v[50:51] offset:5120
; %bb.61:                               ;   in Loop: Header=BB6_32 Depth=1
	s_or_b64 exec, exec, s[2:3]
	s_mov_b64 s[2:3], -1
	s_waitcnt lgkmcnt(0)
	s_barrier
.LBB6_62:                               ;   in Loop: Header=BB6_32 Depth=1
	s_and_b64 vcc, exec, s[2:3]
	s_cbranch_vccz .LBB6_64
; %bb.63:                               ;   in Loop: Header=BB6_32 Depth=1
	ds_read_b64 v[4:5], v3 offset:5120
	s_waitcnt lgkmcnt(0)
	v_readfirstlane_b32 s30, v4
.LBB6_64:                               ;   in Loop: Header=BB6_32 Depth=1
	s_cmp_lt_i32 s30, 1
	s_mov_b64 s[2:3], -1
                                        ; implicit-def: $vgpr10_vgpr11
                                        ; implicit-def: $vgpr6_vgpr7
	s_cbranch_scc1 .LBB6_74
; %bb.65:                               ;   in Loop: Header=BB6_32 Depth=1
	s_and_b64 vcc, exec, s[2:3]
	s_cbranch_vccnz .LBB6_90
.LBB6_66:                               ;   in Loop: Header=BB6_32 Depth=1
	s_lshl_b32 s6, s59, 6
	s_and_saveexec_b64 s[2:3], s[4:5]
	s_cbranch_execz .LBB6_68
.LBB6_67:                               ;   in Loop: Header=BB6_32 Depth=1
	v_lshl_add_u32 v2, s6, 3, v42
	ds_write_b128 v2, v[4:7]
	ds_write_b128 v2, v[8:11] offset:16
.LBB6_68:                               ;   in Loop: Header=BB6_32 Depth=1
	s_or_b64 exec, exec, s[2:3]
	s_waitcnt lgkmcnt(0)
	s_barrier
	s_mov_b64 s[2:3], exec
	v_readlane_b32 s8, v67, 36
	v_readlane_b32 s9, v67, 37
	s_and_b64 s[8:9], s[2:3], s[8:9]
	s_mov_b64 exec, s[8:9]
	s_cbranch_execz .LBB6_107
; %bb.69:                               ;   in Loop: Header=BB6_32 Depth=1
	v_readlane_b32 s8, v67, 44
	v_readlane_b32 s9, v67, 45
	s_andn2_b64 vcc, exec, s[8:9]
	v_mov_b64_e32 v[4:5], 0
	s_cbranch_vccnz .LBB6_106
; %bb.70:                               ;   in Loop: Header=BB6_32 Depth=1
	v_readlane_b32 s8, v67, 52
	v_readlane_b32 s9, v67, 53
	s_andn2_b64 vcc, exec, s[8:9]
	s_cbranch_vccnz .LBB6_102
; %bb.71:                               ;   in Loop: Header=BB6_32 Depth=1
	v_lshl_add_u32 v2, s59, 9, v43
	v_mov_b64_e32 v[4:5], 0
	s_mov_b32 s7, 0
.LBB6_72:                               ;   Parent Loop BB6_32 Depth=1
                                        ; =>  This Inner Loop Header: Depth=2
	ds_read2_b64 v[6:9], v2 offset1:4
	ds_read2_b64 v[36:39], v2 offset0:8 offset1:12
	ds_read2_b64 v[52:55], v2 offset0:16 offset1:20
	;; [unrolled: 1-line block ×3, first 2 shown]
	s_add_i32 s7, s7, 8
	s_waitcnt lgkmcnt(3)
	v_lshl_add_u64 v[4:5], v[6:7], 0, v[4:5]
	v_lshl_add_u64 v[4:5], v[8:9], 0, v[4:5]
	s_waitcnt lgkmcnt(2)
	v_lshl_add_u64 v[4:5], v[36:37], 0, v[4:5]
	v_lshl_add_u64 v[4:5], v[38:39], 0, v[4:5]
	;; [unrolled: 3-line block ×3, first 2 shown]
	s_waitcnt lgkmcnt(0)
	v_lshl_add_u64 v[4:5], v[56:57], 0, v[4:5]
	v_add_u32_e32 v2, 0x100, v2
	s_cmp_eq_u32 s33, s7
	v_lshl_add_u64 v[4:5], v[58:59], 0, v[4:5]
	s_cbranch_scc0 .LBB6_72
; %bb.73:                               ;   in Loop: Header=BB6_32 Depth=1
	s_mov_b32 s7, s33
	s_branch .LBB6_103
.LBB6_74:                               ;   in Loop: Header=BB6_32 Depth=1
	global_load_ushort v2, v3, s[54:55]
	s_mov_b32 s2, s99
	s_waitcnt vmcnt(0)
	v_readfirstlane_b32 s3, v2
	s_and_b32 s64, s3, 0xffff
	s_lshl_b32 s98, s64, 2
	s_mov_b32 s3, s57
	s_cmp_lg_u64 s[2:3], 0
	s_cbranch_scc0 .LBB6_76
; %bb.75:                               ;   in Loop: Header=BB6_32 Depth=1
	s_add_u32 s2, s98, 0
	s_addc_u32 s3, 0, 0
	s_xor_b64 s[2:3], s[2:3], 0
	v_cvt_f32_u32_e32 v2, s2
	v_cvt_f32_u32_e32 v4, s3
	s_sub_u32 s8, 0, s2
	s_subb_u32 s9, 0, s3
	v_fmac_f32_e32 v2, 0x4f800000, v4
	v_rcp_f32_e32 v2, v2
	s_nop 0
	v_mul_f32_e32 v2, 0x5f7ffffc, v2
	v_mul_f32_e32 v4, 0x2f800000, v2
	v_trunc_f32_e32 v4, v4
	v_fmac_f32_e32 v2, 0xcf800000, v4
	v_cvt_u32_f32_e32 v4, v4
	v_cvt_u32_f32_e32 v2, v2
	v_readfirstlane_b32 s12, v4
	v_readfirstlane_b32 s6, v2
	s_mul_i32 s7, s8, s12
	s_mul_hi_u32 s14, s8, s6
	s_mul_i32 s13, s9, s6
	s_add_i32 s7, s14, s7
	s_mul_i32 s15, s8, s6
	s_add_i32 s7, s7, s13
	s_mul_i32 s14, s6, s7
	s_mul_hi_u32 s16, s6, s15
	s_mul_hi_u32 s13, s6, s7
	s_add_u32 s14, s16, s14
	s_addc_u32 s13, 0, s13
	s_mul_hi_u32 s17, s12, s15
	s_mul_i32 s15, s12, s15
	s_add_u32 s14, s14, s15
	s_mul_hi_u32 s16, s12, s7
	s_addc_u32 s13, s13, s17
	s_addc_u32 s14, s16, 0
	s_mul_i32 s7, s12, s7
	s_add_u32 s7, s13, s7
	s_addc_u32 s13, 0, s14
	s_add_u32 s14, s6, s7
	s_cselect_b64 s[6:7], -1, 0
	s_cmp_lg_u64 s[6:7], 0
	s_addc_u32 s12, s12, s13
	s_mul_i32 s6, s8, s12
	s_mul_hi_u32 s7, s8, s14
	s_add_i32 s6, s7, s6
	s_mul_i32 s9, s9, s14
	s_add_i32 s6, s6, s9
	s_mul_i32 s8, s8, s14
	s_mul_hi_u32 s9, s12, s8
	s_mul_i32 s13, s12, s8
	s_mul_i32 s16, s14, s6
	s_mul_hi_u32 s8, s14, s8
	s_mul_hi_u32 s15, s14, s6
	s_add_u32 s8, s8, s16
	s_addc_u32 s15, 0, s15
	s_add_u32 s8, s8, s13
	s_mul_hi_u32 s7, s12, s6
	s_addc_u32 s8, s15, s9
	s_addc_u32 s7, s7, 0
	s_mul_i32 s6, s12, s6
	s_add_u32 s6, s8, s6
	s_addc_u32 s8, 0, s7
	s_add_u32 s13, s14, s6
	s_cselect_b64 s[6:7], -1, 0
	s_cmp_lg_u64 s[6:7], 0
	s_addc_u32 s12, s12, s8
	s_ashr_i32 s6, s57, 31
	s_add_u32 s8, s56, s6
	s_mov_b32 s7, s6
	s_addc_u32 s9, s57, s6
	s_xor_b64 s[8:9], s[8:9], s[6:7]
	s_mul_i32 s15, s8, s12
	s_mul_hi_u32 s16, s8, s13
	s_mul_hi_u32 s14, s8, s12
	s_add_u32 s15, s16, s15
	s_addc_u32 s14, 0, s14
	s_mul_hi_u32 s17, s9, s13
	s_mul_i32 s13, s9, s13
	s_add_u32 s13, s15, s13
	s_mul_hi_u32 s16, s9, s12
	s_addc_u32 s13, s14, s17
	s_addc_u32 s14, s16, 0
	s_mul_i32 s12, s9, s12
	s_add_u32 s12, s13, s12
	s_addc_u32 s13, 0, s14
	s_mul_i32 s13, s2, s13
	s_mul_hi_u32 s14, s2, s12
	s_add_i32 s13, s14, s13
	s_mul_i32 s14, s3, s12
	s_add_i32 s16, s13, s14
	s_sub_i32 s14, s9, s16
	s_mul_i32 s12, s2, s12
	s_sub_u32 s8, s8, s12
	s_cselect_b64 s[12:13], -1, 0
	s_cmp_lg_u64 s[12:13], 0
	s_subb_u32 s17, s14, s3
	s_sub_u32 s18, s8, s2
	s_cselect_b64 s[14:15], -1, 0
	s_cmp_lg_u64 s[14:15], 0
	s_subb_u32 s19, s17, 0
	s_cmp_ge_u32 s19, s3
	s_cselect_b32 s20, -1, 0
	s_cmp_ge_u32 s18, s2
	s_cselect_b32 s21, -1, 0
	s_cmp_eq_u32 s19, s3
	s_cselect_b32 s20, s21, s20
	s_cmp_lg_u64 s[14:15], 0
	s_subb_u32 s17, s17, s3
	s_sub_u32 s21, s18, s2
	s_cselect_b64 s[14:15], -1, 0
	s_cmp_lg_u64 s[14:15], 0
	s_subb_u32 s14, s17, 0
	s_cmp_lg_u32 s20, 0
	s_cselect_b32 s15, s21, s18
	s_cselect_b32 s14, s14, s19
	s_cmp_lg_u64 s[12:13], 0
	s_subb_u32 s9, s9, s16
	s_cmp_ge_u32 s9, s3
	s_cselect_b32 s12, -1, 0
	s_cmp_ge_u32 s8, s2
	s_cselect_b32 s2, -1, 0
	s_cmp_eq_u32 s9, s3
	s_cselect_b32 s2, s2, s12
	s_cmp_lg_u32 s2, 0
	s_cselect_b32 s3, s14, s9
	s_cselect_b32 s2, s15, s8
	s_xor_b64 s[2:3], s[2:3], s[6:7]
	s_sub_u32 s66, s2, s6
	s_subb_u32 s67, s3, s6
	s_mov_b64 s[2:3], 0
	s_branch .LBB6_77
.LBB6_76:                               ;   in Loop: Header=BB6_32 Depth=1
	s_mov_b64 s[2:3], -1
                                        ; implicit-def: $sgpr66_sgpr67
.LBB6_77:                               ;   in Loop: Header=BB6_32 Depth=1
	s_mov_b64 s[76:77], s[78:79]
	s_mov_b64 s[78:79], s[74:75]
	s_mov_b64 s[74:75], s[60:61]
	s_mov_b64 s[60:61], s[68:69]
	s_andn2_b64 vcc, exec, s[2:3]
	s_cbranch_vccnz .LBB6_79
; %bb.78:                               ;   in Loop: Header=BB6_32 Depth=1
	v_cvt_f32_u32_e32 v2, s98
	s_sub_i32 s2, 0, s98
	s_mov_b32 s67, s99
	v_rcp_iflag_f32_e32 v2, v2
	s_nop 0
	v_mul_f32_e32 v2, 0x4f7ffffe, v2
	v_cvt_u32_f32_e32 v2, v2
	s_nop 0
	v_readfirstlane_b32 s3, v2
	s_mul_i32 s2, s2, s3
	s_mul_hi_u32 s2, s3, s2
	s_add_i32 s3, s3, s2
	s_mul_hi_u32 s2, s56, s3
	s_mul_i32 s2, s2, s98
	s_sub_i32 s2, s56, s2
	s_sub_i32 s3, s2, s98
	s_cmp_ge_u32 s2, s98
	s_cselect_b32 s2, s3, s2
	s_sub_i32 s3, s2, s98
	s_cmp_ge_u32 s2, s98
	s_cselect_b32 s66, s3, s2
.LBB6_79:                               ;   in Loop: Header=BB6_32 Depth=1
	s_sub_u32 s80, s56, s66
	s_subb_u32 s81, s57, s67
	s_mov_b32 s65, s99
	v_cmp_gt_i64_e32 vcc, s[80:81], v[16:17]
	v_mov_b64_e32 v[4:5], 0
	v_mov_b64_e32 v[6:7], 0
	;; [unrolled: 1-line block ×4, first 2 shown]
	s_and_saveexec_b64 s[68:69], vcc
	s_cbranch_execz .LBB6_83
; %bb.80:                               ;   in Loop: Header=BB6_32 Depth=1
	v_readlane_b32 s2, v67, 36
	v_readlane_b32 s3, v67, 37
	v_writelane_b32 v66, s94, 7
	s_mul_i32 s2, s11, s64
	s_mul_hi_u32 s3, s10, s64
	v_writelane_b32 v66, s95, 8
	s_mov_b32 s73, s88
	s_mov_b64 s[4:5], s[92:93]
	s_add_i32 s31, s3, s2
	s_mov_b64 s[70:71], 0
	s_mov_b64 s[88:89], s[90:91]
	;; [unrolled: 1-line block ×6, first 2 shown]
	v_mov_b64_e32 v[36:37], v[16:17]
.LBB6_81:                               ;   Parent Loop BB6_32 Depth=1
                                        ; =>  This Inner Loop Header: Depth=2
	v_lshl_add_u64 v[4:5], s[90:91], 0, v[30:31]
	v_lshl_add_u64 v[6:7], s[90:91], 0, v[28:29]
	;; [unrolled: 1-line block ×4, first 2 shown]
	global_load_ubyte v2, v[4:5], off
	s_nop 0
	global_load_ubyte v4, v[6:7], off
	global_load_ubyte v5, v[8:9], off
	s_nop 0
	global_load_ubyte v6, v[10:11], off
	s_mul_i32 s72, s10, s64
	v_lshl_add_u64 v[36:37], v[36:37], 0, s[98:99]
	v_cmp_le_i64_e32 vcc, s[80:81], v[36:37]
	s_waitcnt vmcnt(3)
	v_and_b32_e32 v7, v46, v2
	v_bfe_u32 v2, v2, s0, 2
	s_waitcnt vmcnt(2)
	v_and_b32_e32 v8, v46, v4
	v_bfe_u32 v4, v4, s0, 2
	v_cmp_eq_u32_e64 s[2:3], v7, v44
	v_cmp_eq_u32_e64 s[20:21], 0, v2
	s_waitcnt vmcnt(1)
	v_and_b32_e32 v9, v46, v5
	v_bfe_u32 v5, v5, s0, 2
	v_cmp_eq_u32_e64 s[14:15], v8, v44
	v_cmp_eq_u32_e64 s[22:23], 0, v4
	s_and_b64 s[20:21], s[2:3], s[20:21]
	s_waitcnt vmcnt(0)
	v_and_b32_e32 v10, v46, v6
	v_bfe_u32 v6, v6, s0, 2
	v_cmp_eq_u32_e64 s[16:17], v9, v44
	v_cmp_eq_u32_e64 s[24:25], 0, v5
	;; [unrolled: 1-line block ×5, first 2 shown]
	v_cndmask_b32_e64 v2, 0, 1, s[20:21]
	s_and_b64 s[20:21], s[14:15], s[22:23]
	v_cmp_eq_u32_e64 s[18:19], v10, v44
	v_cmp_eq_u32_e64 s[26:27], 0, v6
	;; [unrolled: 1-line block ×5, first 2 shown]
	v_cndmask_b32_e64 v4, 0, 1, s[20:21]
	s_and_b64 s[20:21], s[16:17], s[24:25]
	v_cmp_eq_u32_e64 s[36:37], 1, v5
	v_cmp_eq_u32_e64 s[44:45], 2, v5
	v_cmp_eq_u32_e64 s[52:53], 3, v5
	v_cndmask_b32_e64 v5, 0, 1, s[20:21]
	s_and_b64 s[20:21], s[18:19], s[26:27]
	v_cmp_eq_u32_e64 s[38:39], 1, v6
	v_cmp_eq_u32_e64 s[46:47], 2, v6
	;; [unrolled: 1-line block ×3, first 2 shown]
	v_cndmask_b32_e64 v6, 0, 1, s[20:21]
	v_cmp_ne_u32_e64 s[20:21], 0, v2
	v_cmp_ne_u32_e64 s[22:23], 0, v4
	v_cmp_ne_u32_e64 s[24:25], 0, v5
	v_cmp_ne_u32_e64 s[26:27], 0, v6
	s_bcnt1_i32_b64 s20, s[20:21]
	s_bcnt1_i32_b64 s21, s[22:23]
	s_bcnt1_i32_b64 s22, s[24:25]
	s_bcnt1_i32_b64 s23, s[26:27]
	s_add_u32 s6, s20, s6
	s_addc_u32 s7, 0, s7
	s_add_u32 s6, s6, s21
	s_addc_u32 s7, s7, 0
	s_add_u32 s6, s6, s22
	s_addc_u32 s7, s7, 0
	s_add_u32 s6, s6, s23
	s_addc_u32 s7, s7, 0
	s_and_b64 s[20:21], s[2:3], s[28:29]
	v_cndmask_b32_e64 v2, 0, 1, s[20:21]
	s_and_b64 s[20:21], s[14:15], s[34:35]
	v_cndmask_b32_e64 v6, 0, 1, s[20:21]
	s_and_b64 s[20:21], s[16:17], s[36:37]
	v_cndmask_b32_e64 v7, 0, 1, s[20:21]
	s_and_b64 s[20:21], s[18:19], s[38:39]
	v_cndmask_b32_e64 v8, 0, 1, s[20:21]
	v_cmp_ne_u32_e64 s[20:21], 0, v2
	v_cmp_ne_u32_e64 s[22:23], 0, v6
	v_cmp_ne_u32_e64 s[24:25], 0, v7
	v_cmp_ne_u32_e64 s[26:27], 0, v8
	s_bcnt1_i32_b64 s20, s[20:21]
	s_bcnt1_i32_b64 s21, s[22:23]
	s_bcnt1_i32_b64 s22, s[24:25]
	s_bcnt1_i32_b64 s23, s[26:27]
	s_add_u32 s12, s20, s12
	s_addc_u32 s13, 0, s13
	s_add_u32 s12, s12, s21
	s_addc_u32 s13, s13, 0
	s_add_u32 s12, s12, s22
	s_addc_u32 s13, s13, 0
	s_add_u32 s12, s12, s23
	s_addc_u32 s13, s13, 0
	s_and_b64 s[20:21], s[2:3], s[40:41]
	v_cndmask_b32_e64 v2, 0, 1, s[20:21]
	s_and_b64 s[20:21], s[14:15], s[42:43]
	v_cndmask_b32_e64 v8, 0, 1, s[20:21]
	s_and_b64 s[20:21], s[16:17], s[44:45]
	v_cndmask_b32_e64 v9, 0, 1, s[20:21]
	s_and_b64 s[20:21], s[18:19], s[46:47]
	v_cndmask_b32_e64 v10, 0, 1, s[20:21]
	v_cmp_ne_u32_e64 s[20:21], 0, v2
	v_cmp_ne_u32_e64 s[22:23], 0, v8
	v_cmp_ne_u32_e64 s[24:25], 0, v9
	v_cmp_ne_u32_e64 s[26:27], 0, v10
	s_bcnt1_i32_b64 s20, s[20:21]
	s_bcnt1_i32_b64 s21, s[22:23]
	s_bcnt1_i32_b64 s22, s[24:25]
	s_bcnt1_i32_b64 s23, s[26:27]
	s_add_u32 s20, s20, s94
	s_addc_u32 s24, 0, s95
	s_add_u32 s20, s20, s21
	s_addc_u32 s21, s24, 0
	s_add_u32 s20, s20, s22
	s_addc_u32 s21, s21, 0
	s_add_u32 s94, s20, s23
	s_addc_u32 s95, s21, 0
	s_and_b64 s[2:3], s[2:3], s[48:49]
	v_cndmask_b32_e64 v2, 0, 1, s[2:3]
	s_and_b64 s[2:3], s[14:15], s[50:51]
	v_cndmask_b32_e64 v10, 0, 1, s[2:3]
	s_and_b64 s[2:3], s[16:17], s[52:53]
	v_cndmask_b32_e64 v11, 0, 1, s[2:3]
	s_and_b64 s[2:3], s[18:19], s[54:55]
	v_cndmask_b32_e64 v38, 0, 1, s[2:3]
	v_cmp_ne_u32_e64 s[2:3], 0, v2
	v_cmp_ne_u32_e64 s[14:15], 0, v10
	;; [unrolled: 1-line block ×4, first 2 shown]
	s_bcnt1_i32_b64 s2, s[2:3]
	s_bcnt1_i32_b64 s3, s[14:15]
	;; [unrolled: 1-line block ×4, first 2 shown]
	s_add_u32 s2, s2, s8
	s_addc_u32 s8, 0, s9
	s_add_u32 s2, s2, s3
	s_addc_u32 s3, s8, 0
	;; [unrolled: 2-line block ×5, first 2 shown]
	v_mov_b64_e32 v[4:5], s[6:7]
	v_mov_b64_e32 v[6:7], s[12:13]
	;; [unrolled: 1-line block ×3, first 2 shown]
	s_or_b64 s[70:71], vcc, s[70:71]
	v_mov_b64_e32 v[10:11], s[8:9]
	s_andn2_b64 exec, exec, s[70:71]
	s_cbranch_execnz .LBB6_81
; %bb.82:                               ;   in Loop: Header=BB6_32 Depth=1
	s_or_b64 exec, exec, s[70:71]
	v_readlane_b32 s94, v66, 7
	v_readlane_b32 s54, v67, 59
	s_mov_b64 s[90:91], s[88:89]
	s_mov_b64 s[92:93], s[4:5]
	s_mov_b32 s88, s73
	v_readlane_b32 s95, v66, 8
	v_readlane_b32 s55, v67, 60
	;; [unrolled: 1-line block ×7, first 2 shown]
	s_mov_b32 s58, 0xc0c0004
	v_readlane_b32 s72, v66, 2
	v_readlane_b32 s94, v66, 3
.LBB6_83:                               ;   in Loop: Header=BB6_32 Depth=1
	s_or_b64 exec, exec, s[68:69]
	v_lshl_add_u64 v[36:37], s[80:81], 0, v[0:1]
	v_cmp_gt_i64_e32 vcc, s[56:57], v[36:37]
	s_and_saveexec_b64 s[6:7], vcc
	v_readlane_b32 s4, v66, 4
	s_mov_b64 s[68:69], s[60:61]
	s_mov_b64 s[60:61], s[74:75]
	v_readlane_b32 s5, v66, 5
	s_mov_b64 s[74:75], s[78:79]
	s_mov_b64 s[78:79], s[76:77]
	s_cbranch_execz .LBB6_89
; %bb.84:                               ;   in Loop: Header=BB6_32 Depth=1
	v_mov_b64_e32 v[38:39], s[90:91]
	v_mad_u64_u32 v[38:39], s[2:3], v36, s62, v[38:39]
	v_mul_lo_u32 v2, v36, s63
	v_mul_lo_u32 v48, v37, s62
	v_add3_u32 v39, v48, v39, v2
	global_load_ubyte v2, v[38:39], off
	v_lshl_add_u64 v[38:39], v[32:33], 0, s[64:65]
	v_mov_b32_e32 v48, s67
	v_subrev_co_u32_e32 v49, vcc, s66, v38
	v_readlane_b32 s2, v67, 57
	s_nop 0
	v_subb_co_u32_e32 v38, vcc, v39, v48, vcc
	v_readlane_b32 s3, v67, 58
	v_mul_lo_u32 v48, s62, v38
	v_mul_lo_u32 v52, s63, v49
	v_mov_b64_e32 v[38:39], s[2:3]
	v_mad_u64_u32 v[38:39], s[2:3], s62, v49, v[38:39]
	s_mul_i32 s2, s63, s64
	s_mul_hi_u32 s3, s62, s64
	v_add3_u32 v39, v52, v39, v48
	s_add_i32 s9, s3, s2
	s_mul_i32 s8, s62, s64
	s_mov_b64 s[12:13], 0
	s_branch .LBB6_86
.LBB6_85:                               ;   in Loop: Header=BB6_86 Depth=2
	s_or_b64 exec, exec, s[14:15]
	s_waitcnt vmcnt(0)
	v_and_b32_e32 v49, 0xff, v2
	v_bitop3_b32 v2, v46, v2, s1 bitop3:0x80
	s_and_b64 s[2:3], exec, vcc
	v_cmp_eq_u32_e32 vcc, v2, v44
	v_bfe_u32 v2, v49, s0, 2
	s_or_b64 s[12:13], s[2:3], s[12:13]
	v_cmp_eq_u32_e64 s[2:3], 0, v2
	s_and_b64 s[2:3], vcc, s[2:3]
	v_lshl_add_u64 v[38:39], v[38:39], 0, s[8:9]
	v_cndmask_b32_e64 v49, 0, 1, s[2:3]
	v_cmp_ne_u32_e64 s[2:3], 0, v49
	s_bcnt1_i32_b64 s98, s[2:3]
	v_cmp_eq_u32_e64 s[2:3], 1, v2
	s_and_b64 s[2:3], vcc, s[2:3]
	v_lshl_add_u64 v[4:5], s[98:99], 0, v[4:5]
	v_cndmask_b32_e64 v49, 0, 1, s[2:3]
	v_cmp_ne_u32_e64 s[2:3], 0, v49
	s_bcnt1_i32_b64 s98, s[2:3]
	;; [unrolled: 6-line block ×3, first 2 shown]
	v_cmp_eq_u32_e64 s[2:3], 3, v2
	s_and_b64 s[2:3], vcc, s[2:3]
	v_lshl_add_u64 v[8:9], s[98:99], 0, v[8:9]
	v_cndmask_b32_e64 v2, 0, 1, s[2:3]
	v_cmp_ne_u32_e32 vcc, 0, v2
	s_bcnt1_i32_b64 s98, vcc
	v_lshl_add_u64 v[10:11], s[98:99], 0, v[10:11]
	v_mov_b32_e32 v2, v48
	s_andn2_b64 exec, exec, s[12:13]
	s_cbranch_execz .LBB6_88
.LBB6_86:                               ;   Parent Loop BB6_32 Depth=1
                                        ; =>  This Inner Loop Header: Depth=2
	v_lshl_add_u64 v[36:37], v[36:37], 0, s[64:65]
	v_cmp_gt_i64_e64 s[2:3], s[56:57], v[36:37]
	v_cmp_le_i64_e32 vcc, s[56:57], v[36:37]
	v_mov_b32_e32 v48, 0
	s_and_saveexec_b64 s[14:15], s[2:3]
	s_cbranch_execz .LBB6_85
; %bb.87:                               ;   in Loop: Header=BB6_86 Depth=2
	global_load_ubyte v48, v[38:39], off
	s_branch .LBB6_85
.LBB6_88:                               ;   in Loop: Header=BB6_32 Depth=1
	s_or_b64 exec, exec, s[12:13]
.LBB6_89:                               ;   in Loop: Header=BB6_32 Depth=1
	s_or_b64 exec, exec, s[6:7]
	v_readlane_b32 s67, v66, 6
	s_branch .LBB6_66
.LBB6_90:                               ;   in Loop: Header=BB6_32 Depth=1
	global_load_ushort v2, v3, s[54:55]
	v_mov_b64_e32 v[8:9], 0
	s_waitcnt vmcnt(0)
	v_readfirstlane_b32 s2, v2
	s_and_b32 s31, 0xffff, s2
	s_lshl_b32 s98, s31, 2
	v_cvt_f32_u32_e32 v4, s98
	s_sub_i32 s2, 0, s98
	v_rcp_iflag_f32_e32 v6, v4
	v_mov_b64_e32 v[4:5], 0
	v_mul_f32_e32 v6, 0x4f7ffffe, v6
	v_cvt_u32_f32_e32 v10, v6
	v_mov_b64_e32 v[6:7], 0
	v_readfirstlane_b32 s3, v10
	s_mul_i32 s2, s2, s3
	s_mul_hi_u32 s2, s3, s2
	s_add_i32 s3, s3, s2
	s_mul_hi_u32 s2, s30, s3
	s_mul_i32 s3, s2, s98
	s_sub_i32 s3, s30, s3
	s_add_i32 s6, s2, 1
	s_sub_i32 s7, s3, s98
	s_cmp_ge_u32 s3, s98
	s_cselect_b32 s2, s6, s2
	s_cselect_b32 s3, s7, s3
	s_add_i32 s6, s2, 1
	s_cmp_ge_u32 s3, s98
	s_cselect_b32 s2, s6, s2
	s_mul_hi_u32 s7, s31, s2
	s_mul_i32 s6, s31, s2
	s_lshl_b64 s[8:9], s[6:7], 2
	v_cmp_gt_u64_e32 vcc, s[8:9], v[16:17]
	v_mov_b64_e32 v[10:11], 0
	s_and_saveexec_b64 s[12:13], vcc
	s_cbranch_execz .LBB6_94
; %bb.91:                               ;   in Loop: Header=BB6_32 Depth=1
	s_mov_b64 s[76:77], s[78:79]
	s_mov_b64 s[78:79], s[74:75]
	;; [unrolled: 1-line block ×5, first 2 shown]
	v_mov_b32_e32 v38, v16
	s_mov_b64 s[66:67], 0
	s_mov_b64 s[68:69], 0
	;; [unrolled: 1-line block ×4, first 2 shown]
	v_mov_b64_e32 v[36:37], v[16:17]
.LBB6_92:                               ;   Parent Loop BB6_32 Depth=1
                                        ; =>  This Inner Loop Header: Depth=2
	ds_read_b32 v4, v38
	v_lshl_add_u64 v[36:37], v[36:37], 0, s[98:99]
	v_cmp_le_u64_e32 vcc, s[8:9], v[36:37]
	v_add_u32_e32 v38, s98, v38
	s_waitcnt lgkmcnt(0)
	v_and_b32_e32 v8, 0xff, v4
	v_lshrrev_b32_e32 v5, 16, v4
	v_lshrrev_b32_e32 v6, 8, v4
	;; [unrolled: 1-line block ×3, first 2 shown]
	v_bfe_u32 v9, v4, 8, 8
	v_bfe_u32 v10, v4, 16, 8
	v_bitop3_b32 v4, v46, v4, s1 bitop3:0x80
	v_bfe_u32 v8, v8, s0, 2
	v_cmp_eq_u32_e64 s[18:19], v4, v44
	v_bitop3_b32 v4, v46, v6, s1 bitop3:0x80
	v_bfe_u32 v9, v9, s0, 2
	v_cmp_eq_u32_e64 s[2:3], 0, v8
	v_bitop3_b32 v5, v46, v5, s1 bitop3:0x80
	v_bfe_u32 v10, v10, s0, 2
	v_cmp_eq_u32_e64 s[20:21], v4, v44
	v_cmp_eq_u32_e64 s[34:35], 0, v9
	s_and_b64 s[2:3], s[18:19], s[2:3]
	v_and_b32_e32 v6, v46, v7
	v_bfe_u32 v7, v7, s0, 2
	v_cmp_eq_u32_e64 s[16:17], v5, v44
	v_cmp_eq_u32_e64 s[36:37], 0, v10
	v_cndmask_b32_e64 v4, 0, 1, s[2:3]
	s_and_b64 s[2:3], s[20:21], s[34:35]
	v_cmp_eq_u32_e64 s[14:15], v6, v44
	v_cmp_eq_u32_e64 s[38:39], 0, v7
	v_cndmask_b32_e64 v5, 0, 1, s[2:3]
	s_and_b64 s[2:3], s[16:17], s[36:37]
	v_cndmask_b32_e64 v6, 0, 1, s[2:3]
	s_and_b64 s[2:3], s[14:15], s[38:39]
	v_cmp_eq_u32_e64 s[46:47], 1, v7
	v_cmp_eq_u32_e64 s[54:55], 2, v7
	;; [unrolled: 1-line block ×3, first 2 shown]
	v_cndmask_b32_e64 v7, 0, 1, s[2:3]
	v_cmp_ne_u32_e64 s[2:3], 0, v4
	v_cmp_ne_u32_e64 s[34:35], 0, v5
	;; [unrolled: 1-line block ×4, first 2 shown]
	s_bcnt1_i32_b64 s2, s[2:3]
	s_bcnt1_i32_b64 s3, s[34:35]
	;; [unrolled: 1-line block ×4, first 2 shown]
	s_add_u32 s2, s2, s80
	s_addc_u32 s35, 0, s81
	s_add_u32 s2, s2, s3
	s_addc_u32 s3, s35, 0
	;; [unrolled: 2-line block ×3, first 2 shown]
	v_cmp_eq_u32_e64 s[40:41], 1, v8
	s_add_u32 s80, s2, s34
	v_cmp_eq_u32_e64 s[42:43], 1, v9
	s_addc_u32 s81, s3, 0
	s_and_b64 s[2:3], s[18:19], s[40:41]
	v_cmp_eq_u32_e64 s[44:45], 1, v10
	v_cndmask_b32_e64 v6, 0, 1, s[2:3]
	s_and_b64 s[2:3], s[20:21], s[42:43]
	v_cndmask_b32_e64 v7, 0, 1, s[2:3]
	s_and_b64 s[2:3], s[16:17], s[44:45]
	v_cmp_eq_u32_e64 s[48:49], 2, v8
	v_cmp_eq_u32_e64 s[28:29], 3, v8
	v_cndmask_b32_e64 v8, 0, 1, s[2:3]
	s_and_b64 s[2:3], s[14:15], s[46:47]
	v_cmp_eq_u32_e64 s[50:51], 2, v9
	v_cmp_eq_u32_e64 s[26:27], 3, v9
	v_cndmask_b32_e64 v9, 0, 1, s[2:3]
	v_cmp_ne_u32_e64 s[2:3], 0, v6
	v_cmp_ne_u32_e64 s[34:35], 0, v7
	;; [unrolled: 1-line block ×4, first 2 shown]
	s_bcnt1_i32_b64 s2, s[2:3]
	s_bcnt1_i32_b64 s3, s[34:35]
	s_bcnt1_i32_b64 s7, s[36:37]
	s_bcnt1_i32_b64 s34, s[38:39]
	s_add_u32 s2, s2, s70
	s_addc_u32 s35, 0, s71
	s_add_u32 s2, s2, s3
	s_addc_u32 s3, s35, 0
	s_add_u32 s2, s2, s7
	s_addc_u32 s3, s3, 0
	s_add_u32 s70, s2, s34
	s_addc_u32 s71, s3, 0
	s_and_b64 s[2:3], s[18:19], s[48:49]
	v_cmp_eq_u32_e64 s[52:53], 2, v10
	v_cndmask_b32_e64 v8, 0, 1, s[2:3]
	s_and_b64 s[2:3], s[20:21], s[50:51]
	v_cndmask_b32_e64 v9, 0, 1, s[2:3]
	s_and_b64 s[2:3], s[16:17], s[52:53]
	v_cmp_eq_u32_e64 s[24:25], 3, v10
	v_cndmask_b32_e64 v10, 0, 1, s[2:3]
	s_and_b64 s[2:3], s[14:15], s[54:55]
	v_cndmask_b32_e64 v11, 0, 1, s[2:3]
	v_cmp_ne_u32_e64 s[2:3], 0, v8
	v_cmp_ne_u32_e64 s[34:35], 0, v9
	;; [unrolled: 1-line block ×4, first 2 shown]
	s_bcnt1_i32_b64 s2, s[2:3]
	s_bcnt1_i32_b64 s3, s[34:35]
	;; [unrolled: 1-line block ×4, first 2 shown]
	s_add_u32 s2, s2, s68
	s_addc_u32 s35, 0, s69
	s_add_u32 s2, s2, s3
	s_addc_u32 s3, s35, 0
	;; [unrolled: 2-line block ×4, first 2 shown]
	s_and_b64 s[2:3], s[18:19], s[28:29]
	v_cndmask_b32_e64 v10, 0, 1, s[2:3]
	s_and_b64 s[2:3], s[20:21], s[26:27]
	v_cndmask_b32_e64 v11, 0, 1, s[2:3]
	;; [unrolled: 2-line block ×4, first 2 shown]
	v_cmp_ne_u32_e64 s[2:3], 0, v10
	v_cmp_ne_u32_e64 s[14:15], 0, v11
	;; [unrolled: 1-line block ×4, first 2 shown]
	s_bcnt1_i32_b64 s2, s[2:3]
	s_bcnt1_i32_b64 s3, s[14:15]
	;; [unrolled: 1-line block ×4, first 2 shown]
	s_add_u32 s2, s2, s66
	s_addc_u32 s15, 0, s67
	s_add_u32 s2, s2, s3
	s_addc_u32 s3, s15, 0
	;; [unrolled: 2-line block ×4, first 2 shown]
	v_mov_b64_e32 v[4:5], s[80:81]
	v_mov_b64_e32 v[6:7], s[70:71]
	;; [unrolled: 1-line block ×3, first 2 shown]
	s_or_b64 s[64:65], vcc, s[64:65]
	v_mov_b64_e32 v[10:11], s[66:67]
	s_andn2_b64 exec, exec, s[64:65]
	s_cbranch_execnz .LBB6_92
; %bb.93:                               ;   in Loop: Header=BB6_32 Depth=1
	s_or_b64 exec, exec, s[64:65]
	v_readlane_b32 s54, v67, 59
	v_readlane_b32 s4, v66, 4
	;; [unrolled: 1-line block ×7, first 2 shown]
	s_mov_b64 s[68:69], s[60:61]
	s_mov_b64 s[60:61], s[74:75]
	v_readlane_b32 s5, v66, 5
	v_readlane_b32 s67, v66, 6
	s_mov_b64 s[74:75], s[78:79]
	s_mov_b64 s[78:79], s[76:77]
.LBB6_94:                               ;   in Loop: Header=BB6_32 Depth=1
	s_or_b64 exec, exec, s[12:13]
	s_and_b32 s12, s30, 0x7fffffff
	s_mov_b32 s13, s99
	v_lshl_add_u64 v[36:37], s[8:9], 0, v[0:1]
	v_and_b32_e32 v2, 0xffff, v2
	v_cmp_gt_u64_e32 vcc, s[12:13], v[36:37]
	s_and_saveexec_b64 s[8:9], vcc
	s_cbranch_execz .LBB6_98
; %bb.95:                               ;   in Loop: Header=BB6_32 Depth=1
	v_lshl_add_u32 v38, s6, 2, v0
	s_mov_b64 s[6:7], 0
.LBB6_96:                               ;   Parent Loop BB6_32 Depth=1
                                        ; =>  This Inner Loop Header: Depth=2
	ds_read_u8 v39, v38
	v_lshl_add_u64 v[36:37], v[36:37], 0, v[2:3]
	v_cmp_le_u64_e32 vcc, s[12:13], v[36:37]
	v_add_u32_e32 v38, s31, v38
	s_waitcnt lgkmcnt(0)
	v_and_b32_e32 v48, v46, v39
	v_bfe_u32 v39, v39, s0, 2
	v_cmp_eq_u32_e64 s[2:3], v48, v44
	v_cmp_eq_u32_e64 s[14:15], 0, v39
	;; [unrolled: 1-line block ×3, first 2 shown]
	s_and_b64 s[14:15], s[2:3], s[14:15]
	v_cmp_eq_u32_e64 s[18:19], 2, v39
	v_cmp_eq_u32_e64 s[20:21], 3, v39
	v_cndmask_b32_e64 v39, 0, 1, s[14:15]
	s_and_b64 s[14:15], s[2:3], s[16:17]
	v_cndmask_b32_e64 v48, 0, 1, s[14:15]
	s_and_b64 s[14:15], s[2:3], s[18:19]
	s_and_b64 s[2:3], s[2:3], s[20:21]
	v_cndmask_b32_e64 v52, 0, 1, s[2:3]
	v_cmp_ne_u32_e64 s[2:3], 0, v39
	v_cndmask_b32_e64 v49, 0, 1, s[14:15]
	v_cmp_ne_u32_e64 s[14:15], 0, v48
	s_bcnt1_i32_b64 s98, s[2:3]
	v_cmp_ne_u32_e64 s[16:17], 0, v49
	v_lshl_add_u64 v[4:5], s[98:99], 0, v[4:5]
	s_bcnt1_i32_b64 s98, s[14:15]
	v_cmp_ne_u32_e64 s[18:19], 0, v52
	v_lshl_add_u64 v[6:7], s[98:99], 0, v[6:7]
	s_bcnt1_i32_b64 s98, s[16:17]
	v_lshl_add_u64 v[8:9], s[98:99], 0, v[8:9]
	s_bcnt1_i32_b64 s98, s[18:19]
	s_or_b64 s[6:7], vcc, s[6:7]
	v_lshl_add_u64 v[10:11], s[98:99], 0, v[10:11]
	s_andn2_b64 exec, exec, s[6:7]
	s_cbranch_execnz .LBB6_96
; %bb.97:                               ;   in Loop: Header=BB6_32 Depth=1
	s_or_b64 exec, exec, s[6:7]
.LBB6_98:                               ;   in Loop: Header=BB6_32 Depth=1
	s_or_b64 exec, exec, s[8:9]
	s_lshl_b32 s6, s59, 6
	s_and_saveexec_b64 s[2:3], s[4:5]
	s_cbranch_execnz .LBB6_67
	s_branch .LBB6_68
.LBB6_99:                               ;   in Loop: Header=BB6_32 Depth=1
	s_or_b64 exec, exec, s[8:9]
	s_waitcnt lgkmcnt(0)
	s_barrier
	s_mov_b64 s[2:3], exec
	v_readlane_b32 s8, v67, 32
	v_readlane_b32 s9, v67, 33
	s_and_b64 s[8:9], s[2:3], s[8:9]
	s_mov_b64 exec, s[8:9]
	s_cbranch_execz .LBB6_101
; %bb.100:                              ;   in Loop: Header=BB6_32 Depth=1
	ds_read_b32 v4, v3 offset:5136
	s_waitcnt lgkmcnt(0)
	v_ashrrev_i32_e32 v5, 31, v4
	ds_write_b64 v3, v[4:5] offset:5120
.LBB6_101:                              ;   in Loop: Header=BB6_32 Depth=1
	s_or_b64 exec, exec, s[2:3]
	s_waitcnt lgkmcnt(0)
	s_barrier
	s_mov_b64 s[2:3], -1
	s_and_b64 vcc, exec, s[6:7]
	s_cbranch_vccnz .LBB6_47
	s_branch .LBB6_62
.LBB6_102:                              ;   in Loop: Header=BB6_32 Depth=1
	s_mov_b32 s7, 0
	v_mov_b64_e32 v[4:5], 0
.LBB6_103:                              ;   in Loop: Header=BB6_32 Depth=1
	v_readlane_b32 s8, v67, 55
	v_readlane_b32 s9, v67, 56
	s_andn2_b64 vcc, exec, s[8:9]
	s_cbranch_vccnz .LBB6_106
; %bb.104:                              ;   in Loop: Header=BB6_32 Depth=1
	s_lshl_b32 s8, s59, 9
	s_lshl_b32 s7, s7, 5
	s_add_i32 s8, s8, s7
	v_add_u32_e32 v2, s8, v43
	v_readlane_b32 s7, v67, 54
.LBB6_105:                              ;   Parent Loop BB6_32 Depth=1
                                        ; =>  This Inner Loop Header: Depth=2
	ds_read_b64 v[6:7], v2
	s_add_i32 s7, s7, -1
	v_add_u32_e32 v2, 32, v2
	s_cmp_lg_u32 s7, 0
	s_waitcnt lgkmcnt(0)
	v_lshl_add_u64 v[4:5], v[6:7], 0, v[4:5]
	s_cbranch_scc1 .LBB6_105
.LBB6_106:                              ;   in Loop: Header=BB6_32 Depth=1
	v_add_lshl_u32 v2, s6, v40, 3
	ds_write_b64 v2, v[4:5] offset:3072
.LBB6_107:                              ;   in Loop: Header=BB6_32 Depth=1
	s_or_b64 exec, exec, s[2:3]
	s_lshl_b32 s2, s6, 3
	v_mov_b32_e32 v2, s2
	s_waitcnt lgkmcnt(0)
	s_barrier
	ds_read_b128 v[8:11], v2 offset:3088
	ds_read_b128 v[4:7], v2 offset:3072
	s_lshl_b32 s64, 3, s0
	v_cmp_eq_u64_e64 s[2:3], 1, v[34:35]
	s_not_b32 s50, s64
	s_waitcnt lgkmcnt(1)
	v_readfirstlane_b32 s22, v8
	s_waitcnt lgkmcnt(0)
	v_cmp_eq_u64_e32 vcc, 1, v[4:5]
	v_readfirstlane_b32 s23, v9
	v_readfirstlane_b32 s14, v10
	;; [unrolled: 1-line block ×3, first 2 shown]
	s_and_b64 s[18:19], vcc, s[2:3]
	s_mov_b64 s[2:3], -1
	s_mov_b64 s[12:13], -1
                                        ; implicit-def: $sgpr8_sgpr9
                                        ; implicit-def: $sgpr6_sgpr7
	s_and_saveexec_b64 s[16:17], s[18:19]
	s_cbranch_execz .LBB6_141
; %bb.108:                              ;   in Loop: Header=BB6_32 Depth=1
	ds_read_b64 v[8:9], v3 offset:5120
	s_waitcnt lgkmcnt(0)
	s_barrier
	v_readfirstlane_b32 s20, v8
	v_readfirstlane_b32 s21, v9
	s_mov_b64 s[6:7], exec
	v_readlane_b32 s8, v67, 38
	v_readlane_b32 s9, v67, 39
	s_and_b64 s[8:9], s[6:7], s[8:9]
	s_mov_b64 exec, s[8:9]
; %bb.109:                              ;   in Loop: Header=BB6_32 Depth=1
	ds_write_b8 v0, v3 offset:3072
; %bb.110:                              ;   in Loop: Header=BB6_32 Depth=1
	s_or_b64 exec, exec, s[6:7]
	v_cmp_lt_i64_e64 s[12:13], s[20:21], 1
	v_and_b32_e32 v44, s50, v44
	v_or_b32_e32 v46, s64, v46
	s_mov_b64 s[6:7], -1
	s_mov_b64 s[8:9], 0
	s_and_b64 vcc, exec, s[12:13]
	s_mov_b64 s[12:13], 0
	s_mov_b64 s[24:25], -1
	s_waitcnt lgkmcnt(0)
	s_barrier
                                        ; implicit-def: $vgpr47
	s_cbranch_vccz .LBB6_126
; %bb.111:                              ;   in Loop: Header=BB6_32 Depth=1
	s_mov_b32 s94, s99
	s_cmp_lg_u64 s[94:95], 0
	s_cbranch_scc0 .LBB6_113
; %bb.112:                              ;   in Loop: Header=BB6_32 Depth=1
	s_add_u32 s12, s96, 0
	s_addc_u32 s13, 0, 0
	s_xor_b64 s[12:13], s[12:13], 0
	v_cvt_f32_u32_e32 v2, s12
	v_cvt_f32_u32_e32 v8, s13
	s_sub_u32 s26, 0, s12
	s_subb_u32 s27, 0, s13
	v_fmac_f32_e32 v2, 0x4f800000, v8
	v_rcp_f32_e32 v2, v2
	s_nop 0
	v_mul_f32_e32 v2, 0x5f7ffffc, v2
	v_mul_f32_e32 v8, 0x2f800000, v2
	v_trunc_f32_e32 v8, v8
	v_fmac_f32_e32 v2, 0xcf800000, v8
	v_cvt_u32_f32_e32 v8, v8
	v_cvt_u32_f32_e32 v2, v2
	v_readfirstlane_b32 s28, v8
	v_readfirstlane_b32 s24, v2
	s_mul_i32 s25, s26, s28
	s_mul_hi_u32 s30, s26, s24
	s_mul_i32 s29, s27, s24
	s_add_i32 s25, s30, s25
	s_mul_i32 s31, s26, s24
	s_add_i32 s25, s25, s29
	s_mul_i32 s30, s24, s25
	s_mul_hi_u32 s34, s24, s31
	s_mul_hi_u32 s29, s24, s25
	s_add_u32 s30, s34, s30
	s_addc_u32 s29, 0, s29
	s_mul_hi_u32 s35, s28, s31
	s_mul_i32 s31, s28, s31
	s_add_u32 s30, s30, s31
	s_mul_hi_u32 s34, s28, s25
	s_addc_u32 s29, s29, s35
	s_addc_u32 s30, s34, 0
	s_mul_i32 s25, s28, s25
	s_add_u32 s25, s29, s25
	s_addc_u32 s29, 0, s30
	s_add_u32 s30, s24, s25
	s_cselect_b64 s[24:25], -1, 0
	s_cmp_lg_u64 s[24:25], 0
	s_addc_u32 s28, s28, s29
	s_mul_i32 s24, s26, s28
	s_mul_hi_u32 s25, s26, s30
	s_add_i32 s24, s25, s24
	s_mul_i32 s27, s27, s30
	s_add_i32 s24, s24, s27
	s_mul_i32 s26, s26, s30
	s_mul_hi_u32 s27, s28, s26
	s_mul_i32 s29, s28, s26
	s_mul_i32 s34, s30, s24
	s_mul_hi_u32 s26, s30, s26
	s_mul_hi_u32 s31, s30, s24
	s_add_u32 s26, s26, s34
	s_addc_u32 s31, 0, s31
	s_add_u32 s26, s26, s29
	s_mul_hi_u32 s25, s28, s24
	s_addc_u32 s26, s31, s27
	s_addc_u32 s25, s25, 0
	s_mul_i32 s24, s28, s24
	s_add_u32 s24, s26, s24
	s_addc_u32 s26, 0, s25
	s_add_u32 s29, s30, s24
	s_cselect_b64 s[24:25], -1, 0
	s_cmp_lg_u64 s[24:25], 0
	s_addc_u32 s28, s28, s26
	s_ashr_i32 s24, s95, 31
	s_add_u32 s26, s88, s24
	s_mov_b32 s25, s24
	s_addc_u32 s27, s95, s24
	s_xor_b64 s[26:27], s[26:27], s[24:25]
	s_mul_i32 s31, s26, s28
	s_mul_hi_u32 s34, s26, s29
	s_mul_hi_u32 s30, s26, s28
	s_add_u32 s31, s34, s31
	s_addc_u32 s30, 0, s30
	s_mul_hi_u32 s35, s27, s29
	s_mul_i32 s29, s27, s29
	s_add_u32 s29, s31, s29
	s_mul_hi_u32 s34, s27, s28
	s_addc_u32 s29, s30, s35
	s_addc_u32 s30, s34, 0
	s_mul_i32 s28, s27, s28
	s_add_u32 s28, s29, s28
	s_addc_u32 s29, 0, s30
	s_mul_i32 s29, s12, s29
	s_mul_hi_u32 s30, s12, s28
	s_add_i32 s29, s30, s29
	s_mul_i32 s30, s13, s28
	s_add_i32 s34, s29, s30
	s_sub_i32 s30, s27, s34
	s_mul_i32 s28, s12, s28
	s_sub_u32 s26, s26, s28
	s_cselect_b64 s[28:29], -1, 0
	s_cmp_lg_u64 s[28:29], 0
	s_subb_u32 s35, s30, s13
	s_sub_u32 s36, s26, s12
	s_cselect_b64 s[30:31], -1, 0
	s_cmp_lg_u64 s[30:31], 0
	s_subb_u32 s37, s35, 0
	s_cmp_ge_u32 s37, s13
	s_cselect_b32 s38, -1, 0
	s_cmp_ge_u32 s36, s12
	s_cselect_b32 s39, -1, 0
	s_cmp_eq_u32 s37, s13
	s_cselect_b32 s38, s39, s38
	s_cmp_lg_u64 s[30:31], 0
	s_subb_u32 s35, s35, s13
	s_sub_u32 s39, s36, s12
	s_cselect_b64 s[30:31], -1, 0
	s_cmp_lg_u64 s[30:31], 0
	s_subb_u32 s30, s35, 0
	s_cmp_lg_u32 s38, 0
	s_cselect_b32 s31, s39, s36
	s_cselect_b32 s30, s30, s37
	s_cmp_lg_u64 s[28:29], 0
	s_subb_u32 s27, s27, s34
	s_cmp_ge_u32 s27, s13
	s_cselect_b32 s28, -1, 0
	s_cmp_ge_u32 s26, s12
	s_cselect_b32 s12, -1, 0
	s_cmp_eq_u32 s27, s13
	s_cselect_b32 s12, s12, s28
	s_cmp_lg_u32 s12, 0
	s_cselect_b32 s13, s30, s27
	s_cselect_b32 s12, s31, s26
	s_xor_b64 s[12:13], s[12:13], s[24:25]
	s_sub_u32 s12, s12, s24
	s_subb_u32 s13, s13, s24
	s_mov_b64 s[24:25], 0
	s_branch .LBB6_114
.LBB6_113:                              ;   in Loop: Header=BB6_32 Depth=1
                                        ; implicit-def: $sgpr12_sgpr13
.LBB6_114:                              ;   in Loop: Header=BB6_32 Depth=1
	s_andn2_b64 vcc, exec, s[24:25]
	v_readlane_b32 s73, v66, 1
	s_mov_b32 s58, 0xc0c0004
	v_readlane_b32 s72, v66, 2
	v_readlane_b32 s94, v66, 3
	s_cbranch_vccnz .LBB6_116
; %bb.115:                              ;   in Loop: Header=BB6_32 Depth=1
	v_cvt_f32_u32_e32 v2, s96
	s_sub_i32 s12, 0, s96
	v_rcp_iflag_f32_e32 v2, v2
	s_nop 0
	v_mul_f32_e32 v2, 0x4f7ffffe, v2
	v_cvt_u32_f32_e32 v2, v2
	s_nop 0
	v_readfirstlane_b32 s13, v2
	s_mul_i32 s12, s12, s13
	s_mul_hi_u32 s12, s13, s12
	s_add_i32 s13, s13, s12
	s_mul_hi_u32 s12, s88, s13
	s_mul_i32 s12, s12, s96
	s_sub_i32 s12, s88, s12
	s_sub_i32 s13, s12, s96
	s_cmp_ge_u32 s12, s96
	s_cselect_b32 s12, s13, s12
	s_sub_i32 s13, s12, s96
	s_cmp_ge_u32 s12, s96
	s_cselect_b32 s98, s13, s12
	s_mov_b64 s[12:13], s[98:99]
.LBB6_116:                              ;   in Loop: Header=BB6_32 Depth=1
	s_sub_u32 s28, s88, s12
	s_subb_u32 s29, s95, s13
	v_cmp_gt_i64_e32 vcc, s[28:29], v[0:1]
	s_mov_b64 s[24:25], 0
	s_mov_b64 s[12:13], 0
                                        ; implicit-def: $vgpr47
	s_and_saveexec_b64 s[26:27], vcc
	s_cbranch_execz .LBB6_125
; %bb.117:                              ;   in Loop: Header=BB6_32 Depth=1
	v_mov_b64_e32 v[8:9], v[12:13]
	v_mov_b64_e32 v[10:11], v[0:1]
                                        ; implicit-def: $sgpr30_sgpr31
	s_branch .LBB6_120
.LBB6_118:                              ;   in Loop: Header=BB6_120 Depth=2
	s_or_b64 exec, exec, s[34:35]
	s_waitcnt lgkmcnt(0)
	s_barrier
	ds_read_u16 v2, v3 offset:3072
	s_mov_b64 s[34:35], -1
	s_waitcnt lgkmcnt(0)
	s_barrier
	v_cmp_ne_u32_sdwa s[36:37], v2, v3 src0_sel:BYTE_0 src1_sel:DWORD
	s_and_b64 vcc, exec, s[36:37]
	s_mov_b64 s[36:37], -1
	s_cbranch_vccz .LBB6_123
.LBB6_119:                              ;   in Loop: Header=BB6_120 Depth=2
	s_and_b64 s[34:35], exec, s[34:35]
	s_or_b64 s[12:13], s[34:35], s[12:13]
	s_andn2_b64 s[30:31], s[30:31], exec
	s_and_b64 s[34:35], s[36:37], exec
	s_or_b64 s[30:31], s[30:31], s[34:35]
	s_andn2_b64 exec, exec, s[12:13]
	s_cbranch_execz .LBB6_124
.LBB6_120:                              ;   Parent Loop BB6_32 Depth=1
                                        ; =>  This Inner Loop Header: Depth=2
	v_cmp_gt_i64_e32 vcc, s[56:57], v[10:11]
	s_and_saveexec_b64 s[34:35], vcc
	s_cbranch_execz .LBB6_118
; %bb.121:                              ;   in Loop: Header=BB6_120 Depth=2
	global_load_ubyte v2, v[8:9], off
	s_waitcnt vmcnt(0)
	v_bitop3_b32 v36, v2, s1, v46 bitop3:0x80
	v_cmp_eq_u32_e32 vcc, v36, v44
	s_and_b64 exec, exec, vcc
	s_cbranch_execz .LBB6_118
; %bb.122:                              ;   in Loop: Header=BB6_120 Depth=2
	v_lshlrev_b16_e32 v2, 8, v2
	v_or_b32_e32 v2, 1, v2
	ds_write_b16 v3, v2 offset:3072
	s_branch .LBB6_118
.LBB6_123:                              ;   in Loop: Header=BB6_120 Depth=2
	v_lshl_add_u64 v[10:11], v[10:11], 0, s[96:97]
	v_cmp_le_i64_e32 vcc, s[28:29], v[10:11]
	v_lshl_add_u64 v[8:9], v[8:9], 0, s[92:93]
	s_mov_b64 s[36:37], 0
	s_orn2_b64 s[34:35], vcc, exec
	s_branch .LBB6_119
.LBB6_124:                              ;   in Loop: Header=BB6_32 Depth=1
	s_or_b64 exec, exec, s[12:13]
	v_lshrrev_b32_sdwa v47, v45, v2 dst_sel:DWORD dst_unused:UNUSED_PAD src0_sel:DWORD src1_sel:WORD_0
	s_and_b64 s[12:13], s[30:31], exec
.LBB6_125:                              ;   in Loop: Header=BB6_32 Depth=1
	s_or_b64 exec, exec, s[26:27]
.LBB6_126:                              ;   in Loop: Header=BB6_32 Depth=1
	s_and_b64 vcc, exec, s[24:25]
	s_cbranch_vccz .LBB6_140
; %bb.127:                              ;   in Loop: Header=BB6_32 Depth=1
	v_readlane_b32 s6, v67, 46
	s_add_u32 s26, s20, s6
	v_readlane_b32 s6, v67, 47
	s_addc_u32 s7, s21, s6
	s_mov_b32 s6, s99
	s_cmp_lg_u64 s[6:7], 0
	s_cbranch_scc0 .LBB6_158
; %bb.128:                              ;   in Loop: Header=BB6_32 Depth=1
	s_add_u32 s8, s96, 0
	s_addc_u32 s9, 0, 0
	s_xor_b64 s[8:9], s[8:9], 0
	v_cvt_f32_u32_e32 v2, s8
	v_cvt_f32_u32_e32 v8, s9
	s_sub_u32 s6, 0, s8
	s_subb_u32 s27, 0, s9
	v_fmac_f32_e32 v2, 0x4f800000, v8
	v_rcp_f32_e32 v2, v2
	s_nop 0
	v_mul_f32_e32 v2, 0x5f7ffffc, v2
	v_mul_f32_e32 v8, 0x2f800000, v2
	v_trunc_f32_e32 v8, v8
	v_fmac_f32_e32 v2, 0xcf800000, v8
	v_cvt_u32_f32_e32 v8, v8
	v_cvt_u32_f32_e32 v2, v2
	v_readfirstlane_b32 s28, v8
	v_readfirstlane_b32 s24, v2
	s_mul_i32 s25, s6, s28
	s_mul_hi_u32 s30, s6, s24
	s_mul_i32 s29, s27, s24
	s_add_i32 s25, s30, s25
	s_mul_i32 s31, s6, s24
	s_add_i32 s25, s25, s29
	s_mul_i32 s30, s24, s25
	s_mul_hi_u32 s34, s24, s31
	s_mul_hi_u32 s29, s24, s25
	s_add_u32 s30, s34, s30
	s_addc_u32 s29, 0, s29
	s_mul_hi_u32 s35, s28, s31
	s_mul_i32 s31, s28, s31
	s_add_u32 s30, s30, s31
	s_mul_hi_u32 s34, s28, s25
	s_addc_u32 s29, s29, s35
	s_addc_u32 s30, s34, 0
	s_mul_i32 s25, s28, s25
	s_add_u32 s25, s29, s25
	s_addc_u32 s29, 0, s30
	s_add_u32 s30, s24, s25
	s_cselect_b64 s[24:25], -1, 0
	s_cmp_lg_u64 s[24:25], 0
	s_addc_u32 s28, s28, s29
	s_mul_i32 s24, s6, s28
	s_mul_hi_u32 s25, s6, s30
	s_add_i32 s24, s25, s24
	s_mul_i32 s27, s27, s30
	s_add_i32 s24, s24, s27
	s_mul_i32 s6, s6, s30
	s_mul_hi_u32 s27, s28, s6
	s_mul_i32 s29, s28, s6
	s_mul_i32 s34, s30, s24
	s_mul_hi_u32 s6, s30, s6
	s_mul_hi_u32 s31, s30, s24
	s_add_u32 s6, s6, s34
	s_addc_u32 s31, 0, s31
	s_add_u32 s6, s6, s29
	s_mul_hi_u32 s25, s28, s24
	s_addc_u32 s6, s31, s27
	s_addc_u32 s25, s25, 0
	s_mul_i32 s24, s28, s24
	s_add_u32 s6, s6, s24
	s_addc_u32 s27, 0, s25
	s_add_u32 s6, s30, s6
	s_cselect_b64 s[24:25], -1, 0
	s_cmp_lg_u64 s[24:25], 0
	s_addc_u32 s27, s28, s27
	s_ashr_i32 s24, s7, 31
	s_add_u32 s28, s26, s24
	s_mov_b32 s25, s24
	s_addc_u32 s29, s7, s24
	s_xor_b64 s[28:29], s[28:29], s[24:25]
	s_mul_i32 s31, s28, s27
	s_mul_hi_u32 s34, s28, s6
	s_mul_hi_u32 s30, s28, s27
	s_add_u32 s31, s34, s31
	s_addc_u32 s30, 0, s30
	s_mul_hi_u32 s35, s29, s6
	s_mul_i32 s6, s29, s6
	s_add_u32 s6, s31, s6
	s_mul_hi_u32 s34, s29, s27
	s_addc_u32 s6, s30, s35
	s_addc_u32 s30, s34, 0
	s_mul_i32 s27, s29, s27
	s_add_u32 s6, s6, s27
	s_addc_u32 s27, 0, s30
	s_mul_i32 s27, s8, s27
	s_mul_hi_u32 s30, s8, s6
	s_add_i32 s27, s30, s27
	s_mul_i32 s30, s9, s6
	s_add_i32 s27, s27, s30
	s_sub_i32 s34, s29, s27
	s_mul_i32 s6, s8, s6
	s_sub_u32 s6, s28, s6
	s_cselect_b64 s[30:31], -1, 0
	s_cmp_lg_u64 s[30:31], 0
	s_subb_u32 s28, s34, s9
	s_sub_u32 s36, s6, s8
	s_cselect_b64 s[34:35], -1, 0
	s_cmp_lg_u64 s[34:35], 0
	s_subb_u32 s37, s28, 0
	s_cmp_ge_u32 s37, s9
	s_cselect_b32 s38, -1, 0
	s_cmp_ge_u32 s36, s8
	s_cselect_b32 s39, -1, 0
	s_cmp_eq_u32 s37, s9
	s_cselect_b32 s38, s39, s38
	s_cmp_lg_u64 s[34:35], 0
	s_subb_u32 s28, s28, s9
	s_sub_u32 s39, s36, s8
	s_cselect_b64 s[34:35], -1, 0
	s_cmp_lg_u64 s[34:35], 0
	s_subb_u32 s28, s28, 0
	s_cmp_lg_u32 s38, 0
	s_cselect_b32 s34, s39, s36
	s_cselect_b32 s28, s28, s37
	s_cmp_lg_u64 s[30:31], 0
	s_subb_u32 s27, s29, s27
	s_cmp_ge_u32 s27, s9
	s_cselect_b32 s29, -1, 0
	s_cmp_ge_u32 s6, s8
	s_cselect_b32 s8, -1, 0
	s_cmp_eq_u32 s27, s9
	s_cselect_b32 s8, s8, s29
	s_cmp_lg_u32 s8, 0
	s_cselect_b32 s9, s28, s27
	s_cselect_b32 s8, s34, s6
	s_xor_b64 s[8:9], s[8:9], s[24:25]
	s_sub_u32 s8, s8, s24
	s_subb_u32 s9, s9, s24
	s_cbranch_execnz .LBB6_130
.LBB6_129:                              ;   in Loop: Header=BB6_32 Depth=1
	v_cvt_f32_u32_e32 v2, s96
	s_sub_i32 s6, 0, s96
	v_rcp_iflag_f32_e32 v2, v2
	s_nop 0
	v_mul_f32_e32 v2, 0x4f7ffffe, v2
	v_cvt_u32_f32_e32 v2, v2
	s_nop 0
	v_readfirstlane_b32 s8, v2
	s_mul_i32 s6, s6, s8
	s_mul_hi_u32 s6, s8, s6
	s_add_i32 s8, s8, s6
	s_mul_hi_u32 s6, s26, s8
	s_mul_i32 s6, s6, s96
	s_sub_i32 s6, s26, s6
	s_sub_i32 s8, s6, s96
	s_cmp_ge_u32 s6, s96
	s_cselect_b32 s6, s8, s6
	s_sub_i32 s8, s6, s96
	s_cmp_ge_u32 s6, s96
	s_cselect_b32 s98, s8, s6
	s_mov_b64 s[8:9], s[98:99]
.LBB6_130:                              ;   in Loop: Header=BB6_32 Depth=1
	s_sub_u32 s8, s26, s8
	s_subb_u32 s9, s7, s9
	v_cmp_gt_i64_e32 vcc, s[8:9], v[0:1]
                                        ; implicit-def: $vgpr47
	s_and_saveexec_b64 s[6:7], vcc
	s_cbranch_execz .LBB6_139
; %bb.131:                              ;   in Loop: Header=BB6_32 Depth=1
	s_mov_b64 s[24:25], 0
	v_mov_b32_e32 v2, v0
	v_mov_b64_e32 v[8:9], v[0:1]
                                        ; implicit-def: $sgpr26_sgpr27
	s_branch .LBB6_134
.LBB6_132:                              ;   in Loop: Header=BB6_134 Depth=2
	s_or_b64 exec, exec, s[28:29]
	s_waitcnt lgkmcnt(0)
	s_barrier
	ds_read_u16 v10, v3 offset:3072
	s_mov_b64 s[28:29], -1
	s_waitcnt lgkmcnt(0)
	s_barrier
	v_cmp_ne_u32_sdwa s[30:31], v10, v3 src0_sel:BYTE_0 src1_sel:DWORD
	s_and_b64 vcc, exec, s[30:31]
	s_mov_b64 s[30:31], -1
	s_cbranch_vccz .LBB6_137
.LBB6_133:                              ;   in Loop: Header=BB6_134 Depth=2
	s_and_b64 s[28:29], exec, s[28:29]
	s_or_b64 s[24:25], s[28:29], s[24:25]
	s_andn2_b64 s[26:27], s[26:27], exec
	s_and_b64 s[28:29], s[30:31], exec
	s_or_b64 s[26:27], s[26:27], s[28:29]
	s_andn2_b64 exec, exec, s[24:25]
	s_cbranch_execz .LBB6_138
.LBB6_134:                              ;   Parent Loop BB6_32 Depth=1
                                        ; =>  This Inner Loop Header: Depth=2
	v_cmp_gt_u64_e32 vcc, s[20:21], v[8:9]
	s_and_saveexec_b64 s[28:29], vcc
	s_cbranch_execz .LBB6_132
; %bb.135:                              ;   in Loop: Header=BB6_134 Depth=2
	ds_read_u8 v10, v2
	s_waitcnt lgkmcnt(0)
	v_bitop3_b32 v11, v10, s1, v46 bitop3:0x80
	v_cmp_eq_u32_e32 vcc, v11, v44
	s_and_b64 exec, exec, vcc
	s_cbranch_execz .LBB6_132
; %bb.136:                              ;   in Loop: Header=BB6_134 Depth=2
	v_lshlrev_b16_e32 v10, 8, v10
	v_or_b32_e32 v10, 1, v10
	ds_write_b16 v3, v10 offset:3072
	s_branch .LBB6_132
.LBB6_137:                              ;   in Loop: Header=BB6_134 Depth=2
	v_lshl_add_u64 v[8:9], v[8:9], 0, s[96:97]
	v_cmp_le_i64_e32 vcc, s[8:9], v[8:9]
	v_add_u32_e32 v2, s96, v2
	s_mov_b64 s[30:31], 0
	s_orn2_b64 s[28:29], vcc, exec
	s_branch .LBB6_133
.LBB6_138:                              ;   in Loop: Header=BB6_32 Depth=1
	s_or_b64 exec, exec, s[24:25]
	s_andn2_b64 s[8:9], s[12:13], exec
	s_and_b64 s[12:13], s[26:27], exec
	v_lshrrev_b32_sdwa v47, v45, v10 dst_sel:DWORD dst_unused:UNUSED_PAD src0_sel:DWORD src1_sel:WORD_0
	s_or_b64 s[12:13], s[8:9], s[12:13]
.LBB6_139:                              ;   in Loop: Header=BB6_32 Depth=1
	s_or_b64 exec, exec, s[6:7]
	s_mov_b64 s[6:7], 0
	s_mov_b64 s[8:9], -1
.LBB6_140:                              ;   in Loop: Header=BB6_32 Depth=1
	s_orn2_b64 s[12:13], s[12:13], exec
.LBB6_141:                              ;   in Loop: Header=BB6_32 Depth=1
	s_or_b64 exec, exec, s[16:17]
	s_andn2_b64 s[16:17], s[84:85], exec
	s_and_b64 s[8:9], s[8:9], exec
	s_or_b64 s[84:85], s[16:17], s[8:9]
	s_andn2_b64 s[8:9], s[78:79], exec
	s_and_b64 s[6:7], s[6:7], exec
	s_andn2_b64 s[74:75], s[74:75], exec
	s_or_b64 s[78:79], s[8:9], s[6:7]
                                        ; implicit-def: $vgpr8_vgpr9
	s_and_saveexec_b64 s[16:17], s[12:13]
	s_cbranch_execz .LBB6_31
; %bb.142:                              ;   in Loop: Header=BB6_32 Depth=1
	s_xor_b64 s[6:7], s[18:19], -1
	v_mov_b32_e32 v2, 1
	s_mov_b64 s[8:9], 0
	v_mov_b64_e32 v[8:9], 1
	s_and_saveexec_b64 s[2:3], s[6:7]
	s_cbranch_execz .LBB6_151
; %bb.143:                              ;   in Loop: Header=BB6_32 Depth=1
	v_cmp_le_i64_e32 vcc, v[34:35], v[4:5]
	s_and_saveexec_b64 s[6:7], vcc
	s_xor_b64 s[6:7], exec, s[6:7]
	s_cbranch_execz .LBB6_148
; %bb.144:                              ;   in Loop: Header=BB6_32 Depth=1
	ds_read_b64 v[8:9], v3 offset:5120
	v_and_b32_e32 v44, s50, v44
	v_or_b32_e32 v46, s64, v46
	s_waitcnt lgkmcnt(0)
	v_cmp_ne_u64_e32 vcc, 0, v[8:9]
	s_cbranch_vccnz .LBB6_148
; %bb.145:                              ;   in Loop: Header=BB6_32 Depth=1
	s_mov_b64 s[8:9], exec
	v_readlane_b32 s12, v67, 32
	v_readlane_b32 s13, v67, 33
	s_and_b64 s[12:13], s[8:9], s[12:13]
	s_mov_b64 exec, s[12:13]
; %bb.146:                              ;   in Loop: Header=BB6_32 Depth=1
	ds_write_b64 v3, v[4:5] offset:5128
; %bb.147:                              ;   in Loop: Header=BB6_32 Depth=1
	s_or_b64 exec, exec, s[8:9]
	s_waitcnt lgkmcnt(0)
	s_barrier
.LBB6_148:                              ;   in Loop: Header=BB6_32 Depth=1
	s_or_saveexec_b64 s[6:7], s[6:7]
	s_mov_b64 s[8:9], 0
	v_mov_b32_e32 v2, 8
	s_xor_b64 exec, exec, s[6:7]
; %bb.149:                              ;   in Loop: Header=BB6_32 Depth=1
	v_sub_co_u32_e32 v34, vcc, v34, v4
	s_mov_b64 s[8:9], exec
	s_nop 0
	v_subb_co_u32_e32 v35, vcc, v35, v5, vcc
	v_mov_b32_e32 v2, 0
; %bb.150:                              ;   in Loop: Header=BB6_32 Depth=1
	s_or_b64 exec, exec, s[6:7]
	s_and_b64 s[8:9], s[8:9], exec
	v_mov_b64_e32 v[8:9], v[34:35]
.LBB6_151:                              ;   in Loop: Header=BB6_32 Depth=1
	s_or_b64 exec, exec, s[2:3]
	s_mov_b64 s[18:19], -1
	s_mov_b64 s[6:7], -1
                                        ; implicit-def: $sgpr2_sgpr3
                                        ; implicit-def: $sgpr24_sgpr25
	s_and_saveexec_b64 s[12:13], s[8:9]
	s_xor_b64 s[20:21], exec, s[12:13]
	s_cbranch_execz .LBB6_296
; %bb.152:                              ;   in Loop: Header=BB6_32 Depth=1
	v_cmp_eq_u64_e32 vcc, 1, v[6:7]
	v_cmp_eq_u64_e64 s[2:3], 1, v[8:9]
	s_and_b64 s[28:29], vcc, s[2:3]
                                        ; implicit-def: $sgpr24_sgpr25
                                        ; implicit-def: $sgpr2_sgpr3
	s_and_saveexec_b64 s[26:27], s[28:29]
	s_cbranch_execz .LBB6_187
; %bb.153:                              ;   in Loop: Header=BB6_32 Depth=1
	ds_read_b64 v[4:5], v3 offset:5120
	s_waitcnt lgkmcnt(0)
	s_barrier
	v_readfirstlane_b32 s30, v4
	v_readfirstlane_b32 s31, v5
	s_mov_b64 s[2:3], exec
	v_readlane_b32 s6, v67, 38
	v_readlane_b32 s7, v67, 39
	s_and_b64 s[6:7], s[2:3], s[6:7]
	s_mov_b64 exec, s[6:7]
; %bb.154:                              ;   in Loop: Header=BB6_32 Depth=1
	ds_write_b8 v0, v3 offset:3072
; %bb.155:                              ;   in Loop: Header=BB6_32 Depth=1
	s_or_b64 exec, exec, s[2:3]
	v_and_b32_e32 v4, s50, v44
	v_cmp_gt_i64_e64 s[6:7], s[30:31], 0
	v_lshl_or_b32 v44, 1, s0, v4
	v_or_b32_e32 v46, s64, v46
	s_mov_b64 s[2:3], -1
	s_mov_b64 s[24:25], 0
	s_and_b64 vcc, exec, s[6:7]
	s_mov_b64 s[6:7], 0
	s_mov_b64 s[8:9], -1
	s_waitcnt lgkmcnt(0)
	s_barrier
                                        ; implicit-def: $vgpr47
	s_cbranch_vccnz .LBB6_172
; %bb.156:                              ;   in Loop: Header=BB6_32 Depth=1
	s_mov_b32 s94, s99
	s_cmp_lg_u64 s[94:95], 0
	s_cbranch_scc0 .LBB6_159
; %bb.157:                              ;   in Loop: Header=BB6_32 Depth=1
	s_add_u32 s6, s96, 0
	s_addc_u32 s7, 0, 0
	s_xor_b64 s[6:7], s[6:7], 0
	v_cvt_f32_u32_e32 v4, s6
	v_cvt_f32_u32_e32 v5, s7
	s_sub_u32 s12, 0, s6
	s_subb_u32 s13, 0, s7
	v_fmac_f32_e32 v4, 0x4f800000, v5
	v_rcp_f32_e32 v4, v4
	s_nop 0
	v_mul_f32_e32 v4, 0x5f7ffffc, v4
	v_mul_f32_e32 v5, 0x2f800000, v4
	v_trunc_f32_e32 v5, v5
	v_fmac_f32_e32 v4, 0xcf800000, v5
	v_cvt_u32_f32_e32 v5, v5
	v_cvt_u32_f32_e32 v4, v4
	v_readfirstlane_b32 s34, v5
	v_readfirstlane_b32 s8, v4
	s_mul_i32 s9, s12, s34
	s_mul_hi_u32 s36, s12, s8
	s_mul_i32 s35, s13, s8
	s_add_i32 s9, s36, s9
	s_mul_i32 s37, s12, s8
	s_add_i32 s9, s9, s35
	s_mul_i32 s36, s8, s9
	s_mul_hi_u32 s38, s8, s37
	s_mul_hi_u32 s35, s8, s9
	s_add_u32 s36, s38, s36
	s_addc_u32 s35, 0, s35
	s_mul_hi_u32 s39, s34, s37
	s_mul_i32 s37, s34, s37
	s_add_u32 s36, s36, s37
	s_mul_hi_u32 s38, s34, s9
	s_addc_u32 s35, s35, s39
	s_addc_u32 s36, s38, 0
	s_mul_i32 s9, s34, s9
	s_add_u32 s9, s35, s9
	s_addc_u32 s35, 0, s36
	s_add_u32 s36, s8, s9
	s_cselect_b64 s[8:9], -1, 0
	s_cmp_lg_u64 s[8:9], 0
	s_addc_u32 s34, s34, s35
	s_mul_i32 s8, s12, s34
	s_mul_hi_u32 s9, s12, s36
	s_add_i32 s8, s9, s8
	s_mul_i32 s13, s13, s36
	s_add_i32 s8, s8, s13
	s_mul_i32 s12, s12, s36
	s_mul_hi_u32 s13, s34, s12
	s_mul_i32 s35, s34, s12
	s_mul_i32 s38, s36, s8
	s_mul_hi_u32 s12, s36, s12
	s_mul_hi_u32 s37, s36, s8
	s_add_u32 s12, s12, s38
	s_addc_u32 s37, 0, s37
	s_add_u32 s12, s12, s35
	s_mul_hi_u32 s9, s34, s8
	s_addc_u32 s12, s37, s13
	s_addc_u32 s9, s9, 0
	s_mul_i32 s8, s34, s8
	s_add_u32 s8, s12, s8
	s_addc_u32 s12, 0, s9
	s_add_u32 s35, s36, s8
	s_cselect_b64 s[8:9], -1, 0
	s_cmp_lg_u64 s[8:9], 0
	s_addc_u32 s34, s34, s12
	s_ashr_i32 s8, s95, 31
	s_add_u32 s12, s88, s8
	s_mov_b32 s9, s8
	s_addc_u32 s13, s95, s8
	s_xor_b64 s[12:13], s[12:13], s[8:9]
	s_mul_i32 s37, s12, s34
	s_mul_hi_u32 s38, s12, s35
	s_mul_hi_u32 s36, s12, s34
	s_add_u32 s37, s38, s37
	s_addc_u32 s36, 0, s36
	s_mul_hi_u32 s39, s13, s35
	s_mul_i32 s35, s13, s35
	s_add_u32 s35, s37, s35
	s_mul_hi_u32 s38, s13, s34
	s_addc_u32 s35, s36, s39
	s_addc_u32 s36, s38, 0
	s_mul_i32 s34, s13, s34
	s_add_u32 s34, s35, s34
	s_addc_u32 s35, 0, s36
	s_mul_i32 s35, s6, s35
	s_mul_hi_u32 s36, s6, s34
	s_add_i32 s35, s36, s35
	s_mul_i32 s36, s7, s34
	s_add_i32 s38, s35, s36
	s_sub_i32 s36, s13, s38
	s_mul_i32 s34, s6, s34
	s_sub_u32 s12, s12, s34
	s_cselect_b64 s[34:35], -1, 0
	s_cmp_lg_u64 s[34:35], 0
	s_subb_u32 s39, s36, s7
	s_sub_u32 s40, s12, s6
	s_cselect_b64 s[36:37], -1, 0
	s_cmp_lg_u64 s[36:37], 0
	s_subb_u32 s41, s39, 0
	s_cmp_ge_u32 s41, s7
	s_cselect_b32 s42, -1, 0
	s_cmp_ge_u32 s40, s6
	s_cselect_b32 s43, -1, 0
	s_cmp_eq_u32 s41, s7
	s_cselect_b32 s42, s43, s42
	s_cmp_lg_u64 s[36:37], 0
	s_subb_u32 s39, s39, s7
	s_sub_u32 s43, s40, s6
	s_cselect_b64 s[36:37], -1, 0
	s_cmp_lg_u64 s[36:37], 0
	s_subb_u32 s36, s39, 0
	s_cmp_lg_u32 s42, 0
	s_cselect_b32 s37, s43, s40
	s_cselect_b32 s36, s36, s41
	s_cmp_lg_u64 s[34:35], 0
	s_subb_u32 s13, s13, s38
	s_cmp_ge_u32 s13, s7
	s_cselect_b32 s34, -1, 0
	s_cmp_ge_u32 s12, s6
	s_cselect_b32 s6, -1, 0
	s_cmp_eq_u32 s13, s7
	s_cselect_b32 s6, s6, s34
	s_cmp_lg_u32 s6, 0
	s_cselect_b32 s7, s36, s13
	s_cselect_b32 s6, s37, s12
	s_xor_b64 s[6:7], s[6:7], s[8:9]
	s_sub_u32 s6, s6, s8
	s_subb_u32 s7, s7, s8
	s_mov_b64 s[8:9], 0
	s_branch .LBB6_160
.LBB6_158:                              ;   in Loop: Header=BB6_32 Depth=1
                                        ; implicit-def: $sgpr8_sgpr9
	s_branch .LBB6_129
.LBB6_159:                              ;   in Loop: Header=BB6_32 Depth=1
                                        ; implicit-def: $sgpr6_sgpr7
.LBB6_160:                              ;   in Loop: Header=BB6_32 Depth=1
	s_andn2_b64 vcc, exec, s[8:9]
	v_readlane_b32 s73, v66, 1
	s_mov_b32 s58, 0xc0c0004
	v_readlane_b32 s72, v66, 2
	v_readlane_b32 s94, v66, 3
	s_cbranch_vccnz .LBB6_162
; %bb.161:                              ;   in Loop: Header=BB6_32 Depth=1
	v_cvt_f32_u32_e32 v4, s96
	s_sub_i32 s6, 0, s96
	v_rcp_iflag_f32_e32 v4, v4
	s_nop 0
	v_mul_f32_e32 v4, 0x4f7ffffe, v4
	v_cvt_u32_f32_e32 v4, v4
	s_nop 0
	v_readfirstlane_b32 s7, v4
	s_mul_i32 s6, s6, s7
	s_mul_hi_u32 s6, s7, s6
	s_add_i32 s7, s7, s6
	s_mul_hi_u32 s6, s88, s7
	s_mul_i32 s6, s6, s96
	s_sub_i32 s6, s88, s6
	s_sub_i32 s7, s6, s96
	s_cmp_ge_u32 s6, s96
	s_cselect_b32 s6, s7, s6
	s_sub_i32 s7, s6, s96
	s_cmp_ge_u32 s6, s96
	s_cselect_b32 s98, s7, s6
	s_mov_b64 s[6:7], s[98:99]
.LBB6_162:                              ;   in Loop: Header=BB6_32 Depth=1
	s_sub_u32 s34, s88, s6
	s_subb_u32 s35, s95, s7
	v_cmp_gt_i64_e32 vcc, s[34:35], v[0:1]
	s_mov_b64 s[8:9], 0
	s_mov_b64 s[6:7], 0
                                        ; implicit-def: $vgpr47
	s_and_saveexec_b64 s[12:13], vcc
	s_cbranch_execz .LBB6_171
; %bb.163:                              ;   in Loop: Header=BB6_32 Depth=1
	v_mov_b64_e32 v[4:5], v[12:13]
	v_mov_b64_e32 v[10:11], v[0:1]
                                        ; implicit-def: $sgpr36_sgpr37
	s_branch .LBB6_166
.LBB6_164:                              ;   in Loop: Header=BB6_166 Depth=2
	s_or_b64 exec, exec, s[38:39]
	s_waitcnt lgkmcnt(0)
	s_barrier
	ds_read_u16 v34, v3 offset:3072
	s_mov_b64 s[38:39], -1
	s_waitcnt lgkmcnt(0)
	s_barrier
	v_cmp_ne_u32_sdwa s[40:41], v34, v3 src0_sel:BYTE_0 src1_sel:DWORD
	s_and_b64 vcc, exec, s[40:41]
	s_mov_b64 s[40:41], -1
	s_cbranch_vccz .LBB6_169
.LBB6_165:                              ;   in Loop: Header=BB6_166 Depth=2
	s_and_b64 s[38:39], exec, s[38:39]
	s_or_b64 s[6:7], s[38:39], s[6:7]
	s_andn2_b64 s[36:37], s[36:37], exec
	s_and_b64 s[38:39], s[40:41], exec
	s_or_b64 s[36:37], s[36:37], s[38:39]
	s_andn2_b64 exec, exec, s[6:7]
	s_cbranch_execz .LBB6_170
.LBB6_166:                              ;   Parent Loop BB6_32 Depth=1
                                        ; =>  This Inner Loop Header: Depth=2
	v_cmp_gt_i64_e32 vcc, s[56:57], v[10:11]
	s_and_saveexec_b64 s[38:39], vcc
	s_cbranch_execz .LBB6_164
; %bb.167:                              ;   in Loop: Header=BB6_166 Depth=2
	global_load_ubyte v34, v[4:5], off
	s_waitcnt vmcnt(0)
	v_bitop3_b32 v35, v34, s1, v46 bitop3:0x80
	v_cmp_eq_u32_e32 vcc, v35, v44
	s_and_b64 exec, exec, vcc
	s_cbranch_execz .LBB6_164
; %bb.168:                              ;   in Loop: Header=BB6_166 Depth=2
	v_lshlrev_b16_e32 v34, 8, v34
	v_or_b32_e32 v34, 1, v34
	ds_write_b16 v3, v34 offset:3072
	s_branch .LBB6_164
.LBB6_169:                              ;   in Loop: Header=BB6_166 Depth=2
	v_lshl_add_u64 v[10:11], v[10:11], 0, s[96:97]
	v_cmp_le_i64_e32 vcc, s[34:35], v[10:11]
	v_lshl_add_u64 v[4:5], v[4:5], 0, s[92:93]
	s_mov_b64 s[40:41], 0
	s_orn2_b64 s[38:39], vcc, exec
	s_branch .LBB6_165
.LBB6_170:                              ;   in Loop: Header=BB6_32 Depth=1
	s_or_b64 exec, exec, s[6:7]
	v_lshrrev_b32_sdwa v47, v45, v34 dst_sel:DWORD dst_unused:UNUSED_PAD src0_sel:DWORD src1_sel:WORD_0
	s_and_b64 s[6:7], s[36:37], exec
.LBB6_171:                              ;   in Loop: Header=BB6_32 Depth=1
	s_or_b64 exec, exec, s[12:13]
.LBB6_172:                              ;   in Loop: Header=BB6_32 Depth=1
	s_and_b64 vcc, exec, s[8:9]
	s_cbranch_vccz .LBB6_186
; %bb.173:                              ;   in Loop: Header=BB6_32 Depth=1
	v_readlane_b32 s2, v67, 46
	s_add_u32 s24, s30, s2
	v_readlane_b32 s2, v67, 47
	s_addc_u32 s3, s31, s2
	s_mov_b32 s2, s99
	s_cmp_lg_u64 s[2:3], 0
	s_cbranch_scc0 .LBB6_205
; %bb.174:                              ;   in Loop: Header=BB6_32 Depth=1
	s_add_u32 s8, s96, 0
	s_addc_u32 s9, 0, 0
	s_xor_b64 s[8:9], s[8:9], 0
	v_cvt_f32_u32_e32 v4, s8
	v_cvt_f32_u32_e32 v5, s9
	s_sub_u32 s2, 0, s8
	s_subb_u32 s25, 0, s9
	v_fmac_f32_e32 v4, 0x4f800000, v5
	v_rcp_f32_e32 v4, v4
	s_nop 0
	v_mul_f32_e32 v4, 0x5f7ffffc, v4
	v_mul_f32_e32 v5, 0x2f800000, v4
	v_trunc_f32_e32 v5, v5
	v_fmac_f32_e32 v4, 0xcf800000, v5
	v_cvt_u32_f32_e32 v5, v5
	v_cvt_u32_f32_e32 v4, v4
	v_readfirstlane_b32 s34, v5
	v_readfirstlane_b32 s12, v4
	s_mul_i32 s13, s2, s34
	s_mul_hi_u32 s36, s2, s12
	s_mul_i32 s35, s25, s12
	s_add_i32 s13, s36, s13
	s_mul_i32 s37, s2, s12
	s_add_i32 s13, s13, s35
	s_mul_i32 s36, s12, s13
	s_mul_hi_u32 s38, s12, s37
	s_mul_hi_u32 s35, s12, s13
	s_add_u32 s36, s38, s36
	s_addc_u32 s35, 0, s35
	s_mul_hi_u32 s39, s34, s37
	s_mul_i32 s37, s34, s37
	s_add_u32 s36, s36, s37
	s_mul_hi_u32 s38, s34, s13
	s_addc_u32 s35, s35, s39
	s_addc_u32 s36, s38, 0
	s_mul_i32 s13, s34, s13
	s_add_u32 s13, s35, s13
	s_addc_u32 s35, 0, s36
	s_add_u32 s36, s12, s13
	s_cselect_b64 s[12:13], -1, 0
	s_cmp_lg_u64 s[12:13], 0
	s_addc_u32 s34, s34, s35
	s_mul_i32 s12, s2, s34
	s_mul_hi_u32 s13, s2, s36
	s_add_i32 s12, s13, s12
	s_mul_i32 s25, s25, s36
	s_add_i32 s12, s12, s25
	s_mul_i32 s2, s2, s36
	s_mul_hi_u32 s25, s34, s2
	s_mul_i32 s35, s34, s2
	s_mul_i32 s38, s36, s12
	s_mul_hi_u32 s2, s36, s2
	s_mul_hi_u32 s37, s36, s12
	s_add_u32 s2, s2, s38
	s_addc_u32 s37, 0, s37
	s_add_u32 s2, s2, s35
	s_mul_hi_u32 s13, s34, s12
	s_addc_u32 s2, s37, s25
	s_addc_u32 s13, s13, 0
	s_mul_i32 s12, s34, s12
	s_add_u32 s2, s2, s12
	s_addc_u32 s25, 0, s13
	s_add_u32 s2, s36, s2
	s_cselect_b64 s[12:13], -1, 0
	s_cmp_lg_u64 s[12:13], 0
	s_addc_u32 s25, s34, s25
	s_ashr_i32 s12, s3, 31
	s_add_u32 s34, s24, s12
	s_mov_b32 s13, s12
	s_addc_u32 s35, s3, s12
	s_xor_b64 s[34:35], s[34:35], s[12:13]
	s_mul_i32 s37, s34, s25
	s_mul_hi_u32 s38, s34, s2
	s_mul_hi_u32 s36, s34, s25
	s_add_u32 s37, s38, s37
	s_addc_u32 s36, 0, s36
	s_mul_hi_u32 s39, s35, s2
	s_mul_i32 s2, s35, s2
	s_add_u32 s2, s37, s2
	s_mul_hi_u32 s38, s35, s25
	s_addc_u32 s2, s36, s39
	s_addc_u32 s36, s38, 0
	s_mul_i32 s25, s35, s25
	s_add_u32 s2, s2, s25
	s_addc_u32 s25, 0, s36
	s_mul_i32 s25, s8, s25
	s_mul_hi_u32 s36, s8, s2
	s_add_i32 s25, s36, s25
	s_mul_i32 s36, s9, s2
	s_add_i32 s25, s25, s36
	s_sub_i32 s38, s35, s25
	s_mul_i32 s2, s8, s2
	s_sub_u32 s2, s34, s2
	s_cselect_b64 s[36:37], -1, 0
	s_cmp_lg_u64 s[36:37], 0
	s_subb_u32 s34, s38, s9
	s_sub_u32 s40, s2, s8
	s_cselect_b64 s[38:39], -1, 0
	s_cmp_lg_u64 s[38:39], 0
	s_subb_u32 s41, s34, 0
	s_cmp_ge_u32 s41, s9
	s_cselect_b32 s42, -1, 0
	s_cmp_ge_u32 s40, s8
	s_cselect_b32 s43, -1, 0
	s_cmp_eq_u32 s41, s9
	s_cselect_b32 s42, s43, s42
	s_cmp_lg_u64 s[38:39], 0
	s_subb_u32 s34, s34, s9
	s_sub_u32 s43, s40, s8
	s_cselect_b64 s[38:39], -1, 0
	s_cmp_lg_u64 s[38:39], 0
	s_subb_u32 s34, s34, 0
	s_cmp_lg_u32 s42, 0
	s_cselect_b32 s38, s43, s40
	s_cselect_b32 s34, s34, s41
	s_cmp_lg_u64 s[36:37], 0
	s_subb_u32 s25, s35, s25
	s_cmp_ge_u32 s25, s9
	s_cselect_b32 s35, -1, 0
	s_cmp_ge_u32 s2, s8
	s_cselect_b32 s8, -1, 0
	s_cmp_eq_u32 s25, s9
	s_cselect_b32 s8, s8, s35
	s_cmp_lg_u32 s8, 0
	s_cselect_b32 s9, s34, s25
	s_cselect_b32 s8, s38, s2
	s_xor_b64 s[8:9], s[8:9], s[12:13]
	s_sub_u32 s8, s8, s12
	s_subb_u32 s9, s9, s12
	s_cbranch_execnz .LBB6_176
.LBB6_175:                              ;   in Loop: Header=BB6_32 Depth=1
	v_cvt_f32_u32_e32 v4, s96
	s_sub_i32 s2, 0, s96
	v_rcp_iflag_f32_e32 v4, v4
	s_nop 0
	v_mul_f32_e32 v4, 0x4f7ffffe, v4
	v_cvt_u32_f32_e32 v4, v4
	s_nop 0
	v_readfirstlane_b32 s8, v4
	s_mul_i32 s2, s2, s8
	s_mul_hi_u32 s2, s8, s2
	s_add_i32 s8, s8, s2
	s_mul_hi_u32 s2, s24, s8
	s_mul_i32 s2, s2, s96
	s_sub_i32 s2, s24, s2
	s_sub_i32 s8, s2, s96
	s_cmp_ge_u32 s2, s96
	s_cselect_b32 s2, s8, s2
	s_sub_i32 s8, s2, s96
	s_cmp_ge_u32 s2, s96
	s_cselect_b32 s98, s8, s2
	s_mov_b64 s[8:9], s[98:99]
.LBB6_176:                              ;   in Loop: Header=BB6_32 Depth=1
	s_sub_u32 s8, s24, s8
	s_subb_u32 s9, s3, s9
	v_cmp_gt_i64_e32 vcc, s[8:9], v[0:1]
                                        ; implicit-def: $vgpr47
	s_and_saveexec_b64 s[2:3], vcc
	s_cbranch_execz .LBB6_185
; %bb.177:                              ;   in Loop: Header=BB6_32 Depth=1
	s_mov_b64 s[12:13], 0
	v_mov_b32_e32 v10, v0
	v_mov_b64_e32 v[4:5], v[0:1]
                                        ; implicit-def: $sgpr24_sgpr25
	s_branch .LBB6_180
.LBB6_178:                              ;   in Loop: Header=BB6_180 Depth=2
	s_or_b64 exec, exec, s[34:35]
	s_waitcnt lgkmcnt(0)
	s_barrier
	ds_read_u16 v11, v3 offset:3072
	s_mov_b64 s[34:35], -1
	s_waitcnt lgkmcnt(0)
	s_barrier
	v_cmp_eq_u32_sdwa s[36:37], v11, v3 src0_sel:BYTE_0 src1_sel:DWORD
	s_and_b64 vcc, exec, s[36:37]
	s_mov_b64 s[36:37], -1
	s_cbranch_vccnz .LBB6_183
.LBB6_179:                              ;   in Loop: Header=BB6_180 Depth=2
	s_and_b64 s[34:35], exec, s[34:35]
	s_or_b64 s[12:13], s[34:35], s[12:13]
	s_andn2_b64 s[24:25], s[24:25], exec
	s_and_b64 s[34:35], s[36:37], exec
	s_or_b64 s[24:25], s[24:25], s[34:35]
	s_andn2_b64 exec, exec, s[12:13]
	s_cbranch_execz .LBB6_184
.LBB6_180:                              ;   Parent Loop BB6_32 Depth=1
                                        ; =>  This Inner Loop Header: Depth=2
	v_cmp_gt_u64_e32 vcc, s[30:31], v[4:5]
	s_and_saveexec_b64 s[34:35], vcc
	s_cbranch_execz .LBB6_178
; %bb.181:                              ;   in Loop: Header=BB6_180 Depth=2
	ds_read_u8 v11, v10
	s_waitcnt lgkmcnt(0)
	v_bitop3_b32 v34, v11, s1, v46 bitop3:0x80
	v_cmp_eq_u32_e32 vcc, v34, v44
	s_and_b64 exec, exec, vcc
	s_cbranch_execz .LBB6_178
; %bb.182:                              ;   in Loop: Header=BB6_180 Depth=2
	v_lshlrev_b16_e32 v11, 8, v11
	v_or_b32_e32 v11, 1, v11
	ds_write_b16 v3, v11 offset:3072
	s_branch .LBB6_178
.LBB6_183:                              ;   in Loop: Header=BB6_180 Depth=2
	v_lshl_add_u64 v[4:5], v[4:5], 0, s[96:97]
	v_cmp_le_i64_e32 vcc, s[8:9], v[4:5]
	v_add_u32_e32 v10, s96, v10
	s_mov_b64 s[36:37], 0
	s_orn2_b64 s[34:35], vcc, exec
	s_branch .LBB6_179
.LBB6_184:                              ;   in Loop: Header=BB6_32 Depth=1
	s_or_b64 exec, exec, s[12:13]
	s_andn2_b64 s[6:7], s[6:7], exec
	s_and_b64 s[8:9], s[24:25], exec
	v_lshrrev_b32_sdwa v47, v45, v11 dst_sel:DWORD dst_unused:UNUSED_PAD src0_sel:DWORD src1_sel:WORD_0
	s_or_b64 s[6:7], s[6:7], s[8:9]
.LBB6_185:                              ;   in Loop: Header=BB6_32 Depth=1
	s_or_b64 exec, exec, s[2:3]
	s_mov_b64 s[2:3], 0
	s_mov_b64 s[24:25], -1
.LBB6_186:                              ;   in Loop: Header=BB6_32 Depth=1
	s_orn2_b64 s[6:7], s[6:7], exec
.LBB6_187:                              ;   in Loop: Header=BB6_32 Depth=1
	s_or_b64 exec, exec, s[26:27]
	s_mov_b64 s[8:9], 0
	s_and_saveexec_b64 s[26:27], s[6:7]
	s_cbranch_execz .LBB6_295
; %bb.188:                              ;   in Loop: Header=BB6_32 Depth=1
	s_xor_b64 s[12:13], s[28:29], -1
	v_mov_b32_e32 v2, 1
	v_mov_b64_e32 v[4:5], 1
	s_and_saveexec_b64 s[6:7], s[12:13]
	s_cbranch_execz .LBB6_198
; %bb.189:                              ;   in Loop: Header=BB6_32 Depth=1
	v_cmp_le_i64_e32 vcc, v[8:9], v[6:7]
	s_and_saveexec_b64 s[8:9], vcc
	s_xor_b64 s[8:9], exec, s[8:9]
	s_cbranch_execz .LBB6_195
; %bb.190:                              ;   in Loop: Header=BB6_32 Depth=1
	ds_read_b64 v[4:5], v3 offset:5120
	v_and_b32_e32 v2, s50, v44
	v_lshl_or_b32 v44, 1, s0, v2
	v_or_b32_e32 v46, s64, v46
	s_waitcnt lgkmcnt(0)
	v_cmp_ne_u64_e32 vcc, 0, v[4:5]
	s_cbranch_vccnz .LBB6_194
; %bb.191:                              ;   in Loop: Header=BB6_32 Depth=1
	s_mov_b64 s[12:13], exec
	v_readlane_b32 s28, v67, 32
	v_readlane_b32 s29, v67, 33
	s_and_b64 s[28:29], s[12:13], s[28:29]
	s_mov_b64 exec, s[28:29]
; %bb.192:                              ;   in Loop: Header=BB6_32 Depth=1
	ds_write_b64 v3, v[6:7] offset:5128
; %bb.193:                              ;   in Loop: Header=BB6_32 Depth=1
	s_or_b64 exec, exec, s[12:13]
	s_waitcnt lgkmcnt(0)
	s_barrier
.LBB6_194:                              ;   in Loop: Header=BB6_32 Depth=1
                                        ; implicit-def: $vgpr4_vgpr5_vgpr6_vgpr7
.LBB6_195:                              ;   in Loop: Header=BB6_32 Depth=1
	s_or_saveexec_b64 s[8:9], s[8:9]
	s_mov_b64 s[12:13], 0
	v_mov_b32_e32 v2, 8
	s_xor_b64 exec, exec, s[8:9]
; %bb.196:                              ;   in Loop: Header=BB6_32 Depth=1
	v_sub_co_u32_e32 v8, vcc, v8, v6
	s_mov_b64 s[12:13], exec
	s_nop 0
	v_subb_co_u32_e32 v9, vcc, v9, v7, vcc
	v_mov_b32_e32 v2, 0
; %bb.197:                              ;   in Loop: Header=BB6_32 Depth=1
	s_or_b64 exec, exec, s[8:9]
	s_and_b64 s[8:9], s[12:13], exec
	v_mov_b64_e32 v[4:5], v[8:9]
.LBB6_198:                              ;   in Loop: Header=BB6_32 Depth=1
	s_or_b64 exec, exec, s[6:7]
	s_mov_b64 s[6:7], -1
                                        ; implicit-def: $sgpr30_sgpr31
                                        ; implicit-def: $sgpr34_sgpr35
	s_and_saveexec_b64 s[28:29], s[8:9]
	s_cbranch_execz .LBB6_294
; %bb.199:                              ;   in Loop: Header=BB6_32 Depth=1
	s_cmp_eq_u64 s[22:23], 1
	s_cselect_b64 s[6:7], -1, 0
	v_cmp_eq_u64_e32 vcc, 1, v[4:5]
	s_and_b64 s[38:39], s[6:7], vcc
	s_mov_b64 s[6:7], -1
                                        ; implicit-def: $sgpr34_sgpr35
                                        ; implicit-def: $sgpr30_sgpr31
	s_and_saveexec_b64 s[36:37], s[38:39]
	s_cbranch_execz .LBB6_234
; %bb.200:                              ;   in Loop: Header=BB6_32 Depth=1
	ds_read_b64 v[6:7], v3 offset:5120
	s_waitcnt lgkmcnt(0)
	s_barrier
	v_readfirstlane_b32 s40, v6
	v_readfirstlane_b32 s41, v7
	s_mov_b64 s[6:7], exec
	v_readlane_b32 s8, v67, 38
	v_readlane_b32 s9, v67, 39
	s_and_b64 s[8:9], s[6:7], s[8:9]
	s_mov_b64 exec, s[8:9]
; %bb.201:                              ;   in Loop: Header=BB6_32 Depth=1
	ds_write_b8 v0, v3 offset:3072
; %bb.202:                              ;   in Loop: Header=BB6_32 Depth=1
	s_or_b64 exec, exec, s[6:7]
	v_and_b32_e32 v6, s50, v44
	v_cmp_gt_i64_e64 s[6:7], s[40:41], 0
	v_lshl_or_b32 v44, 2, s0, v6
	v_or_b32_e32 v46, s64, v46
	s_mov_b64 s[30:31], -1
	s_mov_b64 s[34:35], 0
	s_and_b64 vcc, exec, s[6:7]
	s_mov_b64 s[6:7], 0
	s_mov_b64 s[8:9], -1
	s_waitcnt lgkmcnt(0)
	s_barrier
                                        ; implicit-def: $vgpr47
	s_cbranch_vccnz .LBB6_219
; %bb.203:                              ;   in Loop: Header=BB6_32 Depth=1
	s_mov_b32 s94, s99
	s_cmp_lg_u64 s[94:95], 0
	s_cbranch_scc0 .LBB6_206
; %bb.204:                              ;   in Loop: Header=BB6_32 Depth=1
	s_add_u32 s6, s96, 0
	s_addc_u32 s7, 0, 0
	s_xor_b64 s[6:7], s[6:7], 0
	v_cvt_f32_u32_e32 v6, s6
	v_cvt_f32_u32_e32 v7, s7
	s_sub_u32 s12, 0, s6
	s_subb_u32 s13, 0, s7
	v_fmac_f32_e32 v6, 0x4f800000, v7
	v_rcp_f32_e32 v6, v6
	s_nop 0
	v_mul_f32_e32 v6, 0x5f7ffffc, v6
	v_mul_f32_e32 v7, 0x2f800000, v6
	v_trunc_f32_e32 v7, v7
	v_fmac_f32_e32 v6, 0xcf800000, v7
	v_cvt_u32_f32_e32 v7, v7
	v_cvt_u32_f32_e32 v6, v6
	v_readfirstlane_b32 s42, v7
	v_readfirstlane_b32 s8, v6
	s_mul_i32 s9, s12, s42
	s_mul_hi_u32 s44, s12, s8
	s_mul_i32 s43, s13, s8
	s_add_i32 s9, s44, s9
	s_mul_i32 s45, s12, s8
	s_add_i32 s9, s9, s43
	s_mul_i32 s44, s8, s9
	s_mul_hi_u32 s46, s8, s45
	s_mul_hi_u32 s43, s8, s9
	s_add_u32 s44, s46, s44
	s_addc_u32 s43, 0, s43
	s_mul_hi_u32 s47, s42, s45
	s_mul_i32 s45, s42, s45
	s_add_u32 s44, s44, s45
	s_mul_hi_u32 s46, s42, s9
	s_addc_u32 s43, s43, s47
	s_addc_u32 s44, s46, 0
	s_mul_i32 s9, s42, s9
	s_add_u32 s9, s43, s9
	s_addc_u32 s43, 0, s44
	s_add_u32 s44, s8, s9
	s_cselect_b64 s[8:9], -1, 0
	s_cmp_lg_u64 s[8:9], 0
	s_addc_u32 s42, s42, s43
	s_mul_i32 s8, s12, s42
	s_mul_hi_u32 s9, s12, s44
	s_add_i32 s8, s9, s8
	s_mul_i32 s13, s13, s44
	s_add_i32 s8, s8, s13
	s_mul_i32 s12, s12, s44
	s_mul_hi_u32 s13, s42, s12
	s_mul_i32 s43, s42, s12
	s_mul_i32 s46, s44, s8
	s_mul_hi_u32 s12, s44, s12
	s_mul_hi_u32 s45, s44, s8
	s_add_u32 s12, s12, s46
	s_addc_u32 s45, 0, s45
	s_add_u32 s12, s12, s43
	s_mul_hi_u32 s9, s42, s8
	s_addc_u32 s12, s45, s13
	s_addc_u32 s9, s9, 0
	s_mul_i32 s8, s42, s8
	s_add_u32 s8, s12, s8
	s_addc_u32 s12, 0, s9
	s_add_u32 s43, s44, s8
	s_cselect_b64 s[8:9], -1, 0
	s_cmp_lg_u64 s[8:9], 0
	s_addc_u32 s42, s42, s12
	s_ashr_i32 s8, s95, 31
	s_add_u32 s12, s88, s8
	s_mov_b32 s9, s8
	s_addc_u32 s13, s95, s8
	s_xor_b64 s[12:13], s[12:13], s[8:9]
	s_mul_i32 s45, s12, s42
	s_mul_hi_u32 s46, s12, s43
	s_mul_hi_u32 s44, s12, s42
	s_add_u32 s45, s46, s45
	s_addc_u32 s44, 0, s44
	s_mul_hi_u32 s47, s13, s43
	s_mul_i32 s43, s13, s43
	s_add_u32 s43, s45, s43
	s_mul_hi_u32 s46, s13, s42
	s_addc_u32 s43, s44, s47
	s_addc_u32 s44, s46, 0
	s_mul_i32 s42, s13, s42
	s_add_u32 s42, s43, s42
	s_addc_u32 s43, 0, s44
	s_mul_i32 s43, s6, s43
	s_mul_hi_u32 s44, s6, s42
	s_add_i32 s43, s44, s43
	s_mul_i32 s44, s7, s42
	s_add_i32 s46, s43, s44
	s_sub_i32 s44, s13, s46
	s_mul_i32 s42, s6, s42
	s_sub_u32 s12, s12, s42
	s_cselect_b64 s[42:43], -1, 0
	s_cmp_lg_u64 s[42:43], 0
	s_subb_u32 s47, s44, s7
	s_sub_u32 s48, s12, s6
	s_cselect_b64 s[44:45], -1, 0
	s_cmp_lg_u64 s[44:45], 0
	s_subb_u32 s49, s47, 0
	s_cmp_ge_u32 s49, s7
	s_cselect_b32 s51, -1, 0
	s_cmp_ge_u32 s48, s6
	s_cselect_b32 s52, -1, 0
	s_cmp_eq_u32 s49, s7
	s_cselect_b32 s51, s52, s51
	s_cmp_lg_u64 s[44:45], 0
	s_subb_u32 s47, s47, s7
	s_sub_u32 s52, s48, s6
	s_cselect_b64 s[44:45], -1, 0
	s_cmp_lg_u64 s[44:45], 0
	s_subb_u32 s44, s47, 0
	s_cmp_lg_u32 s51, 0
	s_cselect_b32 s45, s52, s48
	s_cselect_b32 s44, s44, s49
	s_cmp_lg_u64 s[42:43], 0
	s_subb_u32 s13, s13, s46
	s_cmp_ge_u32 s13, s7
	s_cselect_b32 s42, -1, 0
	s_cmp_ge_u32 s12, s6
	s_cselect_b32 s6, -1, 0
	s_cmp_eq_u32 s13, s7
	s_cselect_b32 s6, s6, s42
	s_cmp_lg_u32 s6, 0
	s_cselect_b32 s7, s44, s13
	s_cselect_b32 s6, s45, s12
	s_xor_b64 s[6:7], s[6:7], s[8:9]
	s_sub_u32 s6, s6, s8
	s_subb_u32 s7, s7, s8
	s_mov_b64 s[8:9], 0
	s_branch .LBB6_207
.LBB6_205:                              ;   in Loop: Header=BB6_32 Depth=1
                                        ; implicit-def: $sgpr8_sgpr9
	s_branch .LBB6_175
.LBB6_206:                              ;   in Loop: Header=BB6_32 Depth=1
                                        ; implicit-def: $sgpr6_sgpr7
.LBB6_207:                              ;   in Loop: Header=BB6_32 Depth=1
	s_andn2_b64 vcc, exec, s[8:9]
	v_readlane_b32 s73, v66, 1
	s_mov_b32 s58, 0xc0c0004
	v_readlane_b32 s72, v66, 2
	v_readlane_b32 s94, v66, 3
	s_cbranch_vccnz .LBB6_209
; %bb.208:                              ;   in Loop: Header=BB6_32 Depth=1
	v_cvt_f32_u32_e32 v6, s96
	s_sub_i32 s6, 0, s96
	v_rcp_iflag_f32_e32 v6, v6
	s_nop 0
	v_mul_f32_e32 v6, 0x4f7ffffe, v6
	v_cvt_u32_f32_e32 v6, v6
	s_nop 0
	v_readfirstlane_b32 s7, v6
	s_mul_i32 s6, s6, s7
	s_mul_hi_u32 s6, s7, s6
	s_add_i32 s7, s7, s6
	s_mul_hi_u32 s6, s88, s7
	s_mul_i32 s6, s6, s96
	s_sub_i32 s6, s88, s6
	s_sub_i32 s7, s6, s96
	s_cmp_ge_u32 s6, s96
	s_cselect_b32 s6, s7, s6
	s_sub_i32 s7, s6, s96
	s_cmp_ge_u32 s6, s96
	s_cselect_b32 s98, s7, s6
	s_mov_b64 s[6:7], s[98:99]
.LBB6_209:                              ;   in Loop: Header=BB6_32 Depth=1
	s_sub_u32 s42, s88, s6
	s_subb_u32 s43, s95, s7
	v_cmp_gt_i64_e32 vcc, s[42:43], v[0:1]
	s_mov_b64 s[8:9], 0
	s_mov_b64 s[6:7], 0
                                        ; implicit-def: $vgpr47
	s_and_saveexec_b64 s[12:13], vcc
	v_readlane_b32 s52, v67, 62
	s_cbranch_execz .LBB6_218
; %bb.210:                              ;   in Loop: Header=BB6_32 Depth=1
	v_mov_b64_e32 v[6:7], v[12:13]
	v_mov_b64_e32 v[8:9], v[0:1]
                                        ; implicit-def: $sgpr44_sgpr45
	s_branch .LBB6_213
.LBB6_211:                              ;   in Loop: Header=BB6_213 Depth=2
	s_or_b64 exec, exec, s[46:47]
	s_waitcnt lgkmcnt(0)
	s_barrier
	ds_read_u16 v10, v3 offset:3072
	s_mov_b64 s[46:47], -1
	s_waitcnt lgkmcnt(0)
	s_barrier
	v_cmp_ne_u32_sdwa s[48:49], v10, v3 src0_sel:BYTE_0 src1_sel:DWORD
	s_and_b64 vcc, exec, s[48:49]
	s_mov_b64 s[48:49], -1
	s_cbranch_vccz .LBB6_216
.LBB6_212:                              ;   in Loop: Header=BB6_213 Depth=2
	s_and_b64 s[46:47], exec, s[46:47]
	s_or_b64 s[6:7], s[46:47], s[6:7]
	s_andn2_b64 s[44:45], s[44:45], exec
	s_and_b64 s[46:47], s[48:49], exec
	s_or_b64 s[44:45], s[44:45], s[46:47]
	s_andn2_b64 exec, exec, s[6:7]
	s_cbranch_execz .LBB6_217
.LBB6_213:                              ;   Parent Loop BB6_32 Depth=1
                                        ; =>  This Inner Loop Header: Depth=2
	v_cmp_gt_i64_e32 vcc, s[56:57], v[8:9]
	s_and_saveexec_b64 s[46:47], vcc
	s_cbranch_execz .LBB6_211
; %bb.214:                              ;   in Loop: Header=BB6_213 Depth=2
	global_load_ubyte v10, v[6:7], off
	s_waitcnt vmcnt(0)
	v_bitop3_b32 v11, v10, s1, v46 bitop3:0x80
	v_cmp_eq_u32_e32 vcc, v11, v44
	s_and_b64 exec, exec, vcc
	s_cbranch_execz .LBB6_211
; %bb.215:                              ;   in Loop: Header=BB6_213 Depth=2
	v_lshlrev_b16_e32 v10, 8, v10
	v_or_b32_e32 v10, 1, v10
	ds_write_b16 v3, v10 offset:3072
	s_branch .LBB6_211
.LBB6_216:                              ;   in Loop: Header=BB6_213 Depth=2
	v_lshl_add_u64 v[8:9], v[8:9], 0, s[96:97]
	v_cmp_le_i64_e32 vcc, s[42:43], v[8:9]
	v_lshl_add_u64 v[6:7], v[6:7], 0, s[92:93]
	s_mov_b64 s[48:49], 0
	s_orn2_b64 s[46:47], vcc, exec
	s_branch .LBB6_212
.LBB6_217:                              ;   in Loop: Header=BB6_32 Depth=1
	s_or_b64 exec, exec, s[6:7]
	v_lshrrev_b32_sdwa v47, v45, v10 dst_sel:DWORD dst_unused:UNUSED_PAD src0_sel:DWORD src1_sel:WORD_0
	s_and_b64 s[6:7], s[44:45], exec
.LBB6_218:                              ;   in Loop: Header=BB6_32 Depth=1
	s_or_b64 exec, exec, s[12:13]
	v_readlane_b32 s48, v67, 63
	v_readlane_b32 s49, v66, 0
.LBB6_219:                              ;   in Loop: Header=BB6_32 Depth=1
	s_and_b64 vcc, exec, s[8:9]
	s_cbranch_vccz .LBB6_233
; %bb.220:                              ;   in Loop: Header=BB6_32 Depth=1
	v_readlane_b32 s8, v67, 46
	s_add_u32 s34, s40, s8
	v_readlane_b32 s8, v67, 47
	s_addc_u32 s9, s41, s8
	s_mov_b32 s8, s99
	s_cmp_lg_u64 s[8:9], 0
	s_cbranch_scc0 .LBB6_251
; %bb.221:                              ;   in Loop: Header=BB6_32 Depth=1
	s_add_u32 s12, s96, 0
	s_addc_u32 s13, 0, 0
	s_xor_b64 s[12:13], s[12:13], 0
	v_cvt_f32_u32_e32 v6, s12
	v_cvt_f32_u32_e32 v7, s13
	s_sub_u32 s8, 0, s12
	s_subb_u32 s35, 0, s13
	v_fmac_f32_e32 v6, 0x4f800000, v7
	v_rcp_f32_e32 v6, v6
	s_nop 0
	v_mul_f32_e32 v6, 0x5f7ffffc, v6
	v_mul_f32_e32 v7, 0x2f800000, v6
	v_trunc_f32_e32 v7, v7
	v_fmac_f32_e32 v6, 0xcf800000, v7
	v_cvt_u32_f32_e32 v7, v7
	v_cvt_u32_f32_e32 v6, v6
	v_readfirstlane_b32 s42, v7
	v_readfirstlane_b32 s30, v6
	s_mul_i32 s31, s8, s42
	s_mul_hi_u32 s44, s8, s30
	s_mul_i32 s43, s35, s30
	s_add_i32 s31, s44, s31
	s_mul_i32 s45, s8, s30
	s_add_i32 s31, s31, s43
	s_mul_i32 s44, s30, s31
	s_mul_hi_u32 s46, s30, s45
	s_mul_hi_u32 s43, s30, s31
	s_add_u32 s44, s46, s44
	s_addc_u32 s43, 0, s43
	s_mul_hi_u32 s47, s42, s45
	s_mul_i32 s45, s42, s45
	s_add_u32 s44, s44, s45
	s_mul_hi_u32 s46, s42, s31
	s_addc_u32 s43, s43, s47
	s_addc_u32 s44, s46, 0
	s_mul_i32 s31, s42, s31
	s_add_u32 s31, s43, s31
	s_addc_u32 s43, 0, s44
	s_add_u32 s44, s30, s31
	s_cselect_b64 s[30:31], -1, 0
	s_cmp_lg_u64 s[30:31], 0
	s_addc_u32 s42, s42, s43
	s_mul_i32 s30, s8, s42
	s_mul_hi_u32 s31, s8, s44
	s_add_i32 s30, s31, s30
	s_mul_i32 s35, s35, s44
	s_add_i32 s30, s30, s35
	s_mul_i32 s8, s8, s44
	s_mul_hi_u32 s35, s42, s8
	s_mul_i32 s43, s42, s8
	s_mul_i32 s46, s44, s30
	s_mul_hi_u32 s8, s44, s8
	s_mul_hi_u32 s45, s44, s30
	s_add_u32 s8, s8, s46
	s_addc_u32 s45, 0, s45
	s_add_u32 s8, s8, s43
	s_mul_hi_u32 s31, s42, s30
	s_addc_u32 s8, s45, s35
	s_addc_u32 s31, s31, 0
	s_mul_i32 s30, s42, s30
	s_add_u32 s8, s8, s30
	s_addc_u32 s35, 0, s31
	s_add_u32 s8, s44, s8
	s_cselect_b64 s[30:31], -1, 0
	s_cmp_lg_u64 s[30:31], 0
	s_addc_u32 s35, s42, s35
	s_ashr_i32 s30, s9, 31
	s_add_u32 s42, s34, s30
	s_mov_b32 s31, s30
	s_addc_u32 s43, s9, s30
	s_xor_b64 s[42:43], s[42:43], s[30:31]
	s_mul_i32 s45, s42, s35
	s_mul_hi_u32 s46, s42, s8
	s_mul_hi_u32 s44, s42, s35
	s_add_u32 s45, s46, s45
	s_addc_u32 s44, 0, s44
	s_mul_hi_u32 s47, s43, s8
	s_mul_i32 s8, s43, s8
	s_add_u32 s8, s45, s8
	s_mul_hi_u32 s46, s43, s35
	s_addc_u32 s8, s44, s47
	s_addc_u32 s44, s46, 0
	s_mul_i32 s35, s43, s35
	s_add_u32 s8, s8, s35
	s_addc_u32 s35, 0, s44
	s_mul_i32 s35, s12, s35
	s_mul_hi_u32 s44, s12, s8
	s_add_i32 s35, s44, s35
	s_mul_i32 s44, s13, s8
	s_add_i32 s35, s35, s44
	s_sub_i32 s46, s43, s35
	s_mul_i32 s8, s12, s8
	s_sub_u32 s8, s42, s8
	s_cselect_b64 s[44:45], -1, 0
	s_cmp_lg_u64 s[44:45], 0
	s_subb_u32 s42, s46, s13
	s_sub_u32 s48, s8, s12
	s_cselect_b64 s[46:47], -1, 0
	s_cmp_lg_u64 s[46:47], 0
	s_subb_u32 s49, s42, 0
	s_cmp_ge_u32 s49, s13
	s_cselect_b32 s51, -1, 0
	s_cmp_ge_u32 s48, s12
	s_cselect_b32 s52, -1, 0
	s_cmp_eq_u32 s49, s13
	s_cselect_b32 s51, s52, s51
	s_cmp_lg_u64 s[46:47], 0
	s_subb_u32 s42, s42, s13
	s_sub_u32 s52, s48, s12
	s_cselect_b64 s[46:47], -1, 0
	s_cmp_lg_u64 s[46:47], 0
	s_subb_u32 s42, s42, 0
	s_cmp_lg_u32 s51, 0
	s_cselect_b32 s46, s52, s48
	s_cselect_b32 s42, s42, s49
	s_cmp_lg_u64 s[44:45], 0
	s_subb_u32 s35, s43, s35
	s_cmp_ge_u32 s35, s13
	s_cselect_b32 s43, -1, 0
	s_cmp_ge_u32 s8, s12
	s_cselect_b32 s12, -1, 0
	s_cmp_eq_u32 s35, s13
	s_cselect_b32 s12, s12, s43
	s_cmp_lg_u32 s12, 0
	s_cselect_b32 s13, s42, s35
	s_cselect_b32 s12, s46, s8
	s_xor_b64 s[12:13], s[12:13], s[30:31]
	s_sub_u32 s12, s12, s30
	v_readlane_b32 s48, v67, 63
	v_readlane_b32 s52, v67, 62
	v_readlane_b32 s49, v66, 0
	s_subb_u32 s13, s13, s30
	s_cbranch_execnz .LBB6_223
.LBB6_222:                              ;   in Loop: Header=BB6_32 Depth=1
	v_cvt_f32_u32_e32 v6, s96
	s_sub_i32 s8, 0, s96
	v_rcp_iflag_f32_e32 v6, v6
	s_nop 0
	v_mul_f32_e32 v6, 0x4f7ffffe, v6
	v_cvt_u32_f32_e32 v6, v6
	s_nop 0
	v_readfirstlane_b32 s12, v6
	s_mul_i32 s8, s8, s12
	s_mul_hi_u32 s8, s12, s8
	s_add_i32 s12, s12, s8
	s_mul_hi_u32 s8, s34, s12
	s_mul_i32 s8, s8, s96
	s_sub_i32 s8, s34, s8
	s_sub_i32 s12, s8, s96
	s_cmp_ge_u32 s8, s96
	s_cselect_b32 s8, s12, s8
	s_sub_i32 s12, s8, s96
	s_cmp_ge_u32 s8, s96
	s_cselect_b32 s98, s12, s8
	s_mov_b64 s[12:13], s[98:99]
.LBB6_223:                              ;   in Loop: Header=BB6_32 Depth=1
	s_sub_u32 s12, s34, s12
	s_subb_u32 s13, s9, s13
	v_cmp_gt_i64_e32 vcc, s[12:13], v[0:1]
                                        ; implicit-def: $vgpr47
	s_and_saveexec_b64 s[8:9], vcc
	s_cbranch_execz .LBB6_232
; %bb.224:                              ;   in Loop: Header=BB6_32 Depth=1
	s_mov_b64 s[30:31], 0
	v_mov_b32_e32 v8, v0
	v_mov_b64_e32 v[6:7], v[0:1]
                                        ; implicit-def: $sgpr34_sgpr35
	s_branch .LBB6_227
.LBB6_225:                              ;   in Loop: Header=BB6_227 Depth=2
	s_or_b64 exec, exec, s[42:43]
	s_waitcnt lgkmcnt(0)
	s_barrier
	ds_read_u16 v9, v3 offset:3072
	s_mov_b64 s[42:43], -1
	s_waitcnt lgkmcnt(0)
	s_barrier
	v_cmp_eq_u32_sdwa s[44:45], v9, v3 src0_sel:BYTE_0 src1_sel:DWORD
	s_and_b64 vcc, exec, s[44:45]
	s_mov_b64 s[44:45], -1
	s_cbranch_vccnz .LBB6_230
.LBB6_226:                              ;   in Loop: Header=BB6_227 Depth=2
	s_and_b64 s[42:43], exec, s[42:43]
	s_or_b64 s[30:31], s[42:43], s[30:31]
	s_andn2_b64 s[34:35], s[34:35], exec
	s_and_b64 s[42:43], s[44:45], exec
	s_or_b64 s[34:35], s[34:35], s[42:43]
	s_andn2_b64 exec, exec, s[30:31]
	s_cbranch_execz .LBB6_231
.LBB6_227:                              ;   Parent Loop BB6_32 Depth=1
                                        ; =>  This Inner Loop Header: Depth=2
	v_cmp_gt_u64_e32 vcc, s[40:41], v[6:7]
	s_and_saveexec_b64 s[42:43], vcc
	s_cbranch_execz .LBB6_225
; %bb.228:                              ;   in Loop: Header=BB6_227 Depth=2
	ds_read_u8 v9, v8
	s_waitcnt lgkmcnt(0)
	v_bitop3_b32 v10, v9, s1, v46 bitop3:0x80
	v_cmp_eq_u32_e32 vcc, v10, v44
	s_and_b64 exec, exec, vcc
	s_cbranch_execz .LBB6_225
; %bb.229:                              ;   in Loop: Header=BB6_227 Depth=2
	v_lshlrev_b16_e32 v9, 8, v9
	v_or_b32_e32 v9, 1, v9
	ds_write_b16 v3, v9 offset:3072
	s_branch .LBB6_225
.LBB6_230:                              ;   in Loop: Header=BB6_227 Depth=2
	v_lshl_add_u64 v[6:7], v[6:7], 0, s[96:97]
	v_cmp_le_i64_e32 vcc, s[12:13], v[6:7]
	v_add_u32_e32 v8, s96, v8
	s_mov_b64 s[44:45], 0
	s_orn2_b64 s[42:43], vcc, exec
	s_branch .LBB6_226
.LBB6_231:                              ;   in Loop: Header=BB6_32 Depth=1
	s_or_b64 exec, exec, s[30:31]
	s_andn2_b64 s[6:7], s[6:7], exec
	s_and_b64 s[12:13], s[34:35], exec
	v_lshrrev_b32_sdwa v47, v45, v9 dst_sel:DWORD dst_unused:UNUSED_PAD src0_sel:DWORD src1_sel:WORD_0
	s_or_b64 s[6:7], s[6:7], s[12:13]
.LBB6_232:                              ;   in Loop: Header=BB6_32 Depth=1
	s_or_b64 exec, exec, s[8:9]
	s_mov_b64 s[30:31], 0
	s_mov_b64 s[34:35], -1
.LBB6_233:                              ;   in Loop: Header=BB6_32 Depth=1
	s_orn2_b64 s[6:7], s[6:7], exec
.LBB6_234:                              ;   in Loop: Header=BB6_32 Depth=1
	s_or_b64 exec, exec, s[36:37]
	s_mov_b64 s[8:9], 0
	s_and_saveexec_b64 s[36:37], s[6:7]
	s_cbranch_execz .LBB6_293
; %bb.235:                              ;   in Loop: Header=BB6_32 Depth=1
	s_xor_b64 s[12:13], s[38:39], -1
	v_mov_b32_e32 v2, 1
	v_mov_b64_e32 v[6:7], 1
	s_and_saveexec_b64 s[6:7], s[12:13]
	s_cbranch_execz .LBB6_244
; %bb.236:                              ;   in Loop: Header=BB6_32 Depth=1
	v_cmp_ge_i64_e32 vcc, s[22:23], v[4:5]
	s_and_saveexec_b64 s[8:9], vcc
	s_xor_b64 s[8:9], exec, s[8:9]
	s_cbranch_execz .LBB6_241
; %bb.237:                              ;   in Loop: Header=BB6_32 Depth=1
	ds_read_b64 v[6:7], v3 offset:5120
	v_and_b32_e32 v2, s50, v44
	v_lshl_or_b32 v44, 2, s0, v2
	v_or_b32_e32 v46, s64, v46
	s_waitcnt lgkmcnt(0)
	v_cmp_ne_u64_e32 vcc, 0, v[6:7]
	s_cbranch_vccnz .LBB6_241
; %bb.238:                              ;   in Loop: Header=BB6_32 Depth=1
	s_mov_b64 s[12:13], exec
	v_readlane_b32 s38, v67, 32
	v_readlane_b32 s39, v67, 33
	s_and_b64 s[38:39], s[12:13], s[38:39]
	s_mov_b64 exec, s[38:39]
; %bb.239:                              ;   in Loop: Header=BB6_32 Depth=1
	v_mov_b64_e32 v[6:7], s[22:23]
	ds_write_b64 v3, v[6:7] offset:5128
; %bb.240:                              ;   in Loop: Header=BB6_32 Depth=1
	s_or_b64 exec, exec, s[12:13]
	s_waitcnt lgkmcnt(0)
	s_barrier
.LBB6_241:                              ;   in Loop: Header=BB6_32 Depth=1
	s_or_saveexec_b64 s[8:9], s[8:9]
	s_mov_b64 s[12:13], 0
	v_mov_b32_e32 v2, 8
	s_xor_b64 exec, exec, s[8:9]
; %bb.242:                              ;   in Loop: Header=BB6_32 Depth=1
	v_mov_b32_e32 v2, s23
	v_subrev_co_u32_e32 v4, vcc, s22, v4
	s_mov_b64 s[12:13], exec
	s_nop 0
	v_subb_co_u32_e32 v5, vcc, v5, v2, vcc
	v_mov_b32_e32 v2, 0
; %bb.243:                              ;   in Loop: Header=BB6_32 Depth=1
	s_or_b64 exec, exec, s[8:9]
	s_and_b64 s[8:9], s[12:13], exec
	v_mov_b64_e32 v[6:7], v[4:5]
.LBB6_244:                              ;   in Loop: Header=BB6_32 Depth=1
	s_or_b64 exec, exec, s[6:7]
	s_mov_b64 s[6:7], -1
                                        ; implicit-def: $sgpr46_sgpr47
                                        ; implicit-def: $sgpr44_sgpr45
	s_and_saveexec_b64 s[22:23], s[8:9]
	s_cbranch_execz .LBB6_292
; %bb.245:                              ;   in Loop: Header=BB6_32 Depth=1
	s_cmp_eq_u64 s[14:15], 1
	s_cselect_b64 s[6:7], -1, 0
	v_cmp_eq_u64_e32 vcc, 1, v[6:7]
	s_and_b64 s[38:39], s[6:7], vcc
	s_mov_b64 s[8:9], -1
                                        ; implicit-def: $sgpr46_sgpr47
                                        ; implicit-def: $sgpr44_sgpr45
	s_and_saveexec_b64 s[40:41], s[38:39]
	s_cbranch_execz .LBB6_280
; %bb.246:                              ;   in Loop: Header=BB6_32 Depth=1
	ds_read_b64 v[4:5], v3 offset:5120
	s_waitcnt lgkmcnt(0)
	s_barrier
	v_readfirstlane_b32 s42, v4
	v_readfirstlane_b32 s43, v5
	s_mov_b64 s[6:7], exec
	v_readlane_b32 s8, v67, 38
	v_readlane_b32 s9, v67, 39
	s_and_b64 s[8:9], s[6:7], s[8:9]
	s_mov_b64 exec, s[8:9]
; %bb.247:                              ;   in Loop: Header=BB6_32 Depth=1
	ds_write_b8 v0, v3 offset:3072
; %bb.248:                              ;   in Loop: Header=BB6_32 Depth=1
	s_or_b64 exec, exec, s[6:7]
	v_cmp_gt_i64_e64 s[6:7], s[42:43], 0
	v_or_b32_e32 v44, s64, v44
	v_or_b32_e32 v46, s64, v46
	s_mov_b64 s[44:45], -1
	s_mov_b64 s[46:47], 0
	s_and_b64 vcc, exec, s[6:7]
	s_mov_b64 s[6:7], 0
	s_mov_b64 s[8:9], -1
	s_waitcnt lgkmcnt(0)
	s_barrier
                                        ; implicit-def: $vgpr47
	s_cbranch_vccnz .LBB6_265
; %bb.249:                              ;   in Loop: Header=BB6_32 Depth=1
	s_mov_b32 s94, s99
	s_cmp_lg_u64 s[94:95], 0
	s_cbranch_scc0 .LBB6_252
; %bb.250:                              ;   in Loop: Header=BB6_32 Depth=1
	s_add_u32 s6, s96, 0
	s_addc_u32 s7, 0, 0
	s_xor_b64 s[6:7], s[6:7], 0
	v_cvt_f32_u32_e32 v4, s6
	v_cvt_f32_u32_e32 v5, s7
	s_sub_u32 s12, 0, s6
	s_subb_u32 s13, 0, s7
	v_fmac_f32_e32 v4, 0x4f800000, v5
	v_rcp_f32_e32 v4, v4
	s_nop 0
	v_mul_f32_e32 v4, 0x5f7ffffc, v4
	v_mul_f32_e32 v5, 0x2f800000, v4
	v_trunc_f32_e32 v5, v5
	v_fmac_f32_e32 v4, 0xcf800000, v5
	v_cvt_u32_f32_e32 v5, v5
	v_cvt_u32_f32_e32 v4, v4
	v_readfirstlane_b32 s48, v5
	v_readfirstlane_b32 s8, v4
	s_mul_i32 s9, s12, s48
	s_mul_hi_u32 s50, s12, s8
	s_mul_i32 s49, s13, s8
	s_add_i32 s9, s50, s9
	s_mul_i32 s51, s12, s8
	s_add_i32 s9, s9, s49
	s_mul_i32 s50, s8, s9
	s_mul_hi_u32 s52, s8, s51
	s_mul_hi_u32 s49, s8, s9
	s_add_u32 s50, s52, s50
	s_addc_u32 s49, 0, s49
	s_mul_hi_u32 s53, s48, s51
	s_mul_i32 s51, s48, s51
	s_add_u32 s50, s50, s51
	s_mul_hi_u32 s52, s48, s9
	s_addc_u32 s49, s49, s53
	s_addc_u32 s50, s52, 0
	s_mul_i32 s9, s48, s9
	s_add_u32 s9, s49, s9
	s_addc_u32 s49, 0, s50
	s_add_u32 s50, s8, s9
	s_cselect_b64 s[8:9], -1, 0
	s_cmp_lg_u64 s[8:9], 0
	s_addc_u32 s48, s48, s49
	s_mul_i32 s8, s12, s48
	s_mul_hi_u32 s9, s12, s50
	s_add_i32 s8, s9, s8
	s_mul_i32 s13, s13, s50
	s_add_i32 s8, s8, s13
	s_mul_i32 s12, s12, s50
	s_mul_hi_u32 s13, s48, s12
	s_mul_i32 s49, s48, s12
	s_mul_i32 s52, s50, s8
	s_mul_hi_u32 s12, s50, s12
	s_mul_hi_u32 s51, s50, s8
	s_add_u32 s12, s12, s52
	s_addc_u32 s51, 0, s51
	s_add_u32 s12, s12, s49
	s_mul_hi_u32 s9, s48, s8
	s_addc_u32 s12, s51, s13
	s_addc_u32 s9, s9, 0
	s_mul_i32 s8, s48, s8
	s_add_u32 s8, s12, s8
	s_addc_u32 s12, 0, s9
	s_add_u32 s49, s50, s8
	s_cselect_b64 s[8:9], -1, 0
	s_cmp_lg_u64 s[8:9], 0
	s_addc_u32 s48, s48, s12
	s_ashr_i32 s8, s95, 31
	s_add_u32 s12, s88, s8
	s_mov_b32 s9, s8
	s_addc_u32 s13, s95, s8
	s_xor_b64 s[12:13], s[12:13], s[8:9]
	s_mul_i32 s51, s12, s48
	s_mul_hi_u32 s52, s12, s49
	s_mul_hi_u32 s50, s12, s48
	s_add_u32 s51, s52, s51
	s_addc_u32 s50, 0, s50
	s_mul_hi_u32 s53, s13, s49
	s_mul_i32 s49, s13, s49
	s_add_u32 s49, s51, s49
	s_mul_hi_u32 s52, s13, s48
	s_addc_u32 s49, s50, s53
	s_addc_u32 s50, s52, 0
	s_mul_i32 s48, s13, s48
	s_add_u32 s48, s49, s48
	s_addc_u32 s49, 0, s50
	s_mul_i32 s49, s6, s49
	s_mul_hi_u32 s50, s6, s48
	s_add_i32 s49, s50, s49
	s_mul_i32 s50, s7, s48
	s_add_i32 s52, s49, s50
	s_sub_i32 s50, s13, s52
	s_mul_i32 s48, s6, s48
	s_sub_u32 s12, s12, s48
	s_cselect_b64 s[48:49], -1, 0
	s_cmp_lg_u64 s[48:49], 0
	s_subb_u32 s53, s50, s7
	s_sub_u32 s54, s12, s6
	s_cselect_b64 s[50:51], -1, 0
	s_cmp_lg_u64 s[50:51], 0
	s_subb_u32 s55, s53, 0
	s_cmp_ge_u32 s55, s7
	s_cselect_b32 s65, -1, 0
	s_cmp_ge_u32 s54, s6
	s_cselect_b32 s66, -1, 0
	s_cmp_eq_u32 s55, s7
	s_cselect_b32 s65, s66, s65
	s_cmp_lg_u64 s[50:51], 0
	s_subb_u32 s53, s53, s7
	s_sub_u32 s66, s54, s6
	s_cselect_b64 s[50:51], -1, 0
	s_cmp_lg_u64 s[50:51], 0
	s_subb_u32 s50, s53, 0
	s_cmp_lg_u32 s65, 0
	s_cselect_b32 s51, s66, s54
	s_cselect_b32 s50, s50, s55
	s_cmp_lg_u64 s[48:49], 0
	s_subb_u32 s13, s13, s52
	s_cmp_ge_u32 s13, s7
	s_cselect_b32 s48, -1, 0
	s_cmp_ge_u32 s12, s6
	s_cselect_b32 s6, -1, 0
	s_cmp_eq_u32 s13, s7
	s_cselect_b32 s6, s6, s48
	s_cmp_lg_u32 s6, 0
	s_cselect_b32 s7, s50, s13
	s_cselect_b32 s6, s51, s12
	s_xor_b64 s[6:7], s[6:7], s[8:9]
	s_sub_u32 s6, s6, s8
	s_subb_u32 s7, s7, s8
	s_mov_b64 s[8:9], 0
	s_branch .LBB6_253
.LBB6_251:                              ;   in Loop: Header=BB6_32 Depth=1
                                        ; implicit-def: $sgpr12_sgpr13
	s_branch .LBB6_222
.LBB6_252:                              ;   in Loop: Header=BB6_32 Depth=1
                                        ; implicit-def: $sgpr6_sgpr7
.LBB6_253:                              ;   in Loop: Header=BB6_32 Depth=1
	s_andn2_b64 vcc, exec, s[8:9]
	v_readlane_b32 s73, v66, 1
	s_mov_b32 s58, 0xc0c0004
	v_readlane_b32 s72, v66, 2
	v_readlane_b32 s94, v66, 3
	s_cbranch_vccnz .LBB6_255
; %bb.254:                              ;   in Loop: Header=BB6_32 Depth=1
	v_cvt_f32_u32_e32 v4, s96
	s_sub_i32 s6, 0, s96
	v_rcp_iflag_f32_e32 v4, v4
	s_nop 0
	v_mul_f32_e32 v4, 0x4f7ffffe, v4
	v_cvt_u32_f32_e32 v4, v4
	s_nop 0
	v_readfirstlane_b32 s7, v4
	s_mul_i32 s6, s6, s7
	s_mul_hi_u32 s6, s7, s6
	s_add_i32 s7, s7, s6
	s_mul_hi_u32 s6, s88, s7
	s_mul_i32 s6, s6, s96
	s_sub_i32 s6, s88, s6
	s_sub_i32 s7, s6, s96
	s_cmp_ge_u32 s6, s96
	s_cselect_b32 s6, s7, s6
	s_sub_i32 s7, s6, s96
	s_cmp_ge_u32 s6, s96
	s_cselect_b32 s98, s7, s6
	s_mov_b64 s[6:7], s[98:99]
.LBB6_255:                              ;   in Loop: Header=BB6_32 Depth=1
	s_sub_u32 s48, s88, s6
	s_subb_u32 s49, s95, s7
	s_mov_b32 s65, s88
	v_cmp_gt_i64_e32 vcc, s[48:49], v[0:1]
	s_mov_b64 s[8:9], 0
	s_mov_b64 s[6:7], 0
                                        ; implicit-def: $vgpr47
	s_and_saveexec_b64 s[12:13], vcc
	s_cbranch_execz .LBB6_264
; %bb.256:                              ;   in Loop: Header=BB6_32 Depth=1
	v_mov_b64_e32 v[4:5], v[12:13]
	v_mov_b64_e32 v[8:9], v[0:1]
                                        ; implicit-def: $sgpr50_sgpr51
	s_branch .LBB6_259
.LBB6_257:                              ;   in Loop: Header=BB6_259 Depth=2
	s_or_b64 exec, exec, s[52:53]
	s_waitcnt lgkmcnt(0)
	s_barrier
	ds_read_u16 v10, v3 offset:3072
	s_mov_b64 s[52:53], -1
	s_waitcnt lgkmcnt(0)
	s_barrier
	v_cmp_ne_u32_sdwa s[54:55], v10, v3 src0_sel:BYTE_0 src1_sel:DWORD
	s_and_b64 vcc, exec, s[54:55]
	s_mov_b64 s[54:55], -1
	s_cbranch_vccz .LBB6_262
.LBB6_258:                              ;   in Loop: Header=BB6_259 Depth=2
	s_and_b64 s[52:53], exec, s[52:53]
	s_or_b64 s[6:7], s[52:53], s[6:7]
	s_andn2_b64 s[50:51], s[50:51], exec
	s_and_b64 s[52:53], s[54:55], exec
	s_or_b64 s[50:51], s[50:51], s[52:53]
	s_andn2_b64 exec, exec, s[6:7]
	s_cbranch_execz .LBB6_263
.LBB6_259:                              ;   Parent Loop BB6_32 Depth=1
                                        ; =>  This Inner Loop Header: Depth=2
	v_cmp_gt_i64_e32 vcc, s[56:57], v[8:9]
	s_and_saveexec_b64 s[52:53], vcc
	s_cbranch_execz .LBB6_257
; %bb.260:                              ;   in Loop: Header=BB6_259 Depth=2
	global_load_ubyte v10, v[4:5], off
	s_waitcnt vmcnt(0)
	v_bitop3_b32 v11, v10, s1, v46 bitop3:0x80
	v_cmp_eq_u32_e32 vcc, v11, v44
	s_and_b64 exec, exec, vcc
	s_cbranch_execz .LBB6_257
; %bb.261:                              ;   in Loop: Header=BB6_259 Depth=2
	v_lshlrev_b16_e32 v10, 8, v10
	v_or_b32_e32 v10, 1, v10
	ds_write_b16 v3, v10 offset:3072
	s_branch .LBB6_257
.LBB6_262:                              ;   in Loop: Header=BB6_259 Depth=2
	v_lshl_add_u64 v[8:9], v[8:9], 0, s[96:97]
	v_cmp_le_i64_e32 vcc, s[48:49], v[8:9]
	v_lshl_add_u64 v[4:5], v[4:5], 0, s[92:93]
	s_mov_b64 s[54:55], 0
	s_orn2_b64 s[52:53], vcc, exec
	s_branch .LBB6_258
.LBB6_263:                              ;   in Loop: Header=BB6_32 Depth=1
	s_or_b64 exec, exec, s[6:7]
	v_lshrrev_b32_sdwa v47, v45, v10 dst_sel:DWORD dst_unused:UNUSED_PAD src0_sel:DWORD src1_sel:WORD_0
	s_and_b64 s[6:7], s[50:51], exec
.LBB6_264:                              ;   in Loop: Header=BB6_32 Depth=1
	s_or_b64 exec, exec, s[12:13]
	v_readlane_b32 s54, v67, 59
	v_readlane_b32 s55, v67, 60
	v_readlane_b32 s53, v67, 61
	v_readlane_b32 s52, v67, 62
	v_readlane_b32 s48, v67, 63
	v_readlane_b32 s49, v66, 0
	s_mov_b32 s88, s65
.LBB6_265:                              ;   in Loop: Header=BB6_32 Depth=1
	s_and_b64 vcc, exec, s[8:9]
	s_cbranch_vccz .LBB6_279
; %bb.266:                              ;   in Loop: Header=BB6_32 Depth=1
	v_readlane_b32 s8, v67, 46
	s_add_u32 s46, s42, s8
	v_readlane_b32 s8, v67, 47
	s_addc_u32 s9, s43, s8
	s_mov_b32 s8, s99
	s_cmp_lg_u64 s[8:9], 0
	s_cbranch_scc0 .LBB6_299
; %bb.267:                              ;   in Loop: Header=BB6_32 Depth=1
	s_add_u32 s12, s96, 0
	s_addc_u32 s13, 0, 0
	s_xor_b64 s[12:13], s[12:13], 0
	v_cvt_f32_u32_e32 v4, s12
	v_cvt_f32_u32_e32 v5, s13
	s_sub_u32 s8, 0, s12
	s_subb_u32 s47, 0, s13
	v_fmac_f32_e32 v4, 0x4f800000, v5
	v_rcp_f32_e32 v4, v4
	s_nop 0
	v_mul_f32_e32 v4, 0x5f7ffffc, v4
	v_mul_f32_e32 v5, 0x2f800000, v4
	v_trunc_f32_e32 v5, v5
	v_fmac_f32_e32 v4, 0xcf800000, v5
	v_cvt_u32_f32_e32 v5, v5
	v_cvt_u32_f32_e32 v4, v4
	v_readfirstlane_b32 s48, v5
	v_readfirstlane_b32 s44, v4
	s_mul_i32 s45, s8, s48
	s_mul_hi_u32 s50, s8, s44
	s_mul_i32 s49, s47, s44
	s_add_i32 s45, s50, s45
	s_mul_i32 s51, s8, s44
	s_add_i32 s45, s45, s49
	s_mul_i32 s50, s44, s45
	s_mul_hi_u32 s52, s44, s51
	s_mul_hi_u32 s49, s44, s45
	s_add_u32 s50, s52, s50
	s_addc_u32 s49, 0, s49
	s_mul_hi_u32 s53, s48, s51
	s_mul_i32 s51, s48, s51
	s_add_u32 s50, s50, s51
	s_mul_hi_u32 s52, s48, s45
	s_addc_u32 s49, s49, s53
	s_addc_u32 s50, s52, 0
	s_mul_i32 s45, s48, s45
	s_add_u32 s45, s49, s45
	s_addc_u32 s49, 0, s50
	s_add_u32 s50, s44, s45
	s_cselect_b64 s[44:45], -1, 0
	s_cmp_lg_u64 s[44:45], 0
	s_addc_u32 s48, s48, s49
	s_mul_i32 s44, s8, s48
	s_mul_hi_u32 s45, s8, s50
	s_add_i32 s44, s45, s44
	s_mul_i32 s47, s47, s50
	s_add_i32 s44, s44, s47
	s_mul_i32 s8, s8, s50
	s_mul_hi_u32 s47, s48, s8
	s_mul_i32 s49, s48, s8
	s_mul_i32 s52, s50, s44
	s_mul_hi_u32 s8, s50, s8
	s_mul_hi_u32 s51, s50, s44
	s_add_u32 s8, s8, s52
	s_addc_u32 s51, 0, s51
	s_add_u32 s8, s8, s49
	s_mul_hi_u32 s45, s48, s44
	s_addc_u32 s8, s51, s47
	s_addc_u32 s45, s45, 0
	s_mul_i32 s44, s48, s44
	s_add_u32 s8, s8, s44
	s_addc_u32 s47, 0, s45
	s_add_u32 s8, s50, s8
	s_cselect_b64 s[44:45], -1, 0
	s_cmp_lg_u64 s[44:45], 0
	s_addc_u32 s47, s48, s47
	s_ashr_i32 s44, s9, 31
	s_add_u32 s48, s46, s44
	s_mov_b32 s45, s44
	s_addc_u32 s49, s9, s44
	s_xor_b64 s[48:49], s[48:49], s[44:45]
	s_mul_i32 s51, s48, s47
	s_mul_hi_u32 s52, s48, s8
	s_mul_hi_u32 s50, s48, s47
	s_add_u32 s51, s52, s51
	s_addc_u32 s50, 0, s50
	s_mul_hi_u32 s53, s49, s8
	s_mul_i32 s8, s49, s8
	s_add_u32 s8, s51, s8
	s_mul_hi_u32 s52, s49, s47
	s_addc_u32 s8, s50, s53
	s_addc_u32 s50, s52, 0
	s_mul_i32 s47, s49, s47
	s_add_u32 s8, s8, s47
	s_addc_u32 s47, 0, s50
	s_mul_i32 s47, s12, s47
	s_mul_hi_u32 s50, s12, s8
	s_add_i32 s47, s50, s47
	s_mul_i32 s50, s13, s8
	s_add_i32 s47, s47, s50
	s_sub_i32 s52, s49, s47
	s_mul_i32 s8, s12, s8
	s_sub_u32 s8, s48, s8
	s_cselect_b64 s[50:51], -1, 0
	s_cmp_lg_u64 s[50:51], 0
	s_subb_u32 s48, s52, s13
	s_sub_u32 s54, s8, s12
	s_cselect_b64 s[52:53], -1, 0
	s_cmp_lg_u64 s[52:53], 0
	s_subb_u32 s55, s48, 0
	s_cmp_ge_u32 s55, s13
	s_cselect_b32 s65, -1, 0
	s_cmp_ge_u32 s54, s12
	s_cselect_b32 s66, -1, 0
	s_cmp_eq_u32 s55, s13
	s_cselect_b32 s65, s66, s65
	s_cmp_lg_u64 s[52:53], 0
	s_subb_u32 s48, s48, s13
	s_sub_u32 s66, s54, s12
	s_cselect_b64 s[52:53], -1, 0
	s_cmp_lg_u64 s[52:53], 0
	s_subb_u32 s48, s48, 0
	s_cmp_lg_u32 s65, 0
	s_cselect_b32 s52, s66, s54
	s_cselect_b32 s48, s48, s55
	s_cmp_lg_u64 s[50:51], 0
	s_subb_u32 s47, s49, s47
	s_cmp_ge_u32 s47, s13
	s_cselect_b32 s49, -1, 0
	s_cmp_ge_u32 s8, s12
	s_cselect_b32 s12, -1, 0
	s_cmp_eq_u32 s47, s13
	s_cselect_b32 s12, s12, s49
	s_cmp_lg_u32 s12, 0
	s_cselect_b32 s13, s48, s47
	s_cselect_b32 s12, s52, s8
	s_xor_b64 s[12:13], s[12:13], s[44:45]
	v_readlane_b32 s54, v67, 59
	s_sub_u32 s12, s12, s44
	v_readlane_b32 s53, v67, 61
	v_readlane_b32 s55, v67, 60
	;; [unrolled: 1-line block ×5, first 2 shown]
	s_subb_u32 s13, s13, s44
	s_cbranch_execnz .LBB6_269
.LBB6_268:                              ;   in Loop: Header=BB6_32 Depth=1
	v_cvt_f32_u32_e32 v4, s96
	s_sub_i32 s8, 0, s96
	v_rcp_iflag_f32_e32 v4, v4
	s_nop 0
	v_mul_f32_e32 v4, 0x4f7ffffe, v4
	v_cvt_u32_f32_e32 v4, v4
	s_nop 0
	v_readfirstlane_b32 s12, v4
	s_mul_i32 s8, s8, s12
	s_mul_hi_u32 s8, s12, s8
	s_add_i32 s12, s12, s8
	s_mul_hi_u32 s8, s46, s12
	s_mul_i32 s8, s8, s96
	s_sub_i32 s8, s46, s8
	s_sub_i32 s12, s8, s96
	s_cmp_ge_u32 s8, s96
	s_cselect_b32 s8, s12, s8
	s_sub_i32 s12, s8, s96
	s_cmp_ge_u32 s8, s96
	s_cselect_b32 s98, s12, s8
	s_mov_b64 s[12:13], s[98:99]
.LBB6_269:                              ;   in Loop: Header=BB6_32 Depth=1
	s_sub_u32 s12, s46, s12
	s_subb_u32 s13, s9, s13
	v_cmp_gt_i64_e32 vcc, s[12:13], v[0:1]
                                        ; implicit-def: $vgpr47
	s_and_saveexec_b64 s[8:9], vcc
	s_cbranch_execz .LBB6_278
; %bb.270:                              ;   in Loop: Header=BB6_32 Depth=1
	s_mov_b64 s[44:45], 0
	v_mov_b32_e32 v8, v0
	v_mov_b64_e32 v[4:5], v[0:1]
                                        ; implicit-def: $sgpr46_sgpr47
	s_branch .LBB6_273
.LBB6_271:                              ;   in Loop: Header=BB6_273 Depth=2
	s_or_b64 exec, exec, s[48:49]
	s_waitcnt lgkmcnt(0)
	s_barrier
	ds_read_u16 v9, v3 offset:3072
	s_mov_b64 s[48:49], -1
	s_waitcnt lgkmcnt(0)
	s_barrier
	v_cmp_eq_u32_sdwa s[50:51], v9, v3 src0_sel:BYTE_0 src1_sel:DWORD
	s_and_b64 vcc, exec, s[50:51]
	s_mov_b64 s[50:51], -1
	s_cbranch_vccnz .LBB6_276
.LBB6_272:                              ;   in Loop: Header=BB6_273 Depth=2
	s_and_b64 s[48:49], exec, s[48:49]
	s_or_b64 s[44:45], s[48:49], s[44:45]
	s_andn2_b64 s[46:47], s[46:47], exec
	s_and_b64 s[48:49], s[50:51], exec
	s_or_b64 s[46:47], s[46:47], s[48:49]
	s_andn2_b64 exec, exec, s[44:45]
	s_cbranch_execz .LBB6_277
.LBB6_273:                              ;   Parent Loop BB6_32 Depth=1
                                        ; =>  This Inner Loop Header: Depth=2
	v_cmp_gt_u64_e32 vcc, s[42:43], v[4:5]
	s_and_saveexec_b64 s[48:49], vcc
	s_cbranch_execz .LBB6_271
; %bb.274:                              ;   in Loop: Header=BB6_273 Depth=2
	ds_read_u8 v9, v8
	s_waitcnt lgkmcnt(0)
	v_bitop3_b32 v10, v9, s1, v46 bitop3:0x80
	v_cmp_eq_u32_e32 vcc, v10, v44
	s_and_b64 exec, exec, vcc
	s_cbranch_execz .LBB6_271
; %bb.275:                              ;   in Loop: Header=BB6_273 Depth=2
	v_lshlrev_b16_e32 v9, 8, v9
	v_or_b32_e32 v9, 1, v9
	ds_write_b16 v3, v9 offset:3072
	s_branch .LBB6_271
.LBB6_276:                              ;   in Loop: Header=BB6_273 Depth=2
	v_lshl_add_u64 v[4:5], v[4:5], 0, s[96:97]
	v_cmp_le_i64_e32 vcc, s[12:13], v[4:5]
	v_add_u32_e32 v8, s96, v8
	s_mov_b64 s[50:51], 0
	s_orn2_b64 s[48:49], vcc, exec
	s_branch .LBB6_272
.LBB6_277:                              ;   in Loop: Header=BB6_32 Depth=1
	s_or_b64 exec, exec, s[44:45]
	s_andn2_b64 s[6:7], s[6:7], exec
	s_and_b64 s[12:13], s[46:47], exec
	v_lshrrev_b32_sdwa v47, v45, v9 dst_sel:DWORD dst_unused:UNUSED_PAD src0_sel:DWORD src1_sel:WORD_0
	s_or_b64 s[6:7], s[6:7], s[12:13]
	v_readlane_b32 s48, v67, 63
	v_readlane_b32 s49, v66, 0
.LBB6_278:                              ;   in Loop: Header=BB6_32 Depth=1
	s_or_b64 exec, exec, s[8:9]
	s_mov_b64 s[44:45], 0
	s_mov_b64 s[46:47], -1
.LBB6_279:                              ;   in Loop: Header=BB6_32 Depth=1
	s_orn2_b64 s[8:9], s[6:7], exec
.LBB6_280:                              ;   in Loop: Header=BB6_32 Depth=1
	s_or_b64 exec, exec, s[40:41]
	s_mov_b64 s[12:13], 0
	s_and_saveexec_b64 s[6:7], s[8:9]
	s_cbranch_execz .LBB6_291
; %bb.281:                              ;   in Loop: Header=BB6_32 Depth=1
	s_xor_b64 s[12:13], s[38:39], -1
	v_mov_b64_e32 v[4:5], 1
	v_mov_b32_e32 v2, 1
	s_and_saveexec_b64 s[8:9], s[12:13]
	s_cbranch_execz .LBB6_290
; %bb.282:                              ;   in Loop: Header=BB6_32 Depth=1
	v_cmp_ge_i64_e32 vcc, s[14:15], v[6:7]
	s_and_saveexec_b64 s[12:13], vcc
	s_xor_b64 s[12:13], exec, s[12:13]
	s_cbranch_execz .LBB6_287
; %bb.283:                              ;   in Loop: Header=BB6_32 Depth=1
	ds_read_b64 v[4:5], v3 offset:5120
	v_or_b32_e32 v44, s64, v44
	v_or_b32_e32 v46, s64, v46
	s_waitcnt lgkmcnt(0)
	v_cmp_ne_u64_e32 vcc, 0, v[4:5]
	s_cbranch_vccnz .LBB6_287
; %bb.284:                              ;   in Loop: Header=BB6_32 Depth=1
	s_mov_b64 s[38:39], exec
	v_readlane_b32 s40, v67, 32
	v_readlane_b32 s41, v67, 33
	s_and_b64 s[40:41], s[38:39], s[40:41]
	s_mov_b64 exec, s[40:41]
; %bb.285:                              ;   in Loop: Header=BB6_32 Depth=1
	v_mov_b64_e32 v[4:5], s[14:15]
	ds_write_b64 v3, v[4:5] offset:5128
; %bb.286:                              ;   in Loop: Header=BB6_32 Depth=1
	s_or_b64 exec, exec, s[38:39]
	s_waitcnt lgkmcnt(0)
	s_barrier
.LBB6_287:                              ;   in Loop: Header=BB6_32 Depth=1
	s_andn2_saveexec_b64 s[12:13], s[12:13]
; %bb.288:                              ;   in Loop: Header=BB6_32 Depth=1
	v_mov_b32_e32 v2, s15
	v_subrev_co_u32_e32 v6, vcc, s14, v6
	s_nop 1
	v_subb_co_u32_e32 v7, vcc, v7, v2, vcc
; %bb.289:                              ;   in Loop: Header=BB6_32 Depth=1
	s_or_b64 exec, exec, s[12:13]
	v_mov_b32_e32 v2, 8
	v_mov_b64_e32 v[4:5], v[6:7]
.LBB6_290:                              ;   in Loop: Header=BB6_32 Depth=1
	s_or_b64 exec, exec, s[8:9]
	s_mov_b64 s[12:13], exec
	v_mov_b64_e32 v[6:7], v[4:5]
.LBB6_291:                              ;   in Loop: Header=BB6_32 Depth=1
	s_or_b64 exec, exec, s[6:7]
	s_orn2_b64 s[6:7], s[12:13], exec
.LBB6_292:                              ;   in Loop: Header=BB6_32 Depth=1
	s_or_b64 exec, exec, s[22:23]
	s_andn2_b64 s[8:9], s[34:35], exec
	s_and_b64 s[12:13], s[46:47], exec
	s_or_b64 s[34:35], s[8:9], s[12:13]
	s_andn2_b64 s[8:9], s[30:31], exec
	s_and_b64 s[12:13], s[44:45], exec
	s_or_b64 s[30:31], s[8:9], s[12:13]
	s_and_b64 s[8:9], s[6:7], exec
	v_mov_b64_e32 v[4:5], v[6:7]
.LBB6_293:                              ;   in Loop: Header=BB6_32 Depth=1
	s_or_b64 exec, exec, s[36:37]
	s_orn2_b64 s[6:7], s[8:9], exec
.LBB6_294:                              ;   in Loop: Header=BB6_32 Depth=1
	s_or_b64 exec, exec, s[28:29]
	s_andn2_b64 s[8:9], s[24:25], exec
	s_and_b64 s[12:13], s[34:35], exec
	s_or_b64 s[24:25], s[8:9], s[12:13]
	s_andn2_b64 s[2:3], s[2:3], exec
	s_and_b64 s[8:9], s[30:31], exec
	s_or_b64 s[2:3], s[2:3], s[8:9]
	s_and_b64 s[8:9], s[6:7], exec
	v_mov_b64_e32 v[8:9], v[4:5]
.LBB6_295:                              ;   in Loop: Header=BB6_32 Depth=1
	s_or_b64 exec, exec, s[26:27]
	s_orn2_b64 s[6:7], s[8:9], exec
.LBB6_296:                              ;   in Loop: Header=BB6_32 Depth=1
	s_or_b64 exec, exec, s[20:21]
	s_mov_b64 s[8:9], 0
	s_and_saveexec_b64 s[12:13], s[6:7]
	s_xor_b64 s[6:7], exec, s[12:13]
	s_cbranch_execz .LBB6_30
; %bb.297:                              ;   in Loop: Header=BB6_32 Depth=1
	v_and_b32_e32 v2, 7, v2
	v_cmp_eq_u32_e32 vcc, 0, v2
	s_mov_b64 s[12:13], -1
	s_mov_b64 s[8:9], -1
	s_and_saveexec_b64 s[14:15], vcc
	s_cbranch_execz .LBB6_29
; %bb.298:                              ;   in Loop: Header=BB6_32 Depth=1
	s_xor_b32 s59, s59, 1
	s_add_i32 s18, s0, -2
	s_cmp_eq_u32 s0, 0
	s_cselect_b64 s[12:13], -1, 0
	s_xor_b64 s[8:9], exec, -1
	s_orn2_b64 s[12:13], s[12:13], exec
	s_mov_b32 s0, s18
	s_branch .LBB6_29
.LBB6_299:                              ;   in Loop: Header=BB6_32 Depth=1
                                        ; implicit-def: $sgpr12_sgpr13
	s_branch .LBB6_268
.LBB6_300:
	s_or_b64 exec, exec, s[82:83]
	s_xor_b64 s[6:7], s[86:87], -1
	s_xor_b64 s[0:1], s[68:69], -1
	;; [unrolled: 1-line block ×3, first 2 shown]
	s_mov_b64 s[2:3], 0
	s_and_saveexec_b64 s[8:9], s[0:1]
	s_xor_b64 s[0:1], exec, s[8:9]
	s_cbranch_execnz .LBB6_305
; %bb.301:
	s_andn2_saveexec_b64 s[0:1], s[0:1]
	s_cbranch_execnz .LBB6_327
.LBB6_302:
	s_or_b64 exec, exec, s[0:1]
	s_and_saveexec_b64 s[0:1], s[2:3]
.LBB6_303:
	; divergent unreachable
.LBB6_304:
	s_endpgm
.LBB6_305:
	s_and_saveexec_b64 s[2:3], s[6:7]
	s_xor_b64 s[2:3], exec, s[2:3]
	s_cbranch_execz .LBB6_325
; %bb.306:
	s_and_saveexec_b64 s[6:7], s[4:5]
	s_xor_b64 s[4:5], exec, s[6:7]
; %bb.307:
	v_mov_b32_e32 v47, v44
; %bb.308:
	s_or_b64 exec, exec, s[4:5]
	s_mov_b64 s[4:5], exec
	v_readlane_b32 s6, v67, 32
	v_readlane_b32 s7, v67, 33
	;; [unrolled: 1-line block ×3, first 2 shown]
	s_and_b64 s[6:7], s[4:5], s[6:7]
	v_readlane_b32 s24, v67, 34
	v_readlane_b32 s29, v67, 9
	;; [unrolled: 1-line block ×5, first 2 shown]
	s_mov_b64 exec, s[6:7]
; %bb.309:
	v_mov_b32_e32 v2, 0
	v_mov_b32_e32 v3, s56
	ds_write_b32 v2, v3 offset:5140
; %bb.310:
	s_or_b64 exec, exec, s[4:5]
	s_waitcnt lgkmcnt(0)
	s_barrier
	s_mov_b64 s[4:5], exec
	v_readlane_b32 s6, v67, 42
	v_readlane_b32 s7, v67, 43
	s_and_b64 s[6:7], s[4:5], s[6:7]
	s_mov_b64 exec, s[6:7]
	s_cbranch_execz .LBB6_322
; %bb.311:
	v_mov_b32_e32 v2, 0
	ds_read_b32 v4, v2 offset:5140
	s_mov_b64 s[6:7], 0
                                        ; implicit-def: $sgpr8_sgpr9
                                        ; implicit-def: $sgpr10_sgpr11
                                        ; implicit-def: $sgpr12_sgpr13
	s_waitcnt lgkmcnt(0)
	v_ashrrev_i32_e32 v5, 31, v4
	s_branch .LBB6_314
.LBB6_312:                              ;   in Loop: Header=BB6_314 Depth=1
	s_or_b64 exec, exec, s[20:21]
	s_andn2_b64 s[12:13], s[12:13], exec
	s_and_b64 s[18:19], s[18:19], exec
	s_andn2_b64 s[10:11], s[10:11], exec
	s_and_b64 s[16:17], s[16:17], exec
	s_or_b64 s[12:13], s[12:13], s[18:19]
	s_or_b64 s[10:11], s[10:11], s[16:17]
.LBB6_313:                              ;   in Loop: Header=BB6_314 Depth=1
	s_or_b64 exec, exec, s[14:15]
	s_and_b64 s[14:15], exec, s[10:11]
	s_or_b64 s[6:7], s[14:15], s[6:7]
	s_andn2_b64 s[8:9], s[8:9], exec
	s_and_b64 s[14:15], s[12:13], exec
	s_or_b64 s[8:9], s[8:9], s[14:15]
	s_andn2_b64 exec, exec, s[6:7]
	s_cbranch_execz .LBB6_317
.LBB6_314:                              ; =>This Inner Loop Header: Depth=1
	v_mov_b64_e32 v[2:3], v[0:1]
	v_cmp_lt_i64_e32 vcc, v[2:3], v[4:5]
	s_or_b64 s[12:13], s[12:13], exec
	s_or_b64 s[10:11], s[10:11], exec
                                        ; implicit-def: $vgpr0_vgpr1
	s_and_saveexec_b64 s[14:15], vcc
	s_cbranch_execz .LBB6_313
; %bb.315:                              ;   in Loop: Header=BB6_314 Depth=1
	global_load_ubyte v0, v[12:13], off
	s_mov_b64 s[16:17], -1
	s_mov_b64 s[18:19], 0
	s_waitcnt vmcnt(0)
	v_cmp_ne_u16_sdwa s[22:23], v0, v47 src0_sel:DWORD src1_sel:BYTE_0
                                        ; implicit-def: $vgpr0_vgpr1
	s_and_saveexec_b64 s[20:21], s[22:23]
	s_cbranch_execz .LBB6_312
; %bb.316:                              ;   in Loop: Header=BB6_314 Depth=1
	v_lshl_add_u64 v[0:1], v[2:3], 0, s[96:97]
	v_cmp_le_i64_e32 vcc, s[56:57], v[0:1]
	s_mov_b64 s[18:19], exec
	v_lshl_add_u64 v[12:13], v[12:13], 0, s[92:93]
	s_orn2_b64 s[16:17], vcc, exec
	s_branch .LBB6_312
.LBB6_317:
	s_or_b64 exec, exec, s[6:7]
	s_xor_b64 s[6:7], s[8:9], -1
	s_and_saveexec_b64 s[8:9], s[6:7]
	s_xor_b64 s[8:9], exec, s[8:9]
	s_cbranch_execz .LBB6_322
; %bb.318:
	s_mov_b64 s[6:7], exec
	s_brev_b32 s8, -2
.LBB6_319:                              ; =>This Inner Loop Header: Depth=1
	s_ff1_i32_b64 s9, s[6:7]
	v_readlane_b32 s12, v2, s9
	s_lshl_b64 s[10:11], 1, s9
	s_min_i32 s8, s8, s12
	s_andn2_b64 s[6:7], s[6:7], s[10:11]
	s_cmp_lg_u64 s[6:7], 0
	s_cbranch_scc1 .LBB6_319
; %bb.320:
	v_mbcnt_lo_u32_b32 v0, exec_lo, 0
	v_mbcnt_hi_u32_b32 v0, exec_hi, v0
	v_cmp_eq_u32_e32 vcc, 0, v0
	s_and_saveexec_b64 s[6:7], vcc
	s_xor_b64 s[6:7], exec, s[6:7]
; %bb.321:
	v_mov_b32_e32 v0, 0
	v_mov_b32_e32 v1, s8
	ds_min_i32 v0, v1 offset:5140
.LBB6_322:
	s_or_b64 exec, exec, s[4:5]
	s_waitcnt lgkmcnt(0)
	s_barrier
	s_mov_b64 s[4:5], exec
	v_readlane_b32 s6, v67, 32
	v_readlane_b32 s7, v67, 33
	s_and_b64 s[6:7], s[4:5], s[6:7]
	s_mov_b64 exec, s[6:7]
	s_cbranch_execz .LBB6_324
; %bb.323:
	v_readlane_b32 s22, v67, 12
	v_readlane_b32 s23, v67, 13
	s_mul_i32 s6, s22, s31
	s_mul_hi_u32 s7, s22, s30
	s_add_i32 s6, s7, s6
	s_mul_i32 s7, s23, s30
	s_add_i32 s6, s6, s7
	s_mul_i32 s7, s22, s30
	v_readlane_b32 s10, v67, 14
	s_sub_u32 s8, s24, s7
	v_readlane_b32 s11, v67, 15
	s_subb_u32 s6, 0, s6
	s_mul_i32 s7, s8, s11
	s_mul_hi_u32 s9, s8, s10
	v_readlane_b32 s16, v67, 0
	s_add_i32 s7, s9, s7
	s_mul_i32 s6, s6, s10
	v_readlane_b32 s17, v67, 1
	v_readlane_b32 s20, v67, 6
	s_add_i32 s7, s7, s6
	s_mul_i32 s6, s8, s10
	v_readlane_b32 s21, v67, 7
	s_mul_i32 s8, s20, s17
	s_mul_hi_u32 s9, s20, s16
	s_add_i32 s8, s9, s8
	s_mul_i32 s9, s21, s16
	s_add_i32 s8, s8, s9
	s_mul_i32 s9, s20, s16
	v_readlane_b32 s16, v67, 4
	v_readlane_b32 s36, v67, 22
	;; [unrolled: 1-line block ×3, first 2 shown]
	s_sub_u32 s9, s16, s9
	v_readlane_b32 s38, v67, 24
	v_readlane_b32 s39, v67, 25
	s_subb_u32 s8, s17, s8
	s_mul_i32 s10, s9, s39
	s_mul_hi_u32 s11, s9, s38
	v_readlane_b32 s37, v67, 23
	s_add_i32 s10, s11, s10
	s_mul_i32 s8, s8, s38
	s_add_i32 s12, s10, s8
	s_mul_i32 s13, s9, s38
	s_mul_i32 s8, s20, s37
	s_mul_hi_u32 s9, s20, s36
	v_readlane_b32 s18, v67, 2
	v_readlane_b32 s19, v67, 3
	s_add_i32 s8, s9, s8
	s_mul_i32 s9, s21, s36
	s_add_i32 s14, s8, s9
	s_mul_i32 s8, s16, s19
	s_mul_hi_u32 s9, s16, s18
	s_add_i32 s8, s9, s8
	s_mul_i32 s9, s17, s18
	s_add_i32 s8, s8, s9
	s_mul_i32 s9, s16, s18
	v_readlane_b32 s18, v67, 20
	s_sub_u32 s9, s24, s9
	v_readlane_b32 s19, v67, 21
	s_subb_u32 s8, 0, s8
	s_mul_i32 s10, s9, s19
	s_mul_hi_u32 s11, s9, s18
	s_add_i32 s10, s11, s10
	s_mul_i32 s8, s8, s18
	s_mul_i32 s17, s9, s18
	v_readlane_b32 s18, v67, 26
	s_add_i32 s16, s10, s8
	v_readlane_b32 s19, v67, 27
	s_mul_i32 s8, s18, s29
	s_mul_hi_u32 s9, s18, s28
	s_add_i32 s8, s9, s8
	s_mul_i32 s9, s19, s28
	s_add_i32 s8, s8, s9
	s_mul_i32 s9, s18, s28
	s_sub_u32 s10, s22, s9
	s_mul_i32 s15, s20, s36
	s_subb_u32 s8, s23, s8
	v_readlane_b32 s20, v67, 16
	v_readlane_b32 s22, v67, 18
	;; [unrolled: 1-line block ×3, first 2 shown]
	s_mul_i32 s9, s10, s23
	s_mul_hi_u32 s11, s10, s22
	v_readlane_b32 s21, v67, 17
	s_add_i32 s9, s11, s9
	s_mul_i32 s8, s8, s22
	s_add_i32 s9, s9, s8
	s_mul_i32 s8, s10, s22
	s_mul_i32 s10, s18, s21
	s_mul_hi_u32 s11, s18, s20
	s_add_i32 s10, s11, s10
	s_mul_i32 s11, s19, s20
	s_add_i32 s11, s10, s11
	s_mul_i32 s10, s18, s20
	v_readlane_b32 s18, v67, 30
	v_readlane_b32 s19, v67, 31
	s_add_u32 s15, s18, s15
	s_addc_u32 s14, s19, s14
	s_add_u32 s13, s15, s13
	s_addc_u32 s14, s14, s12
	;; [unrolled: 2-line block ×3, first 2 shown]
	s_lshl_b64 s[10:11], s[10:11], 3
	v_readlane_b32 s14, v67, 28
	v_mov_b32_e32 v2, 0
	v_readlane_b32 s15, v67, 29
	s_add_u32 s10, s14, s10
	ds_read_b32 v0, v2 offset:5140
	s_addc_u32 s11, s15, s11
	s_lshl_b64 s[8:9], s[8:9], 3
	s_add_u32 s8, s10, s8
	s_addc_u32 s9, s11, s9
	s_lshl_b64 s[6:7], s[6:7], 3
	s_add_u32 s6, s8, s6
	s_addc_u32 s7, s9, s7
	s_waitcnt lgkmcnt(0)
	v_ashrrev_i32_e32 v1, 31, v0
	global_store_dwordx2 v2, v[0:1], s[6:7]
	global_store_byte v2, v47, s[12:13]
.LBB6_324:
	s_or_b64 exec, exec, s[4:5]
.LBB6_325:
	s_or_saveexec_b64 s[2:3], s[2:3]
	s_mov_b64 s[4:5], 0
	s_xor_b64 exec, exec, s[2:3]
	s_cbranch_execnz .LBB6_328
.LBB6_326:
	s_or_b64 exec, exec, s[2:3]
	s_and_b64 s[2:3], s[4:5], exec
	s_andn2_saveexec_b64 s[0:1], s[0:1]
	s_cbranch_execz .LBB6_302
.LBB6_327:
	s_or_b64 s[2:3], s[2:3], exec
	s_trap 2
	s_or_b64 exec, exec, s[0:1]
	s_and_saveexec_b64 s[0:1], s[2:3]
	s_cbranch_execnz .LBB6_303
	s_branch .LBB6_304
.LBB6_328:
	s_mov_b64 s[4:5], exec
	s_trap 2
	s_branch .LBB6_326
	.section	.rodata,"a",@progbits
	.p2align	6, 0x0
	.amdhsa_kernel _ZN2at6native12_GLOBAL__N_114gatherKthValueIhlLi3EEEvNS_4cuda6detail10TensorInfoIKT_T0_EES8_S8_S8_S8_NS5_IS6_S8_EENS5_IlS8_EE
		.amdhsa_group_segment_fixed_size 5144
		.amdhsa_private_segment_fixed_size 0
		.amdhsa_kernarg_size 1536
		.amdhsa_user_sgpr_count 2
		.amdhsa_user_sgpr_dispatch_ptr 0
		.amdhsa_user_sgpr_queue_ptr 0
		.amdhsa_user_sgpr_kernarg_segment_ptr 1
		.amdhsa_user_sgpr_dispatch_id 0
		.amdhsa_user_sgpr_kernarg_preload_length 0
		.amdhsa_user_sgpr_kernarg_preload_offset 0
		.amdhsa_user_sgpr_private_segment_size 0
		.amdhsa_uses_dynamic_stack 0
		.amdhsa_enable_private_segment 0
		.amdhsa_system_sgpr_workgroup_id_x 1
		.amdhsa_system_sgpr_workgroup_id_y 1
		.amdhsa_system_sgpr_workgroup_id_z 1
		.amdhsa_system_sgpr_workgroup_info 0
		.amdhsa_system_vgpr_workitem_id 0
		.amdhsa_next_free_vgpr 68
		.amdhsa_next_free_sgpr 100
		.amdhsa_accum_offset 68
		.amdhsa_reserve_vcc 1
		.amdhsa_float_round_mode_32 0
		.amdhsa_float_round_mode_16_64 0
		.amdhsa_float_denorm_mode_32 3
		.amdhsa_float_denorm_mode_16_64 3
		.amdhsa_dx10_clamp 1
		.amdhsa_ieee_mode 1
		.amdhsa_fp16_overflow 0
		.amdhsa_tg_split 0
		.amdhsa_exception_fp_ieee_invalid_op 0
		.amdhsa_exception_fp_denorm_src 0
		.amdhsa_exception_fp_ieee_div_zero 0
		.amdhsa_exception_fp_ieee_overflow 0
		.amdhsa_exception_fp_ieee_underflow 0
		.amdhsa_exception_fp_ieee_inexact 0
		.amdhsa_exception_int_div_zero 0
	.end_amdhsa_kernel
	.section	.text._ZN2at6native12_GLOBAL__N_114gatherKthValueIhlLi3EEEvNS_4cuda6detail10TensorInfoIKT_T0_EES8_S8_S8_S8_NS5_IS6_S8_EENS5_IlS8_EE,"axG",@progbits,_ZN2at6native12_GLOBAL__N_114gatherKthValueIhlLi3EEEvNS_4cuda6detail10TensorInfoIKT_T0_EES8_S8_S8_S8_NS5_IS6_S8_EENS5_IlS8_EE,comdat
.Lfunc_end6:
	.size	_ZN2at6native12_GLOBAL__N_114gatherKthValueIhlLi3EEEvNS_4cuda6detail10TensorInfoIKT_T0_EES8_S8_S8_S8_NS5_IS6_S8_EENS5_IlS8_EE, .Lfunc_end6-_ZN2at6native12_GLOBAL__N_114gatherKthValueIhlLi3EEEvNS_4cuda6detail10TensorInfoIKT_T0_EES8_S8_S8_S8_NS5_IS6_S8_EENS5_IlS8_EE
                                        ; -- End function
	.set _ZN2at6native12_GLOBAL__N_114gatherKthValueIhlLi3EEEvNS_4cuda6detail10TensorInfoIKT_T0_EES8_S8_S8_S8_NS5_IS6_S8_EENS5_IlS8_EE.num_vgpr, 68
	.set _ZN2at6native12_GLOBAL__N_114gatherKthValueIhlLi3EEEvNS_4cuda6detail10TensorInfoIKT_T0_EES8_S8_S8_S8_NS5_IS6_S8_EENS5_IlS8_EE.num_agpr, 0
	.set _ZN2at6native12_GLOBAL__N_114gatherKthValueIhlLi3EEEvNS_4cuda6detail10TensorInfoIKT_T0_EES8_S8_S8_S8_NS5_IS6_S8_EENS5_IlS8_EE.numbered_sgpr, 100
	.set _ZN2at6native12_GLOBAL__N_114gatherKthValueIhlLi3EEEvNS_4cuda6detail10TensorInfoIKT_T0_EES8_S8_S8_S8_NS5_IS6_S8_EENS5_IlS8_EE.num_named_barrier, 0
	.set _ZN2at6native12_GLOBAL__N_114gatherKthValueIhlLi3EEEvNS_4cuda6detail10TensorInfoIKT_T0_EES8_S8_S8_S8_NS5_IS6_S8_EENS5_IlS8_EE.private_seg_size, 0
	.set _ZN2at6native12_GLOBAL__N_114gatherKthValueIhlLi3EEEvNS_4cuda6detail10TensorInfoIKT_T0_EES8_S8_S8_S8_NS5_IS6_S8_EENS5_IlS8_EE.uses_vcc, 1
	.set _ZN2at6native12_GLOBAL__N_114gatherKthValueIhlLi3EEEvNS_4cuda6detail10TensorInfoIKT_T0_EES8_S8_S8_S8_NS5_IS6_S8_EENS5_IlS8_EE.uses_flat_scratch, 0
	.set _ZN2at6native12_GLOBAL__N_114gatherKthValueIhlLi3EEEvNS_4cuda6detail10TensorInfoIKT_T0_EES8_S8_S8_S8_NS5_IS6_S8_EENS5_IlS8_EE.has_dyn_sized_stack, 0
	.set _ZN2at6native12_GLOBAL__N_114gatherKthValueIhlLi3EEEvNS_4cuda6detail10TensorInfoIKT_T0_EES8_S8_S8_S8_NS5_IS6_S8_EENS5_IlS8_EE.has_recursion, 0
	.set _ZN2at6native12_GLOBAL__N_114gatherKthValueIhlLi3EEEvNS_4cuda6detail10TensorInfoIKT_T0_EES8_S8_S8_S8_NS5_IS6_S8_EENS5_IlS8_EE.has_indirect_call, 0
	.section	.AMDGPU.csdata,"",@progbits
; Kernel info:
; codeLenInByte = 21716
; TotalNumSgprs: 106
; NumVgprs: 68
; NumAgprs: 0
; TotalNumVgprs: 68
; ScratchSize: 0
; MemoryBound: 0
; FloatMode: 240
; IeeeMode: 1
; LDSByteSize: 5144 bytes/workgroup (compile time only)
; SGPRBlocks: 13
; VGPRBlocks: 8
; NumSGPRsForWavesPerEU: 106
; NumVGPRsForWavesPerEU: 68
; AccumOffset: 68
; Occupancy: 7
; WaveLimiterHint : 1
; COMPUTE_PGM_RSRC2:SCRATCH_EN: 0
; COMPUTE_PGM_RSRC2:USER_SGPR: 2
; COMPUTE_PGM_RSRC2:TRAP_HANDLER: 0
; COMPUTE_PGM_RSRC2:TGID_X_EN: 1
; COMPUTE_PGM_RSRC2:TGID_Y_EN: 1
; COMPUTE_PGM_RSRC2:TGID_Z_EN: 1
; COMPUTE_PGM_RSRC2:TIDIG_COMP_CNT: 0
; COMPUTE_PGM_RSRC3_GFX90A:ACCUM_OFFSET: 16
; COMPUTE_PGM_RSRC3_GFX90A:TG_SPLIT: 0
	.section	.text._ZN2at6native12_GLOBAL__N_114gatherKthValueIhlLin1EEEvNS_4cuda6detail10TensorInfoIKT_T0_EES8_S8_S8_S8_NS5_IS6_S8_EENS5_IlS8_EE,"axG",@progbits,_ZN2at6native12_GLOBAL__N_114gatherKthValueIhlLin1EEEvNS_4cuda6detail10TensorInfoIKT_T0_EES8_S8_S8_S8_NS5_IS6_S8_EENS5_IlS8_EE,comdat
	.globl	_ZN2at6native12_GLOBAL__N_114gatherKthValueIhlLin1EEEvNS_4cuda6detail10TensorInfoIKT_T0_EES8_S8_S8_S8_NS5_IS6_S8_EENS5_IlS8_EE ; -- Begin function _ZN2at6native12_GLOBAL__N_114gatherKthValueIhlLin1EEEvNS_4cuda6detail10TensorInfoIKT_T0_EES8_S8_S8_S8_NS5_IS6_S8_EENS5_IlS8_EE
	.p2align	8
	.type	_ZN2at6native12_GLOBAL__N_114gatherKthValueIhlLin1EEEvNS_4cuda6detail10TensorInfoIKT_T0_EES8_S8_S8_S8_NS5_IS6_S8_EENS5_IlS8_EE,@function
_ZN2at6native12_GLOBAL__N_114gatherKthValueIhlLin1EEEvNS_4cuda6detail10TensorInfoIKT_T0_EES8_S8_S8_S8_NS5_IS6_S8_EENS5_IlS8_EE: ; @_ZN2at6native12_GLOBAL__N_114gatherKthValueIhlLin1EEEvNS_4cuda6detail10TensorInfoIKT_T0_EES8_S8_S8_S8_NS5_IS6_S8_EENS5_IlS8_EE
; %bb.0:
	s_load_dwordx2 s[14:15], s[0:1], 0x500
	s_load_dwordx8 s[56:63], s[0:1], 0x1a0
	s_add_u32 s12, s0, 0x500
	s_addc_u32 s13, s1, 0
	s_mov_b32 s5, 0
	s_waitcnt lgkmcnt(0)
	s_mul_i32 s4, s15, s4
	s_add_i32 s3, s4, s3
	s_mul_i32 s3, s3, s14
	s_add_i32 s4, s3, s2
	v_mov_b64_e32 v[2:3], s[4:5]
	v_cmp_le_i64_e32 vcc, s[60:61], v[2:3]
	s_cbranch_vccnz .LBB7_303
; %bb.1:
	s_load_dword s8, s[0:1], 0x198
	s_mov_b64 s[10:11], 0
	s_mov_b64 s[6:7], s[4:5]
	s_waitcnt lgkmcnt(0)
	s_cmp_lt_i32 s8, 2
	s_cbranch_scc1 .LBB7_9
; %bb.2:
	s_add_i32 s3, s8, 1
	s_add_i32 s6, s8, -1
	s_mov_b32 s8, 0
	s_mov_b32 s7, s8
	s_lshl_b64 s[6:7], s[6:7], 3
	s_add_u32 s6, s0, s6
	s_addc_u32 s7, s1, s7
	s_add_u32 s16, s6, 8
	s_addc_u32 s17, s7, 0
	s_mov_b64 s[18:19], s[4:5]
.LBB7_3:                                ; =>This Inner Loop Header: Depth=1
	s_load_dwordx2 s[20:21], s[16:17], 0x0
	s_waitcnt lgkmcnt(0)
	s_or_b64 s[6:7], s[18:19], s[20:21]
	s_mov_b32 s9, s7
	s_cmp_lg_u64 s[8:9], 0
	s_cbranch_scc0 .LBB7_8
; %bb.4:                                ;   in Loop: Header=BB7_3 Depth=1
	s_ashr_i32 s6, s21, 31
	s_add_u32 s22, s20, s6
	s_mov_b32 s7, s6
	s_addc_u32 s23, s21, s6
	s_xor_b64 s[22:23], s[22:23], s[6:7]
	v_cvt_f32_u32_e32 v1, s22
	v_cvt_f32_u32_e32 v2, s23
	s_sub_u32 s9, 0, s22
	s_subb_u32 s15, 0, s23
	v_fmac_f32_e32 v1, 0x4f800000, v2
	v_rcp_f32_e32 v1, v1
	s_nop 0
	v_mul_f32_e32 v1, 0x5f7ffffc, v1
	v_mul_f32_e32 v2, 0x2f800000, v1
	v_trunc_f32_e32 v2, v2
	v_fmac_f32_e32 v1, 0xcf800000, v2
	v_cvt_u32_f32_e32 v2, v2
	v_cvt_u32_f32_e32 v1, v1
	v_readfirstlane_b32 s26, v2
	v_readfirstlane_b32 s24, v1
	s_mul_i32 s25, s9, s26
	s_mul_hi_u32 s28, s9, s24
	s_mul_i32 s27, s15, s24
	s_add_i32 s25, s28, s25
	s_add_i32 s25, s25, s27
	s_mul_i32 s29, s9, s24
	s_mul_i32 s28, s24, s25
	s_mul_hi_u32 s30, s24, s29
	s_mul_hi_u32 s27, s24, s25
	s_add_u32 s28, s30, s28
	s_addc_u32 s27, 0, s27
	s_mul_hi_u32 s31, s26, s29
	s_mul_i32 s29, s26, s29
	s_add_u32 s28, s28, s29
	s_mul_hi_u32 s30, s26, s25
	s_addc_u32 s27, s27, s31
	s_addc_u32 s28, s30, 0
	s_mul_i32 s25, s26, s25
	s_add_u32 s25, s27, s25
	s_addc_u32 s27, 0, s28
	s_add_u32 s28, s24, s25
	s_cselect_b64 s[24:25], -1, 0
	s_cmp_lg_u64 s[24:25], 0
	s_addc_u32 s26, s26, s27
	s_mul_i32 s24, s9, s26
	s_mul_hi_u32 s25, s9, s28
	s_add_i32 s24, s25, s24
	s_mul_i32 s15, s15, s28
	s_add_i32 s24, s24, s15
	s_mul_i32 s9, s9, s28
	s_mul_hi_u32 s25, s26, s9
	s_mul_i32 s27, s26, s9
	s_mul_i32 s30, s28, s24
	s_mul_hi_u32 s9, s28, s9
	s_mul_hi_u32 s29, s28, s24
	s_add_u32 s9, s9, s30
	s_addc_u32 s29, 0, s29
	s_add_u32 s9, s9, s27
	s_mul_hi_u32 s15, s26, s24
	s_addc_u32 s9, s29, s25
	s_addc_u32 s15, s15, 0
	s_mul_i32 s24, s26, s24
	s_add_u32 s9, s9, s24
	s_addc_u32 s15, 0, s15
	s_add_u32 s9, s28, s9
	s_cselect_b64 s[24:25], -1, 0
	s_cmp_lg_u64 s[24:25], 0
	s_addc_u32 s15, s26, s15
	s_ashr_i32 s24, s19, 31
	s_add_u32 s26, s18, s24
	s_mov_b32 s25, s24
	s_addc_u32 s27, s19, s24
	s_xor_b64 s[26:27], s[26:27], s[24:25]
	s_mul_i32 s29, s26, s15
	s_mul_hi_u32 s30, s26, s9
	s_mul_hi_u32 s28, s26, s15
	s_add_u32 s29, s30, s29
	s_addc_u32 s28, 0, s28
	s_mul_hi_u32 s31, s27, s9
	s_mul_i32 s9, s27, s9
	s_add_u32 s9, s29, s9
	s_mul_hi_u32 s30, s27, s15
	s_addc_u32 s9, s28, s31
	s_addc_u32 s28, s30, 0
	s_mul_i32 s15, s27, s15
	s_add_u32 s9, s9, s15
	s_addc_u32 s15, 0, s28
	s_mul_i32 s28, s22, s15
	s_mul_hi_u32 s29, s22, s9
	s_add_i32 s28, s29, s28
	s_mul_i32 s29, s23, s9
	s_add_i32 s33, s28, s29
	s_sub_i32 s30, s27, s33
	s_mul_i32 s28, s22, s9
	s_sub_u32 s26, s26, s28
	s_cselect_b64 s[28:29], -1, 0
	s_cmp_lg_u64 s[28:29], 0
	s_subb_u32 s34, s30, s23
	s_sub_u32 s35, s26, s22
	s_cselect_b64 s[30:31], -1, 0
	s_cmp_lg_u64 s[30:31], 0
	s_subb_u32 s30, s34, 0
	s_cmp_ge_u32 s30, s23
	s_cselect_b32 s31, -1, 0
	s_cmp_ge_u32 s35, s22
	s_cselect_b32 s34, -1, 0
	s_cmp_eq_u32 s30, s23
	s_cselect_b32 s30, s34, s31
	s_add_u32 s31, s9, 1
	s_addc_u32 s34, s15, 0
	s_add_u32 s35, s9, 2
	s_addc_u32 s36, s15, 0
	s_cmp_lg_u32 s30, 0
	s_cselect_b32 s30, s35, s31
	s_cselect_b32 s31, s36, s34
	s_cmp_lg_u64 s[28:29], 0
	s_subb_u32 s27, s27, s33
	s_cmp_ge_u32 s27, s23
	s_cselect_b32 s28, -1, 0
	s_cmp_ge_u32 s26, s22
	s_cselect_b32 s22, -1, 0
	s_cmp_eq_u32 s27, s23
	s_cselect_b32 s22, s22, s28
	s_cmp_lg_u32 s22, 0
	s_cselect_b32 s23, s31, s15
	s_cselect_b32 s22, s30, s9
	s_xor_b64 s[6:7], s[24:25], s[6:7]
	s_xor_b64 s[22:23], s[22:23], s[6:7]
	s_sub_u32 s6, s22, s6
	s_subb_u32 s7, s23, s7
	s_cbranch_execnz .LBB7_6
.LBB7_5:                                ;   in Loop: Header=BB7_3 Depth=1
	v_cvt_f32_u32_e32 v1, s20
	s_sub_i32 s6, 0, s20
	v_rcp_iflag_f32_e32 v1, v1
	s_nop 0
	v_mul_f32_e32 v1, 0x4f7ffffe, v1
	v_cvt_u32_f32_e32 v1, v1
	s_nop 0
	v_readfirstlane_b32 s7, v1
	s_mul_i32 s6, s6, s7
	s_mul_hi_u32 s6, s7, s6
	s_add_i32 s7, s7, s6
	s_mul_hi_u32 s6, s18, s7
	s_mul_i32 s9, s6, s20
	s_sub_i32 s9, s18, s9
	s_add_i32 s7, s6, 1
	s_sub_i32 s15, s9, s20
	s_cmp_ge_u32 s9, s20
	s_cselect_b32 s6, s7, s6
	s_cselect_b32 s9, s15, s9
	s_add_i32 s7, s6, 1
	s_cmp_ge_u32 s9, s20
	s_cselect_b32 s6, s7, s6
	s_mov_b32 s7, s8
.LBB7_6:                                ;   in Loop: Header=BB7_3 Depth=1
	s_mul_i32 s9, s6, s21
	s_mul_hi_u32 s15, s6, s20
	s_load_dwordx2 s[22:23], s[16:17], 0xc8
	s_add_i32 s9, s15, s9
	s_mul_i32 s15, s7, s20
	s_add_i32 s9, s9, s15
	s_mul_i32 s15, s6, s20
	s_sub_u32 s15, s18, s15
	s_subb_u32 s9, s19, s9
	s_waitcnt lgkmcnt(0)
	s_mul_i32 s9, s22, s9
	s_mul_hi_u32 s18, s22, s15
	s_add_i32 s9, s18, s9
	s_mul_i32 s18, s23, s15
	s_add_i32 s9, s9, s18
	s_mul_i32 s15, s22, s15
	s_add_u32 s10, s15, s10
	s_addc_u32 s11, s9, s11
	s_add_i32 s3, s3, -1
	s_add_u32 s16, s16, -8
	s_addc_u32 s17, s17, -1
	s_cmp_gt_u32 s3, 2
	s_cbranch_scc0 .LBB7_9
; %bb.7:                                ;   in Loop: Header=BB7_3 Depth=1
	s_mov_b64 s[18:19], s[6:7]
	s_branch .LBB7_3
.LBB7_8:                                ;   in Loop: Header=BB7_3 Depth=1
                                        ; implicit-def: $sgpr6_sgpr7
	s_branch .LBB7_5
.LBB7_9:
	s_load_dword s15, s[0:1], 0x358
	s_load_dwordx2 s[8:9], s[0:1], 0xd0
	s_add_u32 s16, s0, 0x1c0
	s_addc_u32 s17, s1, 0
	s_mov_b64 s[60:61], 0
	s_waitcnt lgkmcnt(0)
	s_cmp_lt_i32 s15, 2
	s_mov_b64 s[28:29], s[4:5]
	s_cbranch_scc1 .LBB7_17
; %bb.10:
	s_mov_b32 s18, 0
	s_add_i32 s20, s15, -1
	s_mov_b32 s21, s18
	s_add_i32 s3, s15, 1
	s_lshl_b64 s[20:21], s[20:21], 3
	s_add_u32 s15, s16, s20
	s_addc_u32 s19, s17, s21
	s_add_u32 s20, s15, 8
	s_addc_u32 s21, s19, 0
	s_mov_b64 s[22:23], s[4:5]
.LBB7_11:                               ; =>This Inner Loop Header: Depth=1
	s_load_dwordx2 s[24:25], s[20:21], 0x0
	s_waitcnt lgkmcnt(0)
	s_or_b64 s[26:27], s[22:23], s[24:25]
	s_mov_b32 s19, s27
	s_cmp_lg_u64 s[18:19], 0
	s_cbranch_scc0 .LBB7_16
; %bb.12:                               ;   in Loop: Header=BB7_11 Depth=1
	s_ashr_i32 s26, s25, 31
	s_add_u32 s28, s24, s26
	s_mov_b32 s27, s26
	s_addc_u32 s29, s25, s26
	s_xor_b64 s[28:29], s[28:29], s[26:27]
	v_cvt_f32_u32_e32 v1, s28
	v_cvt_f32_u32_e32 v2, s29
	s_sub_u32 s15, 0, s28
	s_subb_u32 s19, 0, s29
	v_fmac_f32_e32 v1, 0x4f800000, v2
	v_rcp_f32_e32 v1, v1
	s_nop 0
	v_mul_f32_e32 v1, 0x5f7ffffc, v1
	v_mul_f32_e32 v2, 0x2f800000, v1
	v_trunc_f32_e32 v2, v2
	v_fmac_f32_e32 v1, 0xcf800000, v2
	v_cvt_u32_f32_e32 v2, v2
	v_cvt_u32_f32_e32 v1, v1
	v_readfirstlane_b32 s33, v2
	v_readfirstlane_b32 s30, v1
	s_mul_i32 s31, s15, s33
	s_mul_hi_u32 s35, s15, s30
	s_mul_i32 s34, s19, s30
	s_add_i32 s31, s35, s31
	s_add_i32 s31, s31, s34
	s_mul_i32 s36, s15, s30
	s_mul_i32 s35, s30, s31
	s_mul_hi_u32 s37, s30, s36
	s_mul_hi_u32 s34, s30, s31
	s_add_u32 s35, s37, s35
	s_addc_u32 s34, 0, s34
	s_mul_hi_u32 s38, s33, s36
	s_mul_i32 s36, s33, s36
	s_add_u32 s35, s35, s36
	s_mul_hi_u32 s37, s33, s31
	s_addc_u32 s34, s34, s38
	s_addc_u32 s35, s37, 0
	s_mul_i32 s31, s33, s31
	s_add_u32 s31, s34, s31
	s_addc_u32 s34, 0, s35
	s_add_u32 s35, s30, s31
	s_cselect_b64 s[30:31], -1, 0
	s_cmp_lg_u64 s[30:31], 0
	s_addc_u32 s33, s33, s34
	s_mul_i32 s30, s15, s33
	s_mul_hi_u32 s31, s15, s35
	s_add_i32 s30, s31, s30
	s_mul_i32 s19, s19, s35
	s_add_i32 s30, s30, s19
	s_mul_i32 s15, s15, s35
	s_mul_hi_u32 s31, s33, s15
	s_mul_i32 s34, s33, s15
	s_mul_i32 s37, s35, s30
	s_mul_hi_u32 s15, s35, s15
	s_mul_hi_u32 s36, s35, s30
	s_add_u32 s15, s15, s37
	s_addc_u32 s36, 0, s36
	s_add_u32 s15, s15, s34
	s_mul_hi_u32 s19, s33, s30
	s_addc_u32 s15, s36, s31
	s_addc_u32 s19, s19, 0
	s_mul_i32 s30, s33, s30
	s_add_u32 s15, s15, s30
	s_addc_u32 s19, 0, s19
	s_add_u32 s15, s35, s15
	s_cselect_b64 s[30:31], -1, 0
	s_cmp_lg_u64 s[30:31], 0
	s_addc_u32 s19, s33, s19
	s_ashr_i32 s30, s23, 31
	s_add_u32 s34, s22, s30
	s_mov_b32 s31, s30
	s_addc_u32 s35, s23, s30
	s_xor_b64 s[34:35], s[34:35], s[30:31]
	s_mul_i32 s36, s34, s19
	s_mul_hi_u32 s37, s34, s15
	s_mul_hi_u32 s33, s34, s19
	s_add_u32 s36, s37, s36
	s_addc_u32 s33, 0, s33
	s_mul_hi_u32 s38, s35, s15
	s_mul_i32 s15, s35, s15
	s_add_u32 s15, s36, s15
	s_mul_hi_u32 s37, s35, s19
	s_addc_u32 s15, s33, s38
	s_addc_u32 s33, s37, 0
	s_mul_i32 s19, s35, s19
	s_add_u32 s15, s15, s19
	s_addc_u32 s19, 0, s33
	s_mul_i32 s33, s28, s19
	s_mul_hi_u32 s36, s28, s15
	s_add_i32 s33, s36, s33
	s_mul_i32 s36, s29, s15
	s_add_i32 s33, s33, s36
	s_sub_i32 s38, s35, s33
	s_mul_i32 s36, s28, s15
	s_sub_u32 s34, s34, s36
	s_cselect_b64 s[36:37], -1, 0
	s_cmp_lg_u64 s[36:37], 0
	s_subb_u32 s40, s38, s29
	s_sub_u32 s41, s34, s28
	s_cselect_b64 s[38:39], -1, 0
	s_cmp_lg_u64 s[38:39], 0
	s_subb_u32 s38, s40, 0
	s_cmp_ge_u32 s38, s29
	s_cselect_b32 s39, -1, 0
	s_cmp_ge_u32 s41, s28
	s_cselect_b32 s40, -1, 0
	s_cmp_eq_u32 s38, s29
	s_cselect_b32 s38, s40, s39
	s_add_u32 s39, s15, 1
	s_addc_u32 s40, s19, 0
	s_add_u32 s41, s15, 2
	s_addc_u32 s42, s19, 0
	s_cmp_lg_u32 s38, 0
	s_cselect_b32 s38, s41, s39
	s_cselect_b32 s39, s42, s40
	s_cmp_lg_u64 s[36:37], 0
	s_subb_u32 s33, s35, s33
	s_cmp_ge_u32 s33, s29
	s_cselect_b32 s35, -1, 0
	s_cmp_ge_u32 s34, s28
	s_cselect_b32 s28, -1, 0
	s_cmp_eq_u32 s33, s29
	s_cselect_b32 s28, s28, s35
	s_cmp_lg_u32 s28, 0
	s_cselect_b32 s29, s39, s19
	s_cselect_b32 s28, s38, s15
	s_xor_b64 s[26:27], s[30:31], s[26:27]
	s_xor_b64 s[28:29], s[28:29], s[26:27]
	s_sub_u32 s28, s28, s26
	s_subb_u32 s29, s29, s27
	s_cbranch_execnz .LBB7_14
.LBB7_13:                               ;   in Loop: Header=BB7_11 Depth=1
	v_cvt_f32_u32_e32 v1, s24
	s_sub_i32 s15, 0, s24
	s_mov_b32 s29, s18
	v_rcp_iflag_f32_e32 v1, v1
	s_nop 0
	v_mul_f32_e32 v1, 0x4f7ffffe, v1
	v_cvt_u32_f32_e32 v1, v1
	s_nop 0
	v_readfirstlane_b32 s19, v1
	s_mul_i32 s15, s15, s19
	s_mul_hi_u32 s15, s19, s15
	s_add_i32 s19, s19, s15
	s_mul_hi_u32 s15, s22, s19
	s_mul_i32 s26, s15, s24
	s_sub_i32 s26, s22, s26
	s_add_i32 s19, s15, 1
	s_sub_i32 s27, s26, s24
	s_cmp_ge_u32 s26, s24
	s_cselect_b32 s15, s19, s15
	s_cselect_b32 s26, s27, s26
	s_add_i32 s19, s15, 1
	s_cmp_ge_u32 s26, s24
	s_cselect_b32 s28, s19, s15
.LBB7_14:                               ;   in Loop: Header=BB7_11 Depth=1
	s_mul_i32 s15, s28, s25
	s_mul_hi_u32 s19, s28, s24
	s_load_dwordx2 s[26:27], s[20:21], 0xc8
	s_add_i32 s15, s19, s15
	s_mul_i32 s19, s29, s24
	s_add_i32 s15, s15, s19
	s_mul_i32 s19, s28, s24
	s_sub_u32 s19, s22, s19
	s_subb_u32 s15, s23, s15
	s_waitcnt lgkmcnt(0)
	s_mul_i32 s15, s26, s15
	s_mul_hi_u32 s22, s26, s19
	s_add_i32 s15, s22, s15
	s_mul_i32 s22, s27, s19
	s_add_i32 s15, s15, s22
	s_mul_i32 s19, s26, s19
	s_add_u32 s60, s19, s60
	s_addc_u32 s61, s15, s61
	s_add_i32 s3, s3, -1
	s_add_u32 s20, s20, -8
	s_addc_u32 s21, s21, -1
	s_cmp_gt_u32 s3, 2
	s_cbranch_scc0 .LBB7_17
; %bb.15:                               ;   in Loop: Header=BB7_11 Depth=1
	s_mov_b64 s[22:23], s[28:29]
	s_branch .LBB7_11
.LBB7_16:                               ;   in Loop: Header=BB7_11 Depth=1
                                        ; implicit-def: $sgpr28_sgpr29
	s_branch .LBB7_13
.LBB7_17:
	s_load_dword s18, s[0:1], 0x4f8
	s_load_dwordx2 s[20:21], s[16:17], 0xd0
                                        ; implicit-def: $vgpr66 : SGPR spill to VGPR lane
	s_add_u32 s15, s0, 0x360
	v_writelane_b32 v66, s28, 0
                                        ; kill: killed $sgpr16 killed $sgpr17
	s_addc_u32 s17, s1, 0
	s_waitcnt lgkmcnt(0)
	s_cmp_lt_i32 s18, 2
	v_writelane_b32 v66, s29, 1
	v_writelane_b32 v66, s20, 2
	s_mov_b64 s[66:67], 0
	s_nop 0
	v_writelane_b32 v66, s21, 3
	s_cbranch_scc1 .LBB7_25
; %bb.18:
	s_mov_b32 s16, 0
	s_add_i32 s3, s18, 1
	s_add_i32 s18, s18, -1
	s_mov_b32 s19, s16
	s_lshl_b64 s[18:19], s[18:19], 3
	s_add_u32 s15, s15, s18
	s_addc_u32 s17, s17, s19
	s_add_u32 s18, s15, 8
	s_addc_u32 s19, s17, 0
.LBB7_19:                               ; =>This Inner Loop Header: Depth=1
	s_load_dwordx2 s[20:21], s[18:19], 0x0
	s_waitcnt lgkmcnt(0)
	s_or_b64 s[22:23], s[4:5], s[20:21]
	s_mov_b32 s17, s23
	s_cmp_lg_u64 s[16:17], 0
	s_cbranch_scc0 .LBB7_24
; %bb.20:                               ;   in Loop: Header=BB7_19 Depth=1
	s_ashr_i32 s22, s21, 31
	s_add_u32 s24, s20, s22
	s_mov_b32 s23, s22
	s_addc_u32 s25, s21, s22
	s_xor_b64 s[24:25], s[24:25], s[22:23]
	v_cvt_f32_u32_e32 v1, s24
	v_cvt_f32_u32_e32 v2, s25
	s_sub_u32 s15, 0, s24
	s_subb_u32 s17, 0, s25
	v_fmac_f32_e32 v1, 0x4f800000, v2
	v_rcp_f32_e32 v1, v1
	s_nop 0
	v_mul_f32_e32 v1, 0x5f7ffffc, v1
	v_mul_f32_e32 v2, 0x2f800000, v1
	v_trunc_f32_e32 v2, v2
	v_fmac_f32_e32 v1, 0xcf800000, v2
	v_cvt_u32_f32_e32 v2, v2
	v_cvt_u32_f32_e32 v1, v1
	v_readfirstlane_b32 s28, v2
	v_readfirstlane_b32 s26, v1
	s_mul_i32 s27, s15, s28
	s_mul_hi_u32 s30, s15, s26
	s_mul_i32 s29, s17, s26
	s_add_i32 s27, s30, s27
	s_add_i32 s27, s27, s29
	s_mul_i32 s31, s15, s26
	s_mul_i32 s30, s26, s27
	s_mul_hi_u32 s33, s26, s31
	s_mul_hi_u32 s29, s26, s27
	s_add_u32 s30, s33, s30
	s_addc_u32 s29, 0, s29
	s_mul_hi_u32 s34, s28, s31
	s_mul_i32 s31, s28, s31
	s_add_u32 s30, s30, s31
	s_mul_hi_u32 s33, s28, s27
	s_addc_u32 s29, s29, s34
	s_addc_u32 s30, s33, 0
	s_mul_i32 s27, s28, s27
	s_add_u32 s27, s29, s27
	s_addc_u32 s29, 0, s30
	s_add_u32 s30, s26, s27
	s_cselect_b64 s[26:27], -1, 0
	s_cmp_lg_u64 s[26:27], 0
	s_addc_u32 s28, s28, s29
	s_mul_i32 s26, s15, s28
	s_mul_hi_u32 s27, s15, s30
	s_add_i32 s26, s27, s26
	s_mul_i32 s17, s17, s30
	s_add_i32 s26, s26, s17
	s_mul_i32 s15, s15, s30
	s_mul_hi_u32 s27, s28, s15
	s_mul_i32 s29, s28, s15
	s_mul_i32 s33, s30, s26
	s_mul_hi_u32 s15, s30, s15
	s_mul_hi_u32 s31, s30, s26
	s_add_u32 s15, s15, s33
	s_addc_u32 s31, 0, s31
	s_add_u32 s15, s15, s29
	s_mul_hi_u32 s17, s28, s26
	s_addc_u32 s15, s31, s27
	s_addc_u32 s17, s17, 0
	s_mul_i32 s26, s28, s26
	s_add_u32 s15, s15, s26
	s_addc_u32 s17, 0, s17
	s_add_u32 s15, s30, s15
	s_cselect_b64 s[26:27], -1, 0
	s_cmp_lg_u64 s[26:27], 0
	s_addc_u32 s17, s28, s17
	s_ashr_i32 s26, s5, 31
	s_add_u32 s28, s4, s26
	s_mov_b32 s27, s26
	s_addc_u32 s29, s5, s26
	s_xor_b64 s[28:29], s[28:29], s[26:27]
	s_mul_i32 s31, s28, s17
	s_mul_hi_u32 s33, s28, s15
	s_mul_hi_u32 s30, s28, s17
	s_add_u32 s31, s33, s31
	s_addc_u32 s30, 0, s30
	s_mul_hi_u32 s34, s29, s15
	s_mul_i32 s15, s29, s15
	s_add_u32 s15, s31, s15
	s_mul_hi_u32 s33, s29, s17
	s_addc_u32 s15, s30, s34
	s_addc_u32 s30, s33, 0
	s_mul_i32 s17, s29, s17
	s_add_u32 s15, s15, s17
	s_addc_u32 s17, 0, s30
	s_mul_i32 s30, s24, s17
	s_mul_hi_u32 s31, s24, s15
	s_add_i32 s30, s31, s30
	s_mul_i32 s31, s25, s15
	s_add_i32 s33, s30, s31
	s_sub_i32 s34, s29, s33
	s_mul_i32 s30, s24, s15
	s_sub_u32 s28, s28, s30
	s_cselect_b64 s[30:31], -1, 0
	s_cmp_lg_u64 s[30:31], 0
	s_subb_u32 s36, s34, s25
	s_sub_u32 s37, s28, s24
	s_cselect_b64 s[34:35], -1, 0
	s_cmp_lg_u64 s[34:35], 0
	s_subb_u32 s34, s36, 0
	s_cmp_ge_u32 s34, s25
	s_cselect_b32 s35, -1, 0
	s_cmp_ge_u32 s37, s24
	s_cselect_b32 s36, -1, 0
	s_cmp_eq_u32 s34, s25
	s_cselect_b32 s34, s36, s35
	s_add_u32 s35, s15, 1
	s_addc_u32 s36, s17, 0
	s_add_u32 s37, s15, 2
	s_addc_u32 s38, s17, 0
	s_cmp_lg_u32 s34, 0
	s_cselect_b32 s34, s37, s35
	s_cselect_b32 s35, s38, s36
	s_cmp_lg_u64 s[30:31], 0
	s_subb_u32 s29, s29, s33
	s_cmp_ge_u32 s29, s25
	s_cselect_b32 s30, -1, 0
	s_cmp_ge_u32 s28, s24
	s_cselect_b32 s24, -1, 0
	s_cmp_eq_u32 s29, s25
	s_cselect_b32 s24, s24, s30
	s_cmp_lg_u32 s24, 0
	s_cselect_b32 s25, s35, s17
	s_cselect_b32 s24, s34, s15
	s_xor_b64 s[22:23], s[26:27], s[22:23]
	s_xor_b64 s[24:25], s[24:25], s[22:23]
	s_sub_u32 s86, s24, s22
	s_subb_u32 s87, s25, s23
	s_cbranch_execnz .LBB7_22
.LBB7_21:                               ;   in Loop: Header=BB7_19 Depth=1
	v_cvt_f32_u32_e32 v1, s20
	s_sub_i32 s15, 0, s20
	s_mov_b32 s87, s16
	v_rcp_iflag_f32_e32 v1, v1
	s_nop 0
	v_mul_f32_e32 v1, 0x4f7ffffe, v1
	v_cvt_u32_f32_e32 v1, v1
	s_nop 0
	v_readfirstlane_b32 s17, v1
	s_mul_i32 s15, s15, s17
	s_mul_hi_u32 s15, s17, s15
	s_add_i32 s17, s17, s15
	s_mul_hi_u32 s15, s4, s17
	s_mul_i32 s22, s15, s20
	s_sub_i32 s22, s4, s22
	s_add_i32 s17, s15, 1
	s_sub_i32 s23, s22, s20
	s_cmp_ge_u32 s22, s20
	s_cselect_b32 s15, s17, s15
	s_cselect_b32 s22, s23, s22
	s_add_i32 s17, s15, 1
	s_cmp_ge_u32 s22, s20
	s_cselect_b32 s86, s17, s15
.LBB7_22:                               ;   in Loop: Header=BB7_19 Depth=1
	s_mul_i32 s15, s86, s21
	s_mul_hi_u32 s17, s86, s20
	s_load_dwordx2 s[22:23], s[18:19], 0xc8
	s_add_i32 s15, s17, s15
	s_mul_i32 s17, s87, s20
	s_add_i32 s15, s15, s17
	s_mul_i32 s17, s86, s20
	s_sub_u32 s4, s4, s17
	s_subb_u32 s5, s5, s15
	s_waitcnt lgkmcnt(0)
	s_mul_i32 s5, s22, s5
	s_mul_hi_u32 s15, s22, s4
	s_add_i32 s5, s15, s5
	s_mul_i32 s15, s23, s4
	s_add_i32 s5, s5, s15
	s_mul_i32 s4, s22, s4
	s_add_u32 s66, s4, s66
	s_addc_u32 s67, s5, s67
	s_add_i32 s3, s3, -1
	s_add_u32 s18, s18, -8
	s_addc_u32 s19, s19, -1
	s_cmp_gt_u32 s3, 2
	s_cbranch_scc0 .LBB7_26
; %bb.23:                               ;   in Loop: Header=BB7_19 Depth=1
	s_mov_b64 s[4:5], s[86:87]
	s_branch .LBB7_19
.LBB7_24:                               ;   in Loop: Header=BB7_19 Depth=1
                                        ; implicit-def: $sgpr86_sgpr87
	s_branch .LBB7_21
.LBB7_25:
	s_mov_b64 s[86:87], s[4:5]
.LBB7_26:
	s_load_dwordx2 s[4:5], s[0:1], 0x430
	s_mov_b32 s81, 0
                                        ; kill: killed $sgpr0 killed $sgpr1
	s_waitcnt lgkmcnt(0)
	v_writelane_b32 v66, s4, 4
	s_nop 1
	v_writelane_b32 v66, s5, 5
	s_load_dwordx2 s[16:17], s[0:1], 0x0
	s_load_dwordx2 s[4:5], s[0:1], 0x1c0
	s_waitcnt lgkmcnt(0)
	v_writelane_b32 v66, s4, 6
	s_nop 1
	v_writelane_b32 v66, s5, 7
	s_load_dwordx2 s[4:5], s[0:1], 0x360
	s_waitcnt lgkmcnt(0)
	v_writelane_b32 v66, s4, 8
	s_nop 1
	v_writelane_b32 v66, s5, 9
	v_cmp_eq_u32_e64 s[4:5], 0, v0
	s_mov_b64 s[0:1], exec
	s_nop 0
	v_writelane_b32 v66, s4, 10
	s_nop 1
	v_writelane_b32 v66, s5, 11
	s_and_b64 s[4:5], s[0:1], s[4:5]
	s_mov_b64 exec, s[4:5]
	s_cbranch_execz .LBB7_28
; %bb.27:
	v_mov_b32_e32 v2, 0
	v_mov_b32_e32 v4, s56
	v_mov_b32_e32 v5, s57
	v_mov_b32_e32 v3, v2
	ds_write_b32 v2, v2 offset:5136
	ds_write_b128 v2, v[2:5] offset:5120
.LBB7_28:
	s_or_b64 exec, exec, s[0:1]
	s_mul_i32 s0, s8, s7
	s_mul_hi_u32 s1, s8, s6
	s_add_i32 s0, s1, s0
	s_mul_i32 s1, s9, s6
	s_add_i32 s3, s0, s1
	s_mul_i32 s8, s8, s6
	s_add_u32 s0, s16, s8
	s_addc_u32 s1, s17, s3
	s_add_u32 s70, s0, s10
	s_addc_u32 s71, s1, s11
	v_cmp_gt_u32_e64 s[0:1], 2, v0
	v_mov_b64_e32 v[4:5], 0xc00
	v_mbcnt_lo_u32_b32 v1, -1, 0
	v_writelane_b32 v66, s0, 12
	v_mov_b32_e32 v3, 0
	v_mov_b64_e32 v[6:7], s[70:71]
	v_writelane_b32 v66, s1, 13
	v_cmp_gt_i64_e64 s[0:1], s[56:57], v[4:5]
	v_mbcnt_hi_u32_b32 v40, -1, v1
	v_mov_b32_e32 v1, v3
	v_writelane_b32 v66, s0, 14
	s_waitcnt lgkmcnt(0)
	s_barrier
	v_writelane_b32 v66, s1, 15
	v_mad_u64_u32 v[4:5], s[0:1], s62, v0, 0
	v_mad_u64_u32 v[14:15], s[0:1], s62, v0, v[6:7]
	v_cmp_gt_i64_e64 s[0:1], s[56:57], v[0:1]
	v_cmp_gt_u32_e32 vcc, 64, v0
	s_nop 0
	v_writelane_b32 v66, s0, 16
	v_cmp_gt_i32_e64 s[6:7], 4, v40
	s_and_b64 s[54:55], vcc, s[6:7]
	v_writelane_b32 v66, s1, 17
	s_load_dword s0, s[12:13], 0xc
	v_lshlrev_b32_e32 v2, 2, v40
	v_and_b32_e32 v41, 0x100, v2
	v_lshrrev_b32_e32 v2, 1, v0
	v_and_b32_e32 v2, 0x1e0, v2
	s_waitcnt lgkmcnt(0)
	s_and_b32 s78, s0, 0xffff
	s_bfe_u32 s0, s0, 0xa0006
	s_cmp_gt_u32 s78, 63
	s_cselect_b64 s[6:7], -1, 0
	v_writelane_b32 v66, s6, 18
	s_add_u32 s1, s78, -1
	v_lshlrev_b64 v[6:7], v40, -1
	v_writelane_b32 v66, s7, 19
	s_addc_u32 s6, 0, -1
	v_or_b32_e32 v42, 0xc00, v2
	v_add_u32_e32 v2, 2, v0
	v_not_b32_e32 v18, v6
	s_add_u32 s93, s1, s56
	v_mov_b32_e32 v6, s57
	v_cmp_gt_i64_e32 vcc, s[56:57], v[2:3]
	v_not_b32_e32 v19, v7
	s_addc_u32 s53, s6, s57
	v_cndmask_b32_e32 v7, 0, v6, vcc
	v_mov_b32_e32 v6, s56
	s_cmp_lt_u32 s2, s14
	v_cndmask_b32_e32 v6, v2, v6, vcc
	v_mov_b32_e32 v9, -1
	v_not_b32_e32 v8, v0
	v_writelane_b32 v66, s1, 20
	s_cselect_b32 s1, 12, 18
	v_lshl_add_u64 v[6:7], v[6:7], 0, v[8:9]
	v_writelane_b32 v66, s6, 21
	s_add_u32 s48, s12, s1
	v_cmp_lt_u64_e64 s[6:7], 3, v[6:7]
	s_addc_u32 s49, s13, 0
	v_and_b32_e32 v20, -4, v6
	v_writelane_b32 v66, s6, 22
	v_mov_b32_e32 v21, v7
	s_add_i32 s1, s0, -1
	v_writelane_b32 v66, s7, 23
	v_cmp_ne_u64_e64 s[6:7], v[6:7], v[20:21]
	s_bfe_u32 s2, s78, 0x30006
	s_and_b32 s1, s1, 0xffff
	v_writelane_b32 v66, s6, 24
	s_cmp_gt_u32 s1, 6
	v_lshlrev_b32_e32 v16, 2, v0
	v_writelane_b32 v66, s7, 25
	s_cselect_b64 s[6:7], -1, 0
	v_writelane_b32 v66, s6, 26
	s_and_b32 s33, s0, 0x3f8
	s_cmp_lg_u32 s2, 0
	v_writelane_b32 v66, s7, 27
	v_writelane_b32 v66, s2, 28
	s_cselect_b64 s[0:1], -1, 0
	v_writelane_b32 v66, s0, 29
	v_or_b32_e32 v6, 3, v16
	v_mul_lo_u32 v10, s63, v0
	v_writelane_b32 v66, s1, 30
	s_add_u32 s0, s10, s8
	s_addc_u32 s1, s11, s3
	s_add_u32 s2, s16, s0
	s_addc_u32 s3, s17, s1
	v_mad_u64_u32 v[24:25], s[0:1], s62, v6, 0
	v_mov_b32_e32 v2, v25
	v_mad_u64_u32 v[6:7], s[0:1], s63, v6, v[2:3]
	v_mov_b32_e32 v25, v6
	v_or_b32_e32 v6, 2, v16
	v_mad_u64_u32 v[26:27], s[0:1], s62, v6, 0
	v_mov_b32_e32 v2, v27
	v_mad_u64_u32 v[6:7], s[0:1], s63, v6, v[2:3]
	v_mov_b32_e32 v27, v6
	v_mov_b64_e32 v[6:7], s[62:63]
	v_add_u32_e32 v5, v5, v10
	v_mad_u64_u32 v[28:29], s[0:1], s62, v16, v[6:7]
	v_mov_b32_e32 v2, v29
	v_lshlrev_b64 v[30:31], 2, v[4:5]
	v_writelane_b32 v66, s2, 31
	v_mad_u64_u32 v[6:7], s[0:1], s63, v16, v[2:3]
	s_nop 0
	v_mov_b64_e32 v[4:5], s[2:3]
	v_mad_u64_u32 v[12:13], s[0:1], s62, v0, v[4:5]
	s_mul_i32 s0, s63, s78
	s_mul_hi_u32 s1, s62, s78
	v_writelane_b32 v66, s3, 32
	s_add_i32 s91, s1, s0
	s_mov_b32 s0, 0
	v_writelane_b32 v66, s0, 33
	v_writelane_b32 v66, s86, 34
	s_mul_i32 s90, s62, s78
	s_mov_b32 s83, s62
	v_writelane_b32 v66, s87, 35
	v_writelane_b32 v66, s90, 36
	s_mov_b32 s12, s62
	s_mov_b32 s13, s63
	v_writelane_b32 v66, s91, 37
	v_writelane_b32 v66, s54, 38
	s_mov_b32 s42, s62
	;; [unrolled: 4-line block ×3, first 2 shown]
	v_mov_b32_e32 v2, 0xc00
	v_writelane_b32 v66, s49, 41
	v_writelane_b32 v66, s83, 42
	v_writelane_b32 v66, s12, 43
	v_writelane_b32 v66, s13, 44
	v_writelane_b32 v66, s42, 45
	v_writelane_b32 v66, s43, 46
	v_cmp_eq_u32_e64 s[4:5], 0, v40
	v_add_u32_e32 v15, v10, v15
	v_mov_b32_e32 v17, v3
	s_mov_b32 s79, s81
	v_lshl_add_u64 v[22:23], v[20:21], 0, v[0:1]
	s_mov_b32 s64, s63
	s_mov_b32 s52, s63
	;; [unrolled: 1-line block ×3, first 2 shown]
	s_lshl_b64 s[72:73], s[62:63], 2
	v_mov_b32_e32 v29, v6
	v_lshl_add_u64 v[32:33], s[56:57], 0, v[0:1]
	v_lshl_or_b32 v43, v40, 3, v2
	v_add_u32_e32 v13, v10, v13
	s_mov_b64 s[74:75], 0
	v_mov_b64_e32 v[34:35], s[58:59]
	s_movk_i32 s85, 0xff
	v_mov_b64_e32 v[50:51], s[56:57]
	v_mov_b32_e32 v45, 8
	v_mov_b32_e32 v47, 0
	v_mov_b32_e32 v44, 0
	v_mov_b32_e32 v46, 0
	v_writelane_b32 v66, s92, 47
                                        ; implicit-def: $sgpr2_sgpr3
                                        ; implicit-def: $sgpr76_sgpr77
                                        ; implicit-def: $sgpr68_sgpr69
                                        ; implicit-def: $sgpr10_sgpr11
                                        ; implicit-def: $sgpr94_sgpr95
                                        ; implicit-def: $sgpr58_sgpr59
	v_writelane_b32 v66, s52, 48
	s_branch .LBB7_32
.LBB7_29:                               ;   in Loop: Header=BB7_32 Depth=1
	s_or_b64 exec, exec, s[14:15]
	s_and_b64 s[6:7], s[6:7], exec
	s_andn2_b64 s[24:25], s[24:25], exec
	s_andn2_b64 s[2:3], s[2:3], exec
	s_orn2_b64 s[18:19], s[8:9], exec
.LBB7_30:                               ;   in Loop: Header=BB7_32 Depth=1
	s_or_b64 exec, exec, s[0:1]
	s_andn2_b64 s[0:1], s[96:97], exec
	s_and_b64 s[6:7], s[6:7], exec
	s_or_b64 s[96:97], s[0:1], s[6:7]
	s_andn2_b64 s[0:1], s[10:11], exec
	s_and_b64 s[6:7], s[24:25], exec
	s_or_b64 s[10:11], s[0:1], s[6:7]
	;; [unrolled: 3-line block ×3, first 2 shown]
	s_orn2_b64 s[2:3], s[18:19], exec
.LBB7_31:                               ;   in Loop: Header=BB7_32 Depth=1
	s_or_b64 exec, exec, s[16:17]
	s_and_b64 s[0:1], exec, s[2:3]
	s_or_b64 s[74:75], s[0:1], s[74:75]
	s_andn2_b64 s[0:1], s[68:69], exec
	s_and_b64 s[2:3], s[96:97], exec
	s_or_b64 s[68:69], s[0:1], s[2:3]
	s_andn2_b64 s[0:1], s[76:77], exec
	s_and_b64 s[2:3], s[10:11], exec
	s_or_b64 s[76:77], s[0:1], s[2:3]
	v_readlane_b32 s0, v66, 49
	v_readlane_b32 s1, v66, 50
	s_andn2_b64 s[0:1], s[0:1], exec
	s_and_b64 s[2:3], s[88:89], exec
	s_mov_b64 s[58:59], s[96:97]
	s_mov_b64 s[94:95], s[10:11]
	;; [unrolled: 1-line block ×3, first 2 shown]
	s_or_b64 s[2:3], s[0:1], s[2:3]
	v_mov_b64_e32 v[34:35], v[8:9]
	s_andn2_b64 exec, exec, s[74:75]
	s_cbranch_execz .LBB7_299
.LBB7_32:                               ; =>This Loop Header: Depth=1
                                        ;     Child Loop BB7_37 Depth 2
                                        ;     Child Loop BB7_51 Depth 2
	;; [unrolled: 1-line block ×17, first 2 shown]
	ds_read_b128 v[4:7], v3 offset:5120
	v_writelane_b32 v66, s2, 49
	s_waitcnt lgkmcnt(0)
	v_readfirstlane_b32 s97, v5
	v_readfirstlane_b32 s96, v4
	v_writelane_b32 v66, s3, 50
	s_nop 0
	v_cmp_gt_i64_e64 s[0:1], s[96:97], 0
	s_and_b64 vcc, exec, s[0:1]
	s_cbranch_vccnz .LBB7_64
; %bb.33:                               ;   in Loop: Header=BB7_32 Depth=1
	v_readlane_b32 s0, v66, 14
	v_readlane_b32 s1, v66, 15
	s_and_b64 vcc, exec, s[0:1]
	s_cbranch_vccz .LBB7_45
; %bb.34:                               ;   in Loop: Header=BB7_32 Depth=1
	s_mov_b64 s[0:1], 0xc01
	v_cmp_gt_i64_e32 vcc, s[0:1], v[6:7]
	s_mov_b64 s[0:1], 0
	s_mov_b64 s[2:3], 0
	s_mov_b32 s23, 0xc0c0004
	s_cbranch_vccz .LBB7_46
; %bb.35:                               ;   in Loop: Header=BB7_32 Depth=1
	global_load_ushort v6, v3, s[48:49]
	global_load_ubyte v8, v[14:15], off
	v_readlane_b32 s2, v66, 31
	v_readlane_b32 s3, v66, 32
	s_mov_b64 s[6:7], 0
	s_waitcnt vmcnt(1)
	v_and_b32_e32 v2, 0xffff, v6
	v_mov_b64_e32 v[4:5], s[2:3]
	v_readfirstlane_b32 s2, v6
	v_lshl_add_u64 v[6:7], v[0:1], 0, v[2:3]
	s_and_b32 s8, 0xffff, s2
	v_mad_u64_u32 v[4:5], s[2:3], s62, v6, v[4:5]
	v_mul_lo_u32 v7, s62, v7
	v_mul_lo_u32 v9, s63, v6
	s_mul_i32 s2, s63, s8
	s_mul_hi_u32 s3, s62, s8
	s_mul_i32 s8, s62, s8
	v_add3_u32 v5, v9, v5, v7
	s_add_i32 s9, s3, s2
	v_mov_b64_e32 v[6:7], v[0:1]
	s_branch .LBB7_37
.LBB7_36:                               ;   in Loop: Header=BB7_37 Depth=2
	s_or_b64 exec, exec, s[2:3]
	v_lshl_add_u64 v[4:5], v[4:5], 0, s[8:9]
	v_mov_b32_e32 v8, v9
	s_andn2_b64 exec, exec, s[6:7]
	s_cbranch_execz .LBB7_98
.LBB7_37:                               ;   Parent Loop BB7_32 Depth=1
                                        ; =>  This Inner Loop Header: Depth=2
	v_lshl_add_u64 v[6:7], v[6:7], 0, v[2:3]
	v_cmp_gt_i64_e64 s[2:3], s[56:57], v[6:7]
	v_cmp_le_i64_e32 vcc, s[56:57], v[6:7]
	s_waitcnt lgkmcnt(0)
	v_mov_b32_e32 v10, 0
	v_mov_b32_e32 v9, 0
	s_and_saveexec_b64 s[14:15], s[2:3]
	s_cbranch_execz .LBB7_39
; %bb.38:                               ;   in Loop: Header=BB7_37 Depth=2
	global_load_ubyte v9, v[4:5], off
.LBB7_39:                               ;   in Loop: Header=BB7_37 Depth=2
	s_or_b64 exec, exec, s[14:15]
	s_waitcnt vmcnt(0)
	v_bitop3_b32 v11, v8, s85, v46 bitop3:0x80
	v_cmp_eq_u32_e64 s[14:15], v11, v44
	s_cmp_lg_u64 s[14:15], 0
	s_cselect_b64 s[2:3], -1, 0
	s_and_b64 s[2:3], s[4:5], s[2:3]
	s_and_saveexec_b64 s[16:17], s[2:3]
	s_cbranch_execz .LBB7_43
; %bb.40:                               ;   in Loop: Header=BB7_37 Depth=2
	s_mov_b64 s[20:21], exec
	v_mbcnt_lo_u32_b32 v10, s20, 0
	v_mbcnt_hi_u32_b32 v10, s21, v10
	s_bcnt1_i32_b64 s22, s[14:15]
	v_cmp_eq_u32_e64 s[2:3], 0, v10
                                        ; implicit-def: $vgpr11
	s_and_saveexec_b64 s[18:19], s[2:3]
; %bb.41:                               ;   in Loop: Header=BB7_37 Depth=2
	s_bcnt1_i32_b64 s2, s[20:21]
	s_mul_i32 s2, s22, s2
	v_mov_b32_e32 v11, s2
	ds_add_rtn_u32 v11, v3, v11 offset:5136
; %bb.42:                               ;   in Loop: Header=BB7_37 Depth=2
	s_or_b64 exec, exec, s[18:19]
	s_waitcnt lgkmcnt(0)
	v_readfirstlane_b32 s2, v11
	s_nop 1
	v_mov_b32_e32 v11, s2
	v_mad_u32_u24 v10, s22, v10, v11
.LBB7_43:                               ;   in Loop: Header=BB7_37 Depth=2
	s_or_b64 exec, exec, s[16:17]
	ds_bpermute_b32 v10, v41, v10
	s_and_b64 s[2:3], exec, vcc
	s_or_b64 s[6:7], s[2:3], s[6:7]
	s_and_saveexec_b64 s[2:3], s[14:15]
	s_cbranch_execz .LBB7_36
; %bb.44:                               ;   in Loop: Header=BB7_37 Depth=2
	v_and_b32_e32 v36, s14, v18
	v_and_b32_e32 v11, s15, v19
	v_bcnt_u32_b32 v36, v36, 0
	v_bcnt_u32_b32 v11, v11, v36
	s_waitcnt lgkmcnt(0)
	v_add_u32_e32 v10, v10, v11
	ds_write_b8 v10, v8
	s_branch .LBB7_36
.LBB7_45:                               ;   in Loop: Header=BB7_32 Depth=1
	s_mov_b64 s[0:1], -1
	s_mov_b64 s[2:3], 0
	s_mov_b32 s23, 0xc0c0004
.LBB7_46:                               ;   in Loop: Header=BB7_32 Depth=1
	s_and_b64 vcc, exec, s[0:1]
	s_cbranch_vccz .LBB7_62
.LBB7_47:                               ;   in Loop: Header=BB7_32 Depth=1
	s_mov_b64 s[0:1], exec
	v_readlane_b32 s2, v66, 16
	v_readlane_b32 s3, v66, 17
	s_and_b64 s[2:3], s[0:1], s[2:3]
	s_mov_b64 exec, s[2:3]
	s_cbranch_execz .LBB7_59
; %bb.48:                               ;   in Loop: Header=BB7_32 Depth=1
	global_load_ushort v2, v3, s[48:49]
	global_load_ubyte v38, v[14:15], off
	v_mov_b32_e32 v8, v0
	s_waitcnt vmcnt(1)
	v_readfirstlane_b32 s6, v2
	v_add_u32_sdwa v2, v2, v0 dst_sel:DWORD dst_unused:UNUSED_PAD src0_sel:WORD_0 src1_sel:DWORD
	v_cmp_gt_i64_e32 vcc, s[56:57], v[2:3]
	s_and_saveexec_b64 s[2:3], vcc
	s_cbranch_execz .LBB7_58
; %bb.49:                               ;   in Loop: Header=BB7_32 Depth=1
	s_and_b32 s80, s6, 0xffff
	s_cmp_eq_u32 s80, 1
	v_readlane_b32 s8, v66, 22
	s_cselect_b64 s[6:7], -1, 0
	v_readlane_b32 s9, v66, 23
	s_and_b64 s[14:15], s[8:9], s[6:7]
	s_mov_b64 s[8:9], -1
	v_mov_b64_e32 v[6:7], v[0:1]
	v_mov_b64_e32 v[4:5], v[2:3]
                                        ; implicit-def: $vgpr8_vgpr9
	s_and_saveexec_b64 s[6:7], s[14:15]
	s_cbranch_execz .LBB7_53
; %bb.50:                               ;   in Loop: Header=BB7_32 Depth=1
	v_lshl_add_u64 v[8:9], v[2:3], 0, 3
	v_lshl_add_u64 v[6:7], v[2:3], 0, 2
	v_lshl_add_u64 v[4:5], v[2:3], 0, 1
	v_mov_b64_e32 v[10:11], v[8:9]
	s_waitcnt vmcnt(0)
	v_lshlrev_b32_e32 v48, 24, v38
	s_mov_b64 s[8:9], 0
	v_mov_b64_e32 v[36:37], v[20:21]
	v_mov_b32_e32 v39, v0
	v_mov_b64_e32 v[8:9], v[6:7]
	v_mov_b64_e32 v[6:7], v[4:5]
	;; [unrolled: 1-line block ×3, first 2 shown]
.LBB7_51:                               ;   Parent Loop BB7_32 Depth=1
                                        ; =>  This Inner Loop Header: Depth=2
	v_mov_b64_e32 v[52:53], s[70:71]
	v_mul_lo_u32 v64, v10, s52
	v_mul_lo_u32 v65, v11, s92
	v_mad_u64_u32 v[54:55], s[14:15], v4, s83, v[52:53]
	v_mad_u64_u32 v[56:57], s[14:15], v6, s12, v[52:53]
	;; [unrolled: 1-line block ×4, first 2 shown]
	v_mul_lo_u32 v38, v4, s64
	v_mul_lo_u32 v49, v5, s83
	;; [unrolled: 1-line block ×6, first 2 shown]
	v_add3_u32 v53, v65, v53, v64
	v_add3_u32 v55, v49, v55, v38
	;; [unrolled: 1-line block ×4, first 2 shown]
	global_load_ubyte v38, v[52:53], off
	global_load_ubyte v49, v[56:57], off
	s_nop 0
	global_load_ubyte v52, v[54:55], off
	global_load_ubyte v53, v[58:59], off
	s_mov_b32 s14, 0xc0c0007
	v_lshl_add_u64 v[36:37], v[36:37], 0, -4
	v_cmp_eq_u64_e32 vcc, 0, v[36:37]
	v_lshl_add_u64 v[10:11], v[10:11], 0, 4
	v_lshl_add_u64 v[8:9], v[8:9], 0, 4
	;; [unrolled: 1-line block ×4, first 2 shown]
	s_or_b64 s[8:9], vcc, s[8:9]
	s_waitcnt vmcnt(1)
	v_perm_b32 v54, v52, v49, s23
	s_waitcnt vmcnt(0)
	v_perm_b32 v55, v53, v38, s23
	v_perm_b32 v49, v49, v53, s23
	v_perm_b32 v48, v48, v52, s14
	v_lshl_or_b32 v52, v55, 16, v54
	v_lshl_or_b32 v48, v49, 16, v48
	ds_write_b32 v39, v48
	v_add_u32_e32 v39, 4, v39
	v_mov_b32_e32 v48, v52
	s_andn2_b64 exec, exec, s[8:9]
	s_cbranch_execnz .LBB7_51
; %bb.52:                               ;   in Loop: Header=BB7_32 Depth=1
	s_or_b64 exec, exec, s[8:9]
	v_readlane_b32 s8, v66, 24
	v_lshl_add_u64 v[4:5], v[2:3], 0, v[20:21]
	v_readlane_b32 s9, v66, 25
	v_lshl_add_u64 v[8:9], v[4:5], 0, -1
	s_orn2_b64 s[8:9], s[8:9], exec
	v_mov_b64_e32 v[6:7], v[22:23]
.LBB7_53:                               ;   in Loop: Header=BB7_32 Depth=1
	s_or_b64 exec, exec, s[6:7]
	s_and_saveexec_b64 s[6:7], s[8:9]
	s_cbranch_execz .LBB7_57
; %bb.54:                               ;   in Loop: Header=BB7_32 Depth=1
	v_readlane_b32 s16, v66, 31
	v_readlane_b32 s17, v66, 32
	s_sub_u32 s8, 0, s80
	v_mul_lo_u32 v2, s62, v5
	v_mov_b64_e32 v[8:9], s[16:17]
	v_mad_u64_u32 v[8:9], s[16:17], s62, v4, v[8:9]
	v_mul_lo_u32 v7, s63, v4
	s_mul_i32 s16, s63, s80
	s_mul_hi_u32 s17, s62, s80
	s_mov_b64 s[14:15], 0
	s_subb_u32 s9, 0, 0
	v_add3_u32 v9, v7, v9, v2
	s_add_i32 s17, s17, s16
	s_mul_i32 s16, s62, s80
.LBB7_55:                               ;   Parent Loop BB7_32 Depth=1
                                        ; =>  This Inner Loop Header: Depth=2
	global_load_ubyte v2, v[8:9], off
	v_mov_b64_e32 v[10:11], v[4:5]
	v_lshl_add_u64 v[4:5], v[10:11], 0, s[80:81]
	v_cmp_le_i64_e32 vcc, s[56:57], v[4:5]
	s_waitcnt vmcnt(1)
	ds_write_b8 v6, v38
	v_lshl_add_u64 v[8:9], v[8:9], 0, s[16:17]
	v_mov_b64_e32 v[6:7], v[10:11]
	s_or_b64 s[14:15], vcc, s[14:15]
	s_waitcnt vmcnt(0)
	v_mov_b32_e32 v38, v2
	s_andn2_b64 exec, exec, s[14:15]
	s_cbranch_execnz .LBB7_55
; %bb.56:                               ;   in Loop: Header=BB7_32 Depth=1
	s_or_b64 exec, exec, s[14:15]
	v_lshl_add_u64 v[8:9], s[8:9], 0, v[4:5]
	v_mov_b32_e32 v38, v2
.LBB7_57:                               ;   in Loop: Header=BB7_32 Depth=1
	s_or_b64 exec, exec, s[6:7]
.LBB7_58:                               ;   in Loop: Header=BB7_32 Depth=1
	s_or_b64 exec, exec, s[2:3]
	s_waitcnt vmcnt(0)
	ds_write_b8 v8, v38
.LBB7_59:                               ;   in Loop: Header=BB7_32 Depth=1
	s_or_b64 exec, exec, s[0:1]
	s_waitcnt lgkmcnt(0)
	s_barrier
	s_mov_b64 s[0:1], exec
	v_readlane_b32 s2, v66, 10
	v_readlane_b32 s3, v66, 11
	s_and_b64 s[2:3], s[0:1], s[2:3]
	s_mov_b64 exec, s[2:3]
; %bb.60:                               ;   in Loop: Header=BB7_32 Depth=1
	ds_write_b64 v3, v[50:51] offset:5120
; %bb.61:                               ;   in Loop: Header=BB7_32 Depth=1
	s_or_b64 exec, exec, s[0:1]
	s_waitcnt lgkmcnt(0)
	s_barrier
	s_mov_b64 s[2:3], -1
.LBB7_62:                               ;   in Loop: Header=BB7_32 Depth=1
	s_and_b64 vcc, exec, s[2:3]
	s_cbranch_vccz .LBB7_64
; %bb.63:                               ;   in Loop: Header=BB7_32 Depth=1
	ds_read_b64 v[4:5], v3 offset:5120
	s_waitcnt lgkmcnt(0)
	v_readfirstlane_b32 s96, v4
.LBB7_64:                               ;   in Loop: Header=BB7_32 Depth=1
	s_cmp_lt_i32 s96, 1
	s_mov_b64 s[0:1], -1
                                        ; implicit-def: $vgpr10_vgpr11
                                        ; implicit-def: $vgpr6_vgpr7
	s_cbranch_scc0 .LBB7_79
; %bb.65:                               ;   in Loop: Header=BB7_32 Depth=1
	global_load_ushort v2, v3, s[48:49]
	s_mov_b32 s0, s81
	s_waitcnt vmcnt(0)
	v_readfirstlane_b32 s1, v2
	s_and_b32 s30, s1, 0xffff
	s_lshl_b32 s80, s30, 2
	s_mov_b32 s1, s57
	s_cmp_lg_u64 s[0:1], 0
	s_cbranch_scc0 .LBB7_97
; %bb.66:                               ;   in Loop: Header=BB7_32 Depth=1
	s_add_u32 s0, s80, 0
	s_addc_u32 s1, 0, 0
	s_xor_b64 s[0:1], s[0:1], 0
	v_cvt_f32_u32_e32 v2, s0
	v_cvt_f32_u32_e32 v4, s1
	s_sub_u32 s6, 0, s0
	s_subb_u32 s7, 0, s1
	v_fmac_f32_e32 v2, 0x4f800000, v4
	v_rcp_f32_e32 v2, v2
	s_nop 0
	v_mul_f32_e32 v2, 0x5f7ffffc, v2
	v_mul_f32_e32 v4, 0x2f800000, v2
	v_trunc_f32_e32 v4, v4
	v_fmac_f32_e32 v2, 0xcf800000, v4
	v_cvt_u32_f32_e32 v4, v4
	v_cvt_u32_f32_e32 v2, v2
	v_readfirstlane_b32 s8, v4
	v_readfirstlane_b32 s2, v2
	s_mul_i32 s3, s6, s8
	s_mul_hi_u32 s14, s6, s2
	s_mul_i32 s9, s7, s2
	s_add_i32 s3, s14, s3
	s_mul_i32 s15, s6, s2
	s_add_i32 s3, s3, s9
	s_mul_i32 s14, s2, s3
	s_mul_hi_u32 s16, s2, s15
	s_mul_hi_u32 s9, s2, s3
	s_add_u32 s14, s16, s14
	s_addc_u32 s9, 0, s9
	s_mul_hi_u32 s17, s8, s15
	s_mul_i32 s15, s8, s15
	s_add_u32 s14, s14, s15
	s_mul_hi_u32 s16, s8, s3
	s_addc_u32 s9, s9, s17
	s_addc_u32 s14, s16, 0
	s_mul_i32 s3, s8, s3
	s_add_u32 s3, s9, s3
	s_addc_u32 s9, 0, s14
	s_add_u32 s14, s2, s3
	s_cselect_b64 s[2:3], -1, 0
	s_cmp_lg_u64 s[2:3], 0
	s_addc_u32 s8, s8, s9
	s_mul_i32 s2, s6, s8
	s_mul_hi_u32 s3, s6, s14
	s_add_i32 s2, s3, s2
	s_mul_i32 s7, s7, s14
	s_add_i32 s2, s2, s7
	s_mul_i32 s6, s6, s14
	s_mul_hi_u32 s7, s8, s6
	s_mul_i32 s9, s8, s6
	s_mul_i32 s16, s14, s2
	s_mul_hi_u32 s6, s14, s6
	s_mul_hi_u32 s15, s14, s2
	s_add_u32 s6, s6, s16
	s_addc_u32 s15, 0, s15
	s_add_u32 s6, s6, s9
	s_mul_hi_u32 s3, s8, s2
	s_addc_u32 s6, s15, s7
	s_addc_u32 s3, s3, 0
	s_mul_i32 s2, s8, s2
	s_add_u32 s2, s6, s2
	s_addc_u32 s6, 0, s3
	s_add_u32 s9, s14, s2
	s_cselect_b64 s[2:3], -1, 0
	s_cmp_lg_u64 s[2:3], 0
	s_addc_u32 s8, s8, s6
	s_ashr_i32 s2, s57, 31
	s_add_u32 s6, s56, s2
	s_mov_b32 s3, s2
	s_addc_u32 s7, s57, s2
	s_xor_b64 s[6:7], s[6:7], s[2:3]
	s_mul_i32 s15, s6, s8
	s_mul_hi_u32 s16, s6, s9
	s_mul_hi_u32 s14, s6, s8
	s_add_u32 s15, s16, s15
	s_addc_u32 s14, 0, s14
	s_mul_hi_u32 s17, s7, s9
	s_mul_i32 s9, s7, s9
	s_add_u32 s9, s15, s9
	s_mul_hi_u32 s16, s7, s8
	s_addc_u32 s9, s14, s17
	s_addc_u32 s14, s16, 0
	s_mul_i32 s8, s7, s8
	s_add_u32 s8, s9, s8
	s_addc_u32 s9, 0, s14
	s_mul_i32 s9, s0, s9
	s_mul_hi_u32 s14, s0, s8
	s_add_i32 s9, s14, s9
	s_mul_i32 s14, s1, s8
	s_add_i32 s16, s9, s14
	s_sub_i32 s14, s7, s16
	s_mul_i32 s8, s0, s8
	s_sub_u32 s6, s6, s8
	s_cselect_b64 s[8:9], -1, 0
	s_cmp_lg_u64 s[8:9], 0
	s_subb_u32 s17, s14, s1
	s_sub_u32 s18, s6, s0
	s_cselect_b64 s[14:15], -1, 0
	s_cmp_lg_u64 s[14:15], 0
	s_subb_u32 s19, s17, 0
	s_cmp_ge_u32 s19, s1
	s_cselect_b32 s20, -1, 0
	s_cmp_ge_u32 s18, s0
	s_cselect_b32 s21, -1, 0
	s_cmp_eq_u32 s19, s1
	s_cselect_b32 s20, s21, s20
	s_cmp_lg_u64 s[14:15], 0
	s_subb_u32 s17, s17, s1
	s_sub_u32 s21, s18, s0
	s_cselect_b64 s[14:15], -1, 0
	s_cmp_lg_u64 s[14:15], 0
	s_subb_u32 s14, s17, 0
	s_cmp_lg_u32 s20, 0
	s_cselect_b32 s15, s21, s18
	s_cselect_b32 s14, s14, s19
	s_cmp_lg_u64 s[8:9], 0
	s_subb_u32 s7, s7, s16
	s_cmp_ge_u32 s7, s1
	s_cselect_b32 s8, -1, 0
	s_cmp_ge_u32 s6, s0
	s_cselect_b32 s0, -1, 0
	s_cmp_eq_u32 s7, s1
	s_cselect_b32 s0, s0, s8
	s_cmp_lg_u32 s0, 0
	s_cselect_b32 s1, s14, s7
	s_cselect_b32 s0, s15, s6
	s_xor_b64 s[0:1], s[0:1], s[2:3]
	s_sub_u32 s0, s0, s2
	s_subb_u32 s1, s1, s2
	s_cbranch_execnz .LBB7_68
.LBB7_67:                               ;   in Loop: Header=BB7_32 Depth=1
	v_cvt_f32_u32_e32 v2, s80
	s_sub_i32 s0, 0, s80
	v_rcp_iflag_f32_e32 v2, v2
	s_nop 0
	v_mul_f32_e32 v2, 0x4f7ffffe, v2
	v_cvt_u32_f32_e32 v2, v2
	s_nop 0
	v_readfirstlane_b32 s1, v2
	s_mul_i32 s0, s0, s1
	s_mul_hi_u32 s0, s1, s0
	s_add_i32 s1, s1, s0
	s_mul_hi_u32 s0, s56, s1
	s_mul_i32 s0, s0, s80
	s_sub_i32 s0, s56, s0
	s_sub_i32 s1, s0, s80
	s_cmp_ge_u32 s0, s80
	s_cselect_b32 s0, s1, s0
	s_sub_i32 s1, s0, s80
	s_cmp_ge_u32 s0, s80
	s_cselect_b32 s0, s1, s0
	s_mov_b32 s1, s81
.LBB7_68:                               ;   in Loop: Header=BB7_32 Depth=1
	s_sub_u32 s8, s56, s0
	s_subb_u32 s9, s57, s1
	s_mov_b32 s31, s81
	v_cmp_gt_i64_e32 vcc, s[8:9], v[16:17]
	v_mov_b64_e32 v[4:5], 0
	v_mov_b64_e32 v[6:7], 0
	;; [unrolled: 1-line block ×4, first 2 shown]
	s_and_saveexec_b64 s[88:89], vcc
	s_cbranch_execz .LBB7_72
; %bb.69:                               ;   in Loop: Header=BB7_32 Depth=1
	s_mul_i32 s2, s73, s30
	s_mul_hi_u32 s3, s72, s30
	s_mov_b32 s12, s64
	s_mov_b32 s13, s53
	;; [unrolled: 1-line block ×3, first 2 shown]
	s_add_i32 s97, s3, s2
	s_mov_b64 s[98:99], 0
	s_mov_b64 s[82:83], s[70:71]
	;; [unrolled: 1-line block ×6, first 2 shown]
	v_mov_b64_e32 v[36:37], v[16:17]
.LBB7_70:                               ;   Parent Loop BB7_32 Depth=1
                                        ; =>  This Inner Loop Header: Depth=2
	v_lshl_add_u64 v[4:5], s[82:83], 0, v[30:31]
	v_lshl_add_u64 v[6:7], s[82:83], 0, v[28:29]
	;; [unrolled: 1-line block ×4, first 2 shown]
	global_load_ubyte v2, v[4:5], off
	s_nop 0
	global_load_ubyte v4, v[6:7], off
	global_load_ubyte v5, v[8:9], off
	s_nop 0
	global_load_ubyte v6, v[10:11], off
	s_mul_i32 s64, s72, s30
	v_lshl_add_u64 v[36:37], v[36:37], 0, s[80:81]
	v_cmp_le_i64_e32 vcc, s[8:9], v[36:37]
	s_waitcnt vmcnt(3)
	v_and_b32_e32 v7, v46, v2
	v_bfe_u32 v2, v2, s84, 2
	s_waitcnt vmcnt(2)
	v_and_b32_e32 v8, v46, v4
	v_bfe_u32 v4, v4, s84, 2
	v_cmp_eq_u32_e64 s[2:3], v7, v44
	v_cmp_eq_u32_e64 s[20:21], 0, v2
	s_waitcnt vmcnt(1)
	v_and_b32_e32 v9, v46, v5
	v_bfe_u32 v5, v5, s84, 2
	v_cmp_eq_u32_e64 s[14:15], v8, v44
	v_cmp_eq_u32_e64 s[22:23], 0, v4
	s_and_b64 s[20:21], s[2:3], s[20:21]
	s_waitcnt vmcnt(0)
	v_and_b32_e32 v10, v46, v6
	v_bfe_u32 v6, v6, s84, 2
	v_cmp_eq_u32_e64 s[16:17], v9, v44
	v_cmp_eq_u32_e64 s[24:25], 0, v5
	;; [unrolled: 1-line block ×5, first 2 shown]
	v_cndmask_b32_e64 v2, 0, 1, s[20:21]
	s_and_b64 s[20:21], s[14:15], s[22:23]
	v_cmp_eq_u32_e64 s[18:19], v10, v44
	v_cmp_eq_u32_e64 s[26:27], 0, v6
	;; [unrolled: 1-line block ×5, first 2 shown]
	v_cndmask_b32_e64 v4, 0, 1, s[20:21]
	s_and_b64 s[20:21], s[16:17], s[24:25]
	v_cmp_eq_u32_e64 s[36:37], 1, v5
	v_cmp_eq_u32_e64 s[44:45], 2, v5
	;; [unrolled: 1-line block ×3, first 2 shown]
	v_cndmask_b32_e64 v5, 0, 1, s[20:21]
	s_and_b64 s[20:21], s[18:19], s[26:27]
	v_cmp_eq_u32_e64 s[38:39], 1, v6
	v_cmp_eq_u32_e64 s[46:47], 2, v6
	;; [unrolled: 1-line block ×3, first 2 shown]
	v_cndmask_b32_e64 v6, 0, 1, s[20:21]
	v_cmp_ne_u32_e64 s[20:21], 0, v2
	v_cmp_ne_u32_e64 s[22:23], 0, v4
	v_cmp_ne_u32_e64 s[24:25], 0, v5
	v_cmp_ne_u32_e64 s[26:27], 0, v6
	s_bcnt1_i32_b64 s20, s[20:21]
	s_bcnt1_i32_b64 s21, s[22:23]
	s_bcnt1_i32_b64 s22, s[24:25]
	s_bcnt1_i32_b64 s23, s[26:27]
	s_add_u32 s20, s20, s90
	s_addc_u32 s24, 0, s91
	s_add_u32 s20, s20, s21
	s_addc_u32 s21, s24, 0
	s_add_u32 s20, s20, s22
	s_addc_u32 s21, s21, 0
	s_add_u32 s90, s20, s23
	s_addc_u32 s91, s21, 0
	s_and_b64 s[20:21], s[2:3], s[28:29]
	v_cndmask_b32_e64 v2, 0, 1, s[20:21]
	s_and_b64 s[20:21], s[14:15], s[34:35]
	v_cndmask_b32_e64 v6, 0, 1, s[20:21]
	s_and_b64 s[20:21], s[16:17], s[36:37]
	v_cndmask_b32_e64 v7, 0, 1, s[20:21]
	s_and_b64 s[20:21], s[18:19], s[38:39]
	v_cndmask_b32_e64 v8, 0, 1, s[20:21]
	v_cmp_ne_u32_e64 s[20:21], 0, v2
	v_cmp_ne_u32_e64 s[22:23], 0, v6
	v_cmp_ne_u32_e64 s[24:25], 0, v7
	v_cmp_ne_u32_e64 s[26:27], 0, v8
	s_bcnt1_i32_b64 s20, s[20:21]
	s_bcnt1_i32_b64 s21, s[22:23]
	s_bcnt1_i32_b64 s22, s[24:25]
	s_bcnt1_i32_b64 s23, s[26:27]
	s_add_u32 s20, s20, s86
	s_addc_u32 s24, 0, s87
	s_add_u32 s20, s20, s21
	s_addc_u32 s21, s24, 0
	s_add_u32 s20, s20, s22
	s_addc_u32 s21, s21, 0
	s_add_u32 s86, s20, s23
	s_addc_u32 s87, s21, 0
	s_and_b64 s[20:21], s[2:3], s[40:41]
	v_cndmask_b32_e64 v2, 0, 1, s[20:21]
	s_and_b64 s[20:21], s[14:15], s[42:43]
	v_cndmask_b32_e64 v8, 0, 1, s[20:21]
	s_and_b64 s[20:21], s[16:17], s[44:45]
	v_cndmask_b32_e64 v9, 0, 1, s[20:21]
	s_and_b64 s[20:21], s[18:19], s[46:47]
	v_cndmask_b32_e64 v10, 0, 1, s[20:21]
	v_cmp_ne_u32_e64 s[20:21], 0, v2
	v_cmp_ne_u32_e64 s[22:23], 0, v8
	v_cmp_ne_u32_e64 s[24:25], 0, v9
	v_cmp_ne_u32_e64 s[26:27], 0, v10
	s_bcnt1_i32_b64 s20, s[20:21]
	s_bcnt1_i32_b64 s21, s[22:23]
	s_bcnt1_i32_b64 s22, s[24:25]
	s_bcnt1_i32_b64 s23, s[26:27]
	s_add_u32 s20, s20, s92
	s_addc_u32 s24, 0, s93
	s_add_u32 s20, s20, s21
	s_addc_u32 s21, s24, 0
	s_add_u32 s20, s20, s22
	s_addc_u32 s21, s21, 0
	s_add_u32 s92, s20, s23
	s_addc_u32 s93, s21, 0
	s_and_b64 s[2:3], s[2:3], s[48:49]
	v_cndmask_b32_e64 v2, 0, 1, s[2:3]
	s_and_b64 s[2:3], s[14:15], s[50:51]
	v_cndmask_b32_e64 v10, 0, 1, s[2:3]
	s_and_b64 s[2:3], s[16:17], s[52:53]
	v_cndmask_b32_e64 v11, 0, 1, s[2:3]
	s_and_b64 s[2:3], s[18:19], s[54:55]
	v_cndmask_b32_e64 v38, 0, 1, s[2:3]
	v_cmp_ne_u32_e64 s[2:3], 0, v2
	v_cmp_ne_u32_e64 s[14:15], 0, v10
	;; [unrolled: 1-line block ×4, first 2 shown]
	s_bcnt1_i32_b64 s2, s[2:3]
	s_bcnt1_i32_b64 s3, s[14:15]
	;; [unrolled: 1-line block ×4, first 2 shown]
	s_add_u32 s2, s2, s6
	s_addc_u32 s6, 0, s7
	s_add_u32 s2, s2, s3
	s_addc_u32 s3, s6, 0
	;; [unrolled: 2-line block ×5, first 2 shown]
	v_mov_b64_e32 v[4:5], s[90:91]
	v_mov_b64_e32 v[6:7], s[86:87]
	;; [unrolled: 1-line block ×3, first 2 shown]
	s_or_b64 s[98:99], vcc, s[98:99]
	v_mov_b64_e32 v[10:11], s[6:7]
	s_andn2_b64 exec, exec, s[98:99]
	s_cbranch_execnz .LBB7_70
; %bb.71:                               ;   in Loop: Header=BB7_32 Depth=1
	s_or_b64 exec, exec, s[98:99]
	v_readlane_b32 s86, v66, 34
	v_readlane_b32 s90, v66, 36
	;; [unrolled: 1-line block ×7, first 2 shown]
	s_mov_b32 s93, s65
	s_mov_b32 s53, s13
	v_readlane_b32 s49, v66, 41
	s_mov_b32 s64, s12
	v_readlane_b32 s83, v66, 42
	v_readlane_b32 s12, v66, 43
	;; [unrolled: 1-line block ×7, first 2 shown]
.LBB7_72:                               ;   in Loop: Header=BB7_32 Depth=1
	s_or_b64 exec, exec, s[88:89]
	v_lshl_add_u64 v[36:37], s[8:9], 0, v[0:1]
	v_cmp_gt_i64_e32 vcc, s[56:57], v[36:37]
	s_and_saveexec_b64 s[6:7], vcc
	s_cbranch_execz .LBB7_78
; %bb.73:                               ;   in Loop: Header=BB7_32 Depth=1
	v_mov_b64_e32 v[38:39], s[70:71]
	v_mad_u64_u32 v[38:39], s[2:3], v36, s62, v[38:39]
	v_mul_lo_u32 v2, v36, s63
	v_mul_lo_u32 v48, v37, s62
	v_add3_u32 v39, v48, v39, v2
	global_load_ubyte v2, v[38:39], off
	v_lshl_add_u64 v[38:39], v[32:33], 0, s[30:31]
	v_mov_b32_e32 v48, s1
	v_subrev_co_u32_e32 v49, vcc, s0, v38
	v_readlane_b32 s0, v66, 31
	s_nop 0
	v_subb_co_u32_e32 v38, vcc, v39, v48, vcc
	v_readlane_b32 s1, v66, 32
	v_mul_lo_u32 v48, s62, v38
	v_mul_lo_u32 v52, s63, v49
	v_mov_b64_e32 v[38:39], s[0:1]
	v_mad_u64_u32 v[38:39], s[0:1], s62, v49, v[38:39]
	s_mul_i32 s0, s63, s30
	s_mul_hi_u32 s1, s62, s30
	v_add3_u32 v39, v52, v39, v48
	s_add_i32 s1, s1, s0
	s_mul_i32 s0, s62, s30
	s_mov_b64 s[8:9], 0
	s_branch .LBB7_75
.LBB7_74:                               ;   in Loop: Header=BB7_75 Depth=2
	s_or_b64 exec, exec, s[14:15]
	s_waitcnt vmcnt(0)
	v_and_b32_e32 v49, 0xff, v2
	v_bitop3_b32 v2, v46, v2, s85 bitop3:0x80
	s_and_b64 s[2:3], exec, vcc
	v_cmp_eq_u32_e32 vcc, v2, v44
	v_bfe_u32 v2, v49, s84, 2
	s_or_b64 s[8:9], s[2:3], s[8:9]
	v_cmp_eq_u32_e64 s[2:3], 0, v2
	s_and_b64 s[2:3], vcc, s[2:3]
	v_lshl_add_u64 v[38:39], v[38:39], 0, s[0:1]
	v_cndmask_b32_e64 v49, 0, 1, s[2:3]
	v_cmp_ne_u32_e64 s[2:3], 0, v49
	s_bcnt1_i32_b64 s80, s[2:3]
	v_cmp_eq_u32_e64 s[2:3], 1, v2
	s_and_b64 s[2:3], vcc, s[2:3]
	v_lshl_add_u64 v[4:5], s[80:81], 0, v[4:5]
	v_cndmask_b32_e64 v49, 0, 1, s[2:3]
	v_cmp_ne_u32_e64 s[2:3], 0, v49
	s_bcnt1_i32_b64 s80, s[2:3]
	;; [unrolled: 6-line block ×3, first 2 shown]
	v_cmp_eq_u32_e64 s[2:3], 3, v2
	s_and_b64 s[2:3], vcc, s[2:3]
	v_lshl_add_u64 v[8:9], s[80:81], 0, v[8:9]
	v_cndmask_b32_e64 v2, 0, 1, s[2:3]
	v_cmp_ne_u32_e32 vcc, 0, v2
	s_bcnt1_i32_b64 s80, vcc
	v_lshl_add_u64 v[10:11], s[80:81], 0, v[10:11]
	v_mov_b32_e32 v2, v48
	s_andn2_b64 exec, exec, s[8:9]
	s_cbranch_execz .LBB7_77
.LBB7_75:                               ;   Parent Loop BB7_32 Depth=1
                                        ; =>  This Inner Loop Header: Depth=2
	v_lshl_add_u64 v[36:37], v[36:37], 0, s[30:31]
	v_cmp_gt_i64_e64 s[2:3], s[56:57], v[36:37]
	v_cmp_le_i64_e32 vcc, s[56:57], v[36:37]
	v_mov_b32_e32 v48, 0
	s_and_saveexec_b64 s[14:15], s[2:3]
	s_cbranch_execz .LBB7_74
; %bb.76:                               ;   in Loop: Header=BB7_75 Depth=2
	global_load_ubyte v48, v[38:39], off
	s_branch .LBB7_74
.LBB7_77:                               ;   in Loop: Header=BB7_32 Depth=1
	s_or_b64 exec, exec, s[8:9]
.LBB7_78:                               ;   in Loop: Header=BB7_32 Depth=1
	s_or_b64 exec, exec, s[6:7]
	s_mov_b64 s[0:1], 0
.LBB7_79:                               ;   in Loop: Header=BB7_32 Depth=1
	s_and_b64 vcc, exec, s[0:1]
	s_cbranch_vccz .LBB7_89
; %bb.80:                               ;   in Loop: Header=BB7_32 Depth=1
	global_load_ushort v2, v3, s[48:49]
	v_mov_b64_e32 v[8:9], 0
	s_waitcnt vmcnt(0)
	v_readfirstlane_b32 s0, v2
	s_and_b32 s92, 0xffff, s0
	s_lshl_b32 s80, s92, 2
	v_cvt_f32_u32_e32 v4, s80
	s_sub_i32 s0, 0, s80
	v_rcp_iflag_f32_e32 v6, v4
	v_mov_b64_e32 v[4:5], 0
	v_mul_f32_e32 v6, 0x4f7ffffe, v6
	v_cvt_u32_f32_e32 v10, v6
	v_mov_b64_e32 v[6:7], 0
	v_readfirstlane_b32 s1, v10
	s_mul_i32 s0, s0, s1
	s_mul_hi_u32 s0, s1, s0
	s_add_i32 s1, s1, s0
	s_mul_hi_u32 s0, s96, s1
	s_mul_i32 s1, s0, s80
	s_sub_i32 s1, s96, s1
	s_add_i32 s2, s0, 1
	s_sub_i32 s3, s1, s80
	s_cmp_ge_u32 s1, s80
	s_cselect_b32 s0, s2, s0
	s_cselect_b32 s1, s3, s1
	s_add_i32 s2, s0, 1
	s_cmp_ge_u32 s1, s80
	s_cselect_b32 s0, s2, s0
	s_mul_hi_u32 s1, s92, s0
	s_mul_i32 s0, s92, s0
	s_lshl_b64 s[6:7], s[0:1], 2
	v_cmp_gt_u64_e32 vcc, s[6:7], v[16:17]
	v_mov_b64_e32 v[10:11], 0
	s_and_saveexec_b64 s[8:9], vcc
	s_cbranch_execz .LBB7_84
; %bb.81:                               ;   in Loop: Header=BB7_32 Depth=1
	s_mov_b32 s13, s53
	s_mov_b64 s[30:31], 0
	v_mov_b32_e32 v38, v16
	s_mov_b64 s[82:83], 0
	s_mov_b64 s[86:87], 0
	;; [unrolled: 1-line block ×4, first 2 shown]
	v_mov_b64_e32 v[36:37], v[16:17]
.LBB7_82:                               ;   Parent Loop BB7_32 Depth=1
                                        ; =>  This Inner Loop Header: Depth=2
	ds_read_b32 v4, v38
	v_lshl_add_u64 v[36:37], v[36:37], 0, s[80:81]
	v_cmp_le_u64_e32 vcc, s[6:7], v[36:37]
	v_add_u32_e32 v38, s80, v38
	s_waitcnt lgkmcnt(0)
	v_and_b32_e32 v8, 0xff, v4
	v_lshrrev_b32_e32 v5, 16, v4
	v_lshrrev_b32_e32 v6, 8, v4
	;; [unrolled: 1-line block ×3, first 2 shown]
	v_bfe_u32 v9, v4, 8, 8
	v_bfe_u32 v10, v4, 16, 8
	v_bitop3_b32 v4, v46, v4, s85 bitop3:0x80
	v_bfe_u32 v8, v8, s84, 2
	v_cmp_eq_u32_e64 s[18:19], v4, v44
	v_bitop3_b32 v4, v46, v6, s85 bitop3:0x80
	v_bfe_u32 v9, v9, s84, 2
	v_cmp_eq_u32_e64 s[2:3], 0, v8
	;; [unrolled: 3-line block ×3, first 2 shown]
	v_cmp_eq_u32_e64 s[34:35], 0, v9
	s_and_b64 s[2:3], s[18:19], s[2:3]
	v_and_b32_e32 v6, v46, v7
	v_bfe_u32 v7, v7, s84, 2
	v_cmp_eq_u32_e64 s[16:17], v5, v44
	v_cmp_eq_u32_e64 s[36:37], 0, v10
	v_cndmask_b32_e64 v4, 0, 1, s[2:3]
	s_and_b64 s[2:3], s[20:21], s[34:35]
	v_cmp_eq_u32_e64 s[14:15], v6, v44
	v_cmp_eq_u32_e64 s[38:39], 0, v7
	v_cndmask_b32_e64 v5, 0, 1, s[2:3]
	s_and_b64 s[2:3], s[16:17], s[36:37]
	v_cndmask_b32_e64 v6, 0, 1, s[2:3]
	s_and_b64 s[2:3], s[14:15], s[38:39]
	v_cmp_eq_u32_e64 s[46:47], 1, v7
	v_cmp_eq_u32_e64 s[54:55], 2, v7
	v_cmp_eq_u32_e64 s[22:23], 3, v7
	v_cndmask_b32_e64 v7, 0, 1, s[2:3]
	v_cmp_ne_u32_e64 s[2:3], 0, v4
	v_cmp_ne_u32_e64 s[34:35], 0, v5
	;; [unrolled: 1-line block ×4, first 2 shown]
	s_bcnt1_i32_b64 s1, s[2:3]
	s_bcnt1_i32_b64 s2, s[34:35]
	;; [unrolled: 1-line block ×4, first 2 shown]
	s_add_u32 s1, s1, s90
	s_addc_u32 s35, 0, s91
	s_add_u32 s1, s1, s2
	s_addc_u32 s2, s35, 0
	;; [unrolled: 2-line block ×3, first 2 shown]
	v_cmp_eq_u32_e64 s[40:41], 1, v8
	s_add_u32 s90, s1, s34
	v_cmp_eq_u32_e64 s[42:43], 1, v9
	s_addc_u32 s91, s2, 0
	s_and_b64 s[2:3], s[18:19], s[40:41]
	v_cmp_eq_u32_e64 s[44:45], 1, v10
	v_cndmask_b32_e64 v6, 0, 1, s[2:3]
	s_and_b64 s[2:3], s[20:21], s[42:43]
	v_cndmask_b32_e64 v7, 0, 1, s[2:3]
	s_and_b64 s[2:3], s[16:17], s[44:45]
	v_cmp_eq_u32_e64 s[48:49], 2, v8
	v_cmp_eq_u32_e64 s[28:29], 3, v8
	v_cndmask_b32_e64 v8, 0, 1, s[2:3]
	s_and_b64 s[2:3], s[14:15], s[46:47]
	v_cmp_eq_u32_e64 s[50:51], 2, v9
	v_cmp_eq_u32_e64 s[26:27], 3, v9
	v_cndmask_b32_e64 v9, 0, 1, s[2:3]
	v_cmp_ne_u32_e64 s[2:3], 0, v6
	v_cmp_ne_u32_e64 s[34:35], 0, v7
	;; [unrolled: 1-line block ×4, first 2 shown]
	s_bcnt1_i32_b64 s1, s[2:3]
	s_bcnt1_i32_b64 s2, s[34:35]
	;; [unrolled: 1-line block ×4, first 2 shown]
	s_add_u32 s1, s1, s88
	s_addc_u32 s35, 0, s89
	s_add_u32 s1, s1, s2
	s_addc_u32 s2, s35, 0
	;; [unrolled: 2-line block ×4, first 2 shown]
	s_and_b64 s[2:3], s[18:19], s[48:49]
	v_cmp_eq_u32_e64 s[52:53], 2, v10
	v_cndmask_b32_e64 v8, 0, 1, s[2:3]
	s_and_b64 s[2:3], s[20:21], s[50:51]
	v_cndmask_b32_e64 v9, 0, 1, s[2:3]
	s_and_b64 s[2:3], s[16:17], s[52:53]
	v_cmp_eq_u32_e64 s[24:25], 3, v10
	v_cndmask_b32_e64 v10, 0, 1, s[2:3]
	s_and_b64 s[2:3], s[14:15], s[54:55]
	v_cndmask_b32_e64 v11, 0, 1, s[2:3]
	v_cmp_ne_u32_e64 s[2:3], 0, v8
	v_cmp_ne_u32_e64 s[34:35], 0, v9
	;; [unrolled: 1-line block ×4, first 2 shown]
	s_bcnt1_i32_b64 s1, s[2:3]
	s_bcnt1_i32_b64 s2, s[34:35]
	;; [unrolled: 1-line block ×4, first 2 shown]
	s_add_u32 s1, s1, s86
	s_addc_u32 s35, 0, s87
	s_add_u32 s1, s1, s2
	s_addc_u32 s2, s35, 0
	;; [unrolled: 2-line block ×4, first 2 shown]
	s_and_b64 s[2:3], s[18:19], s[28:29]
	v_cndmask_b32_e64 v10, 0, 1, s[2:3]
	s_and_b64 s[2:3], s[20:21], s[26:27]
	v_cndmask_b32_e64 v11, 0, 1, s[2:3]
	;; [unrolled: 2-line block ×4, first 2 shown]
	v_cmp_ne_u32_e64 s[2:3], 0, v10
	v_cmp_ne_u32_e64 s[14:15], 0, v11
	;; [unrolled: 1-line block ×4, first 2 shown]
	s_bcnt1_i32_b64 s1, s[2:3]
	s_bcnt1_i32_b64 s2, s[14:15]
	;; [unrolled: 1-line block ×4, first 2 shown]
	s_add_u32 s1, s1, s82
	s_addc_u32 s15, 0, s83
	s_add_u32 s1, s1, s2
	s_addc_u32 s2, s15, 0
	s_add_u32 s1, s1, s3
	s_addc_u32 s2, s2, 0
	s_add_u32 s82, s1, s14
	s_addc_u32 s83, s2, 0
	v_mov_b64_e32 v[4:5], s[90:91]
	v_mov_b64_e32 v[6:7], s[88:89]
	;; [unrolled: 1-line block ×3, first 2 shown]
	s_or_b64 s[30:31], vcc, s[30:31]
	v_mov_b64_e32 v[10:11], s[82:83]
	s_andn2_b64 exec, exec, s[30:31]
	s_cbranch_execnz .LBB7_82
; %bb.83:                               ;   in Loop: Header=BB7_32 Depth=1
	s_or_b64 exec, exec, s[30:31]
	v_readlane_b32 s86, v66, 34
	v_readlane_b32 s90, v66, 36
	;; [unrolled: 1-line block ×7, first 2 shown]
	s_mov_b32 s53, s13
	v_readlane_b32 s49, v66, 41
	v_readlane_b32 s83, v66, 42
	;; [unrolled: 1-line block ×7, first 2 shown]
.LBB7_84:                               ;   in Loop: Header=BB7_32 Depth=1
	s_or_b64 exec, exec, s[8:9]
	s_and_b32 s8, s96, 0x7fffffff
	s_mov_b32 s9, s81
	v_lshl_add_u64 v[36:37], s[6:7], 0, v[0:1]
	v_and_b32_e32 v2, 0xffff, v2
	v_cmp_gt_u64_e32 vcc, s[8:9], v[36:37]
	s_and_saveexec_b64 s[6:7], vcc
	s_cbranch_execz .LBB7_88
; %bb.85:                               ;   in Loop: Header=BB7_32 Depth=1
	v_lshl_add_u32 v38, s0, 2, v0
	s_mov_b64 s[0:1], 0
.LBB7_86:                               ;   Parent Loop BB7_32 Depth=1
                                        ; =>  This Inner Loop Header: Depth=2
	ds_read_u8 v39, v38
	v_lshl_add_u64 v[36:37], v[36:37], 0, v[2:3]
	v_cmp_le_u64_e32 vcc, s[8:9], v[36:37]
	v_add_u32_e32 v38, s92, v38
	s_waitcnt lgkmcnt(0)
	v_and_b32_e32 v48, v46, v39
	v_bfe_u32 v39, v39, s84, 2
	v_cmp_eq_u32_e64 s[2:3], v48, v44
	v_cmp_eq_u32_e64 s[14:15], 0, v39
	;; [unrolled: 1-line block ×3, first 2 shown]
	s_and_b64 s[14:15], s[2:3], s[14:15]
	v_cmp_eq_u32_e64 s[18:19], 2, v39
	v_cmp_eq_u32_e64 s[20:21], 3, v39
	v_cndmask_b32_e64 v39, 0, 1, s[14:15]
	s_and_b64 s[14:15], s[2:3], s[16:17]
	v_cndmask_b32_e64 v48, 0, 1, s[14:15]
	s_and_b64 s[14:15], s[2:3], s[18:19]
	s_and_b64 s[2:3], s[2:3], s[20:21]
	v_cndmask_b32_e64 v52, 0, 1, s[2:3]
	v_cmp_ne_u32_e64 s[2:3], 0, v39
	v_cndmask_b32_e64 v49, 0, 1, s[14:15]
	v_cmp_ne_u32_e64 s[14:15], 0, v48
	s_bcnt1_i32_b64 s80, s[2:3]
	v_cmp_ne_u32_e64 s[16:17], 0, v49
	v_lshl_add_u64 v[4:5], s[80:81], 0, v[4:5]
	s_bcnt1_i32_b64 s80, s[14:15]
	v_cmp_ne_u32_e64 s[18:19], 0, v52
	v_lshl_add_u64 v[6:7], s[80:81], 0, v[6:7]
	s_bcnt1_i32_b64 s80, s[16:17]
	v_lshl_add_u64 v[8:9], s[80:81], 0, v[8:9]
	s_bcnt1_i32_b64 s80, s[18:19]
	s_or_b64 s[0:1], vcc, s[0:1]
	v_lshl_add_u64 v[10:11], s[80:81], 0, v[10:11]
	s_andn2_b64 exec, exec, s[0:1]
	s_cbranch_execnz .LBB7_86
; %bb.87:                               ;   in Loop: Header=BB7_32 Depth=1
	s_or_b64 exec, exec, s[0:1]
.LBB7_88:                               ;   in Loop: Header=BB7_32 Depth=1
	s_or_b64 exec, exec, s[6:7]
	v_readlane_b32 s92, v66, 47
.LBB7_89:                               ;   in Loop: Header=BB7_32 Depth=1
	v_readlane_b32 s0, v66, 33
	s_lshl_b32 s2, s0, 6
	s_and_saveexec_b64 s[0:1], s[4:5]
	s_mov_b64 s[40:41], s[10:11]
	s_mov_b64 s[96:97], s[58:59]
	s_cbranch_execz .LBB7_91
; %bb.90:                               ;   in Loop: Header=BB7_32 Depth=1
	v_lshl_add_u32 v2, s2, 3, v42
	ds_write_b128 v2, v[4:7]
	ds_write_b128 v2, v[8:11] offset:16
.LBB7_91:                               ;   in Loop: Header=BB7_32 Depth=1
	s_or_b64 exec, exec, s[0:1]
	s_waitcnt lgkmcnt(0)
	s_barrier
	s_and_saveexec_b64 s[0:1], s[54:55]
	s_cbranch_execz .LBB7_106
; %bb.92:                               ;   in Loop: Header=BB7_32 Depth=1
	v_readlane_b32 s6, v66, 18
	v_readlane_b32 s7, v66, 19
	s_andn2_b64 vcc, exec, s[6:7]
	v_mov_b64_e32 v[4:5], 0
	s_cbranch_vccnz .LBB7_105
; %bb.93:                               ;   in Loop: Header=BB7_32 Depth=1
	v_readlane_b32 s6, v66, 26
	v_readlane_b32 s7, v66, 27
	s_andn2_b64 vcc, exec, s[6:7]
	s_cbranch_vccnz .LBB7_101
; %bb.94:                               ;   in Loop: Header=BB7_32 Depth=1
	v_readlane_b32 s3, v66, 33
	v_mov_b64_e32 v[4:5], 0
	s_nop 0
	v_lshl_add_u32 v2, s3, 9, v43
	s_mov_b32 s3, 0
.LBB7_95:                               ;   Parent Loop BB7_32 Depth=1
                                        ; =>  This Inner Loop Header: Depth=2
	ds_read2_b64 v[6:9], v2 offset1:4
	ds_read2_b64 v[36:39], v2 offset0:8 offset1:12
	ds_read2_b64 v[52:55], v2 offset0:16 offset1:20
	;; [unrolled: 1-line block ×3, first 2 shown]
	s_add_i32 s3, s3, 8
	s_waitcnt lgkmcnt(3)
	v_lshl_add_u64 v[4:5], v[6:7], 0, v[4:5]
	v_lshl_add_u64 v[4:5], v[8:9], 0, v[4:5]
	s_waitcnt lgkmcnt(2)
	v_lshl_add_u64 v[4:5], v[36:37], 0, v[4:5]
	v_lshl_add_u64 v[4:5], v[38:39], 0, v[4:5]
	;; [unrolled: 3-line block ×3, first 2 shown]
	s_waitcnt lgkmcnt(0)
	v_lshl_add_u64 v[4:5], v[56:57], 0, v[4:5]
	v_add_u32_e32 v2, 0x100, v2
	s_cmp_eq_u32 s33, s3
	v_lshl_add_u64 v[4:5], v[58:59], 0, v[4:5]
	s_cbranch_scc0 .LBB7_95
; %bb.96:                               ;   in Loop: Header=BB7_32 Depth=1
	s_mov_b32 s3, s33
	s_branch .LBB7_102
.LBB7_97:                               ;   in Loop: Header=BB7_32 Depth=1
                                        ; implicit-def: $sgpr0_sgpr1
	s_branch .LBB7_67
.LBB7_98:                               ;   in Loop: Header=BB7_32 Depth=1
	s_or_b64 exec, exec, s[6:7]
	s_waitcnt lgkmcnt(0)
	s_barrier
	s_mov_b64 s[2:3], exec
	v_readlane_b32 s6, v66, 10
	v_readlane_b32 s7, v66, 11
	s_and_b64 s[6:7], s[2:3], s[6:7]
	s_mov_b64 exec, s[6:7]
	s_cbranch_execz .LBB7_100
; %bb.99:                               ;   in Loop: Header=BB7_32 Depth=1
	ds_read_b32 v4, v3 offset:5136
	s_waitcnt lgkmcnt(0)
	v_ashrrev_i32_e32 v5, 31, v4
	ds_write_b64 v3, v[4:5] offset:5120
.LBB7_100:                              ;   in Loop: Header=BB7_32 Depth=1
	s_or_b64 exec, exec, s[2:3]
	s_waitcnt lgkmcnt(0)
	s_barrier
	s_mov_b64 s[2:3], -1
	s_and_b64 vcc, exec, s[0:1]
	s_cbranch_vccnz .LBB7_47
	s_branch .LBB7_62
.LBB7_101:                              ;   in Loop: Header=BB7_32 Depth=1
	s_mov_b32 s3, 0
	v_mov_b64_e32 v[4:5], 0
.LBB7_102:                              ;   in Loop: Header=BB7_32 Depth=1
	v_readlane_b32 s6, v66, 29
	v_readlane_b32 s7, v66, 30
	s_andn2_b64 vcc, exec, s[6:7]
	s_cbranch_vccnz .LBB7_105
; %bb.103:                              ;   in Loop: Header=BB7_32 Depth=1
	v_readlane_b32 s6, v66, 33
	s_lshl_b32 s6, s6, 9
	s_lshl_b32 s3, s3, 5
	s_add_i32 s6, s6, s3
	v_add_u32_e32 v2, s6, v43
	v_readlane_b32 s3, v66, 28
.LBB7_104:                              ;   Parent Loop BB7_32 Depth=1
                                        ; =>  This Inner Loop Header: Depth=2
	ds_read_b64 v[6:7], v2
	s_add_i32 s3, s3, -1
	v_add_u32_e32 v2, 32, v2
	s_cmp_lg_u32 s3, 0
	s_waitcnt lgkmcnt(0)
	v_lshl_add_u64 v[4:5], v[6:7], 0, v[4:5]
	s_cbranch_scc1 .LBB7_104
.LBB7_105:                              ;   in Loop: Header=BB7_32 Depth=1
	v_add_lshl_u32 v2, s2, v40, 3
	ds_write_b64 v2, v[4:5] offset:3072
.LBB7_106:                              ;   in Loop: Header=BB7_32 Depth=1
	s_or_b64 exec, exec, s[0:1]
	s_lshl_b32 s0, s2, 3
	v_mov_b32_e32 v2, s0
	s_waitcnt lgkmcnt(0)
	s_barrier
	ds_read_b128 v[8:11], v2 offset:3088
	ds_read_b128 v[4:7], v2 offset:3072
	s_lshl_b32 s82, 3, s84
	v_cmp_eq_u64_e64 s[2:3], 1, v[34:35]
	s_not_b32 s50, s82
	s_waitcnt lgkmcnt(1)
	v_readfirstlane_b32 s22, v8
	s_waitcnt lgkmcnt(0)
	v_cmp_eq_u64_e32 vcc, 1, v[4:5]
	v_readfirstlane_b32 s23, v9
	v_readfirstlane_b32 s14, v10
	v_readfirstlane_b32 s15, v11
	s_and_b64 s[18:19], vcc, s[2:3]
	s_mov_b64 s[2:3], -1
	s_mov_b64 s[8:9], -1
                                        ; implicit-def: $sgpr6_sgpr7
                                        ; implicit-def: $sgpr0_sgpr1
	s_and_saveexec_b64 s[16:17], s[18:19]
	s_cbranch_execz .LBB7_140
; %bb.107:                              ;   in Loop: Header=BB7_32 Depth=1
	ds_read_b64 v[8:9], v3 offset:5120
	s_waitcnt lgkmcnt(0)
	s_barrier
	v_readfirstlane_b32 s20, v8
	v_readfirstlane_b32 s21, v9
	s_mov_b64 s[0:1], exec
	v_readlane_b32 s6, v66, 12
	v_readlane_b32 s7, v66, 13
	s_and_b64 s[6:7], s[0:1], s[6:7]
	s_mov_b64 exec, s[6:7]
; %bb.108:                              ;   in Loop: Header=BB7_32 Depth=1
	ds_write_b8 v0, v3 offset:3072
; %bb.109:                              ;   in Loop: Header=BB7_32 Depth=1
	s_or_b64 exec, exec, s[0:1]
	v_cmp_lt_i64_e64 s[8:9], s[20:21], 1
	v_and_b32_e32 v44, s50, v44
	v_or_b32_e32 v46, s82, v46
	s_mov_b64 s[0:1], -1
	s_mov_b64 s[6:7], 0
	s_and_b64 vcc, exec, s[8:9]
	s_mov_b64 s[8:9], 0
	s_mov_b64 s[24:25], -1
	s_waitcnt lgkmcnt(0)
	s_barrier
                                        ; implicit-def: $vgpr47
	s_cbranch_vccz .LBB7_125
; %bb.110:                              ;   in Loop: Header=BB7_32 Depth=1
	s_mov_b32 s52, s81
	s_cmp_lg_u64 s[52:53], 0
	s_cbranch_scc0 .LBB7_112
; %bb.111:                              ;   in Loop: Header=BB7_32 Depth=1
	s_add_u32 s8, s78, 0
	s_addc_u32 s9, 0, 0
	s_xor_b64 s[8:9], s[8:9], 0
	v_cvt_f32_u32_e32 v2, s8
	v_cvt_f32_u32_e32 v8, s9
	s_sub_u32 s26, 0, s8
	s_subb_u32 s27, 0, s9
	v_fmac_f32_e32 v2, 0x4f800000, v8
	v_rcp_f32_e32 v2, v2
	s_nop 0
	v_mul_f32_e32 v2, 0x5f7ffffc, v2
	v_mul_f32_e32 v8, 0x2f800000, v2
	v_trunc_f32_e32 v8, v8
	v_fmac_f32_e32 v2, 0xcf800000, v8
	v_cvt_u32_f32_e32 v8, v8
	v_cvt_u32_f32_e32 v2, v2
	v_readfirstlane_b32 s28, v8
	v_readfirstlane_b32 s24, v2
	s_mul_i32 s25, s26, s28
	s_mul_hi_u32 s30, s26, s24
	s_mul_i32 s29, s27, s24
	s_add_i32 s25, s30, s25
	s_mul_i32 s31, s26, s24
	s_add_i32 s25, s25, s29
	s_mul_i32 s30, s24, s25
	s_mul_hi_u32 s34, s24, s31
	s_mul_hi_u32 s29, s24, s25
	s_add_u32 s30, s34, s30
	s_addc_u32 s29, 0, s29
	s_mul_hi_u32 s35, s28, s31
	s_mul_i32 s31, s28, s31
	s_add_u32 s30, s30, s31
	s_mul_hi_u32 s34, s28, s25
	s_addc_u32 s29, s29, s35
	s_addc_u32 s30, s34, 0
	s_mul_i32 s25, s28, s25
	s_add_u32 s25, s29, s25
	s_addc_u32 s29, 0, s30
	s_add_u32 s30, s24, s25
	s_cselect_b64 s[24:25], -1, 0
	s_cmp_lg_u64 s[24:25], 0
	s_addc_u32 s28, s28, s29
	s_mul_i32 s24, s26, s28
	s_mul_hi_u32 s25, s26, s30
	s_add_i32 s24, s25, s24
	s_mul_i32 s27, s27, s30
	s_add_i32 s24, s24, s27
	s_mul_i32 s26, s26, s30
	s_mul_hi_u32 s27, s28, s26
	s_mul_i32 s29, s28, s26
	s_mul_i32 s34, s30, s24
	s_mul_hi_u32 s26, s30, s26
	s_mul_hi_u32 s31, s30, s24
	s_add_u32 s26, s26, s34
	s_addc_u32 s31, 0, s31
	s_add_u32 s26, s26, s29
	s_mul_hi_u32 s25, s28, s24
	s_addc_u32 s26, s31, s27
	s_addc_u32 s25, s25, 0
	s_mul_i32 s24, s28, s24
	s_add_u32 s24, s26, s24
	s_addc_u32 s26, 0, s25
	s_add_u32 s29, s30, s24
	s_cselect_b64 s[24:25], -1, 0
	s_cmp_lg_u64 s[24:25], 0
	s_addc_u32 s28, s28, s26
	s_ashr_i32 s24, s53, 31
	s_add_u32 s26, s93, s24
	s_mov_b32 s25, s24
	s_addc_u32 s27, s53, s24
	s_xor_b64 s[26:27], s[26:27], s[24:25]
	s_mul_i32 s31, s26, s28
	s_mul_hi_u32 s34, s26, s29
	s_mul_hi_u32 s30, s26, s28
	s_add_u32 s31, s34, s31
	s_addc_u32 s30, 0, s30
	s_mul_hi_u32 s35, s27, s29
	s_mul_i32 s29, s27, s29
	s_add_u32 s29, s31, s29
	s_mul_hi_u32 s34, s27, s28
	s_addc_u32 s29, s30, s35
	s_addc_u32 s30, s34, 0
	s_mul_i32 s28, s27, s28
	s_add_u32 s28, s29, s28
	s_addc_u32 s29, 0, s30
	s_mul_i32 s29, s8, s29
	s_mul_hi_u32 s30, s8, s28
	s_add_i32 s29, s30, s29
	s_mul_i32 s30, s9, s28
	s_add_i32 s34, s29, s30
	s_sub_i32 s30, s27, s34
	s_mul_i32 s28, s8, s28
	s_sub_u32 s26, s26, s28
	s_cselect_b64 s[28:29], -1, 0
	s_cmp_lg_u64 s[28:29], 0
	s_subb_u32 s35, s30, s9
	s_sub_u32 s36, s26, s8
	s_cselect_b64 s[30:31], -1, 0
	s_cmp_lg_u64 s[30:31], 0
	s_subb_u32 s37, s35, 0
	s_cmp_ge_u32 s37, s9
	s_cselect_b32 s38, -1, 0
	s_cmp_ge_u32 s36, s8
	s_cselect_b32 s39, -1, 0
	s_cmp_eq_u32 s37, s9
	s_cselect_b32 s38, s39, s38
	s_cmp_lg_u64 s[30:31], 0
	s_subb_u32 s35, s35, s9
	s_sub_u32 s39, s36, s8
	s_cselect_b64 s[30:31], -1, 0
	s_cmp_lg_u64 s[30:31], 0
	s_subb_u32 s30, s35, 0
	s_cmp_lg_u32 s38, 0
	s_cselect_b32 s31, s39, s36
	s_cselect_b32 s30, s30, s37
	s_cmp_lg_u64 s[28:29], 0
	s_subb_u32 s27, s27, s34
	s_cmp_ge_u32 s27, s9
	s_cselect_b32 s28, -1, 0
	s_cmp_ge_u32 s26, s8
	s_cselect_b32 s8, -1, 0
	s_cmp_eq_u32 s27, s9
	s_cselect_b32 s8, s8, s28
	s_cmp_lg_u32 s8, 0
	s_cselect_b32 s9, s30, s27
	s_cselect_b32 s8, s31, s26
	s_xor_b64 s[8:9], s[8:9], s[24:25]
	s_sub_u32 s8, s8, s24
	s_subb_u32 s9, s9, s24
	s_mov_b64 s[24:25], 0
	s_branch .LBB7_113
.LBB7_112:                              ;   in Loop: Header=BB7_32 Depth=1
                                        ; implicit-def: $sgpr8_sgpr9
.LBB7_113:                              ;   in Loop: Header=BB7_32 Depth=1
	s_andn2_b64 vcc, exec, s[24:25]
	v_readlane_b32 s52, v66, 48
	s_cbranch_vccnz .LBB7_115
; %bb.114:                              ;   in Loop: Header=BB7_32 Depth=1
	v_cvt_f32_u32_e32 v2, s78
	s_sub_i32 s8, 0, s78
	v_rcp_iflag_f32_e32 v2, v2
	s_nop 0
	v_mul_f32_e32 v2, 0x4f7ffffe, v2
	v_cvt_u32_f32_e32 v2, v2
	s_nop 0
	v_readfirstlane_b32 s9, v2
	s_mul_i32 s8, s8, s9
	s_mul_hi_u32 s8, s9, s8
	s_add_i32 s9, s9, s8
	s_mul_hi_u32 s8, s93, s9
	s_mul_i32 s8, s8, s78
	s_sub_i32 s8, s93, s8
	s_sub_i32 s9, s8, s78
	s_cmp_ge_u32 s8, s78
	s_cselect_b32 s8, s9, s8
	s_sub_i32 s9, s8, s78
	s_cmp_ge_u32 s8, s78
	s_cselect_b32 s80, s9, s8
	s_mov_b64 s[8:9], s[80:81]
.LBB7_115:                              ;   in Loop: Header=BB7_32 Depth=1
	s_sub_u32 s28, s93, s8
	s_subb_u32 s29, s53, s9
	v_cmp_gt_i64_e32 vcc, s[28:29], v[0:1]
	s_mov_b64 s[24:25], 0
	s_mov_b64 s[8:9], 0
                                        ; implicit-def: $vgpr47
	s_and_saveexec_b64 s[26:27], vcc
	s_cbranch_execz .LBB7_124
; %bb.116:                              ;   in Loop: Header=BB7_32 Depth=1
	v_mov_b64_e32 v[8:9], v[12:13]
	v_mov_b64_e32 v[10:11], v[0:1]
                                        ; implicit-def: $sgpr30_sgpr31
	s_branch .LBB7_119
.LBB7_117:                              ;   in Loop: Header=BB7_119 Depth=2
	s_or_b64 exec, exec, s[34:35]
	s_waitcnt lgkmcnt(0)
	s_barrier
	ds_read_u16 v2, v3 offset:3072
	s_mov_b64 s[34:35], -1
	s_waitcnt lgkmcnt(0)
	s_barrier
	v_cmp_ne_u32_sdwa s[36:37], v2, v3 src0_sel:BYTE_0 src1_sel:DWORD
	s_and_b64 vcc, exec, s[36:37]
	s_mov_b64 s[36:37], -1
	s_cbranch_vccz .LBB7_122
.LBB7_118:                              ;   in Loop: Header=BB7_119 Depth=2
	s_and_b64 s[34:35], exec, s[34:35]
	s_or_b64 s[8:9], s[34:35], s[8:9]
	s_andn2_b64 s[30:31], s[30:31], exec
	s_and_b64 s[34:35], s[36:37], exec
	s_or_b64 s[30:31], s[30:31], s[34:35]
	s_andn2_b64 exec, exec, s[8:9]
	s_cbranch_execz .LBB7_123
.LBB7_119:                              ;   Parent Loop BB7_32 Depth=1
                                        ; =>  This Inner Loop Header: Depth=2
	v_cmp_gt_i64_e32 vcc, s[56:57], v[10:11]
	s_and_saveexec_b64 s[34:35], vcc
	s_cbranch_execz .LBB7_117
; %bb.120:                              ;   in Loop: Header=BB7_119 Depth=2
	global_load_ubyte v2, v[8:9], off
	s_waitcnt vmcnt(0)
	v_bitop3_b32 v36, v2, s85, v46 bitop3:0x80
	v_cmp_eq_u32_e32 vcc, v36, v44
	s_and_b64 exec, exec, vcc
	s_cbranch_execz .LBB7_117
; %bb.121:                              ;   in Loop: Header=BB7_119 Depth=2
	v_lshlrev_b16_e32 v2, 8, v2
	v_or_b32_e32 v2, 1, v2
	ds_write_b16 v3, v2 offset:3072
	s_branch .LBB7_117
.LBB7_122:                              ;   in Loop: Header=BB7_119 Depth=2
	v_lshl_add_u64 v[10:11], v[10:11], 0, s[78:79]
	v_cmp_le_i64_e32 vcc, s[28:29], v[10:11]
	v_lshl_add_u64 v[8:9], v[8:9], 0, s[90:91]
	s_mov_b64 s[36:37], 0
	s_orn2_b64 s[34:35], vcc, exec
	s_branch .LBB7_118
.LBB7_123:                              ;   in Loop: Header=BB7_32 Depth=1
	s_or_b64 exec, exec, s[8:9]
	v_lshrrev_b32_sdwa v47, v45, v2 dst_sel:DWORD dst_unused:UNUSED_PAD src0_sel:DWORD src1_sel:WORD_0
	s_and_b64 s[8:9], s[30:31], exec
.LBB7_124:                              ;   in Loop: Header=BB7_32 Depth=1
	s_or_b64 exec, exec, s[26:27]
.LBB7_125:                              ;   in Loop: Header=BB7_32 Depth=1
	s_and_b64 vcc, exec, s[24:25]
	s_cbranch_vccz .LBB7_139
; %bb.126:                              ;   in Loop: Header=BB7_32 Depth=1
	v_readlane_b32 s0, v66, 20
	s_add_u32 s26, s20, s0
	v_readlane_b32 s0, v66, 21
	s_addc_u32 s1, s21, s0
	s_mov_b32 s0, s81
	s_cmp_lg_u64 s[0:1], 0
	s_cbranch_scc0 .LBB7_157
; %bb.127:                              ;   in Loop: Header=BB7_32 Depth=1
	s_add_u32 s6, s78, 0
	s_addc_u32 s7, 0, 0
	s_xor_b64 s[6:7], s[6:7], 0
	v_cvt_f32_u32_e32 v2, s6
	v_cvt_f32_u32_e32 v8, s7
	s_sub_u32 s0, 0, s6
	s_subb_u32 s27, 0, s7
	v_fmac_f32_e32 v2, 0x4f800000, v8
	v_rcp_f32_e32 v2, v2
	s_nop 0
	v_mul_f32_e32 v2, 0x5f7ffffc, v2
	v_mul_f32_e32 v8, 0x2f800000, v2
	v_trunc_f32_e32 v8, v8
	v_fmac_f32_e32 v2, 0xcf800000, v8
	v_cvt_u32_f32_e32 v8, v8
	v_cvt_u32_f32_e32 v2, v2
	v_readfirstlane_b32 s28, v8
	v_readfirstlane_b32 s24, v2
	s_mul_i32 s25, s0, s28
	s_mul_hi_u32 s30, s0, s24
	s_mul_i32 s29, s27, s24
	s_add_i32 s25, s30, s25
	s_mul_i32 s31, s0, s24
	s_add_i32 s25, s25, s29
	s_mul_i32 s30, s24, s25
	s_mul_hi_u32 s34, s24, s31
	s_mul_hi_u32 s29, s24, s25
	s_add_u32 s30, s34, s30
	s_addc_u32 s29, 0, s29
	s_mul_hi_u32 s35, s28, s31
	s_mul_i32 s31, s28, s31
	s_add_u32 s30, s30, s31
	s_mul_hi_u32 s34, s28, s25
	s_addc_u32 s29, s29, s35
	s_addc_u32 s30, s34, 0
	s_mul_i32 s25, s28, s25
	s_add_u32 s25, s29, s25
	s_addc_u32 s29, 0, s30
	s_add_u32 s30, s24, s25
	s_cselect_b64 s[24:25], -1, 0
	s_cmp_lg_u64 s[24:25], 0
	s_addc_u32 s28, s28, s29
	s_mul_i32 s24, s0, s28
	s_mul_hi_u32 s25, s0, s30
	s_add_i32 s24, s25, s24
	s_mul_i32 s27, s27, s30
	s_add_i32 s24, s24, s27
	s_mul_i32 s0, s0, s30
	s_mul_hi_u32 s27, s28, s0
	s_mul_i32 s29, s28, s0
	s_mul_i32 s34, s30, s24
	s_mul_hi_u32 s0, s30, s0
	s_mul_hi_u32 s31, s30, s24
	s_add_u32 s0, s0, s34
	s_addc_u32 s31, 0, s31
	s_add_u32 s0, s0, s29
	s_mul_hi_u32 s25, s28, s24
	s_addc_u32 s0, s31, s27
	s_addc_u32 s25, s25, 0
	s_mul_i32 s24, s28, s24
	s_add_u32 s0, s0, s24
	s_addc_u32 s27, 0, s25
	s_add_u32 s0, s30, s0
	s_cselect_b64 s[24:25], -1, 0
	s_cmp_lg_u64 s[24:25], 0
	s_addc_u32 s27, s28, s27
	s_ashr_i32 s24, s1, 31
	s_add_u32 s28, s26, s24
	s_mov_b32 s25, s24
	s_addc_u32 s29, s1, s24
	s_xor_b64 s[28:29], s[28:29], s[24:25]
	s_mul_i32 s31, s28, s27
	s_mul_hi_u32 s34, s28, s0
	s_mul_hi_u32 s30, s28, s27
	s_add_u32 s31, s34, s31
	s_addc_u32 s30, 0, s30
	s_mul_hi_u32 s35, s29, s0
	s_mul_i32 s0, s29, s0
	s_add_u32 s0, s31, s0
	s_mul_hi_u32 s34, s29, s27
	s_addc_u32 s0, s30, s35
	s_addc_u32 s30, s34, 0
	s_mul_i32 s27, s29, s27
	s_add_u32 s0, s0, s27
	s_addc_u32 s27, 0, s30
	s_mul_i32 s27, s6, s27
	s_mul_hi_u32 s30, s6, s0
	s_add_i32 s27, s30, s27
	s_mul_i32 s30, s7, s0
	s_add_i32 s27, s27, s30
	s_sub_i32 s34, s29, s27
	s_mul_i32 s0, s6, s0
	s_sub_u32 s0, s28, s0
	s_cselect_b64 s[30:31], -1, 0
	s_cmp_lg_u64 s[30:31], 0
	s_subb_u32 s28, s34, s7
	s_sub_u32 s36, s0, s6
	s_cselect_b64 s[34:35], -1, 0
	s_cmp_lg_u64 s[34:35], 0
	s_subb_u32 s37, s28, 0
	s_cmp_ge_u32 s37, s7
	s_cselect_b32 s38, -1, 0
	s_cmp_ge_u32 s36, s6
	s_cselect_b32 s39, -1, 0
	s_cmp_eq_u32 s37, s7
	s_cselect_b32 s38, s39, s38
	s_cmp_lg_u64 s[34:35], 0
	s_subb_u32 s28, s28, s7
	s_sub_u32 s39, s36, s6
	s_cselect_b64 s[34:35], -1, 0
	s_cmp_lg_u64 s[34:35], 0
	s_subb_u32 s28, s28, 0
	s_cmp_lg_u32 s38, 0
	s_cselect_b32 s34, s39, s36
	s_cselect_b32 s28, s28, s37
	s_cmp_lg_u64 s[30:31], 0
	s_subb_u32 s27, s29, s27
	s_cmp_ge_u32 s27, s7
	s_cselect_b32 s29, -1, 0
	s_cmp_ge_u32 s0, s6
	s_cselect_b32 s6, -1, 0
	s_cmp_eq_u32 s27, s7
	s_cselect_b32 s6, s6, s29
	s_cmp_lg_u32 s6, 0
	s_cselect_b32 s7, s28, s27
	s_cselect_b32 s6, s34, s0
	s_xor_b64 s[6:7], s[6:7], s[24:25]
	s_sub_u32 s6, s6, s24
	s_subb_u32 s7, s7, s24
	s_cbranch_execnz .LBB7_129
.LBB7_128:                              ;   in Loop: Header=BB7_32 Depth=1
	v_cvt_f32_u32_e32 v2, s78
	s_sub_i32 s0, 0, s78
	v_rcp_iflag_f32_e32 v2, v2
	s_nop 0
	v_mul_f32_e32 v2, 0x4f7ffffe, v2
	v_cvt_u32_f32_e32 v2, v2
	s_nop 0
	v_readfirstlane_b32 s6, v2
	s_mul_i32 s0, s0, s6
	s_mul_hi_u32 s0, s6, s0
	s_add_i32 s6, s6, s0
	s_mul_hi_u32 s0, s26, s6
	s_mul_i32 s0, s0, s78
	s_sub_i32 s0, s26, s0
	s_sub_i32 s6, s0, s78
	s_cmp_ge_u32 s0, s78
	s_cselect_b32 s0, s6, s0
	s_sub_i32 s6, s0, s78
	s_cmp_ge_u32 s0, s78
	s_cselect_b32 s80, s6, s0
	s_mov_b64 s[6:7], s[80:81]
.LBB7_129:                              ;   in Loop: Header=BB7_32 Depth=1
	s_sub_u32 s6, s26, s6
	s_subb_u32 s7, s1, s7
	v_cmp_gt_i64_e32 vcc, s[6:7], v[0:1]
                                        ; implicit-def: $vgpr47
	s_and_saveexec_b64 s[0:1], vcc
	s_cbranch_execz .LBB7_138
; %bb.130:                              ;   in Loop: Header=BB7_32 Depth=1
	s_mov_b64 s[24:25], 0
	v_mov_b32_e32 v2, v0
	v_mov_b64_e32 v[8:9], v[0:1]
                                        ; implicit-def: $sgpr26_sgpr27
	s_branch .LBB7_133
.LBB7_131:                              ;   in Loop: Header=BB7_133 Depth=2
	s_or_b64 exec, exec, s[28:29]
	s_waitcnt lgkmcnt(0)
	s_barrier
	ds_read_u16 v10, v3 offset:3072
	s_mov_b64 s[28:29], -1
	s_waitcnt lgkmcnt(0)
	s_barrier
	v_cmp_ne_u32_sdwa s[30:31], v10, v3 src0_sel:BYTE_0 src1_sel:DWORD
	s_and_b64 vcc, exec, s[30:31]
	s_mov_b64 s[30:31], -1
	s_cbranch_vccz .LBB7_136
.LBB7_132:                              ;   in Loop: Header=BB7_133 Depth=2
	s_and_b64 s[28:29], exec, s[28:29]
	s_or_b64 s[24:25], s[28:29], s[24:25]
	s_andn2_b64 s[26:27], s[26:27], exec
	s_and_b64 s[28:29], s[30:31], exec
	s_or_b64 s[26:27], s[26:27], s[28:29]
	s_andn2_b64 exec, exec, s[24:25]
	s_cbranch_execz .LBB7_137
.LBB7_133:                              ;   Parent Loop BB7_32 Depth=1
                                        ; =>  This Inner Loop Header: Depth=2
	v_cmp_gt_u64_e32 vcc, s[20:21], v[8:9]
	s_and_saveexec_b64 s[28:29], vcc
	s_cbranch_execz .LBB7_131
; %bb.134:                              ;   in Loop: Header=BB7_133 Depth=2
	ds_read_u8 v10, v2
	s_waitcnt lgkmcnt(0)
	v_bitop3_b32 v11, v10, s85, v46 bitop3:0x80
	v_cmp_eq_u32_e32 vcc, v11, v44
	s_and_b64 exec, exec, vcc
	s_cbranch_execz .LBB7_131
; %bb.135:                              ;   in Loop: Header=BB7_133 Depth=2
	v_lshlrev_b16_e32 v10, 8, v10
	v_or_b32_e32 v10, 1, v10
	ds_write_b16 v3, v10 offset:3072
	s_branch .LBB7_131
.LBB7_136:                              ;   in Loop: Header=BB7_133 Depth=2
	v_lshl_add_u64 v[8:9], v[8:9], 0, s[78:79]
	v_cmp_le_i64_e32 vcc, s[6:7], v[8:9]
	v_add_u32_e32 v2, s78, v2
	s_mov_b64 s[30:31], 0
	s_orn2_b64 s[28:29], vcc, exec
	s_branch .LBB7_132
.LBB7_137:                              ;   in Loop: Header=BB7_32 Depth=1
	s_or_b64 exec, exec, s[24:25]
	s_andn2_b64 s[6:7], s[8:9], exec
	s_and_b64 s[8:9], s[26:27], exec
	v_lshrrev_b32_sdwa v47, v45, v10 dst_sel:DWORD dst_unused:UNUSED_PAD src0_sel:DWORD src1_sel:WORD_0
	s_or_b64 s[8:9], s[6:7], s[8:9]
.LBB7_138:                              ;   in Loop: Header=BB7_32 Depth=1
	s_or_b64 exec, exec, s[0:1]
	s_mov_b64 s[0:1], 0
	s_mov_b64 s[6:7], -1
.LBB7_139:                              ;   in Loop: Header=BB7_32 Depth=1
	s_orn2_b64 s[8:9], s[8:9], exec
.LBB7_140:                              ;   in Loop: Header=BB7_32 Depth=1
	s_or_b64 exec, exec, s[16:17]
	s_andn2_b64 s[10:11], s[94:95], exec
	s_and_b64 s[6:7], s[6:7], exec
	s_or_b64 s[10:11], s[10:11], s[6:7]
	s_andn2_b64 s[6:7], s[40:41], exec
	s_and_b64 s[0:1], s[0:1], exec
	s_andn2_b64 s[96:97], s[96:97], exec
	s_or_b64 s[88:89], s[6:7], s[0:1]
                                        ; implicit-def: $vgpr8_vgpr9
	s_and_saveexec_b64 s[16:17], s[8:9]
	s_cbranch_execz .LBB7_31
; %bb.141:                              ;   in Loop: Header=BB7_32 Depth=1
	s_xor_b64 s[2:3], s[18:19], -1
	v_mov_b32_e32 v2, 1
	s_mov_b64 s[6:7], 0
	v_mov_b64_e32 v[8:9], 1
	s_and_saveexec_b64 s[0:1], s[2:3]
	s_cbranch_execz .LBB7_150
; %bb.142:                              ;   in Loop: Header=BB7_32 Depth=1
	v_cmp_le_i64_e32 vcc, v[34:35], v[4:5]
	s_and_saveexec_b64 s[2:3], vcc
	s_xor_b64 s[2:3], exec, s[2:3]
	s_cbranch_execz .LBB7_147
; %bb.143:                              ;   in Loop: Header=BB7_32 Depth=1
	ds_read_b64 v[8:9], v3 offset:5120
	v_and_b32_e32 v44, s50, v44
	v_or_b32_e32 v46, s82, v46
	s_waitcnt lgkmcnt(0)
	v_cmp_ne_u64_e32 vcc, 0, v[8:9]
	s_cbranch_vccnz .LBB7_147
; %bb.144:                              ;   in Loop: Header=BB7_32 Depth=1
	s_mov_b64 s[6:7], exec
	v_readlane_b32 s8, v66, 10
	v_readlane_b32 s9, v66, 11
	s_and_b64 s[8:9], s[6:7], s[8:9]
	s_mov_b64 exec, s[8:9]
; %bb.145:                              ;   in Loop: Header=BB7_32 Depth=1
	ds_write_b64 v3, v[4:5] offset:5128
; %bb.146:                              ;   in Loop: Header=BB7_32 Depth=1
	s_or_b64 exec, exec, s[6:7]
	s_waitcnt lgkmcnt(0)
	s_barrier
.LBB7_147:                              ;   in Loop: Header=BB7_32 Depth=1
	s_or_saveexec_b64 s[2:3], s[2:3]
	s_mov_b64 s[6:7], 0
	v_mov_b32_e32 v2, 8
	s_xor_b64 exec, exec, s[2:3]
; %bb.148:                              ;   in Loop: Header=BB7_32 Depth=1
	v_sub_co_u32_e32 v34, vcc, v34, v4
	s_mov_b64 s[6:7], exec
	s_nop 0
	v_subb_co_u32_e32 v35, vcc, v35, v5, vcc
	v_mov_b32_e32 v2, 0
; %bb.149:                              ;   in Loop: Header=BB7_32 Depth=1
	s_or_b64 exec, exec, s[2:3]
	s_and_b64 s[6:7], s[6:7], exec
	v_mov_b64_e32 v[8:9], v[34:35]
.LBB7_150:                              ;   in Loop: Header=BB7_32 Depth=1
	s_or_b64 exec, exec, s[0:1]
	s_mov_b64 s[18:19], -1
	s_mov_b64 s[0:1], -1
                                        ; implicit-def: $sgpr2_sgpr3
                                        ; implicit-def: $sgpr24_sgpr25
	s_and_saveexec_b64 s[8:9], s[6:7]
	s_xor_b64 s[20:21], exec, s[8:9]
	s_cbranch_execz .LBB7_295
; %bb.151:                              ;   in Loop: Header=BB7_32 Depth=1
	v_cmp_eq_u64_e32 vcc, 1, v[6:7]
	v_cmp_eq_u64_e64 s[2:3], 1, v[8:9]
	s_and_b64 s[28:29], vcc, s[2:3]
                                        ; implicit-def: $sgpr24_sgpr25
                                        ; implicit-def: $sgpr2_sgpr3
	s_and_saveexec_b64 s[26:27], s[28:29]
	s_cbranch_execz .LBB7_186
; %bb.152:                              ;   in Loop: Header=BB7_32 Depth=1
	ds_read_b64 v[4:5], v3 offset:5120
	s_waitcnt lgkmcnt(0)
	s_barrier
	v_readfirstlane_b32 s30, v4
	v_readfirstlane_b32 s31, v5
	s_mov_b64 s[0:1], exec
	v_readlane_b32 s2, v66, 12
	v_readlane_b32 s3, v66, 13
	s_and_b64 s[2:3], s[0:1], s[2:3]
	s_mov_b64 exec, s[2:3]
; %bb.153:                              ;   in Loop: Header=BB7_32 Depth=1
	ds_write_b8 v0, v3 offset:3072
; %bb.154:                              ;   in Loop: Header=BB7_32 Depth=1
	s_or_b64 exec, exec, s[0:1]
	v_and_b32_e32 v4, s50, v44
	v_cmp_gt_i64_e64 s[0:1], s[30:31], 0
	v_lshl_or_b32 v44, 1, s84, v4
	v_or_b32_e32 v46, s82, v46
	s_mov_b64 s[2:3], -1
	s_mov_b64 s[24:25], 0
	s_and_b64 vcc, exec, s[0:1]
	s_mov_b64 s[0:1], 0
	s_mov_b64 s[6:7], -1
	s_waitcnt lgkmcnt(0)
	s_barrier
                                        ; implicit-def: $vgpr47
	s_cbranch_vccnz .LBB7_171
; %bb.155:                              ;   in Loop: Header=BB7_32 Depth=1
	s_mov_b32 s52, s81
	s_cmp_lg_u64 s[52:53], 0
	s_cbranch_scc0 .LBB7_158
; %bb.156:                              ;   in Loop: Header=BB7_32 Depth=1
	s_add_u32 s0, s78, 0
	s_addc_u32 s1, 0, 0
	s_xor_b64 s[0:1], s[0:1], 0
	v_cvt_f32_u32_e32 v4, s0
	v_cvt_f32_u32_e32 v5, s1
	s_sub_u32 s8, 0, s0
	s_subb_u32 s9, 0, s1
	v_fmac_f32_e32 v4, 0x4f800000, v5
	v_rcp_f32_e32 v4, v4
	s_nop 0
	v_mul_f32_e32 v4, 0x5f7ffffc, v4
	v_mul_f32_e32 v5, 0x2f800000, v4
	v_trunc_f32_e32 v5, v5
	v_fmac_f32_e32 v4, 0xcf800000, v5
	v_cvt_u32_f32_e32 v5, v5
	v_cvt_u32_f32_e32 v4, v4
	v_readfirstlane_b32 s34, v5
	v_readfirstlane_b32 s6, v4
	s_mul_i32 s7, s8, s34
	s_mul_hi_u32 s36, s8, s6
	s_mul_i32 s35, s9, s6
	s_add_i32 s7, s36, s7
	s_mul_i32 s37, s8, s6
	s_add_i32 s7, s7, s35
	s_mul_i32 s36, s6, s7
	s_mul_hi_u32 s38, s6, s37
	s_mul_hi_u32 s35, s6, s7
	s_add_u32 s36, s38, s36
	s_addc_u32 s35, 0, s35
	s_mul_hi_u32 s39, s34, s37
	s_mul_i32 s37, s34, s37
	s_add_u32 s36, s36, s37
	s_mul_hi_u32 s38, s34, s7
	s_addc_u32 s35, s35, s39
	s_addc_u32 s36, s38, 0
	s_mul_i32 s7, s34, s7
	s_add_u32 s7, s35, s7
	s_addc_u32 s35, 0, s36
	s_add_u32 s36, s6, s7
	s_cselect_b64 s[6:7], -1, 0
	s_cmp_lg_u64 s[6:7], 0
	s_addc_u32 s34, s34, s35
	s_mul_i32 s6, s8, s34
	s_mul_hi_u32 s7, s8, s36
	s_add_i32 s6, s7, s6
	s_mul_i32 s9, s9, s36
	s_add_i32 s6, s6, s9
	s_mul_i32 s8, s8, s36
	s_mul_hi_u32 s9, s34, s8
	s_mul_i32 s35, s34, s8
	s_mul_i32 s38, s36, s6
	s_mul_hi_u32 s8, s36, s8
	s_mul_hi_u32 s37, s36, s6
	s_add_u32 s8, s8, s38
	s_addc_u32 s37, 0, s37
	s_add_u32 s8, s8, s35
	s_mul_hi_u32 s7, s34, s6
	s_addc_u32 s8, s37, s9
	s_addc_u32 s7, s7, 0
	s_mul_i32 s6, s34, s6
	s_add_u32 s6, s8, s6
	s_addc_u32 s8, 0, s7
	s_add_u32 s35, s36, s6
	s_cselect_b64 s[6:7], -1, 0
	s_cmp_lg_u64 s[6:7], 0
	s_addc_u32 s34, s34, s8
	s_ashr_i32 s6, s53, 31
	s_add_u32 s8, s93, s6
	s_mov_b32 s7, s6
	s_addc_u32 s9, s53, s6
	s_xor_b64 s[8:9], s[8:9], s[6:7]
	s_mul_i32 s37, s8, s34
	s_mul_hi_u32 s38, s8, s35
	s_mul_hi_u32 s36, s8, s34
	s_add_u32 s37, s38, s37
	s_addc_u32 s36, 0, s36
	s_mul_hi_u32 s39, s9, s35
	s_mul_i32 s35, s9, s35
	s_add_u32 s35, s37, s35
	s_mul_hi_u32 s38, s9, s34
	s_addc_u32 s35, s36, s39
	s_addc_u32 s36, s38, 0
	s_mul_i32 s34, s9, s34
	s_add_u32 s34, s35, s34
	s_addc_u32 s35, 0, s36
	s_mul_i32 s35, s0, s35
	s_mul_hi_u32 s36, s0, s34
	s_add_i32 s35, s36, s35
	s_mul_i32 s36, s1, s34
	s_add_i32 s38, s35, s36
	s_sub_i32 s36, s9, s38
	s_mul_i32 s34, s0, s34
	s_sub_u32 s8, s8, s34
	s_cselect_b64 s[34:35], -1, 0
	s_cmp_lg_u64 s[34:35], 0
	s_subb_u32 s39, s36, s1
	s_sub_u32 s40, s8, s0
	s_cselect_b64 s[36:37], -1, 0
	s_cmp_lg_u64 s[36:37], 0
	s_subb_u32 s41, s39, 0
	s_cmp_ge_u32 s41, s1
	s_cselect_b32 s42, -1, 0
	s_cmp_ge_u32 s40, s0
	s_cselect_b32 s43, -1, 0
	s_cmp_eq_u32 s41, s1
	s_cselect_b32 s42, s43, s42
	s_cmp_lg_u64 s[36:37], 0
	s_subb_u32 s39, s39, s1
	s_sub_u32 s43, s40, s0
	s_cselect_b64 s[36:37], -1, 0
	s_cmp_lg_u64 s[36:37], 0
	s_subb_u32 s36, s39, 0
	s_cmp_lg_u32 s42, 0
	s_cselect_b32 s37, s43, s40
	s_cselect_b32 s36, s36, s41
	s_cmp_lg_u64 s[34:35], 0
	s_subb_u32 s9, s9, s38
	s_cmp_ge_u32 s9, s1
	s_cselect_b32 s34, -1, 0
	s_cmp_ge_u32 s8, s0
	s_cselect_b32 s0, -1, 0
	s_cmp_eq_u32 s9, s1
	s_cselect_b32 s0, s0, s34
	s_cmp_lg_u32 s0, 0
	s_cselect_b32 s1, s36, s9
	s_cselect_b32 s0, s37, s8
	s_xor_b64 s[0:1], s[0:1], s[6:7]
	s_sub_u32 s0, s0, s6
	s_subb_u32 s1, s1, s6
	s_mov_b64 s[6:7], 0
	s_branch .LBB7_159
.LBB7_157:                              ;   in Loop: Header=BB7_32 Depth=1
                                        ; implicit-def: $sgpr6_sgpr7
	s_branch .LBB7_128
.LBB7_158:                              ;   in Loop: Header=BB7_32 Depth=1
                                        ; implicit-def: $sgpr0_sgpr1
.LBB7_159:                              ;   in Loop: Header=BB7_32 Depth=1
	s_andn2_b64 vcc, exec, s[6:7]
	v_readlane_b32 s52, v66, 48
	s_cbranch_vccnz .LBB7_161
; %bb.160:                              ;   in Loop: Header=BB7_32 Depth=1
	v_cvt_f32_u32_e32 v4, s78
	s_sub_i32 s0, 0, s78
	v_rcp_iflag_f32_e32 v4, v4
	s_nop 0
	v_mul_f32_e32 v4, 0x4f7ffffe, v4
	v_cvt_u32_f32_e32 v4, v4
	s_nop 0
	v_readfirstlane_b32 s1, v4
	s_mul_i32 s0, s0, s1
	s_mul_hi_u32 s0, s1, s0
	s_add_i32 s1, s1, s0
	s_mul_hi_u32 s0, s93, s1
	s_mul_i32 s0, s0, s78
	s_sub_i32 s0, s93, s0
	s_sub_i32 s1, s0, s78
	s_cmp_ge_u32 s0, s78
	s_cselect_b32 s0, s1, s0
	s_sub_i32 s1, s0, s78
	s_cmp_ge_u32 s0, s78
	s_cselect_b32 s80, s1, s0
	s_mov_b64 s[0:1], s[80:81]
.LBB7_161:                              ;   in Loop: Header=BB7_32 Depth=1
	s_sub_u32 s34, s93, s0
	s_subb_u32 s35, s53, s1
	v_cmp_gt_i64_e32 vcc, s[34:35], v[0:1]
	s_mov_b64 s[6:7], 0
	s_mov_b64 s[0:1], 0
                                        ; implicit-def: $vgpr47
	s_and_saveexec_b64 s[8:9], vcc
	v_readlane_b32 s12, v66, 43
	v_readlane_b32 s13, v66, 44
	;; [unrolled: 1-line block ×4, first 2 shown]
	s_cbranch_execz .LBB7_170
; %bb.162:                              ;   in Loop: Header=BB7_32 Depth=1
	v_mov_b64_e32 v[4:5], v[12:13]
	v_mov_b64_e32 v[10:11], v[0:1]
                                        ; implicit-def: $sgpr36_sgpr37
	s_branch .LBB7_165
.LBB7_163:                              ;   in Loop: Header=BB7_165 Depth=2
	s_or_b64 exec, exec, s[38:39]
	s_waitcnt lgkmcnt(0)
	s_barrier
	ds_read_u16 v34, v3 offset:3072
	s_mov_b64 s[38:39], -1
	s_waitcnt lgkmcnt(0)
	s_barrier
	v_cmp_ne_u32_sdwa s[40:41], v34, v3 src0_sel:BYTE_0 src1_sel:DWORD
	s_and_b64 vcc, exec, s[40:41]
	s_mov_b64 s[40:41], -1
	s_cbranch_vccz .LBB7_168
.LBB7_164:                              ;   in Loop: Header=BB7_165 Depth=2
	s_and_b64 s[38:39], exec, s[38:39]
	s_or_b64 s[0:1], s[38:39], s[0:1]
	s_andn2_b64 s[36:37], s[36:37], exec
	s_and_b64 s[38:39], s[40:41], exec
	s_or_b64 s[36:37], s[36:37], s[38:39]
	s_andn2_b64 exec, exec, s[0:1]
	s_cbranch_execz .LBB7_169
.LBB7_165:                              ;   Parent Loop BB7_32 Depth=1
                                        ; =>  This Inner Loop Header: Depth=2
	v_cmp_gt_i64_e32 vcc, s[56:57], v[10:11]
	s_and_saveexec_b64 s[38:39], vcc
	s_cbranch_execz .LBB7_163
; %bb.166:                              ;   in Loop: Header=BB7_165 Depth=2
	global_load_ubyte v34, v[4:5], off
	s_waitcnt vmcnt(0)
	v_bitop3_b32 v35, v34, s85, v46 bitop3:0x80
	v_cmp_eq_u32_e32 vcc, v35, v44
	s_and_b64 exec, exec, vcc
	s_cbranch_execz .LBB7_163
; %bb.167:                              ;   in Loop: Header=BB7_165 Depth=2
	v_lshlrev_b16_e32 v34, 8, v34
	v_or_b32_e32 v34, 1, v34
	ds_write_b16 v3, v34 offset:3072
	s_branch .LBB7_163
.LBB7_168:                              ;   in Loop: Header=BB7_165 Depth=2
	v_lshl_add_u64 v[10:11], v[10:11], 0, s[78:79]
	v_cmp_le_i64_e32 vcc, s[34:35], v[10:11]
	v_lshl_add_u64 v[4:5], v[4:5], 0, s[90:91]
	s_mov_b64 s[40:41], 0
	s_orn2_b64 s[38:39], vcc, exec
	s_branch .LBB7_164
.LBB7_169:                              ;   in Loop: Header=BB7_32 Depth=1
	s_or_b64 exec, exec, s[0:1]
	v_lshrrev_b32_sdwa v47, v45, v34 dst_sel:DWORD dst_unused:UNUSED_PAD src0_sel:DWORD src1_sel:WORD_0
	s_and_b64 s[0:1], s[36:37], exec
.LBB7_170:                              ;   in Loop: Header=BB7_32 Depth=1
	s_or_b64 exec, exec, s[8:9]
.LBB7_171:                              ;   in Loop: Header=BB7_32 Depth=1
	s_and_b64 vcc, exec, s[6:7]
	s_cbranch_vccz .LBB7_185
; %bb.172:                              ;   in Loop: Header=BB7_32 Depth=1
	v_readlane_b32 s2, v66, 20
	s_add_u32 s24, s30, s2
	v_readlane_b32 s2, v66, 21
	s_addc_u32 s3, s31, s2
	s_mov_b32 s2, s81
	s_cmp_lg_u64 s[2:3], 0
	s_cbranch_scc0 .LBB7_204
; %bb.173:                              ;   in Loop: Header=BB7_32 Depth=1
	s_add_u32 s6, s78, 0
	s_addc_u32 s7, 0, 0
	s_xor_b64 s[6:7], s[6:7], 0
	v_cvt_f32_u32_e32 v4, s6
	v_cvt_f32_u32_e32 v5, s7
	s_sub_u32 s2, 0, s6
	s_subb_u32 s25, 0, s7
	v_readlane_b32 s13, v66, 44
	v_fmac_f32_e32 v4, 0x4f800000, v5
	v_rcp_f32_e32 v4, v4
	v_readlane_b32 s12, v66, 43
	v_mul_f32_e32 v4, 0x5f7ffffc, v4
	v_mul_f32_e32 v5, 0x2f800000, v4
	v_trunc_f32_e32 v5, v5
	v_fmac_f32_e32 v4, 0xcf800000, v5
	v_cvt_u32_f32_e32 v5, v5
	v_cvt_u32_f32_e32 v4, v4
	v_readfirstlane_b32 s34, v5
	v_readfirstlane_b32 s8, v4
	s_mul_i32 s9, s2, s34
	s_mul_hi_u32 s36, s2, s8
	s_mul_i32 s35, s25, s8
	s_add_i32 s9, s36, s9
	s_mul_i32 s37, s2, s8
	s_add_i32 s9, s9, s35
	s_mul_i32 s36, s8, s9
	s_mul_hi_u32 s38, s8, s37
	s_mul_hi_u32 s35, s8, s9
	s_add_u32 s36, s38, s36
	s_addc_u32 s35, 0, s35
	s_mul_hi_u32 s39, s34, s37
	s_mul_i32 s37, s34, s37
	s_add_u32 s36, s36, s37
	s_mul_hi_u32 s38, s34, s9
	s_addc_u32 s35, s35, s39
	s_addc_u32 s36, s38, 0
	s_mul_i32 s9, s34, s9
	s_add_u32 s9, s35, s9
	s_addc_u32 s35, 0, s36
	s_add_u32 s36, s8, s9
	s_cselect_b64 s[8:9], -1, 0
	s_cmp_lg_u64 s[8:9], 0
	s_addc_u32 s34, s34, s35
	s_mul_i32 s8, s2, s34
	s_mul_hi_u32 s9, s2, s36
	s_add_i32 s8, s9, s8
	s_mul_i32 s25, s25, s36
	s_add_i32 s8, s8, s25
	s_mul_i32 s2, s2, s36
	s_mul_hi_u32 s25, s34, s2
	s_mul_i32 s35, s34, s2
	s_mul_i32 s38, s36, s8
	s_mul_hi_u32 s2, s36, s2
	s_mul_hi_u32 s37, s36, s8
	s_add_u32 s2, s2, s38
	s_addc_u32 s37, 0, s37
	s_add_u32 s2, s2, s35
	s_mul_hi_u32 s9, s34, s8
	s_addc_u32 s2, s37, s25
	s_addc_u32 s9, s9, 0
	s_mul_i32 s8, s34, s8
	s_add_u32 s2, s2, s8
	s_addc_u32 s25, 0, s9
	s_add_u32 s2, s36, s2
	s_cselect_b64 s[8:9], -1, 0
	s_cmp_lg_u64 s[8:9], 0
	s_addc_u32 s25, s34, s25
	s_ashr_i32 s8, s3, 31
	s_add_u32 s34, s24, s8
	s_mov_b32 s9, s8
	s_addc_u32 s35, s3, s8
	s_xor_b64 s[34:35], s[34:35], s[8:9]
	s_mul_i32 s37, s34, s25
	s_mul_hi_u32 s38, s34, s2
	s_mul_hi_u32 s36, s34, s25
	s_add_u32 s37, s38, s37
	s_addc_u32 s36, 0, s36
	s_mul_hi_u32 s39, s35, s2
	s_mul_i32 s2, s35, s2
	s_add_u32 s2, s37, s2
	s_mul_hi_u32 s38, s35, s25
	s_addc_u32 s2, s36, s39
	s_addc_u32 s36, s38, 0
	s_mul_i32 s25, s35, s25
	s_add_u32 s2, s2, s25
	s_addc_u32 s25, 0, s36
	s_mul_i32 s25, s6, s25
	s_mul_hi_u32 s36, s6, s2
	s_add_i32 s25, s36, s25
	s_mul_i32 s36, s7, s2
	s_add_i32 s25, s25, s36
	s_sub_i32 s38, s35, s25
	s_mul_i32 s2, s6, s2
	s_sub_u32 s2, s34, s2
	s_cselect_b64 s[36:37], -1, 0
	s_cmp_lg_u64 s[36:37], 0
	s_subb_u32 s34, s38, s7
	s_sub_u32 s40, s2, s6
	s_cselect_b64 s[38:39], -1, 0
	s_cmp_lg_u64 s[38:39], 0
	s_subb_u32 s41, s34, 0
	s_cmp_ge_u32 s41, s7
	s_cselect_b32 s42, -1, 0
	s_cmp_ge_u32 s40, s6
	s_cselect_b32 s43, -1, 0
	s_cmp_eq_u32 s41, s7
	s_cselect_b32 s42, s43, s42
	s_cmp_lg_u64 s[38:39], 0
	s_subb_u32 s34, s34, s7
	s_sub_u32 s43, s40, s6
	s_cselect_b64 s[38:39], -1, 0
	s_cmp_lg_u64 s[38:39], 0
	s_subb_u32 s34, s34, 0
	s_cmp_lg_u32 s42, 0
	s_cselect_b32 s38, s43, s40
	s_cselect_b32 s34, s34, s41
	s_cmp_lg_u64 s[36:37], 0
	s_subb_u32 s25, s35, s25
	s_cmp_ge_u32 s25, s7
	s_cselect_b32 s35, -1, 0
	s_cmp_ge_u32 s2, s6
	s_cselect_b32 s6, -1, 0
	s_cmp_eq_u32 s25, s7
	s_cselect_b32 s6, s6, s35
	s_cmp_lg_u32 s6, 0
	s_cselect_b32 s7, s34, s25
	s_cselect_b32 s6, s38, s2
	s_xor_b64 s[6:7], s[6:7], s[8:9]
	s_sub_u32 s6, s6, s8
	v_readlane_b32 s42, v66, 45
	v_readlane_b32 s43, v66, 46
	s_subb_u32 s7, s7, s8
	s_cbranch_execnz .LBB7_175
.LBB7_174:                              ;   in Loop: Header=BB7_32 Depth=1
	v_cvt_f32_u32_e32 v4, s78
	s_sub_i32 s2, 0, s78
	v_rcp_iflag_f32_e32 v4, v4
	s_nop 0
	v_mul_f32_e32 v4, 0x4f7ffffe, v4
	v_cvt_u32_f32_e32 v4, v4
	s_nop 0
	v_readfirstlane_b32 s6, v4
	s_mul_i32 s2, s2, s6
	s_mul_hi_u32 s2, s6, s2
	s_add_i32 s6, s6, s2
	s_mul_hi_u32 s2, s24, s6
	s_mul_i32 s2, s2, s78
	s_sub_i32 s2, s24, s2
	s_sub_i32 s6, s2, s78
	s_cmp_ge_u32 s2, s78
	s_cselect_b32 s2, s6, s2
	s_sub_i32 s6, s2, s78
	s_cmp_ge_u32 s2, s78
	s_cselect_b32 s80, s6, s2
	s_mov_b64 s[6:7], s[80:81]
.LBB7_175:                              ;   in Loop: Header=BB7_32 Depth=1
	s_sub_u32 s6, s24, s6
	s_subb_u32 s7, s3, s7
	v_cmp_gt_i64_e32 vcc, s[6:7], v[0:1]
                                        ; implicit-def: $vgpr47
	s_and_saveexec_b64 s[2:3], vcc
	s_cbranch_execz .LBB7_184
; %bb.176:                              ;   in Loop: Header=BB7_32 Depth=1
	s_mov_b64 s[8:9], 0
	v_mov_b32_e32 v10, v0
	v_mov_b64_e32 v[4:5], v[0:1]
                                        ; implicit-def: $sgpr24_sgpr25
	s_branch .LBB7_179
.LBB7_177:                              ;   in Loop: Header=BB7_179 Depth=2
	s_or_b64 exec, exec, s[34:35]
	s_waitcnt lgkmcnt(0)
	s_barrier
	ds_read_u16 v11, v3 offset:3072
	s_mov_b64 s[34:35], -1
	s_waitcnt lgkmcnt(0)
	s_barrier
	v_cmp_eq_u32_sdwa s[36:37], v11, v3 src0_sel:BYTE_0 src1_sel:DWORD
	s_and_b64 vcc, exec, s[36:37]
	s_mov_b64 s[36:37], -1
	s_cbranch_vccnz .LBB7_182
.LBB7_178:                              ;   in Loop: Header=BB7_179 Depth=2
	s_and_b64 s[34:35], exec, s[34:35]
	s_or_b64 s[8:9], s[34:35], s[8:9]
	s_andn2_b64 s[24:25], s[24:25], exec
	s_and_b64 s[34:35], s[36:37], exec
	s_or_b64 s[24:25], s[24:25], s[34:35]
	s_andn2_b64 exec, exec, s[8:9]
	s_cbranch_execz .LBB7_183
.LBB7_179:                              ;   Parent Loop BB7_32 Depth=1
                                        ; =>  This Inner Loop Header: Depth=2
	v_cmp_gt_u64_e32 vcc, s[30:31], v[4:5]
	s_and_saveexec_b64 s[34:35], vcc
	s_cbranch_execz .LBB7_177
; %bb.180:                              ;   in Loop: Header=BB7_179 Depth=2
	ds_read_u8 v11, v10
	s_waitcnt lgkmcnt(0)
	v_bitop3_b32 v34, v11, s85, v46 bitop3:0x80
	v_cmp_eq_u32_e32 vcc, v34, v44
	s_and_b64 exec, exec, vcc
	s_cbranch_execz .LBB7_177
; %bb.181:                              ;   in Loop: Header=BB7_179 Depth=2
	v_lshlrev_b16_e32 v11, 8, v11
	v_or_b32_e32 v11, 1, v11
	ds_write_b16 v3, v11 offset:3072
	s_branch .LBB7_177
.LBB7_182:                              ;   in Loop: Header=BB7_179 Depth=2
	v_lshl_add_u64 v[4:5], v[4:5], 0, s[78:79]
	v_cmp_le_i64_e32 vcc, s[6:7], v[4:5]
	v_add_u32_e32 v10, s78, v10
	s_mov_b64 s[36:37], 0
	s_orn2_b64 s[34:35], vcc, exec
	s_branch .LBB7_178
.LBB7_183:                              ;   in Loop: Header=BB7_32 Depth=1
	s_or_b64 exec, exec, s[8:9]
	s_andn2_b64 s[0:1], s[0:1], exec
	s_and_b64 s[6:7], s[24:25], exec
	v_lshrrev_b32_sdwa v47, v45, v11 dst_sel:DWORD dst_unused:UNUSED_PAD src0_sel:DWORD src1_sel:WORD_0
	s_or_b64 s[0:1], s[0:1], s[6:7]
.LBB7_184:                              ;   in Loop: Header=BB7_32 Depth=1
	s_or_b64 exec, exec, s[2:3]
	s_mov_b64 s[2:3], 0
	s_mov_b64 s[24:25], -1
.LBB7_185:                              ;   in Loop: Header=BB7_32 Depth=1
	s_orn2_b64 s[0:1], s[0:1], exec
.LBB7_186:                              ;   in Loop: Header=BB7_32 Depth=1
	s_or_b64 exec, exec, s[26:27]
	s_mov_b64 s[6:7], 0
	s_and_saveexec_b64 s[26:27], s[0:1]
	s_cbranch_execz .LBB7_294
; %bb.187:                              ;   in Loop: Header=BB7_32 Depth=1
	s_xor_b64 s[8:9], s[28:29], -1
	v_mov_b32_e32 v2, 1
	v_mov_b64_e32 v[4:5], 1
	s_and_saveexec_b64 s[0:1], s[8:9]
	s_cbranch_execz .LBB7_197
; %bb.188:                              ;   in Loop: Header=BB7_32 Depth=1
	v_cmp_le_i64_e32 vcc, v[8:9], v[6:7]
	s_and_saveexec_b64 s[6:7], vcc
	s_xor_b64 s[6:7], exec, s[6:7]
	s_cbranch_execz .LBB7_194
; %bb.189:                              ;   in Loop: Header=BB7_32 Depth=1
	ds_read_b64 v[4:5], v3 offset:5120
	v_and_b32_e32 v2, s50, v44
	v_lshl_or_b32 v44, 1, s84, v2
	v_or_b32_e32 v46, s82, v46
	s_waitcnt lgkmcnt(0)
	v_cmp_ne_u64_e32 vcc, 0, v[4:5]
	s_cbranch_vccnz .LBB7_193
; %bb.190:                              ;   in Loop: Header=BB7_32 Depth=1
	s_mov_b64 s[8:9], exec
	v_readlane_b32 s28, v66, 10
	v_readlane_b32 s29, v66, 11
	s_and_b64 s[28:29], s[8:9], s[28:29]
	s_mov_b64 exec, s[28:29]
; %bb.191:                              ;   in Loop: Header=BB7_32 Depth=1
	ds_write_b64 v3, v[6:7] offset:5128
; %bb.192:                              ;   in Loop: Header=BB7_32 Depth=1
	s_or_b64 exec, exec, s[8:9]
	s_waitcnt lgkmcnt(0)
	s_barrier
.LBB7_193:                              ;   in Loop: Header=BB7_32 Depth=1
                                        ; implicit-def: $vgpr4_vgpr5_vgpr6_vgpr7
.LBB7_194:                              ;   in Loop: Header=BB7_32 Depth=1
	s_or_saveexec_b64 s[6:7], s[6:7]
	s_mov_b64 s[8:9], 0
	v_mov_b32_e32 v2, 8
	s_xor_b64 exec, exec, s[6:7]
; %bb.195:                              ;   in Loop: Header=BB7_32 Depth=1
	v_sub_co_u32_e32 v8, vcc, v8, v6
	s_mov_b64 s[8:9], exec
	s_nop 0
	v_subb_co_u32_e32 v9, vcc, v9, v7, vcc
	v_mov_b32_e32 v2, 0
; %bb.196:                              ;   in Loop: Header=BB7_32 Depth=1
	s_or_b64 exec, exec, s[6:7]
	s_and_b64 s[6:7], s[8:9], exec
	v_mov_b64_e32 v[4:5], v[8:9]
.LBB7_197:                              ;   in Loop: Header=BB7_32 Depth=1
	s_or_b64 exec, exec, s[0:1]
	s_mov_b64 s[0:1], -1
                                        ; implicit-def: $sgpr34_sgpr35
                                        ; implicit-def: $sgpr36_sgpr37
	s_and_saveexec_b64 s[28:29], s[6:7]
	s_cbranch_execz .LBB7_293
; %bb.198:                              ;   in Loop: Header=BB7_32 Depth=1
	s_cmp_eq_u64 s[22:23], 1
	s_cselect_b64 s[0:1], -1, 0
	v_cmp_eq_u64_e32 vcc, 1, v[4:5]
	s_and_b64 s[30:31], s[0:1], vcc
	s_mov_b64 s[0:1], -1
                                        ; implicit-def: $sgpr36_sgpr37
                                        ; implicit-def: $sgpr34_sgpr35
	s_and_saveexec_b64 s[38:39], s[30:31]
	s_cbranch_execz .LBB7_233
; %bb.199:                              ;   in Loop: Header=BB7_32 Depth=1
	ds_read_b64 v[6:7], v3 offset:5120
	s_waitcnt lgkmcnt(0)
	s_barrier
	v_readfirstlane_b32 s40, v6
	v_readfirstlane_b32 s41, v7
	s_mov_b64 s[0:1], exec
	v_readlane_b32 s6, v66, 12
	v_readlane_b32 s7, v66, 13
	s_and_b64 s[6:7], s[0:1], s[6:7]
	s_mov_b64 exec, s[6:7]
; %bb.200:                              ;   in Loop: Header=BB7_32 Depth=1
	ds_write_b8 v0, v3 offset:3072
; %bb.201:                              ;   in Loop: Header=BB7_32 Depth=1
	s_or_b64 exec, exec, s[0:1]
	v_and_b32_e32 v6, s50, v44
	v_cmp_gt_i64_e64 s[0:1], s[40:41], 0
	v_lshl_or_b32 v44, 2, s84, v6
	v_or_b32_e32 v46, s82, v46
	s_mov_b64 s[34:35], -1
	s_mov_b64 s[36:37], 0
	s_and_b64 vcc, exec, s[0:1]
	s_mov_b64 s[0:1], 0
	s_mov_b64 s[6:7], -1
	s_waitcnt lgkmcnt(0)
	s_barrier
                                        ; implicit-def: $vgpr47
	s_cbranch_vccnz .LBB7_218
; %bb.202:                              ;   in Loop: Header=BB7_32 Depth=1
	s_mov_b32 s52, s81
	s_cmp_lg_u64 s[52:53], 0
	s_cbranch_scc0 .LBB7_205
; %bb.203:                              ;   in Loop: Header=BB7_32 Depth=1
	s_add_u32 s0, s78, 0
	s_addc_u32 s1, 0, 0
	s_xor_b64 s[0:1], s[0:1], 0
	v_cvt_f32_u32_e32 v6, s0
	v_cvt_f32_u32_e32 v7, s1
	s_sub_u32 s8, 0, s0
	s_subb_u32 s9, 0, s1
	s_mov_b32 s13, s53
	v_fmac_f32_e32 v6, 0x4f800000, v7
	v_rcp_f32_e32 v6, v6
	s_nop 0
	v_mul_f32_e32 v6, 0x5f7ffffc, v6
	v_mul_f32_e32 v7, 0x2f800000, v6
	v_trunc_f32_e32 v7, v7
	v_fmac_f32_e32 v6, 0xcf800000, v7
	v_cvt_u32_f32_e32 v7, v7
	v_cvt_u32_f32_e32 v6, v6
	v_readfirstlane_b32 s42, v7
	v_readfirstlane_b32 s6, v6
	s_mul_i32 s7, s8, s42
	s_mul_hi_u32 s44, s8, s6
	s_mul_i32 s43, s9, s6
	s_add_i32 s7, s44, s7
	s_mul_i32 s45, s8, s6
	s_add_i32 s7, s7, s43
	s_mul_i32 s44, s6, s7
	s_mul_hi_u32 s46, s6, s45
	s_mul_hi_u32 s43, s6, s7
	s_add_u32 s44, s46, s44
	s_addc_u32 s43, 0, s43
	s_mul_hi_u32 s47, s42, s45
	s_mul_i32 s45, s42, s45
	s_add_u32 s44, s44, s45
	s_mul_hi_u32 s46, s42, s7
	s_addc_u32 s43, s43, s47
	s_addc_u32 s44, s46, 0
	s_mul_i32 s7, s42, s7
	s_add_u32 s7, s43, s7
	s_addc_u32 s43, 0, s44
	s_add_u32 s44, s6, s7
	s_cselect_b64 s[6:7], -1, 0
	s_cmp_lg_u64 s[6:7], 0
	s_addc_u32 s42, s42, s43
	s_mul_i32 s6, s8, s42
	s_mul_hi_u32 s7, s8, s44
	s_add_i32 s6, s7, s6
	s_mul_i32 s9, s9, s44
	s_add_i32 s6, s6, s9
	s_mul_i32 s8, s8, s44
	s_mul_hi_u32 s9, s42, s8
	s_mul_i32 s43, s42, s8
	s_mul_i32 s46, s44, s6
	s_mul_hi_u32 s8, s44, s8
	s_mul_hi_u32 s45, s44, s6
	s_add_u32 s8, s8, s46
	s_addc_u32 s45, 0, s45
	s_add_u32 s8, s8, s43
	s_mul_hi_u32 s7, s42, s6
	s_addc_u32 s8, s45, s9
	s_addc_u32 s7, s7, 0
	s_mul_i32 s6, s42, s6
	s_add_u32 s6, s8, s6
	s_addc_u32 s8, 0, s7
	s_add_u32 s43, s44, s6
	s_cselect_b64 s[6:7], -1, 0
	s_cmp_lg_u64 s[6:7], 0
	s_addc_u32 s42, s42, s8
	s_ashr_i32 s6, s53, 31
	s_add_u32 s8, s93, s6
	s_mov_b32 s7, s6
	s_addc_u32 s9, s53, s6
	s_xor_b64 s[8:9], s[8:9], s[6:7]
	s_mul_i32 s45, s8, s42
	s_mul_hi_u32 s46, s8, s43
	s_mul_hi_u32 s44, s8, s42
	s_add_u32 s45, s46, s45
	s_addc_u32 s44, 0, s44
	s_mul_hi_u32 s47, s9, s43
	s_mul_i32 s43, s9, s43
	s_add_u32 s43, s45, s43
	s_mul_hi_u32 s46, s9, s42
	s_addc_u32 s43, s44, s47
	s_addc_u32 s44, s46, 0
	s_mul_i32 s42, s9, s42
	s_add_u32 s42, s43, s42
	s_addc_u32 s43, 0, s44
	s_mul_i32 s43, s0, s43
	s_mul_hi_u32 s44, s0, s42
	s_add_i32 s43, s44, s43
	s_mul_i32 s44, s1, s42
	s_add_i32 s46, s43, s44
	s_sub_i32 s44, s9, s46
	s_mul_i32 s42, s0, s42
	s_sub_u32 s8, s8, s42
	s_cselect_b64 s[42:43], -1, 0
	s_cmp_lg_u64 s[42:43], 0
	s_subb_u32 s47, s44, s1
	s_sub_u32 s48, s8, s0
	s_cselect_b64 s[44:45], -1, 0
	s_cmp_lg_u64 s[44:45], 0
	s_subb_u32 s49, s47, 0
	s_cmp_ge_u32 s49, s1
	s_cselect_b32 s51, -1, 0
	s_cmp_ge_u32 s48, s0
	s_cselect_b32 s52, -1, 0
	s_cmp_eq_u32 s49, s1
	s_cselect_b32 s51, s52, s51
	s_cmp_lg_u64 s[44:45], 0
	s_subb_u32 s47, s47, s1
	s_sub_u32 s52, s48, s0
	s_cselect_b64 s[44:45], -1, 0
	s_cmp_lg_u64 s[44:45], 0
	s_subb_u32 s44, s47, 0
	s_cmp_lg_u32 s51, 0
	s_cselect_b32 s45, s52, s48
	s_cselect_b32 s44, s44, s49
	s_cmp_lg_u64 s[42:43], 0
	s_subb_u32 s9, s9, s46
	s_cmp_ge_u32 s9, s1
	s_cselect_b32 s42, -1, 0
	s_cmp_ge_u32 s8, s0
	s_cselect_b32 s0, -1, 0
	s_cmp_eq_u32 s9, s1
	s_cselect_b32 s0, s0, s42
	s_cmp_lg_u32 s0, 0
	s_cselect_b32 s1, s44, s9
	s_cselect_b32 s0, s45, s8
	s_xor_b64 s[0:1], s[0:1], s[6:7]
	s_sub_u32 s0, s0, s6
	s_subb_u32 s1, s1, s6
	s_mov_b64 s[6:7], 0
	s_branch .LBB7_206
.LBB7_204:                              ;   in Loop: Header=BB7_32 Depth=1
                                        ; implicit-def: $sgpr6_sgpr7
	s_branch .LBB7_174
.LBB7_205:                              ;   in Loop: Header=BB7_32 Depth=1
	s_mov_b32 s13, s53
                                        ; implicit-def: $sgpr0_sgpr1
.LBB7_206:                              ;   in Loop: Header=BB7_32 Depth=1
	s_andn2_b64 vcc, exec, s[6:7]
	v_readlane_b32 s52, v66, 48
	s_cbranch_vccnz .LBB7_208
; %bb.207:                              ;   in Loop: Header=BB7_32 Depth=1
	v_cvt_f32_u32_e32 v6, s78
	s_sub_i32 s0, 0, s78
	v_rcp_iflag_f32_e32 v6, v6
	s_nop 0
	v_mul_f32_e32 v6, 0x4f7ffffe, v6
	v_cvt_u32_f32_e32 v6, v6
	s_nop 0
	v_readfirstlane_b32 s1, v6
	s_mul_i32 s0, s0, s1
	s_mul_hi_u32 s0, s1, s0
	s_add_i32 s1, s1, s0
	s_mul_hi_u32 s0, s93, s1
	s_mul_i32 s0, s0, s78
	s_sub_i32 s0, s93, s0
	s_sub_i32 s1, s0, s78
	s_cmp_ge_u32 s0, s78
	s_cselect_b32 s0, s1, s0
	s_sub_i32 s1, s0, s78
	s_cmp_ge_u32 s0, s78
	s_cselect_b32 s80, s1, s0
	s_mov_b64 s[0:1], s[80:81]
.LBB7_208:                              ;   in Loop: Header=BB7_32 Depth=1
	s_sub_u32 s42, s93, s0
	s_subb_u32 s43, s13, s1
	s_mov_b32 s53, s13
	v_cmp_gt_i64_e32 vcc, s[42:43], v[0:1]
	s_mov_b64 s[6:7], 0
	s_mov_b64 s[0:1], 0
                                        ; implicit-def: $vgpr47
	s_and_saveexec_b64 s[8:9], vcc
	s_cbranch_execz .LBB7_217
; %bb.209:                              ;   in Loop: Header=BB7_32 Depth=1
	v_mov_b64_e32 v[6:7], v[12:13]
	v_mov_b64_e32 v[8:9], v[0:1]
                                        ; implicit-def: $sgpr44_sgpr45
	s_branch .LBB7_212
.LBB7_210:                              ;   in Loop: Header=BB7_212 Depth=2
	s_or_b64 exec, exec, s[46:47]
	s_waitcnt lgkmcnt(0)
	s_barrier
	ds_read_u16 v10, v3 offset:3072
	s_mov_b64 s[46:47], -1
	s_waitcnt lgkmcnt(0)
	s_barrier
	v_cmp_ne_u32_sdwa s[48:49], v10, v3 src0_sel:BYTE_0 src1_sel:DWORD
	s_and_b64 vcc, exec, s[48:49]
	s_mov_b64 s[48:49], -1
	s_cbranch_vccz .LBB7_215
.LBB7_211:                              ;   in Loop: Header=BB7_212 Depth=2
	s_and_b64 s[46:47], exec, s[46:47]
	s_or_b64 s[0:1], s[46:47], s[0:1]
	s_andn2_b64 s[44:45], s[44:45], exec
	s_and_b64 s[46:47], s[48:49], exec
	s_or_b64 s[44:45], s[44:45], s[46:47]
	s_andn2_b64 exec, exec, s[0:1]
	s_cbranch_execz .LBB7_216
.LBB7_212:                              ;   Parent Loop BB7_32 Depth=1
                                        ; =>  This Inner Loop Header: Depth=2
	v_cmp_gt_i64_e32 vcc, s[56:57], v[8:9]
	s_and_saveexec_b64 s[46:47], vcc
	s_cbranch_execz .LBB7_210
; %bb.213:                              ;   in Loop: Header=BB7_212 Depth=2
	global_load_ubyte v10, v[6:7], off
	s_waitcnt vmcnt(0)
	v_bitop3_b32 v11, v10, s85, v46 bitop3:0x80
	v_cmp_eq_u32_e32 vcc, v11, v44
	s_and_b64 exec, exec, vcc
	s_cbranch_execz .LBB7_210
; %bb.214:                              ;   in Loop: Header=BB7_212 Depth=2
	v_lshlrev_b16_e32 v10, 8, v10
	v_or_b32_e32 v10, 1, v10
	ds_write_b16 v3, v10 offset:3072
	s_branch .LBB7_210
.LBB7_215:                              ;   in Loop: Header=BB7_212 Depth=2
	v_lshl_add_u64 v[8:9], v[8:9], 0, s[78:79]
	v_cmp_le_i64_e32 vcc, s[42:43], v[8:9]
	v_lshl_add_u64 v[6:7], v[6:7], 0, s[90:91]
	s_mov_b64 s[48:49], 0
	s_orn2_b64 s[46:47], vcc, exec
	s_branch .LBB7_211
.LBB7_216:                              ;   in Loop: Header=BB7_32 Depth=1
	s_or_b64 exec, exec, s[0:1]
	v_lshrrev_b32_sdwa v47, v45, v10 dst_sel:DWORD dst_unused:UNUSED_PAD src0_sel:DWORD src1_sel:WORD_0
	s_and_b64 s[0:1], s[44:45], exec
.LBB7_217:                              ;   in Loop: Header=BB7_32 Depth=1
	s_or_b64 exec, exec, s[8:9]
	v_readlane_b32 s48, v66, 40
	v_readlane_b32 s49, v66, 41
	;; [unrolled: 1-line block ×6, first 2 shown]
.LBB7_218:                              ;   in Loop: Header=BB7_32 Depth=1
	s_and_b64 vcc, exec, s[6:7]
	s_cbranch_vccz .LBB7_232
; %bb.219:                              ;   in Loop: Header=BB7_32 Depth=1
	v_readlane_b32 s6, v66, 20
	s_add_u32 s36, s40, s6
	v_readlane_b32 s6, v66, 21
	s_addc_u32 s7, s41, s6
	s_mov_b32 s6, s81
	s_cmp_lg_u64 s[6:7], 0
	s_cbranch_scc0 .LBB7_250
; %bb.220:                              ;   in Loop: Header=BB7_32 Depth=1
	s_add_u32 s8, s78, 0
	s_addc_u32 s9, 0, 0
	s_xor_b64 s[8:9], s[8:9], 0
	v_cvt_f32_u32_e32 v6, s8
	v_cvt_f32_u32_e32 v7, s9
	s_sub_u32 s6, 0, s8
	s_subb_u32 s37, 0, s9
	v_readlane_b32 s13, v66, 44
	v_fmac_f32_e32 v6, 0x4f800000, v7
	v_rcp_f32_e32 v6, v6
	v_readlane_b32 s12, v66, 43
	v_mul_f32_e32 v6, 0x5f7ffffc, v6
	v_mul_f32_e32 v7, 0x2f800000, v6
	v_trunc_f32_e32 v7, v7
	v_fmac_f32_e32 v6, 0xcf800000, v7
	v_cvt_u32_f32_e32 v7, v7
	v_cvt_u32_f32_e32 v6, v6
	v_readfirstlane_b32 s42, v7
	v_readfirstlane_b32 s34, v6
	s_mul_i32 s35, s6, s42
	s_mul_hi_u32 s44, s6, s34
	s_mul_i32 s43, s37, s34
	s_add_i32 s35, s44, s35
	s_mul_i32 s45, s6, s34
	s_add_i32 s35, s35, s43
	s_mul_i32 s44, s34, s35
	s_mul_hi_u32 s46, s34, s45
	s_mul_hi_u32 s43, s34, s35
	s_add_u32 s44, s46, s44
	s_addc_u32 s43, 0, s43
	s_mul_hi_u32 s47, s42, s45
	s_mul_i32 s45, s42, s45
	s_add_u32 s44, s44, s45
	s_mul_hi_u32 s46, s42, s35
	s_addc_u32 s43, s43, s47
	s_addc_u32 s44, s46, 0
	s_mul_i32 s35, s42, s35
	s_add_u32 s35, s43, s35
	s_addc_u32 s43, 0, s44
	s_add_u32 s44, s34, s35
	s_cselect_b64 s[34:35], -1, 0
	s_cmp_lg_u64 s[34:35], 0
	s_addc_u32 s42, s42, s43
	s_mul_i32 s34, s6, s42
	s_mul_hi_u32 s35, s6, s44
	s_add_i32 s34, s35, s34
	s_mul_i32 s37, s37, s44
	s_add_i32 s34, s34, s37
	s_mul_i32 s6, s6, s44
	s_mul_hi_u32 s37, s42, s6
	s_mul_i32 s43, s42, s6
	s_mul_i32 s46, s44, s34
	s_mul_hi_u32 s6, s44, s6
	s_mul_hi_u32 s45, s44, s34
	s_add_u32 s6, s6, s46
	s_addc_u32 s45, 0, s45
	s_add_u32 s6, s6, s43
	s_mul_hi_u32 s35, s42, s34
	s_addc_u32 s6, s45, s37
	s_addc_u32 s35, s35, 0
	s_mul_i32 s34, s42, s34
	s_add_u32 s6, s6, s34
	s_addc_u32 s37, 0, s35
	s_add_u32 s6, s44, s6
	s_cselect_b64 s[34:35], -1, 0
	s_cmp_lg_u64 s[34:35], 0
	s_addc_u32 s37, s42, s37
	s_ashr_i32 s34, s7, 31
	s_add_u32 s42, s36, s34
	s_mov_b32 s35, s34
	s_addc_u32 s43, s7, s34
	s_xor_b64 s[42:43], s[42:43], s[34:35]
	s_mul_i32 s45, s42, s37
	s_mul_hi_u32 s46, s42, s6
	s_mul_hi_u32 s44, s42, s37
	s_add_u32 s45, s46, s45
	s_addc_u32 s44, 0, s44
	s_mul_hi_u32 s47, s43, s6
	s_mul_i32 s6, s43, s6
	s_add_u32 s6, s45, s6
	s_mul_hi_u32 s46, s43, s37
	s_addc_u32 s6, s44, s47
	s_addc_u32 s44, s46, 0
	s_mul_i32 s37, s43, s37
	s_add_u32 s6, s6, s37
	s_addc_u32 s37, 0, s44
	s_mul_i32 s37, s8, s37
	s_mul_hi_u32 s44, s8, s6
	s_add_i32 s37, s44, s37
	s_mul_i32 s44, s9, s6
	s_add_i32 s37, s37, s44
	s_sub_i32 s46, s43, s37
	s_mul_i32 s6, s8, s6
	s_sub_u32 s6, s42, s6
	s_cselect_b64 s[44:45], -1, 0
	s_cmp_lg_u64 s[44:45], 0
	s_subb_u32 s42, s46, s9
	s_sub_u32 s48, s6, s8
	s_cselect_b64 s[46:47], -1, 0
	s_cmp_lg_u64 s[46:47], 0
	s_subb_u32 s49, s42, 0
	s_cmp_ge_u32 s49, s9
	s_cselect_b32 s51, -1, 0
	s_cmp_ge_u32 s48, s8
	s_cselect_b32 s52, -1, 0
	s_cmp_eq_u32 s49, s9
	s_cselect_b32 s51, s52, s51
	s_cmp_lg_u64 s[46:47], 0
	s_subb_u32 s42, s42, s9
	s_sub_u32 s52, s48, s8
	s_cselect_b64 s[46:47], -1, 0
	s_cmp_lg_u64 s[46:47], 0
	s_subb_u32 s42, s42, 0
	s_cmp_lg_u32 s51, 0
	s_cselect_b32 s46, s52, s48
	s_cselect_b32 s42, s42, s49
	s_cmp_lg_u64 s[44:45], 0
	s_subb_u32 s37, s43, s37
	s_cmp_ge_u32 s37, s9
	s_cselect_b32 s43, -1, 0
	s_cmp_ge_u32 s6, s8
	s_cselect_b32 s8, -1, 0
	s_cmp_eq_u32 s37, s9
	s_cselect_b32 s8, s8, s43
	s_cmp_lg_u32 s8, 0
	s_cselect_b32 s9, s42, s37
	s_cselect_b32 s8, s46, s6
	s_xor_b64 s[8:9], s[8:9], s[34:35]
	v_readlane_b32 s48, v66, 40
	s_sub_u32 s8, s8, s34
	v_readlane_b32 s52, v66, 48
	v_readlane_b32 s49, v66, 41
	;; [unrolled: 1-line block ×4, first 2 shown]
	s_subb_u32 s9, s9, s34
	s_cbranch_execnz .LBB7_222
.LBB7_221:                              ;   in Loop: Header=BB7_32 Depth=1
	v_cvt_f32_u32_e32 v6, s78
	s_sub_i32 s6, 0, s78
	v_rcp_iflag_f32_e32 v6, v6
	s_nop 0
	v_mul_f32_e32 v6, 0x4f7ffffe, v6
	v_cvt_u32_f32_e32 v6, v6
	s_nop 0
	v_readfirstlane_b32 s8, v6
	s_mul_i32 s6, s6, s8
	s_mul_hi_u32 s6, s8, s6
	s_add_i32 s8, s8, s6
	s_mul_hi_u32 s6, s36, s8
	s_mul_i32 s6, s6, s78
	s_sub_i32 s6, s36, s6
	s_sub_i32 s8, s6, s78
	s_cmp_ge_u32 s6, s78
	s_cselect_b32 s6, s8, s6
	s_sub_i32 s8, s6, s78
	s_cmp_ge_u32 s6, s78
	s_cselect_b32 s80, s8, s6
	s_mov_b64 s[8:9], s[80:81]
.LBB7_222:                              ;   in Loop: Header=BB7_32 Depth=1
	s_sub_u32 s8, s36, s8
	s_subb_u32 s9, s7, s9
	v_cmp_gt_i64_e32 vcc, s[8:9], v[0:1]
                                        ; implicit-def: $vgpr47
	s_and_saveexec_b64 s[6:7], vcc
	s_cbranch_execz .LBB7_231
; %bb.223:                              ;   in Loop: Header=BB7_32 Depth=1
	s_mov_b64 s[34:35], 0
	v_mov_b32_e32 v8, v0
	v_mov_b64_e32 v[6:7], v[0:1]
                                        ; implicit-def: $sgpr36_sgpr37
	s_branch .LBB7_226
.LBB7_224:                              ;   in Loop: Header=BB7_226 Depth=2
	s_or_b64 exec, exec, s[42:43]
	s_waitcnt lgkmcnt(0)
	s_barrier
	ds_read_u16 v9, v3 offset:3072
	s_mov_b64 s[42:43], -1
	s_waitcnt lgkmcnt(0)
	s_barrier
	v_cmp_eq_u32_sdwa s[44:45], v9, v3 src0_sel:BYTE_0 src1_sel:DWORD
	s_and_b64 vcc, exec, s[44:45]
	s_mov_b64 s[44:45], -1
	s_cbranch_vccnz .LBB7_229
.LBB7_225:                              ;   in Loop: Header=BB7_226 Depth=2
	s_and_b64 s[42:43], exec, s[42:43]
	s_or_b64 s[34:35], s[42:43], s[34:35]
	s_andn2_b64 s[36:37], s[36:37], exec
	s_and_b64 s[42:43], s[44:45], exec
	s_or_b64 s[36:37], s[36:37], s[42:43]
	s_andn2_b64 exec, exec, s[34:35]
	s_cbranch_execz .LBB7_230
.LBB7_226:                              ;   Parent Loop BB7_32 Depth=1
                                        ; =>  This Inner Loop Header: Depth=2
	v_cmp_gt_u64_e32 vcc, s[40:41], v[6:7]
	s_and_saveexec_b64 s[42:43], vcc
	s_cbranch_execz .LBB7_224
; %bb.227:                              ;   in Loop: Header=BB7_226 Depth=2
	ds_read_u8 v9, v8
	s_waitcnt lgkmcnt(0)
	v_bitop3_b32 v10, v9, s85, v46 bitop3:0x80
	v_cmp_eq_u32_e32 vcc, v10, v44
	s_and_b64 exec, exec, vcc
	s_cbranch_execz .LBB7_224
; %bb.228:                              ;   in Loop: Header=BB7_226 Depth=2
	v_lshlrev_b16_e32 v9, 8, v9
	v_or_b32_e32 v9, 1, v9
	ds_write_b16 v3, v9 offset:3072
	s_branch .LBB7_224
.LBB7_229:                              ;   in Loop: Header=BB7_226 Depth=2
	v_lshl_add_u64 v[6:7], v[6:7], 0, s[78:79]
	v_cmp_le_i64_e32 vcc, s[8:9], v[6:7]
	v_add_u32_e32 v8, s78, v8
	s_mov_b64 s[44:45], 0
	s_orn2_b64 s[42:43], vcc, exec
	s_branch .LBB7_225
.LBB7_230:                              ;   in Loop: Header=BB7_32 Depth=1
	s_or_b64 exec, exec, s[34:35]
	s_andn2_b64 s[0:1], s[0:1], exec
	s_and_b64 s[8:9], s[36:37], exec
	v_lshrrev_b32_sdwa v47, v45, v9 dst_sel:DWORD dst_unused:UNUSED_PAD src0_sel:DWORD src1_sel:WORD_0
	s_or_b64 s[0:1], s[0:1], s[8:9]
	v_readlane_b32 s12, v66, 43
	v_readlane_b32 s13, v66, 44
	;; [unrolled: 1-line block ×4, first 2 shown]
.LBB7_231:                              ;   in Loop: Header=BB7_32 Depth=1
	s_or_b64 exec, exec, s[6:7]
	s_mov_b64 s[34:35], 0
	s_mov_b64 s[36:37], -1
.LBB7_232:                              ;   in Loop: Header=BB7_32 Depth=1
	s_orn2_b64 s[0:1], s[0:1], exec
.LBB7_233:                              ;   in Loop: Header=BB7_32 Depth=1
	s_or_b64 exec, exec, s[38:39]
	s_mov_b64 s[6:7], 0
	s_and_saveexec_b64 s[38:39], s[0:1]
	s_cbranch_execz .LBB7_292
; %bb.234:                              ;   in Loop: Header=BB7_32 Depth=1
	s_xor_b64 s[6:7], s[30:31], -1
	v_mov_b32_e32 v2, 1
	s_mov_b64 s[8:9], 0
	v_mov_b64_e32 v[6:7], 1
	s_and_saveexec_b64 s[0:1], s[6:7]
	s_cbranch_execz .LBB7_243
; %bb.235:                              ;   in Loop: Header=BB7_32 Depth=1
	v_cmp_ge_i64_e32 vcc, s[22:23], v[4:5]
	s_and_saveexec_b64 s[6:7], vcc
	s_xor_b64 s[6:7], exec, s[6:7]
	s_cbranch_execz .LBB7_240
; %bb.236:                              ;   in Loop: Header=BB7_32 Depth=1
	ds_read_b64 v[6:7], v3 offset:5120
	v_and_b32_e32 v2, s50, v44
	v_lshl_or_b32 v44, 2, s84, v2
	v_or_b32_e32 v46, s82, v46
	s_waitcnt lgkmcnt(0)
	v_cmp_ne_u64_e32 vcc, 0, v[6:7]
	s_cbranch_vccnz .LBB7_240
; %bb.237:                              ;   in Loop: Header=BB7_32 Depth=1
	s_mov_b64 s[8:9], exec
	v_readlane_b32 s30, v66, 10
	v_readlane_b32 s31, v66, 11
	s_and_b64 s[30:31], s[8:9], s[30:31]
	s_mov_b64 exec, s[30:31]
; %bb.238:                              ;   in Loop: Header=BB7_32 Depth=1
	v_mov_b64_e32 v[6:7], s[22:23]
	ds_write_b64 v3, v[6:7] offset:5128
; %bb.239:                              ;   in Loop: Header=BB7_32 Depth=1
	s_or_b64 exec, exec, s[8:9]
	s_waitcnt lgkmcnt(0)
	s_barrier
.LBB7_240:                              ;   in Loop: Header=BB7_32 Depth=1
	s_or_saveexec_b64 s[6:7], s[6:7]
	s_mov_b64 s[8:9], 0
	v_mov_b32_e32 v2, 8
	s_xor_b64 exec, exec, s[6:7]
; %bb.241:                              ;   in Loop: Header=BB7_32 Depth=1
	v_mov_b32_e32 v2, s23
	v_subrev_co_u32_e32 v4, vcc, s22, v4
	s_mov_b64 s[8:9], exec
	s_nop 0
	v_subb_co_u32_e32 v5, vcc, v5, v2, vcc
	v_mov_b32_e32 v2, 0
; %bb.242:                              ;   in Loop: Header=BB7_32 Depth=1
	s_or_b64 exec, exec, s[6:7]
	s_and_b64 s[8:9], s[8:9], exec
	v_mov_b64_e32 v[6:7], v[4:5]
.LBB7_243:                              ;   in Loop: Header=BB7_32 Depth=1
	s_or_b64 exec, exec, s[0:1]
	s_mov_b64 s[6:7], -1
                                        ; implicit-def: $sgpr44_sgpr45
                                        ; implicit-def: $sgpr0_sgpr1
	s_and_saveexec_b64 s[22:23], s[8:9]
	s_cbranch_execz .LBB7_291
; %bb.244:                              ;   in Loop: Header=BB7_32 Depth=1
	s_cmp_eq_u64 s[14:15], 1
	s_cselect_b64 s[0:1], -1, 0
	v_cmp_eq_u64_e32 vcc, 1, v[6:7]
	s_and_b64 s[30:31], s[0:1], vcc
	s_mov_b64 s[8:9], -1
                                        ; implicit-def: $sgpr44_sgpr45
                                        ; implicit-def: $sgpr0_sgpr1
	s_and_saveexec_b64 s[40:41], s[30:31]
	s_cbranch_execz .LBB7_279
; %bb.245:                              ;   in Loop: Header=BB7_32 Depth=1
	ds_read_b64 v[4:5], v3 offset:5120
	s_waitcnt lgkmcnt(0)
	s_barrier
	v_readfirstlane_b32 s42, v4
	v_readfirstlane_b32 s43, v5
	s_mov_b64 s[0:1], exec
	v_readlane_b32 s6, v66, 12
	v_readlane_b32 s7, v66, 13
	s_and_b64 s[6:7], s[0:1], s[6:7]
	s_mov_b64 exec, s[6:7]
; %bb.246:                              ;   in Loop: Header=BB7_32 Depth=1
	ds_write_b8 v0, v3 offset:3072
; %bb.247:                              ;   in Loop: Header=BB7_32 Depth=1
	s_or_b64 exec, exec, s[0:1]
	v_cmp_gt_i64_e64 s[6:7], s[42:43], 0
	v_or_b32_e32 v44, s82, v44
	v_or_b32_e32 v46, s82, v46
	s_mov_b64 s[0:1], -1
	s_mov_b64 s[44:45], 0
	s_and_b64 vcc, exec, s[6:7]
	s_mov_b64 s[6:7], 0
	s_waitcnt lgkmcnt(0)
	s_barrier
                                        ; implicit-def: $vgpr47
	s_cbranch_vccnz .LBB7_264
; %bb.248:                              ;   in Loop: Header=BB7_32 Depth=1
	s_mov_b32 s52, s81
	s_mov_b32 s12, s64
	s_cmp_lg_u64 s[52:53], 0
	s_mov_b32 s55, s53
	s_cbranch_scc0 .LBB7_251
; %bb.249:                              ;   in Loop: Header=BB7_32 Depth=1
	s_add_u32 s6, s78, 0
	s_addc_u32 s7, 0, 0
	s_xor_b64 s[6:7], s[6:7], 0
	v_cvt_f32_u32_e32 v4, s6
	v_cvt_f32_u32_e32 v5, s7
	s_sub_u32 s46, 0, s6
	s_subb_u32 s47, 0, s7
	s_mov_b32 s13, s55
	v_fmac_f32_e32 v4, 0x4f800000, v5
	v_rcp_f32_e32 v4, v4
	s_nop 0
	v_mul_f32_e32 v4, 0x5f7ffffc, v4
	v_mul_f32_e32 v5, 0x2f800000, v4
	v_trunc_f32_e32 v5, v5
	v_fmac_f32_e32 v4, 0xcf800000, v5
	v_cvt_u32_f32_e32 v5, v5
	v_cvt_u32_f32_e32 v4, v4
	v_readfirstlane_b32 s48, v5
	v_readfirstlane_b32 s8, v4
	s_mul_i32 s9, s46, s48
	s_mul_hi_u32 s50, s46, s8
	s_mul_i32 s49, s47, s8
	s_add_i32 s9, s50, s9
	s_mul_i32 s51, s46, s8
	s_add_i32 s9, s9, s49
	s_mul_i32 s50, s8, s9
	s_mul_hi_u32 s52, s8, s51
	s_mul_hi_u32 s49, s8, s9
	s_add_u32 s50, s52, s50
	s_addc_u32 s49, 0, s49
	s_mul_hi_u32 s53, s48, s51
	s_mul_i32 s51, s48, s51
	s_add_u32 s50, s50, s51
	s_mul_hi_u32 s52, s48, s9
	s_addc_u32 s49, s49, s53
	s_addc_u32 s50, s52, 0
	s_mul_i32 s9, s48, s9
	s_add_u32 s9, s49, s9
	s_addc_u32 s49, 0, s50
	s_add_u32 s50, s8, s9
	s_cselect_b64 s[8:9], -1, 0
	s_cmp_lg_u64 s[8:9], 0
	s_addc_u32 s48, s48, s49
	s_mul_i32 s8, s46, s48
	s_mul_hi_u32 s9, s46, s50
	s_add_i32 s8, s9, s8
	s_mul_i32 s47, s47, s50
	s_add_i32 s8, s8, s47
	s_mul_i32 s46, s46, s50
	s_mul_hi_u32 s47, s48, s46
	s_mul_i32 s49, s48, s46
	s_mul_i32 s52, s50, s8
	s_mul_hi_u32 s46, s50, s46
	s_mul_hi_u32 s51, s50, s8
	s_add_u32 s46, s46, s52
	s_addc_u32 s51, 0, s51
	s_add_u32 s46, s46, s49
	s_mul_hi_u32 s9, s48, s8
	s_addc_u32 s46, s51, s47
	s_addc_u32 s9, s9, 0
	s_mul_i32 s8, s48, s8
	s_add_u32 s8, s46, s8
	s_addc_u32 s46, 0, s9
	s_add_u32 s49, s50, s8
	s_cselect_b64 s[8:9], -1, 0
	s_cmp_lg_u64 s[8:9], 0
	s_addc_u32 s48, s48, s46
	s_ashr_i32 s8, s55, 31
	s_add_u32 s46, s93, s8
	s_mov_b32 s9, s8
	s_addc_u32 s47, s55, s8
	s_xor_b64 s[46:47], s[46:47], s[8:9]
	s_mul_i32 s51, s46, s48
	s_mul_hi_u32 s52, s46, s49
	s_mul_hi_u32 s50, s46, s48
	s_add_u32 s51, s52, s51
	s_addc_u32 s50, 0, s50
	s_mul_hi_u32 s53, s47, s49
	s_mul_i32 s49, s47, s49
	s_add_u32 s49, s51, s49
	s_mul_hi_u32 s52, s47, s48
	s_addc_u32 s49, s50, s53
	s_addc_u32 s50, s52, 0
	s_mul_i32 s48, s47, s48
	s_add_u32 s48, s49, s48
	s_addc_u32 s49, 0, s50
	s_mul_i32 s49, s6, s49
	s_mul_hi_u32 s50, s6, s48
	s_add_i32 s49, s50, s49
	s_mul_i32 s50, s7, s48
	s_add_i32 s52, s49, s50
	s_sub_i32 s50, s47, s52
	s_mul_i32 s48, s6, s48
	s_sub_u32 s46, s46, s48
	s_cselect_b64 s[48:49], -1, 0
	s_cmp_lg_u64 s[48:49], 0
	s_subb_u32 s53, s50, s7
	s_sub_u32 s54, s46, s6
	s_cselect_b64 s[50:51], -1, 0
	s_cmp_lg_u64 s[50:51], 0
	s_subb_u32 s55, s53, 0
	s_cmp_ge_u32 s55, s7
	s_cselect_b32 s64, -1, 0
	s_cmp_ge_u32 s54, s6
	s_cselect_b32 s65, -1, 0
	s_cmp_eq_u32 s55, s7
	s_cselect_b32 s64, s65, s64
	s_cmp_lg_u64 s[50:51], 0
	s_subb_u32 s53, s53, s7
	s_sub_u32 s65, s54, s6
	s_cselect_b64 s[50:51], -1, 0
	s_cmp_lg_u64 s[50:51], 0
	s_subb_u32 s50, s53, 0
	s_cmp_lg_u32 s64, 0
	s_cselect_b32 s51, s65, s54
	s_cselect_b32 s50, s50, s55
	s_cmp_lg_u64 s[48:49], 0
	s_subb_u32 s47, s47, s52
	s_cmp_ge_u32 s47, s7
	s_cselect_b32 s48, -1, 0
	s_cmp_ge_u32 s46, s6
	s_cselect_b32 s6, -1, 0
	s_cmp_eq_u32 s47, s7
	s_cselect_b32 s6, s6, s48
	s_cmp_lg_u32 s6, 0
	s_cselect_b32 s7, s50, s47
	s_cselect_b32 s6, s51, s46
	s_xor_b64 s[6:7], s[6:7], s[8:9]
	s_sub_u32 s6, s6, s8
	s_subb_u32 s7, s7, s8
	s_mov_b64 s[8:9], 0
	s_branch .LBB7_252
.LBB7_250:                              ;   in Loop: Header=BB7_32 Depth=1
                                        ; implicit-def: $sgpr8_sgpr9
	s_branch .LBB7_221
.LBB7_251:                              ;   in Loop: Header=BB7_32 Depth=1
	s_mov_b32 s13, s55
                                        ; implicit-def: $sgpr6_sgpr7
.LBB7_252:                              ;   in Loop: Header=BB7_32 Depth=1
	s_andn2_b64 vcc, exec, s[8:9]
	v_readlane_b32 s52, v66, 48
	s_cbranch_vccnz .LBB7_254
; %bb.253:                              ;   in Loop: Header=BB7_32 Depth=1
	v_cvt_f32_u32_e32 v4, s78
	s_sub_i32 s6, 0, s78
	v_rcp_iflag_f32_e32 v4, v4
	s_nop 0
	v_mul_f32_e32 v4, 0x4f7ffffe, v4
	v_cvt_u32_f32_e32 v4, v4
	s_nop 0
	v_readfirstlane_b32 s7, v4
	s_mul_i32 s6, s6, s7
	s_mul_hi_u32 s6, s7, s6
	s_add_i32 s7, s7, s6
	s_mul_hi_u32 s6, s93, s7
	s_mul_i32 s6, s6, s78
	s_sub_i32 s6, s93, s6
	s_sub_i32 s7, s6, s78
	s_cmp_ge_u32 s6, s78
	s_cselect_b32 s6, s7, s6
	s_sub_i32 s7, s6, s78
	s_cmp_ge_u32 s6, s78
	s_cselect_b32 s80, s7, s6
	s_mov_b64 s[6:7], s[80:81]
.LBB7_254:                              ;   in Loop: Header=BB7_32 Depth=1
	s_sub_u32 s48, s93, s6
	s_subb_u32 s49, s13, s7
	s_mov_b32 s53, s13
	v_cmp_gt_i64_e32 vcc, s[48:49], v[0:1]
	s_mov_b64 s[8:9], 0
	s_mov_b64 s[6:7], 0
                                        ; implicit-def: $vgpr47
	s_and_saveexec_b64 s[46:47], vcc
	s_mov_b32 s64, s12
	s_cbranch_execz .LBB7_263
; %bb.255:                              ;   in Loop: Header=BB7_32 Depth=1
	s_mov_b32 s13, s53
	v_mov_b64_e32 v[4:5], v[12:13]
	v_mov_b64_e32 v[8:9], v[0:1]
                                        ; implicit-def: $sgpr50_sgpr51
	s_branch .LBB7_258
.LBB7_256:                              ;   in Loop: Header=BB7_258 Depth=2
	s_or_b64 exec, exec, s[52:53]
	s_waitcnt lgkmcnt(0)
	s_barrier
	ds_read_u16 v10, v3 offset:3072
	s_mov_b64 s[52:53], -1
	s_waitcnt lgkmcnt(0)
	s_barrier
	v_cmp_ne_u32_sdwa s[54:55], v10, v3 src0_sel:BYTE_0 src1_sel:DWORD
	s_and_b64 vcc, exec, s[54:55]
	s_mov_b64 s[54:55], -1
	s_cbranch_vccz .LBB7_261
.LBB7_257:                              ;   in Loop: Header=BB7_258 Depth=2
	s_and_b64 s[52:53], exec, s[52:53]
	s_or_b64 s[6:7], s[52:53], s[6:7]
	s_andn2_b64 s[50:51], s[50:51], exec
	s_and_b64 s[52:53], s[54:55], exec
	s_or_b64 s[50:51], s[50:51], s[52:53]
	s_andn2_b64 exec, exec, s[6:7]
	s_cbranch_execz .LBB7_262
.LBB7_258:                              ;   Parent Loop BB7_32 Depth=1
                                        ; =>  This Inner Loop Header: Depth=2
	v_cmp_gt_i64_e32 vcc, s[56:57], v[8:9]
	s_and_saveexec_b64 s[52:53], vcc
	s_cbranch_execz .LBB7_256
; %bb.259:                              ;   in Loop: Header=BB7_258 Depth=2
	global_load_ubyte v10, v[4:5], off
	s_waitcnt vmcnt(0)
	v_bitop3_b32 v11, v10, s85, v46 bitop3:0x80
	v_cmp_eq_u32_e32 vcc, v11, v44
	s_and_b64 exec, exec, vcc
	s_cbranch_execz .LBB7_256
; %bb.260:                              ;   in Loop: Header=BB7_258 Depth=2
	v_lshlrev_b16_e32 v10, 8, v10
	v_or_b32_e32 v10, 1, v10
	ds_write_b16 v3, v10 offset:3072
	s_branch .LBB7_256
.LBB7_261:                              ;   in Loop: Header=BB7_258 Depth=2
	v_lshl_add_u64 v[8:9], v[8:9], 0, s[78:79]
	v_cmp_le_i64_e32 vcc, s[48:49], v[8:9]
	v_lshl_add_u64 v[4:5], v[4:5], 0, s[90:91]
	s_mov_b64 s[54:55], 0
	s_orn2_b64 s[52:53], vcc, exec
	s_branch .LBB7_257
.LBB7_262:                              ;   in Loop: Header=BB7_32 Depth=1
	s_or_b64 exec, exec, s[6:7]
	v_lshrrev_b32_sdwa v47, v45, v10 dst_sel:DWORD dst_unused:UNUSED_PAD src0_sel:DWORD src1_sel:WORD_0
	s_and_b64 s[6:7], s[50:51], exec
	s_mov_b32 s53, s13
	v_readlane_b32 s52, v66, 48
.LBB7_263:                              ;   in Loop: Header=BB7_32 Depth=1
	s_or_b64 exec, exec, s[46:47]
	v_readlane_b32 s54, v66, 38
	v_readlane_b32 s48, v66, 40
	;; [unrolled: 1-line block ×4, first 2 shown]
.LBB7_264:                              ;   in Loop: Header=BB7_32 Depth=1
	s_and_b64 vcc, exec, s[8:9]
	s_cbranch_vccz .LBB7_278
; %bb.265:                              ;   in Loop: Header=BB7_32 Depth=1
	v_readlane_b32 s0, v66, 20
	s_add_u32 s46, s42, s0
	v_readlane_b32 s0, v66, 21
	s_addc_u32 s1, s43, s0
	s_mov_b32 s0, s81
	s_mov_b32 s13, s53
	s_cmp_lg_u64 s[0:1], 0
	s_cbranch_scc0 .LBB7_298
; %bb.266:                              ;   in Loop: Header=BB7_32 Depth=1
	s_add_u32 s8, s78, 0
	s_addc_u32 s9, 0, 0
	s_xor_b64 s[8:9], s[8:9], 0
	v_cvt_f32_u32_e32 v4, s8
	v_cvt_f32_u32_e32 v5, s9
	s_sub_u32 s0, 0, s8
	s_subb_u32 s47, 0, s9
	s_mov_b32 s12, s64
	v_fmac_f32_e32 v4, 0x4f800000, v5
	v_rcp_f32_e32 v4, v4
	s_nop 0
	v_mul_f32_e32 v4, 0x5f7ffffc, v4
	v_mul_f32_e32 v5, 0x2f800000, v4
	v_trunc_f32_e32 v5, v5
	v_fmac_f32_e32 v4, 0xcf800000, v5
	v_cvt_u32_f32_e32 v5, v5
	v_cvt_u32_f32_e32 v4, v4
	v_readfirstlane_b32 s48, v5
	v_readfirstlane_b32 s44, v4
	s_mul_i32 s45, s0, s48
	s_mul_hi_u32 s50, s0, s44
	s_mul_i32 s49, s47, s44
	s_add_i32 s45, s50, s45
	s_mul_i32 s51, s0, s44
	s_add_i32 s45, s45, s49
	s_mul_i32 s50, s44, s45
	s_mul_hi_u32 s52, s44, s51
	s_mul_hi_u32 s49, s44, s45
	s_add_u32 s50, s52, s50
	s_addc_u32 s49, 0, s49
	s_mul_hi_u32 s53, s48, s51
	s_mul_i32 s51, s48, s51
	s_add_u32 s50, s50, s51
	s_mul_hi_u32 s52, s48, s45
	s_addc_u32 s49, s49, s53
	s_addc_u32 s50, s52, 0
	s_mul_i32 s45, s48, s45
	s_add_u32 s45, s49, s45
	s_addc_u32 s49, 0, s50
	s_add_u32 s50, s44, s45
	s_cselect_b64 s[44:45], -1, 0
	s_cmp_lg_u64 s[44:45], 0
	s_addc_u32 s48, s48, s49
	s_mul_i32 s44, s0, s48
	s_mul_hi_u32 s45, s0, s50
	s_add_i32 s44, s45, s44
	s_mul_i32 s47, s47, s50
	s_add_i32 s44, s44, s47
	s_mul_i32 s0, s0, s50
	s_mul_hi_u32 s47, s48, s0
	s_mul_i32 s49, s48, s0
	s_mul_i32 s52, s50, s44
	s_mul_hi_u32 s0, s50, s0
	s_mul_hi_u32 s51, s50, s44
	s_add_u32 s0, s0, s52
	s_addc_u32 s51, 0, s51
	s_add_u32 s0, s0, s49
	s_mul_hi_u32 s45, s48, s44
	s_addc_u32 s0, s51, s47
	s_addc_u32 s45, s45, 0
	s_mul_i32 s44, s48, s44
	s_add_u32 s0, s0, s44
	s_addc_u32 s47, 0, s45
	s_add_u32 s0, s50, s0
	s_cselect_b64 s[44:45], -1, 0
	s_cmp_lg_u64 s[44:45], 0
	s_addc_u32 s47, s48, s47
	s_ashr_i32 s44, s1, 31
	s_add_u32 s48, s46, s44
	s_mov_b32 s45, s44
	s_addc_u32 s49, s1, s44
	s_xor_b64 s[48:49], s[48:49], s[44:45]
	s_mul_i32 s51, s48, s47
	s_mul_hi_u32 s52, s48, s0
	s_mul_hi_u32 s50, s48, s47
	s_add_u32 s51, s52, s51
	s_addc_u32 s50, 0, s50
	s_mul_hi_u32 s53, s49, s0
	s_mul_i32 s0, s49, s0
	s_add_u32 s0, s51, s0
	s_mul_hi_u32 s52, s49, s47
	s_addc_u32 s0, s50, s53
	s_addc_u32 s50, s52, 0
	s_mul_i32 s47, s49, s47
	s_add_u32 s0, s0, s47
	s_addc_u32 s47, 0, s50
	s_mul_i32 s47, s8, s47
	s_mul_hi_u32 s50, s8, s0
	s_add_i32 s47, s50, s47
	s_mul_i32 s50, s9, s0
	s_add_i32 s47, s47, s50
	s_sub_i32 s52, s49, s47
	s_mul_i32 s0, s8, s0
	s_sub_u32 s0, s48, s0
	s_cselect_b64 s[50:51], -1, 0
	s_cmp_lg_u64 s[50:51], 0
	s_subb_u32 s48, s52, s9
	s_sub_u32 s54, s0, s8
	s_cselect_b64 s[52:53], -1, 0
	s_cmp_lg_u64 s[52:53], 0
	s_subb_u32 s55, s48, 0
	s_cmp_ge_u32 s55, s9
	s_cselect_b32 s64, -1, 0
	s_cmp_ge_u32 s54, s8
	s_cselect_b32 s65, -1, 0
	s_cmp_eq_u32 s55, s9
	s_cselect_b32 s64, s65, s64
	s_cmp_lg_u64 s[52:53], 0
	s_subb_u32 s48, s48, s9
	s_sub_u32 s65, s54, s8
	s_cselect_b64 s[52:53], -1, 0
	s_cmp_lg_u64 s[52:53], 0
	s_subb_u32 s48, s48, 0
	s_cmp_lg_u32 s64, 0
	s_cselect_b32 s52, s65, s54
	s_cselect_b32 s48, s48, s55
	s_cmp_lg_u64 s[50:51], 0
	s_subb_u32 s47, s49, s47
	s_cmp_ge_u32 s47, s9
	s_cselect_b32 s49, -1, 0
	s_cmp_ge_u32 s0, s8
	s_cselect_b32 s8, -1, 0
	s_cmp_eq_u32 s47, s9
	s_cselect_b32 s8, s8, s49
	s_cmp_lg_u32 s8, 0
	s_cselect_b32 s9, s48, s47
	s_cselect_b32 s8, s52, s0
	s_xor_b64 s[8:9], s[8:9], s[44:45]
	v_readlane_b32 s54, v66, 38
	v_readlane_b32 s48, v66, 40
	s_sub_u32 s8, s8, s44
	s_mov_b32 s64, s12
	v_readlane_b32 s55, v66, 39
	v_readlane_b32 s49, v66, 41
	;; [unrolled: 1-line block ×3, first 2 shown]
	s_subb_u32 s9, s9, s44
	s_cbranch_execnz .LBB7_268
.LBB7_267:                              ;   in Loop: Header=BB7_32 Depth=1
	v_cvt_f32_u32_e32 v4, s78
	s_sub_i32 s0, 0, s78
	v_rcp_iflag_f32_e32 v4, v4
	s_nop 0
	v_mul_f32_e32 v4, 0x4f7ffffe, v4
	v_cvt_u32_f32_e32 v4, v4
	s_nop 0
	v_readfirstlane_b32 s8, v4
	s_mul_i32 s0, s0, s8
	s_mul_hi_u32 s0, s8, s0
	s_add_i32 s8, s8, s0
	s_mul_hi_u32 s0, s46, s8
	s_mul_i32 s0, s0, s78
	s_sub_i32 s0, s46, s0
	s_sub_i32 s8, s0, s78
	s_cmp_ge_u32 s0, s78
	s_cselect_b32 s0, s8, s0
	s_sub_i32 s8, s0, s78
	s_cmp_ge_u32 s0, s78
	s_cselect_b32 s80, s8, s0
	s_mov_b64 s[8:9], s[80:81]
.LBB7_268:                              ;   in Loop: Header=BB7_32 Depth=1
	s_sub_u32 s8, s46, s8
	s_subb_u32 s9, s1, s9
	v_cmp_gt_i64_e32 vcc, s[8:9], v[0:1]
                                        ; implicit-def: $vgpr47
	s_and_saveexec_b64 s[0:1], vcc
	s_mov_b32 s53, s13
	s_cbranch_execz .LBB7_277
; %bb.269:                              ;   in Loop: Header=BB7_32 Depth=1
	s_mov_b64 s[44:45], 0
	v_mov_b32_e32 v8, v0
	v_mov_b64_e32 v[4:5], v[0:1]
                                        ; implicit-def: $sgpr46_sgpr47
	s_branch .LBB7_272
.LBB7_270:                              ;   in Loop: Header=BB7_272 Depth=2
	s_or_b64 exec, exec, s[48:49]
	s_waitcnt lgkmcnt(0)
	s_barrier
	ds_read_u16 v9, v3 offset:3072
	s_mov_b64 s[48:49], -1
	s_waitcnt lgkmcnt(0)
	s_barrier
	v_cmp_eq_u32_sdwa s[50:51], v9, v3 src0_sel:BYTE_0 src1_sel:DWORD
	s_and_b64 vcc, exec, s[50:51]
	s_mov_b64 s[50:51], -1
	s_cbranch_vccnz .LBB7_275
.LBB7_271:                              ;   in Loop: Header=BB7_272 Depth=2
	s_and_b64 s[48:49], exec, s[48:49]
	s_or_b64 s[44:45], s[48:49], s[44:45]
	s_andn2_b64 s[46:47], s[46:47], exec
	s_and_b64 s[48:49], s[50:51], exec
	s_or_b64 s[46:47], s[46:47], s[48:49]
	s_andn2_b64 exec, exec, s[44:45]
	s_cbranch_execz .LBB7_276
.LBB7_272:                              ;   Parent Loop BB7_32 Depth=1
                                        ; =>  This Inner Loop Header: Depth=2
	v_cmp_gt_u64_e32 vcc, s[42:43], v[4:5]
	s_and_saveexec_b64 s[48:49], vcc
	s_cbranch_execz .LBB7_270
; %bb.273:                              ;   in Loop: Header=BB7_272 Depth=2
	ds_read_u8 v9, v8
	s_waitcnt lgkmcnt(0)
	v_bitop3_b32 v10, v9, s85, v46 bitop3:0x80
	v_cmp_eq_u32_e32 vcc, v10, v44
	s_and_b64 exec, exec, vcc
	s_cbranch_execz .LBB7_270
; %bb.274:                              ;   in Loop: Header=BB7_272 Depth=2
	v_lshlrev_b16_e32 v9, 8, v9
	v_or_b32_e32 v9, 1, v9
	ds_write_b16 v3, v9 offset:3072
	s_branch .LBB7_270
.LBB7_275:                              ;   in Loop: Header=BB7_272 Depth=2
	v_lshl_add_u64 v[4:5], v[4:5], 0, s[78:79]
	v_cmp_le_i64_e32 vcc, s[8:9], v[4:5]
	v_add_u32_e32 v8, s78, v8
	s_mov_b64 s[50:51], 0
	s_orn2_b64 s[48:49], vcc, exec
	s_branch .LBB7_271
.LBB7_276:                              ;   in Loop: Header=BB7_32 Depth=1
	s_or_b64 exec, exec, s[44:45]
	s_andn2_b64 s[6:7], s[6:7], exec
	s_and_b64 s[8:9], s[46:47], exec
	v_readlane_b32 s48, v66, 40
	v_lshrrev_b32_sdwa v47, v45, v9 dst_sel:DWORD dst_unused:UNUSED_PAD src0_sel:DWORD src1_sel:WORD_0
	s_or_b64 s[6:7], s[6:7], s[8:9]
	v_readlane_b32 s49, v66, 41
.LBB7_277:                              ;   in Loop: Header=BB7_32 Depth=1
	s_or_b64 exec, exec, s[0:1]
	s_mov_b64 s[0:1], 0
	s_mov_b64 s[44:45], -1
.LBB7_278:                              ;   in Loop: Header=BB7_32 Depth=1
	s_orn2_b64 s[8:9], s[6:7], exec
	v_readlane_b32 s12, v66, 43
	v_readlane_b32 s13, v66, 44
	;; [unrolled: 1-line block ×4, first 2 shown]
.LBB7_279:                              ;   in Loop: Header=BB7_32 Depth=1
	s_or_b64 exec, exec, s[40:41]
	s_mov_b64 s[40:41], 0
	s_and_saveexec_b64 s[6:7], s[8:9]
	s_cbranch_execz .LBB7_290
; %bb.280:                              ;   in Loop: Header=BB7_32 Depth=1
	s_xor_b64 s[30:31], s[30:31], -1
	v_mov_b64_e32 v[4:5], 1
	v_mov_b32_e32 v2, 1
	s_and_saveexec_b64 s[8:9], s[30:31]
	s_cbranch_execz .LBB7_289
; %bb.281:                              ;   in Loop: Header=BB7_32 Depth=1
	v_cmp_ge_i64_e32 vcc, s[14:15], v[6:7]
	s_and_saveexec_b64 s[30:31], vcc
	s_xor_b64 s[30:31], exec, s[30:31]
	s_cbranch_execz .LBB7_286
; %bb.282:                              ;   in Loop: Header=BB7_32 Depth=1
	ds_read_b64 v[4:5], v3 offset:5120
	v_or_b32_e32 v44, s82, v44
	v_or_b32_e32 v46, s82, v46
	s_waitcnt lgkmcnt(0)
	v_cmp_ne_u64_e32 vcc, 0, v[4:5]
	s_cbranch_vccnz .LBB7_286
; %bb.283:                              ;   in Loop: Header=BB7_32 Depth=1
	s_mov_b64 s[40:41], exec
	v_readlane_b32 s42, v66, 10
	v_readlane_b32 s43, v66, 11
	s_and_b64 s[42:43], s[40:41], s[42:43]
	s_mov_b64 exec, s[42:43]
; %bb.284:                              ;   in Loop: Header=BB7_32 Depth=1
	v_mov_b64_e32 v[4:5], s[14:15]
	ds_write_b64 v3, v[4:5] offset:5128
; %bb.285:                              ;   in Loop: Header=BB7_32 Depth=1
	s_or_b64 exec, exec, s[40:41]
	v_readlane_b32 s12, v66, 43
	v_readlane_b32 s13, v66, 44
	;; [unrolled: 1-line block ×4, first 2 shown]
	s_waitcnt lgkmcnt(0)
	s_barrier
.LBB7_286:                              ;   in Loop: Header=BB7_32 Depth=1
	s_andn2_saveexec_b64 s[30:31], s[30:31]
; %bb.287:                              ;   in Loop: Header=BB7_32 Depth=1
	v_mov_b32_e32 v2, s15
	v_subrev_co_u32_e32 v6, vcc, s14, v6
	s_nop 1
	v_subb_co_u32_e32 v7, vcc, v7, v2, vcc
; %bb.288:                              ;   in Loop: Header=BB7_32 Depth=1
	s_or_b64 exec, exec, s[30:31]
	v_mov_b32_e32 v2, 8
	v_mov_b64_e32 v[4:5], v[6:7]
.LBB7_289:                              ;   in Loop: Header=BB7_32 Depth=1
	s_or_b64 exec, exec, s[8:9]
	s_mov_b64 s[40:41], exec
	v_mov_b64_e32 v[6:7], v[4:5]
.LBB7_290:                              ;   in Loop: Header=BB7_32 Depth=1
	s_or_b64 exec, exec, s[6:7]
	s_orn2_b64 s[6:7], s[40:41], exec
.LBB7_291:                              ;   in Loop: Header=BB7_32 Depth=1
	s_or_b64 exec, exec, s[22:23]
	s_andn2_b64 s[8:9], s[36:37], exec
	s_and_b64 s[14:15], s[44:45], exec
	s_or_b64 s[36:37], s[8:9], s[14:15]
	s_andn2_b64 s[8:9], s[34:35], exec
	s_and_b64 s[0:1], s[0:1], exec
	s_or_b64 s[34:35], s[8:9], s[0:1]
	s_and_b64 s[6:7], s[6:7], exec
	v_mov_b64_e32 v[4:5], v[6:7]
.LBB7_292:                              ;   in Loop: Header=BB7_32 Depth=1
	s_or_b64 exec, exec, s[38:39]
	s_orn2_b64 s[0:1], s[6:7], exec
.LBB7_293:                              ;   in Loop: Header=BB7_32 Depth=1
	s_or_b64 exec, exec, s[28:29]
	s_andn2_b64 s[6:7], s[24:25], exec
	s_and_b64 s[8:9], s[36:37], exec
	s_or_b64 s[24:25], s[6:7], s[8:9]
	s_andn2_b64 s[2:3], s[2:3], exec
	s_and_b64 s[6:7], s[34:35], exec
	s_or_b64 s[2:3], s[2:3], s[6:7]
	s_and_b64 s[6:7], s[0:1], exec
	v_mov_b64_e32 v[8:9], v[4:5]
.LBB7_294:                              ;   in Loop: Header=BB7_32 Depth=1
	s_or_b64 exec, exec, s[26:27]
	s_orn2_b64 s[0:1], s[6:7], exec
.LBB7_295:                              ;   in Loop: Header=BB7_32 Depth=1
	s_or_b64 exec, exec, s[20:21]
	s_mov_b64 s[6:7], 0
	s_and_saveexec_b64 s[8:9], s[0:1]
	s_xor_b64 s[0:1], exec, s[8:9]
	s_cbranch_execz .LBB7_30
; %bb.296:                              ;   in Loop: Header=BB7_32 Depth=1
	v_and_b32_e32 v2, 7, v2
	v_cmp_eq_u32_e32 vcc, 0, v2
	s_mov_b64 s[8:9], -1
	s_mov_b64 s[6:7], -1
	s_and_saveexec_b64 s[14:15], vcc
	s_cbranch_execz .LBB7_29
; %bb.297:                              ;   in Loop: Header=BB7_32 Depth=1
	v_readlane_b32 s6, v66, 33
	s_xor_b32 s6, s6, 1
	s_add_i32 s18, s84, -2
	s_cmp_eq_u32 s84, 0
	s_cselect_b64 s[8:9], -1, 0
	v_writelane_b32 v66, s6, 33
	s_xor_b64 s[6:7], exec, -1
	s_orn2_b64 s[8:9], s[8:9], exec
	s_mov_b32 s84, s18
	s_branch .LBB7_29
.LBB7_298:                              ;   in Loop: Header=BB7_32 Depth=1
                                        ; implicit-def: $sgpr8_sgpr9
	s_branch .LBB7_267
.LBB7_299:
	s_or_b64 exec, exec, s[74:75]
	s_xor_b64 s[6:7], s[76:77], -1
	s_xor_b64 s[0:1], s[2:3], -1
	;; [unrolled: 1-line block ×3, first 2 shown]
	s_mov_b64 s[2:3], 0
	s_and_saveexec_b64 s[8:9], s[0:1]
	s_xor_b64 s[0:1], exec, s[8:9]
	s_cbranch_execnz .LBB7_304
; %bb.300:
	s_andn2_saveexec_b64 s[0:1], s[0:1]
	s_cbranch_execnz .LBB7_326
.LBB7_301:
	s_or_b64 exec, exec, s[0:1]
	s_and_saveexec_b64 s[0:1], s[2:3]
.LBB7_302:
	; divergent unreachable
.LBB7_303:
	s_endpgm
.LBB7_304:
	s_and_saveexec_b64 s[2:3], s[6:7]
	s_xor_b64 s[2:3], exec, s[2:3]
	s_cbranch_execz .LBB7_324
; %bb.305:
	s_and_saveexec_b64 s[6:7], s[4:5]
	s_xor_b64 s[4:5], exec, s[6:7]
; %bb.306:
	v_mov_b32_e32 v47, v44
; %bb.307:
	s_or_b64 exec, exec, s[4:5]
	s_mov_b64 s[4:5], exec
	v_readlane_b32 s6, v66, 10
	v_readlane_b32 s7, v66, 11
	s_and_b64 s[6:7], s[4:5], s[6:7]
	s_mov_b64 exec, s[6:7]
; %bb.308:
	v_mov_b32_e32 v2, 0
	v_mov_b32_e32 v3, s56
	ds_write_b32 v2, v3 offset:5140
; %bb.309:
	s_or_b64 exec, exec, s[4:5]
	s_waitcnt lgkmcnt(0)
	s_barrier
	s_mov_b64 s[4:5], exec
	v_readlane_b32 s6, v66, 16
	v_readlane_b32 s7, v66, 17
	s_and_b64 s[6:7], s[4:5], s[6:7]
	s_mov_b64 exec, s[6:7]
	s_cbranch_execz .LBB7_321
; %bb.310:
	v_mov_b32_e32 v2, 0
	ds_read_b32 v4, v2 offset:5140
	s_mov_b64 s[6:7], 0
                                        ; implicit-def: $sgpr8_sgpr9
                                        ; implicit-def: $sgpr10_sgpr11
                                        ; implicit-def: $sgpr12_sgpr13
	s_waitcnt lgkmcnt(0)
	v_ashrrev_i32_e32 v5, 31, v4
	s_branch .LBB7_313
.LBB7_311:                              ;   in Loop: Header=BB7_313 Depth=1
	s_or_b64 exec, exec, s[20:21]
	s_andn2_b64 s[12:13], s[12:13], exec
	s_and_b64 s[18:19], s[18:19], exec
	s_andn2_b64 s[10:11], s[10:11], exec
	s_and_b64 s[16:17], s[16:17], exec
	s_or_b64 s[12:13], s[12:13], s[18:19]
	s_or_b64 s[10:11], s[10:11], s[16:17]
.LBB7_312:                              ;   in Loop: Header=BB7_313 Depth=1
	s_or_b64 exec, exec, s[14:15]
	s_and_b64 s[14:15], exec, s[10:11]
	s_or_b64 s[6:7], s[14:15], s[6:7]
	s_andn2_b64 s[8:9], s[8:9], exec
	s_and_b64 s[14:15], s[12:13], exec
	s_or_b64 s[8:9], s[8:9], s[14:15]
	s_andn2_b64 exec, exec, s[6:7]
	s_cbranch_execz .LBB7_316
.LBB7_313:                              ; =>This Inner Loop Header: Depth=1
	v_mov_b64_e32 v[2:3], v[0:1]
	v_cmp_lt_i64_e32 vcc, v[2:3], v[4:5]
	s_or_b64 s[12:13], s[12:13], exec
	s_or_b64 s[10:11], s[10:11], exec
                                        ; implicit-def: $vgpr0_vgpr1
	s_and_saveexec_b64 s[14:15], vcc
	s_cbranch_execz .LBB7_312
; %bb.314:                              ;   in Loop: Header=BB7_313 Depth=1
	global_load_ubyte v0, v[12:13], off
	s_mov_b64 s[16:17], -1
	s_mov_b64 s[18:19], 0
	s_waitcnt vmcnt(0)
	v_cmp_ne_u16_sdwa s[22:23], v0, v47 src0_sel:DWORD src1_sel:BYTE_0
                                        ; implicit-def: $vgpr0_vgpr1
	s_and_saveexec_b64 s[20:21], s[22:23]
	s_cbranch_execz .LBB7_311
; %bb.315:                              ;   in Loop: Header=BB7_313 Depth=1
	v_lshl_add_u64 v[0:1], v[2:3], 0, s[78:79]
	v_cmp_le_i64_e32 vcc, s[56:57], v[0:1]
	s_mov_b64 s[18:19], exec
	v_lshl_add_u64 v[12:13], v[12:13], 0, s[90:91]
	s_orn2_b64 s[16:17], vcc, exec
	s_branch .LBB7_311
.LBB7_316:
	s_or_b64 exec, exec, s[6:7]
	s_xor_b64 s[6:7], s[8:9], -1
	s_and_saveexec_b64 s[8:9], s[6:7]
	s_xor_b64 s[8:9], exec, s[8:9]
	s_cbranch_execz .LBB7_321
; %bb.317:
	s_mov_b64 s[6:7], exec
	s_brev_b32 s8, -2
.LBB7_318:                              ; =>This Inner Loop Header: Depth=1
	s_ff1_i32_b64 s9, s[6:7]
	v_readlane_b32 s12, v2, s9
	s_lshl_b64 s[10:11], 1, s9
	s_min_i32 s8, s8, s12
	s_andn2_b64 s[6:7], s[6:7], s[10:11]
	s_cmp_lg_u64 s[6:7], 0
	s_cbranch_scc1 .LBB7_318
; %bb.319:
	v_mbcnt_lo_u32_b32 v0, exec_lo, 0
	v_mbcnt_hi_u32_b32 v0, exec_hi, v0
	v_cmp_eq_u32_e32 vcc, 0, v0
	s_and_saveexec_b64 s[6:7], vcc
	s_xor_b64 s[6:7], exec, s[6:7]
; %bb.320:
	v_mov_b32_e32 v0, 0
	v_mov_b32_e32 v1, s8
	ds_min_i32 v0, v1 offset:5140
.LBB7_321:
	s_or_b64 exec, exec, s[4:5]
	s_waitcnt lgkmcnt(0)
	s_barrier
	s_mov_b64 s[4:5], exec
	v_readlane_b32 s6, v66, 10
	v_readlane_b32 s7, v66, 11
	s_and_b64 s[6:7], s[4:5], s[6:7]
	s_mov_b64 exec, s[6:7]
	s_cbranch_execz .LBB7_323
; %bb.322:
	v_readlane_b32 s10, v66, 0
	v_readlane_b32 s11, v66, 1
	;; [unrolled: 1-line block ×4, first 2 shown]
	s_mul_i32 s6, s12, s11
	s_mul_hi_u32 s7, s12, s10
	s_add_i32 s6, s7, s6
	s_mul_i32 s7, s13, s10
	s_mul_i32 s9, s12, s10
	v_readlane_b32 s10, v66, 4
	s_add_i32 s8, s6, s7
	v_readlane_b32 s11, v66, 5
	s_mul_i32 s6, s10, s87
	s_mul_hi_u32 s7, s10, s86
	s_add_i32 s6, s7, s6
	s_mul_i32 s7, s11, s86
	s_add_i32 s7, s6, s7
	s_mul_i32 s6, s10, s86
	v_readlane_b32 s10, v66, 6
	v_readlane_b32 s11, v66, 7
	s_add_u32 s9, s10, s9
	s_addc_u32 s10, s11, s8
	v_mov_b32_e32 v2, 0
	s_add_u32 s8, s9, s60
	ds_read_b32 v0, v2 offset:5140
	s_addc_u32 s9, s10, s61
	s_lshl_b64 s[6:7], s[6:7], 3
	v_readlane_b32 s10, v66, 8
	v_readlane_b32 s11, v66, 9
	s_add_u32 s10, s10, s6
	s_addc_u32 s11, s11, s7
	s_lshl_b64 s[6:7], s[66:67], 3
	s_add_u32 s6, s10, s6
	s_addc_u32 s7, s11, s7
	s_waitcnt lgkmcnt(0)
	v_ashrrev_i32_e32 v1, 31, v0
	global_store_dwordx2 v2, v[0:1], s[6:7]
	global_store_byte v2, v47, s[8:9]
.LBB7_323:
	s_or_b64 exec, exec, s[4:5]
.LBB7_324:
	s_or_saveexec_b64 s[2:3], s[2:3]
	s_mov_b64 s[4:5], 0
	s_xor_b64 exec, exec, s[2:3]
	s_cbranch_execnz .LBB7_327
.LBB7_325:
	s_or_b64 exec, exec, s[2:3]
	s_and_b64 s[2:3], s[4:5], exec
	s_andn2_saveexec_b64 s[0:1], s[0:1]
	s_cbranch_execz .LBB7_301
.LBB7_326:
	s_or_b64 s[2:3], s[2:3], exec
	s_trap 2
	s_or_b64 exec, exec, s[0:1]
	s_and_saveexec_b64 s[0:1], s[2:3]
	s_cbranch_execnz .LBB7_302
	s_branch .LBB7_303
.LBB7_327:
	s_mov_b64 s[4:5], exec
	s_trap 2
	s_branch .LBB7_325
	.section	.rodata,"a",@progbits
	.p2align	6, 0x0
	.amdhsa_kernel _ZN2at6native12_GLOBAL__N_114gatherKthValueIhlLin1EEEvNS_4cuda6detail10TensorInfoIKT_T0_EES8_S8_S8_S8_NS5_IS6_S8_EENS5_IlS8_EE
		.amdhsa_group_segment_fixed_size 5144
		.amdhsa_private_segment_fixed_size 0
		.amdhsa_kernarg_size 1536
		.amdhsa_user_sgpr_count 2
		.amdhsa_user_sgpr_dispatch_ptr 0
		.amdhsa_user_sgpr_queue_ptr 0
		.amdhsa_user_sgpr_kernarg_segment_ptr 1
		.amdhsa_user_sgpr_dispatch_id 0
		.amdhsa_user_sgpr_kernarg_preload_length 0
		.amdhsa_user_sgpr_kernarg_preload_offset 0
		.amdhsa_user_sgpr_private_segment_size 0
		.amdhsa_uses_dynamic_stack 0
		.amdhsa_enable_private_segment 0
		.amdhsa_system_sgpr_workgroup_id_x 1
		.amdhsa_system_sgpr_workgroup_id_y 1
		.amdhsa_system_sgpr_workgroup_id_z 1
		.amdhsa_system_sgpr_workgroup_info 0
		.amdhsa_system_vgpr_workitem_id 0
		.amdhsa_next_free_vgpr 67
		.amdhsa_next_free_sgpr 100
		.amdhsa_accum_offset 68
		.amdhsa_reserve_vcc 1
		.amdhsa_float_round_mode_32 0
		.amdhsa_float_round_mode_16_64 0
		.amdhsa_float_denorm_mode_32 3
		.amdhsa_float_denorm_mode_16_64 3
		.amdhsa_dx10_clamp 1
		.amdhsa_ieee_mode 1
		.amdhsa_fp16_overflow 0
		.amdhsa_tg_split 0
		.amdhsa_exception_fp_ieee_invalid_op 0
		.amdhsa_exception_fp_denorm_src 0
		.amdhsa_exception_fp_ieee_div_zero 0
		.amdhsa_exception_fp_ieee_overflow 0
		.amdhsa_exception_fp_ieee_underflow 0
		.amdhsa_exception_fp_ieee_inexact 0
		.amdhsa_exception_int_div_zero 0
	.end_amdhsa_kernel
	.section	.text._ZN2at6native12_GLOBAL__N_114gatherKthValueIhlLin1EEEvNS_4cuda6detail10TensorInfoIKT_T0_EES8_S8_S8_S8_NS5_IS6_S8_EENS5_IlS8_EE,"axG",@progbits,_ZN2at6native12_GLOBAL__N_114gatherKthValueIhlLin1EEEvNS_4cuda6detail10TensorInfoIKT_T0_EES8_S8_S8_S8_NS5_IS6_S8_EENS5_IlS8_EE,comdat
.Lfunc_end7:
	.size	_ZN2at6native12_GLOBAL__N_114gatherKthValueIhlLin1EEEvNS_4cuda6detail10TensorInfoIKT_T0_EES8_S8_S8_S8_NS5_IS6_S8_EENS5_IlS8_EE, .Lfunc_end7-_ZN2at6native12_GLOBAL__N_114gatherKthValueIhlLin1EEEvNS_4cuda6detail10TensorInfoIKT_T0_EES8_S8_S8_S8_NS5_IS6_S8_EENS5_IlS8_EE
                                        ; -- End function
	.set _ZN2at6native12_GLOBAL__N_114gatherKthValueIhlLin1EEEvNS_4cuda6detail10TensorInfoIKT_T0_EES8_S8_S8_S8_NS5_IS6_S8_EENS5_IlS8_EE.num_vgpr, 67
	.set _ZN2at6native12_GLOBAL__N_114gatherKthValueIhlLin1EEEvNS_4cuda6detail10TensorInfoIKT_T0_EES8_S8_S8_S8_NS5_IS6_S8_EENS5_IlS8_EE.num_agpr, 0
	.set _ZN2at6native12_GLOBAL__N_114gatherKthValueIhlLin1EEEvNS_4cuda6detail10TensorInfoIKT_T0_EES8_S8_S8_S8_NS5_IS6_S8_EENS5_IlS8_EE.numbered_sgpr, 100
	.set _ZN2at6native12_GLOBAL__N_114gatherKthValueIhlLin1EEEvNS_4cuda6detail10TensorInfoIKT_T0_EES8_S8_S8_S8_NS5_IS6_S8_EENS5_IlS8_EE.num_named_barrier, 0
	.set _ZN2at6native12_GLOBAL__N_114gatherKthValueIhlLin1EEEvNS_4cuda6detail10TensorInfoIKT_T0_EES8_S8_S8_S8_NS5_IS6_S8_EENS5_IlS8_EE.private_seg_size, 0
	.set _ZN2at6native12_GLOBAL__N_114gatherKthValueIhlLin1EEEvNS_4cuda6detail10TensorInfoIKT_T0_EES8_S8_S8_S8_NS5_IS6_S8_EENS5_IlS8_EE.uses_vcc, 1
	.set _ZN2at6native12_GLOBAL__N_114gatherKthValueIhlLin1EEEvNS_4cuda6detail10TensorInfoIKT_T0_EES8_S8_S8_S8_NS5_IS6_S8_EENS5_IlS8_EE.uses_flat_scratch, 0
	.set _ZN2at6native12_GLOBAL__N_114gatherKthValueIhlLin1EEEvNS_4cuda6detail10TensorInfoIKT_T0_EES8_S8_S8_S8_NS5_IS6_S8_EENS5_IlS8_EE.has_dyn_sized_stack, 0
	.set _ZN2at6native12_GLOBAL__N_114gatherKthValueIhlLin1EEEvNS_4cuda6detail10TensorInfoIKT_T0_EES8_S8_S8_S8_NS5_IS6_S8_EENS5_IlS8_EE.has_recursion, 0
	.set _ZN2at6native12_GLOBAL__N_114gatherKthValueIhlLin1EEEvNS_4cuda6detail10TensorInfoIKT_T0_EES8_S8_S8_S8_NS5_IS6_S8_EENS5_IlS8_EE.has_indirect_call, 0
	.section	.AMDGPU.csdata,"",@progbits
; Kernel info:
; codeLenInByte = 19544
; TotalNumSgprs: 106
; NumVgprs: 67
; NumAgprs: 0
; TotalNumVgprs: 67
; ScratchSize: 0
; MemoryBound: 0
; FloatMode: 240
; IeeeMode: 1
; LDSByteSize: 5144 bytes/workgroup (compile time only)
; SGPRBlocks: 13
; VGPRBlocks: 8
; NumSGPRsForWavesPerEU: 106
; NumVGPRsForWavesPerEU: 67
; AccumOffset: 68
; Occupancy: 7
; WaveLimiterHint : 1
; COMPUTE_PGM_RSRC2:SCRATCH_EN: 0
; COMPUTE_PGM_RSRC2:USER_SGPR: 2
; COMPUTE_PGM_RSRC2:TRAP_HANDLER: 0
; COMPUTE_PGM_RSRC2:TGID_X_EN: 1
; COMPUTE_PGM_RSRC2:TGID_Y_EN: 1
; COMPUTE_PGM_RSRC2:TGID_Z_EN: 1
; COMPUTE_PGM_RSRC2:TIDIG_COMP_CNT: 0
; COMPUTE_PGM_RSRC3_GFX90A:ACCUM_OFFSET: 16
; COMPUTE_PGM_RSRC3_GFX90A:TG_SPLIT: 0
	.section	.text._ZN2at6native12_GLOBAL__N_114gatherKthValueIaiLi1EEEvNS_4cuda6detail10TensorInfoIKT_T0_EES8_S8_S8_S8_NS5_IS6_S8_EENS5_IlS8_EE,"axG",@progbits,_ZN2at6native12_GLOBAL__N_114gatherKthValueIaiLi1EEEvNS_4cuda6detail10TensorInfoIKT_T0_EES8_S8_S8_S8_NS5_IS6_S8_EENS5_IlS8_EE,comdat
	.globl	_ZN2at6native12_GLOBAL__N_114gatherKthValueIaiLi1EEEvNS_4cuda6detail10TensorInfoIKT_T0_EES8_S8_S8_S8_NS5_IS6_S8_EENS5_IlS8_EE ; -- Begin function _ZN2at6native12_GLOBAL__N_114gatherKthValueIaiLi1EEEvNS_4cuda6detail10TensorInfoIKT_T0_EES8_S8_S8_S8_NS5_IS6_S8_EENS5_IlS8_EE
	.p2align	8
	.type	_ZN2at6native12_GLOBAL__N_114gatherKthValueIaiLi1EEEvNS_4cuda6detail10TensorInfoIKT_T0_EES8_S8_S8_S8_NS5_IS6_S8_EENS5_IlS8_EE,@function
_ZN2at6native12_GLOBAL__N_114gatherKthValueIaiLi1EEEvNS_4cuda6detail10TensorInfoIKT_T0_EES8_S8_S8_S8_NS5_IS6_S8_EENS5_IlS8_EE: ; @_ZN2at6native12_GLOBAL__N_114gatherKthValueIaiLi1EEEvNS_4cuda6detail10TensorInfoIKT_T0_EES8_S8_S8_S8_NS5_IS6_S8_EENS5_IlS8_EE
; %bb.0:
	s_load_dwordx2 s[12:13], s[0:1], 0x298
	s_load_dwordx4 s[60:63], s[0:1], 0xd8
	s_add_u32 s10, s0, 0x298
	s_addc_u32 s11, s1, 0
	s_waitcnt lgkmcnt(0)
	s_mul_i32 s4, s13, s4
	s_add_i32 s3, s4, s3
	s_mul_i32 s3, s3, s12
	s_add_i32 s13, s3, s2
	s_cmp_ge_i32 s13, s62
	s_cbranch_scc1 .LBB8_237
; %bb.1:
	s_load_dwordx2 s[4:5], s[0:1], 0x1c0
                                        ; implicit-def: $vgpr50 : SGPR spill to VGPR lane
	v_cmp_eq_u32_e64 s[18:19], 0, v0
	s_waitcnt lgkmcnt(0)
	v_writelane_b32 v50, s4, 0
	s_nop 1
	v_writelane_b32 v50, s5, 1
	s_load_dwordx2 s[4:5], s[0:1], 0xe8
	s_waitcnt lgkmcnt(0)
	v_writelane_b32 v50, s4, 2
	s_nop 1
	v_writelane_b32 v50, s5, 3
	s_load_dword s3, s[0:1], 0x6c
	s_load_dwordx2 s[4:5], s[0:1], 0x0
	s_and_saveexec_b64 s[6:7], s[18:19]
; %bb.2:
	v_mov_b32_e32 v2, 0
	v_mov_b32_e32 v3, s60
	;; [unrolled: 1-line block ×3, first 2 shown]
	ds_write_b96 v2, v[2:4] offset:4096
; %bb.3:
	s_or_b64 exec, exec, s[6:7]
	s_load_dword s6, s[0:1], 0x22c
	s_waitcnt lgkmcnt(0)
	s_barrier
	s_mul_i32 s3, s3, s13
	v_writelane_b32 v50, s6, 4
	s_load_dword s6, s[0:1], 0x154
                                        ; kill: killed $sgpr0 killed $sgpr1
	s_ashr_i32 s0, s3, 31
	s_add_u32 s68, s4, s3
	v_mbcnt_lo_u32_b32 v1, -1, 0
	s_addc_u32 s69, s5, s0
	s_waitcnt lgkmcnt(0)
	v_writelane_b32 v50, s6, 5
	s_load_dword s6, s[10:11], 0xc
	v_mbcnt_hi_u32_b32 v20, -1, v1
	v_cmp_gt_u32_e32 vcc, 64, v0
	v_cmp_gt_i32_e64 s[4:5], 4, v20
	s_and_b64 s[72:73], vcc, s[4:5]
	s_waitcnt lgkmcnt(0)
	s_and_b32 s62, s6, 0xffff
	s_add_i32 s85, s62, -1
	s_lshl_b32 s33, s62, 2
	s_add_i32 s86, s85, s60
	s_cmpk_gt_i32 s60, 0xc00
	v_writelane_b32 v50, s13, 6
	s_cselect_b64 s[74:75], -1, 0
	v_cmp_gt_u32_e64 s[8:9], s60, v0
	s_cmp_gt_u32 s62, 63
	s_cselect_b64 s[76:77], -1, 0
	v_writelane_b32 v50, s8, 7
	s_cmp_lt_u32 s2, s12
	s_cselect_b32 s2, 12, 18
	v_writelane_b32 v50, s9, 8
	v_cmp_gt_i32_e64 s[8:9], s60, v0
	s_add_u32 s2, s10, s2
	s_addc_u32 s3, s11, 0
	v_writelane_b32 v50, s8, 9
	s_bfe_u32 s6, s6, 0xa0006
	v_lshlrev_b64 v[2:3], v20, -1
	v_writelane_b32 v50, s9, 10
	v_writelane_b32 v50, s2, 11
	v_not_b32_e32 v12, v2
	v_lshrrev_b32_e32 v2, 2, v0
	v_writelane_b32 v50, s3, 12
	s_add_i32 s2, s6, -2
	s_lshr_b32 s3, s2, 1
	s_add_i32 s3, s3, 1
	s_cmpk_gt_u32 s62, 0x7f
	v_and_b32_e32 v2, 0xf0, v2
	s_cselect_b64 s[8:9], -1, 0
	v_or_b32_e32 v21, 0xc00, v2
	v_writelane_b32 v50, s8, 13
	v_cvt_f32_u32_e32 v2, s33
	s_and_b32 s7, s6, 0x3fe
	v_writelane_b32 v50, s9, 14
	s_and_b32 s8, s3, 7
	s_cmp_gt_u32 s2, 13
	s_cselect_b64 s[10:11], -1, 0
	v_writelane_b32 v50, s10, 15
	v_rcp_iflag_f32_e32 v2, v2
	s_and_b32 s2, s3, -8
	v_writelane_b32 v50, s11, 16
	v_writelane_b32 v50, s2, 17
	s_cmp_lg_u32 s8, 0
	v_writelane_b32 v50, s8, 18
	s_cselect_b64 s[2:3], -1, 0
	v_writelane_b32 v50, s2, 19
	v_mul_f32_e32 v2, 0x4f7ffffe, v2
	v_cvt_u32_f32_e32 v2, v2
	v_writelane_b32 v50, s3, 20
	v_writelane_b32 v50, s6, 21
	s_cmp_lg_u32 s7, s6
	v_writelane_b32 v50, s7, 22
	s_cselect_b64 s[2:3], -1, 0
	v_writelane_b32 v50, s2, 23
	v_not_b32_e32 v1, v3
	v_cvt_f32_u32_e32 v3, s62
	v_writelane_b32 v50, s3, 24
	s_sub_i32 s2, 0, s33
	v_readfirstlane_b32 s3, v2
	s_mul_i32 s2, s2, s3
	s_mul_hi_u32 s2, s3, s2
	s_add_i32 s71, s3, s2
	s_mul_hi_u32 s2, s60, s71
	s_mul_i32 s2, s2, s33
	s_sub_i32 s2, s60, s2
	s_sub_i32 s3, s2, s33
	s_cmp_ge_u32 s2, s33
	s_cselect_b32 s2, s3, s2
	s_sub_i32 s3, s2, s33
	s_cmp_ge_u32 s2, s33
	s_cselect_b32 s2, s3, s2
	s_sub_i32 s87, s60, s2
	v_rcp_iflag_f32_e32 v5, v3
	v_add_u32_e32 v22, s87, v0
	v_mul_lo_u32 v2, v22, s63
	v_ashrrev_i32_e32 v3, 31, v2
	v_lshl_add_u64 v[14:15], s[68:69], 0, v[2:3]
	v_mul_f32_e32 v2, 0x4f7ffffe, v5
	v_cvt_u32_f32_e32 v2, v2
	s_sub_i32 s7, 0, s62
	s_abs_i32 s6, s86
	s_ashr_i32 s3, s86, 31
	v_readfirstlane_b32 s8, v2
	s_mul_i32 s7, s7, s8
	s_mul_hi_u32 s7, s8, s7
	s_add_i32 s70, s8, s7
	s_mul_hi_u32 s7, s6, s70
	s_mul_i32 s7, s7, s62
	s_sub_i32 s6, s6, s7
	s_sub_i32 s7, s6, s62
	s_cmp_ge_u32 s6, s62
	s_cselect_b32 s6, s7, s6
	s_sub_i32 s7, s6, s62
	s_cmp_ge_u32 s6, s62
	v_lshlrev_b32_e32 v13, 2, v0
	s_cselect_b32 s6, s7, s6
	s_xor_b32 s6, s6, s3
	v_mul_lo_u32 v2, s63, v13
	s_sub_i32 s3, s3, s6
	v_add_u32_e32 v23, s63, v2
	v_or_b32_e32 v2, 2, v13
	s_add_i32 s86, s86, s3
	v_mul_lo_u32 v24, s63, v2
	v_or_b32_e32 v2, 3, v13
	s_add_i32 s3, s62, s60
	v_mov_b32_e32 v8, 0
	v_mul_lo_u32 v25, s63, v2
	v_add_u32_e32 v2, s3, v0
	v_mul_lo_u32 v6, s63, v0
	v_mov_b32_e32 v7, v8
	v_lshlrev_b32_e32 v4, 2, v20
	s_mov_b32 s20, 0
	s_mov_b32 s21, 1
	s_mul_i32 s84, s63, s62
	v_subrev_u32_e32 v2, s2, v2
	v_cmp_eq_u32_e64 s[0:1], 0, v20
	v_cmp_gt_u32_e64 s[4:5], 2, v0
	v_lshl_add_u64 v[10:11], s[68:69], 0, v[6:7]
	v_and_b32_e32 v7, 0x100, v4
	v_cmp_gt_i32_e64 s[10:11], s87, v13
	v_cmp_gt_u32_e64 s[12:13], s60, v22
	v_cmp_gt_i32_e64 s[14:15], s60, v22
	v_cmp_gt_i32_e64 s[16:17], s86, v0
	s_lshl_b32 s6, s84, 2
	v_lshlrev_b32_e32 v26, 2, v6
	v_mul_lo_u32 v28, s63, v2
	v_or_b32_e32 v29, 0xc00, v4
	s_mov_b64 s[88:89], 0
	v_mov_b32_e32 v31, 6
	v_mov_b32_e32 v35, s61
	s_movk_i32 s7, 0x80
	v_mov_b32_e32 v36, s60
	v_mov_b32_e32 v30, 0xc00
	;; [unrolled: 1-line block ×4, first 2 shown]
	v_writelane_b32 v50, s20, 25
	s_mov_b32 s61, s20
	v_mov_b32_e32 v27, 0
	v_mov_b32_e32 v33, 0
                                        ; implicit-def: $sgpr90_sgpr91
                                        ; implicit-def: $sgpr94_sgpr95
                                        ; implicit-def: $sgpr92_sgpr93
                                        ; implicit-def: $sgpr98_sgpr99
                                        ; implicit-def: $sgpr64_sgpr65
                                        ; implicit-def: $sgpr96_sgpr97
	v_writelane_b32 v50, s21, 26
	s_branch .LBB8_7
.LBB8_4:                                ;   in Loop: Header=BB8_7 Depth=1
	s_or_b64 exec, exec, s[30:31]
	s_and_b64 s[30:31], s[28:29], exec
	s_andn2_b64 s[26:27], s[26:27], exec
	s_andn2_b64 s[24:25], s[24:25], exec
	s_orn2_b64 s[20:21], s[20:21], exec
.LBB8_5:                                ;   in Loop: Header=BB8_7 Depth=1
	s_or_b64 exec, exec, s[22:23]
	s_andn2_b64 s[8:9], s[96:97], exec
	s_and_b64 s[22:23], s[30:31], exec
	s_or_b64 s[96:97], s[8:9], s[22:23]
	s_andn2_b64 s[8:9], s[64:65], exec
	s_and_b64 s[22:23], s[26:27], exec
	s_or_b64 s[64:65], s[8:9], s[22:23]
	;; [unrolled: 3-line block ×3, first 2 shown]
	s_orn2_b64 s[20:21], s[20:21], exec
.LBB8_6:                                ;   in Loop: Header=BB8_7 Depth=1
	s_or_b64 exec, exec, s[2:3]
	s_and_b64 s[2:3], exec, s[20:21]
	s_or_b64 s[88:89], s[2:3], s[88:89]
	s_andn2_b64 s[2:3], s[92:93], exec
	s_and_b64 s[8:9], s[96:97], exec
	s_or_b64 s[92:93], s[2:3], s[8:9]
	s_andn2_b64 s[2:3], s[94:95], exec
	s_and_b64 s[8:9], s[64:65], exec
	;; [unrolled: 3-line block ×3, first 2 shown]
	s_or_b64 s[90:91], s[2:3], s[8:9]
	s_mov_b32 s61, s34
	v_mov_b32_e32 v35, v16
	s_andn2_b64 exec, exec, s[88:89]
	s_cbranch_execz .LBB8_233
.LBB8_7:                                ; =>This Loop Header: Depth=1
                                        ;     Child Loop BB8_12 Depth 2
                                        ;     Child Loop BB8_27 Depth 2
	;; [unrolled: 1-line block ×17, first 2 shown]
	ds_read_b64 v[2:3], v8 offset:4096
	s_waitcnt lgkmcnt(0)
	v_readfirstlane_b32 s8, v2
	s_cmp_gt_i32 s8, 0
	s_cbranch_scc1 .LBB8_34
; %bb.8:                                ;   in Loop: Header=BB8_7 Depth=1
	s_and_b64 vcc, exec, s[74:75]
	s_cbranch_vccz .LBB8_20
; %bb.9:                                ;   in Loop: Header=BB8_7 Depth=1
	s_movk_i32 s2, 0xc01
	v_cmp_gt_i32_e32 vcc, s2, v3
	s_mov_b64 s[20:21], 0
	s_mov_b64 s[2:3], 0
	s_cbranch_vccz .LBB8_21
; %bb.10:                               ;   in Loop: Header=BB8_7 Depth=1
	v_readlane_b32 s2, v50, 11
	v_readlane_b32 s3, v50, 12
	s_nop 4
	global_load_ushort v2, v8, s[2:3]
	global_load_ubyte v5, v[10:11], off
	s_mov_b64 s[22:23], 0
	v_mov_b32_e32 v9, v0
	s_waitcnt vmcnt(1)
	v_add_u32_e32 v4, v0, v2
	v_mul_lo_u32 v3, s63, v2
	v_mul_lo_u32 v4, s63, v4
	s_branch .LBB8_12
.LBB8_11:                               ;   in Loop: Header=BB8_12 Depth=2
	s_or_b64 exec, exec, s[2:3]
	v_cmp_le_i32_e32 vcc, s60, v9
	v_add_u32_e32 v4, v4, v3
	s_or_b64 s[22:23], vcc, s[22:23]
	v_mov_b32_e32 v5, v16
	s_andn2_b64 exec, exec, s[22:23]
	s_cbranch_execz .LBB8_66
.LBB8_12:                               ;   Parent Loop BB8_7 Depth=1
                                        ; =>  This Inner Loop Header: Depth=2
	v_add_u32_e32 v9, v9, v2
	v_cmp_gt_u32_e32 vcc, s60, v9
	s_waitcnt lgkmcnt(0)
	v_mov_b32_e32 v17, 0
	v_mov_b32_e32 v16, 0
	s_and_saveexec_b64 s[2:3], vcc
	s_cbranch_execz .LBB8_14
; %bb.13:                               ;   in Loop: Header=BB8_12 Depth=2
	global_load_ubyte v16, v4, s[68:69]
.LBB8_14:                               ;   in Loop: Header=BB8_12 Depth=2
	s_or_b64 exec, exec, s[2:3]
	s_waitcnt vmcnt(0)
	v_add_u32_sdwa v18, sext(v5), s7 dst_sel:DWORD dst_unused:UNUSED_PAD src0_sel:BYTE_0 src1_sel:DWORD
	v_and_b32_e32 v18, v18, v33
	v_cmp_eq_u32_e32 vcc, v18, v27
	s_cmp_lg_u64 vcc, 0
	s_cselect_b64 s[2:3], -1, 0
	s_and_b64 s[2:3], s[0:1], s[2:3]
	s_and_saveexec_b64 s[24:25], s[2:3]
	s_cbranch_execz .LBB8_18
; %bb.15:                               ;   in Loop: Header=BB8_12 Depth=2
	s_mov_b64 s[28:29], exec
	v_mbcnt_lo_u32_b32 v17, s28, 0
	v_mbcnt_hi_u32_b32 v17, s29, v17
	s_bcnt1_i32_b64 s9, vcc
	v_cmp_eq_u32_e64 s[2:3], 0, v17
                                        ; implicit-def: $vgpr18
	s_and_saveexec_b64 s[26:27], s[2:3]
; %bb.16:                               ;   in Loop: Header=BB8_12 Depth=2
	s_bcnt1_i32_b64 s2, s[28:29]
	s_mul_i32 s2, s9, s2
	v_mov_b32_e32 v18, s2
	ds_add_rtn_u32 v18, v8, v18 offset:4104
; %bb.17:                               ;   in Loop: Header=BB8_12 Depth=2
	s_or_b64 exec, exec, s[26:27]
	s_waitcnt lgkmcnt(0)
	v_readfirstlane_b32 s2, v18
	s_nop 1
	v_mov_b32_e32 v18, s2
	v_mad_u32_u24 v17, s9, v17, v18
.LBB8_18:                               ;   in Loop: Header=BB8_12 Depth=2
	s_or_b64 exec, exec, s[24:25]
	ds_bpermute_b32 v17, v7, v17
	s_and_saveexec_b64 s[2:3], vcc
	s_cbranch_execz .LBB8_11
; %bb.19:                               ;   in Loop: Header=BB8_12 Depth=2
	v_and_b32_e32 v19, vcc_lo, v12
	v_and_b32_e32 v18, vcc_hi, v1
	v_bcnt_u32_b32 v19, v19, 0
	v_bcnt_u32_b32 v18, v18, v19
	s_waitcnt lgkmcnt(0)
	v_add_u32_e32 v17, v17, v18
	ds_write_b8 v17, v5
	s_branch .LBB8_11
.LBB8_20:                               ;   in Loop: Header=BB8_7 Depth=1
	s_mov_b64 s[20:21], -1
	s_mov_b64 s[2:3], 0
.LBB8_21:                               ;   in Loop: Header=BB8_7 Depth=1
	s_and_b64 vcc, exec, s[20:21]
	s_cbranch_vccz .LBB8_32
.LBB8_22:                               ;   in Loop: Header=BB8_7 Depth=1
	v_mov_b32_e32 v2, 0
	s_mov_b64 s[2:3], exec
	v_readlane_b32 s20, v50, 7
	v_readlane_b32 s21, v50, 8
	s_and_b64 s[20:21], s[2:3], s[20:21]
	s_mov_b64 exec, s[20:21]
	s_cbranch_execz .LBB8_24
; %bb.23:                               ;   in Loop: Header=BB8_7 Depth=1
	global_load_ubyte v2, v[10:11], off
.LBB8_24:                               ;   in Loop: Header=BB8_7 Depth=1
	s_or_b64 exec, exec, s[2:3]
	s_mov_b64 s[2:3], exec
	v_readlane_b32 s20, v50, 9
	v_readlane_b32 s21, v50, 10
	s_and_b64 s[20:21], s[2:3], s[20:21]
	s_mov_b64 exec, s[20:21]
	s_cbranch_execz .LBB8_29
; %bb.25:                               ;   in Loop: Header=BB8_7 Depth=1
	v_readlane_b32 s20, v50, 11
	v_readlane_b32 s21, v50, 12
	v_mov_b32_e32 v9, v0
	s_nop 3
	global_load_ushort v3, v8, s[20:21]
	s_mov_b64 s[20:21], 0
	s_waitcnt vmcnt(0)
	v_add_u32_e32 v5, v0, v3
	v_mul_lo_u32 v4, s63, v3
	v_mul_lo_u32 v5, s63, v5
	s_branch .LBB8_27
.LBB8_26:                               ;   in Loop: Header=BB8_27 Depth=2
	s_or_b64 exec, exec, s[22:23]
	v_cmp_le_i32_e32 vcc, s60, v16
	ds_write_b8 v9, v2
	v_add_u32_e32 v5, v5, v4
	s_or_b64 s[20:21], vcc, s[20:21]
	s_waitcnt vmcnt(0)
	v_mov_b32_e32 v2, v17
	v_mov_b32_e32 v9, v16
	s_andn2_b64 exec, exec, s[20:21]
	s_cbranch_execz .LBB8_29
.LBB8_27:                               ;   Parent Loop BB8_7 Depth=1
                                        ; =>  This Inner Loop Header: Depth=2
	v_add_u32_e32 v16, v9, v3
	v_cmp_gt_u32_e32 vcc, s60, v16
	v_mov_b32_e32 v17, 0
	s_and_saveexec_b64 s[22:23], vcc
	s_cbranch_execz .LBB8_26
; %bb.28:                               ;   in Loop: Header=BB8_27 Depth=2
	global_load_ubyte v17, v5, s[68:69]
	s_branch .LBB8_26
.LBB8_29:                               ;   in Loop: Header=BB8_7 Depth=1
	s_or_b64 exec, exec, s[2:3]
	s_waitcnt lgkmcnt(0)
	s_barrier
	s_and_saveexec_b64 s[2:3], s[18:19]
; %bb.30:                               ;   in Loop: Header=BB8_7 Depth=1
	ds_write_b32 v8, v36 offset:4096
; %bb.31:                               ;   in Loop: Header=BB8_7 Depth=1
	s_or_b64 exec, exec, s[2:3]
	s_mov_b64 s[2:3], -1
	s_waitcnt lgkmcnt(0)
	s_barrier
.LBB8_32:                               ;   in Loop: Header=BB8_7 Depth=1
	s_and_b64 vcc, exec, s[2:3]
	s_cbranch_vccz .LBB8_34
; %bb.33:                               ;   in Loop: Header=BB8_7 Depth=1
	s_waitcnt vmcnt(0)
	ds_read_b32 v2, v8 offset:4096
	s_waitcnt lgkmcnt(0)
	v_readfirstlane_b32 s8, v2
.LBB8_34:                               ;   in Loop: Header=BB8_7 Depth=1
	s_cmp_lt_i32 s8, 1
	s_mov_b64 s[2:3], -1
                                        ; implicit-def: $vgpr5
	s_cbranch_scc1 .LBB8_44
; %bb.35:                               ;   in Loop: Header=BB8_7 Depth=1
	s_and_b64 vcc, exec, s[2:3]
	s_cbranch_vccnz .LBB8_57
.LBB8_36:                               ;   in Loop: Header=BB8_7 Depth=1
	s_lshl_b32 s8, s61, 6
	s_and_saveexec_b64 s[2:3], s[0:1]
	s_cbranch_execz .LBB8_38
.LBB8_37:                               ;   in Loop: Header=BB8_7 Depth=1
	v_lshl_add_u32 v9, s8, 2, v21
	s_waitcnt vmcnt(0)
	ds_write_b128 v9, v[2:5]
.LBB8_38:                               ;   in Loop: Header=BB8_7 Depth=1
	s_or_b64 exec, exec, s[2:3]
	s_waitcnt lgkmcnt(0)
	s_barrier
	s_and_saveexec_b64 s[2:3], s[72:73]
	s_cbranch_execz .LBB8_77
; %bb.39:                               ;   in Loop: Header=BB8_7 Depth=1
	v_add_u32_e32 v4, s8, v20
	s_andn2_b64 vcc, exec, s[76:77]
	s_waitcnt vmcnt(0)
	v_mov_b32_e32 v2, 0
	s_cbranch_vccnz .LBB8_76
; %bb.40:                               ;   in Loop: Header=BB8_7 Depth=1
	v_readlane_b32 s20, v50, 13
	v_readlane_b32 s21, v50, 14
	s_andn2_b64 vcc, exec, s[20:21]
	s_cbranch_vccnz .LBB8_69
; %bb.41:                               ;   in Loop: Header=BB8_7 Depth=1
	v_readlane_b32 s20, v50, 15
	v_readlane_b32 s21, v50, 16
	s_andn2_b64 vcc, exec, s[20:21]
	v_lshl_add_u32 v5, v4, 2, v30
	s_cbranch_vccnz .LBB8_70
; %bb.42:                               ;   in Loop: Header=BB8_7 Depth=1
	s_mov_b32 s21, 1
	s_mov_b32 s20, 0
	v_mov_b32_e32 v2, 0
	v_mov_b32_e32 v3, 0
	v_readlane_b32 s9, v50, 17
.LBB8_43:                               ;   Parent Loop BB8_7 Depth=1
                                        ; =>  This Inner Loop Header: Depth=2
	v_lshl_add_u32 v9, s20, 4, v5
	v_lshl_add_u32 v37, s21, 4, v5
	ds_read2_b32 v[16:17], v9 offset1:8
	ds_read2_b32 v[18:19], v37 offset1:8
	ds_read2_b32 v[38:39], v9 offset0:16 offset1:24
	ds_read2_b32 v[40:41], v37 offset0:16 offset1:24
	;; [unrolled: 1-line block ×6, first 2 shown]
	s_waitcnt lgkmcnt(7)
	v_add3_u32 v2, v16, v2, v17
	s_waitcnt lgkmcnt(6)
	v_add3_u32 v3, v18, v3, v19
	;; [unrolled: 2-line block ×3, first 2 shown]
	v_add3_u32 v2, v38, v2, v39
	s_add_i32 s21, s21, 16
	s_add_i32 s20, s20, 16
	s_add_i32 s9, s9, -8
	s_waitcnt lgkmcnt(3)
	v_add3_u32 v2, v42, v2, v43
	s_waitcnt lgkmcnt(2)
	v_add3_u32 v3, v44, v3, v45
	s_cmp_lg_u32 s9, 0
	s_waitcnt lgkmcnt(0)
	v_add3_u32 v3, v48, v3, v49
	v_add3_u32 v2, v46, v2, v47
	s_cbranch_scc1 .LBB8_43
	s_branch .LBB8_71
.LBB8_44:                               ;   in Loop: Header=BB8_7 Depth=1
	s_waitcnt vmcnt(0)
	v_mov_b32_e32 v2, 0
	v_mov_b32_e32 v3, 0
	;; [unrolled: 1-line block ×4, first 2 shown]
	s_and_saveexec_b64 s[66:67], s[10:11]
	s_cbranch_execnz .LBB8_47
; %bb.45:                               ;   in Loop: Header=BB8_7 Depth=1
	s_or_b64 exec, exec, s[66:67]
	v_mov_b32_e32 v18, 0
	s_and_saveexec_b64 s[2:3], s[12:13]
	s_cbranch_execnz .LBB8_50
.LBB8_46:                               ;   in Loop: Header=BB8_7 Depth=1
	s_or_b64 exec, exec, s[2:3]
	s_and_saveexec_b64 s[20:21], s[14:15]
	s_cbranch_execnz .LBB8_51
	s_branch .LBB8_56
.LBB8_47:                               ;   in Loop: Header=BB8_7 Depth=1
	s_mov_b32 s9, 0
	s_mov_b64 s[82:83], 0
	s_mov_b32 s80, 0
	s_mov_b32 s81, 0
	;; [unrolled: 1-line block ×4, first 2 shown]
	v_mov_b32_e32 v9, v13
.LBB8_48:                               ;   Parent Loop BB8_7 Depth=1
                                        ; =>  This Inner Loop Header: Depth=2
	v_add_u32_e32 v2, s9, v26
	v_add_u32_e32 v4, s9, v23
	;; [unrolled: 1-line block ×4, first 2 shown]
	v_ashrrev_i32_e32 v3, 31, v2
	v_ashrrev_i32_e32 v5, 31, v4
	;; [unrolled: 1-line block ×4, first 2 shown]
	v_lshl_add_u64 v[2:3], s[68:69], 0, v[2:3]
	v_lshl_add_u64 v[4:5], s[68:69], 0, v[4:5]
	;; [unrolled: 1-line block ×4, first 2 shown]
	global_load_sbyte v2, v[2:3], off
	s_nop 0
	global_load_sbyte v3, v[4:5], off
	s_nop 0
	global_load_sbyte v4, v[16:17], off
	global_load_sbyte v5, v[18:19], off
	v_add_u32_e32 v9, s33, v9
	s_add_i32 s9, s9, s6
	v_cmp_le_i32_e32 vcc, s87, v9
	s_waitcnt vmcnt(3)
	v_add_u32_e32 v2, 0x80, v2
	s_waitcnt vmcnt(2)
	v_add_u32_e32 v3, 0x80, v3
	v_and_b32_e32 v16, v2, v33
	v_bfe_u32 v2, v2, v31, 2
	s_waitcnt vmcnt(1)
	v_add_u32_e32 v4, 0x80, v4
	v_and_b32_e32 v17, v3, v33
	v_bfe_u32 v3, v3, v31, 2
	v_cmp_eq_u32_e64 s[2:3], v16, v27
	v_cmp_eq_u32_e64 s[26:27], 0, v2
	s_waitcnt vmcnt(0)
	v_add_u32_e32 v5, 0x80, v5
	v_and_b32_e32 v18, v4, v33
	v_bfe_u32 v4, v4, v31, 2
	v_cmp_eq_u32_e64 s[20:21], v17, v27
	v_cmp_eq_u32_e64 s[28:29], 0, v3
	s_and_b64 s[26:27], s[2:3], s[26:27]
	v_and_b32_e32 v19, v5, v33
	v_bfe_u32 v5, v5, v31, 2
	v_cmp_eq_u32_e64 s[22:23], v18, v27
	v_cmp_eq_u32_e64 s[30:31], 0, v4
	;; [unrolled: 1-line block ×5, first 2 shown]
	v_cndmask_b32_e64 v2, 0, 1, s[26:27]
	s_and_b64 s[26:27], s[20:21], s[28:29]
	v_cmp_eq_u32_e64 s[24:25], v19, v27
	v_cmp_eq_u32_e64 s[34:35], 0, v5
	;; [unrolled: 1-line block ×5, first 2 shown]
	v_cndmask_b32_e64 v3, 0, 1, s[26:27]
	s_and_b64 s[26:27], s[22:23], s[30:31]
	v_cmp_eq_u32_e64 s[40:41], 1, v4
	v_cmp_eq_u32_e64 s[48:49], 2, v4
	;; [unrolled: 1-line block ×3, first 2 shown]
	v_cndmask_b32_e64 v4, 0, 1, s[26:27]
	s_and_b64 s[26:27], s[24:25], s[34:35]
	v_cmp_eq_u32_e64 s[42:43], 1, v5
	v_cmp_eq_u32_e64 s[50:51], 2, v5
	;; [unrolled: 1-line block ×3, first 2 shown]
	v_cndmask_b32_e64 v5, 0, 1, s[26:27]
	s_and_b64 s[26:27], s[2:3], s[36:37]
	v_cndmask_b32_e64 v16, 0, 1, s[26:27]
	s_and_b64 s[26:27], s[20:21], s[38:39]
	;; [unrolled: 2-line block ×5, first 2 shown]
	s_and_b64 s[2:3], s[2:3], s[52:53]
	v_cndmask_b32_e64 v37, 0, 1, s[26:27]
	s_and_b64 s[26:27], s[20:21], s[46:47]
	v_cndmask_b32_e64 v41, 0, 1, s[2:3]
	s_and_b64 s[2:3], s[20:21], s[54:55]
	v_cndmask_b32_e64 v38, 0, 1, s[26:27]
	s_and_b64 s[26:27], s[22:23], s[48:49]
	v_cndmask_b32_e64 v42, 0, 1, s[2:3]
	s_and_b64 s[2:3], s[22:23], s[56:57]
	v_cndmask_b32_e64 v39, 0, 1, s[26:27]
	s_and_b64 s[26:27], s[24:25], s[50:51]
	v_cndmask_b32_e64 v43, 0, 1, s[2:3]
	s_and_b64 s[2:3], s[24:25], s[58:59]
	v_cndmask_b32_e64 v40, 0, 1, s[26:27]
	v_cndmask_b32_e64 v44, 0, 1, s[2:3]
	v_cmp_ne_u32_e64 s[2:3], 0, v2
	v_cmp_ne_u32_e64 s[20:21], 0, v3
	v_cmp_ne_u32_e64 s[22:23], 0, v4
	v_cmp_ne_u32_e64 s[24:25], 0, v5
	v_cmp_ne_u32_e64 s[26:27], 0, v16
	v_cmp_ne_u32_e64 s[30:31], 0, v18
	v_cmp_ne_u32_e64 s[36:37], 0, v37
	v_cmp_ne_u32_e64 s[44:45], 0, v41
	v_cmp_ne_u32_e64 s[28:29], 0, v17
	v_cmp_ne_u32_e64 s[38:39], 0, v38
	v_cmp_ne_u32_e64 s[46:47], 0, v42
	s_bcnt1_i32_b64 s2, s[2:3]
	s_bcnt1_i32_b64 s3, s[20:21]
	;; [unrolled: 1-line block ×8, first 2 shown]
	v_cmp_ne_u32_e64 s[34:35], 0, v19
	v_cmp_ne_u32_e64 s[40:41], 0, v39
	;; [unrolled: 1-line block ×3, first 2 shown]
	s_bcnt1_i32_b64 s23, s[28:29]
	s_bcnt1_i32_b64 s27, s[38:39]
	;; [unrolled: 1-line block ×3, first 2 shown]
	s_add_i32 s2, s79, s2
	s_add_i32 s22, s78, s22
	;; [unrolled: 1-line block ×4, first 2 shown]
	v_cmp_ne_u32_e64 s[42:43], 0, v40
	v_cmp_ne_u32_e64 s[50:51], 0, v44
	s_bcnt1_i32_b64 s25, s[34:35]
	s_bcnt1_i32_b64 s28, s[40:41]
	;; [unrolled: 1-line block ×3, first 2 shown]
	s_add_i32 s2, s2, s3
	s_add_i32 s3, s22, s23
	;; [unrolled: 1-line block ×4, first 2 shown]
	s_bcnt1_i32_b64 s29, s[42:43]
	s_bcnt1_i32_b64 s35, s[50:51]
	s_add_i32 s2, s2, s20
	s_add_i32 s3, s3, s24
	;; [unrolled: 1-line block ×8, first 2 shown]
	s_or_b64 s[82:83], vcc, s[82:83]
	v_mov_b32_e32 v2, s79
	v_mov_b32_e32 v3, s78
	;; [unrolled: 1-line block ×4, first 2 shown]
	s_andn2_b64 exec, exec, s[82:83]
	s_cbranch_execnz .LBB8_48
; %bb.49:                               ;   in Loop: Header=BB8_7 Depth=1
	s_or_b64 exec, exec, s[82:83]
	s_or_b64 exec, exec, s[66:67]
	v_mov_b32_e32 v18, 0
	s_and_saveexec_b64 s[2:3], s[12:13]
	s_cbranch_execz .LBB8_46
.LBB8_50:                               ;   in Loop: Header=BB8_7 Depth=1
	global_load_ubyte v18, v[14:15], off
	s_or_b64 exec, exec, s[2:3]
	s_and_saveexec_b64 s[20:21], s[14:15]
	s_cbranch_execz .LBB8_56
.LBB8_51:                               ;   in Loop: Header=BB8_7 Depth=1
	s_mov_b64 s[22:23], 0
	v_mov_b32_e32 v16, v28
	v_mov_b32_e32 v9, v22
	s_branch .LBB8_53
.LBB8_52:                               ;   in Loop: Header=BB8_53 Depth=2
	s_or_b64 exec, exec, s[2:3]
	s_waitcnt vmcnt(0)
	v_add_u32_sdwa v18, sext(v18), s7 dst_sel:DWORD dst_unused:UNUSED_PAD src0_sel:BYTE_0 src1_sel:DWORD
	v_and_b32_e32 v19, v18, v33
	v_bfe_u32 v18, v18, v31, 2
	v_cmp_eq_u32_e32 vcc, v19, v27
	v_cmp_eq_u32_e64 s[2:3], 0, v18
	s_and_b64 s[2:3], vcc, s[2:3]
	v_add_u32_e32 v16, s84, v16
	v_cndmask_b32_e64 v19, 0, 1, s[2:3]
	v_cmp_ne_u32_e64 s[2:3], 0, v19
	s_bcnt1_i32_b64 s2, s[2:3]
	s_nop 0
	v_add_u32_e32 v2, s2, v2
	v_cmp_eq_u32_e64 s[2:3], 1, v18
	s_and_b64 s[2:3], vcc, s[2:3]
	s_nop 0
	v_cndmask_b32_e64 v19, 0, 1, s[2:3]
	v_cmp_ne_u32_e64 s[2:3], 0, v19
	s_bcnt1_i32_b64 s2, s[2:3]
	s_nop 0
	v_add_u32_e32 v3, s2, v3
	v_cmp_eq_u32_e64 s[2:3], 2, v18
	s_and_b64 s[2:3], vcc, s[2:3]
	s_nop 0
	;; [unrolled: 8-line block ×3, first 2 shown]
	v_cndmask_b32_e64 v18, 0, 1, s[2:3]
	v_cmp_ne_u32_e32 vcc, 0, v18
	s_bcnt1_i32_b64 s2, vcc
	v_cmp_le_i32_e32 vcc, s60, v9
	v_add_u32_e32 v5, s2, v5
	s_or_b64 s[22:23], vcc, s[22:23]
	v_mov_b32_e32 v18, v17
	s_andn2_b64 exec, exec, s[22:23]
	s_cbranch_execz .LBB8_55
.LBB8_53:                               ;   Parent Loop BB8_7 Depth=1
                                        ; =>  This Inner Loop Header: Depth=2
	v_add_u32_e32 v9, s62, v9
	v_cmp_gt_u32_e32 vcc, s60, v9
	v_mov_b32_e32 v17, 0
	s_and_saveexec_b64 s[2:3], vcc
	s_cbranch_execz .LBB8_52
; %bb.54:                               ;   in Loop: Header=BB8_53 Depth=2
	v_ashrrev_i32_e32 v17, 31, v16
	v_lshl_add_u64 v[38:39], s[68:69], 0, v[16:17]
	global_load_ubyte v17, v[38:39], off
	s_branch .LBB8_52
.LBB8_55:                               ;   in Loop: Header=BB8_7 Depth=1
	s_or_b64 exec, exec, s[22:23]
.LBB8_56:                               ;   in Loop: Header=BB8_7 Depth=1
	s_or_b64 exec, exec, s[20:21]
	s_branch .LBB8_36
.LBB8_57:                               ;   in Loop: Header=BB8_7 Depth=1
	s_mul_hi_u32 s2, s8, s71
	s_mul_i32 s2, s2, s33
	s_sub_i32 s2, s8, s2
	s_sub_i32 s3, s2, s33
	s_cmp_ge_u32 s2, s33
	s_cselect_b32 s2, s3, s2
	s_sub_i32 s3, s2, s33
	s_cmp_ge_u32 s2, s33
	s_cselect_b32 s2, s3, s2
	s_sub_i32 s9, s8, s2
	v_cmp_gt_u32_e32 vcc, s9, v13
	s_waitcnt vmcnt(0)
	v_mov_b32_e32 v2, 0
	v_mov_b32_e32 v3, 0
	;; [unrolled: 1-line block ×4, first 2 shown]
	s_and_saveexec_b64 s[66:67], vcc
	s_cbranch_execz .LBB8_61
; %bb.58:                               ;   in Loop: Header=BB8_7 Depth=1
	s_mov_b32 s78, 0
	s_mov_b64 s[82:83], 0
	s_mov_b32 s79, 0
	s_mov_b32 s80, 0
	;; [unrolled: 1-line block ×3, first 2 shown]
	v_mov_b32_e32 v9, v13
.LBB8_59:                               ;   Parent Loop BB8_7 Depth=1
                                        ; =>  This Inner Loop Header: Depth=2
	ds_read_b32 v2, v9
	v_add_u32_e32 v9, s33, v9
	v_cmp_le_i32_e32 vcc, s9, v9
	s_waitcnt lgkmcnt(0)
	v_add_u32_sdwa v3, sext(v2), s7 dst_sel:DWORD dst_unused:UNUSED_PAD src0_sel:BYTE_0 src1_sel:DWORD
	v_add_u32_sdwa v4, sext(v2), s7 dst_sel:DWORD dst_unused:UNUSED_PAD src0_sel:BYTE_1 src1_sel:DWORD
	v_and_b32_e32 v16, v3, v33
	v_bfe_u32 v3, v3, v31, 2
	v_add_u32_sdwa v5, sext(v2), s7 dst_sel:DWORD dst_unused:UNUSED_PAD src0_sel:BYTE_2 src1_sel:DWORD
	v_add_u32_sdwa v2, sext(v2), s7 dst_sel:DWORD dst_unused:UNUSED_PAD src0_sel:BYTE_3 src1_sel:DWORD
	v_and_b32_e32 v17, v4, v33
	v_bfe_u32 v4, v4, v31, 2
	v_cmp_eq_u32_e64 s[2:3], v16, v27
	v_cmp_eq_u32_e64 s[26:27], 0, v3
	v_and_b32_e32 v18, v5, v33
	v_and_b32_e32 v19, v2, v33
	v_bfe_u32 v5, v5, v31, 2
	v_bfe_u32 v2, v2, v31, 2
	v_cmp_eq_u32_e64 s[20:21], v17, v27
	v_cmp_eq_u32_e64 s[28:29], 0, v4
	s_and_b64 s[26:27], s[2:3], s[26:27]
	v_cmp_eq_u32_e64 s[22:23], v18, v27
	v_cmp_eq_u32_e64 s[30:31], 0, v5
	;; [unrolled: 1-line block ×6, first 2 shown]
	v_cndmask_b32_e64 v2, 0, 1, s[26:27]
	s_and_b64 s[26:27], s[20:21], s[28:29]
	v_cmp_eq_u32_e64 s[24:25], v19, v27
	v_cmp_eq_u32_e64 s[36:37], 1, v3
	;; [unrolled: 1-line block ×4, first 2 shown]
	v_cndmask_b32_e64 v3, 0, 1, s[26:27]
	s_and_b64 s[26:27], s[22:23], s[30:31]
	v_cmp_eq_u32_e64 s[38:39], 1, v4
	v_cmp_eq_u32_e64 s[46:47], 2, v4
	;; [unrolled: 1-line block ×3, first 2 shown]
	v_cndmask_b32_e64 v4, 0, 1, s[26:27]
	s_and_b64 s[26:27], s[24:25], s[34:35]
	v_cmp_eq_u32_e64 s[40:41], 1, v5
	v_cmp_eq_u32_e64 s[48:49], 2, v5
	;; [unrolled: 1-line block ×3, first 2 shown]
	v_cndmask_b32_e64 v5, 0, 1, s[26:27]
	s_and_b64 s[26:27], s[2:3], s[36:37]
	v_cndmask_b32_e64 v16, 0, 1, s[26:27]
	s_and_b64 s[26:27], s[20:21], s[38:39]
	;; [unrolled: 2-line block ×5, first 2 shown]
	s_and_b64 s[2:3], s[2:3], s[52:53]
	v_cndmask_b32_e64 v37, 0, 1, s[26:27]
	s_and_b64 s[26:27], s[20:21], s[46:47]
	v_cndmask_b32_e64 v41, 0, 1, s[2:3]
	;; [unrolled: 2-line block ×7, first 2 shown]
	v_cndmask_b32_e64 v44, 0, 1, s[2:3]
	v_cmp_ne_u32_e64 s[2:3], 0, v2
	v_cmp_ne_u32_e64 s[20:21], 0, v3
	;; [unrolled: 1-line block ×11, first 2 shown]
	s_bcnt1_i32_b64 s2, s[2:3]
	s_bcnt1_i32_b64 s3, s[20:21]
	;; [unrolled: 1-line block ×8, first 2 shown]
	v_cmp_ne_u32_e64 s[34:35], 0, v19
	v_cmp_ne_u32_e64 s[40:41], 0, v39
	;; [unrolled: 1-line block ×3, first 2 shown]
	s_bcnt1_i32_b64 s23, s[28:29]
	s_bcnt1_i32_b64 s27, s[38:39]
	s_bcnt1_i32_b64 s31, s[46:47]
	s_add_i32 s2, s81, s2
	s_add_i32 s22, s80, s22
	;; [unrolled: 1-line block ×4, first 2 shown]
	v_cmp_ne_u32_e64 s[42:43], 0, v40
	v_cmp_ne_u32_e64 s[50:51], 0, v44
	s_bcnt1_i32_b64 s25, s[34:35]
	s_bcnt1_i32_b64 s28, s[40:41]
	;; [unrolled: 1-line block ×3, first 2 shown]
	s_add_i32 s2, s2, s3
	s_add_i32 s3, s22, s23
	s_add_i32 s22, s26, s27
	s_add_i32 s23, s30, s31
	s_bcnt1_i32_b64 s29, s[42:43]
	s_bcnt1_i32_b64 s35, s[50:51]
	s_add_i32 s2, s2, s20
	s_add_i32 s3, s3, s24
	;; [unrolled: 1-line block ×8, first 2 shown]
	s_or_b64 s[82:83], vcc, s[82:83]
	v_mov_b32_e32 v2, s81
	v_mov_b32_e32 v3, s80
	;; [unrolled: 1-line block ×4, first 2 shown]
	s_andn2_b64 exec, exec, s[82:83]
	s_cbranch_execnz .LBB8_59
; %bb.60:                               ;   in Loop: Header=BB8_7 Depth=1
	s_or_b64 exec, exec, s[82:83]
.LBB8_61:                               ;   in Loop: Header=BB8_7 Depth=1
	s_or_b64 exec, exec, s[66:67]
	v_add_u32_e32 v9, s9, v0
	v_cmp_gt_i32_e32 vcc, s8, v9
	s_and_saveexec_b64 s[28:29], vcc
	s_cbranch_execz .LBB8_65
; %bb.62:                               ;   in Loop: Header=BB8_7 Depth=1
	s_mov_b64 s[30:31], 0
.LBB8_63:                               ;   Parent Loop BB8_7 Depth=1
                                        ; =>  This Inner Loop Header: Depth=2
	ds_read_i8 v16, v9
	v_add_u32_e32 v9, s62, v9
	v_cmp_le_i32_e32 vcc, s8, v9
	s_waitcnt lgkmcnt(0)
	v_add_u32_e32 v16, 0x80, v16
	v_and_b32_e32 v17, v16, v33
	v_bfe_u32 v16, v16, v31, 2
	v_cmp_eq_u32_e64 s[2:3], v17, v27
	v_cmp_eq_u32_e64 s[20:21], 0, v16
	;; [unrolled: 1-line block ×3, first 2 shown]
	s_and_b64 s[20:21], s[2:3], s[20:21]
	v_cmp_eq_u32_e64 s[24:25], 2, v16
	v_cmp_eq_u32_e64 s[26:27], 3, v16
	v_cndmask_b32_e64 v16, 0, 1, s[20:21]
	s_and_b64 s[20:21], s[2:3], s[22:23]
	v_cndmask_b32_e64 v17, 0, 1, s[20:21]
	s_and_b64 s[20:21], s[2:3], s[24:25]
	s_and_b64 s[2:3], s[2:3], s[26:27]
	v_cndmask_b32_e64 v18, 0, 1, s[20:21]
	v_cndmask_b32_e64 v19, 0, 1, s[2:3]
	v_cmp_ne_u32_e64 s[2:3], 0, v16
	v_cmp_ne_u32_e64 s[20:21], 0, v17
	;; [unrolled: 1-line block ×4, first 2 shown]
	s_bcnt1_i32_b64 s2, s[2:3]
	s_bcnt1_i32_b64 s3, s[20:21]
	;; [unrolled: 1-line block ×4, first 2 shown]
	v_add_u32_e32 v2, s2, v2
	v_add_u32_e32 v3, s3, v3
	;; [unrolled: 1-line block ×3, first 2 shown]
	s_or_b64 s[30:31], vcc, s[30:31]
	v_add_u32_e32 v5, s20, v5
	s_andn2_b64 exec, exec, s[30:31]
	s_cbranch_execnz .LBB8_63
; %bb.64:                               ;   in Loop: Header=BB8_7 Depth=1
	s_or_b64 exec, exec, s[30:31]
.LBB8_65:                               ;   in Loop: Header=BB8_7 Depth=1
	s_or_b64 exec, exec, s[28:29]
	s_lshl_b32 s8, s61, 6
	s_and_saveexec_b64 s[2:3], s[0:1]
	s_cbranch_execnz .LBB8_37
	s_branch .LBB8_38
.LBB8_66:                               ;   in Loop: Header=BB8_7 Depth=1
	s_or_b64 exec, exec, s[22:23]
	s_waitcnt lgkmcnt(0)
	s_barrier
	s_and_saveexec_b64 s[2:3], s[18:19]
	s_cbranch_execz .LBB8_68
; %bb.67:                               ;   in Loop: Header=BB8_7 Depth=1
	ds_read_b32 v2, v8 offset:4104
	s_waitcnt lgkmcnt(0)
	ds_write_b32 v8, v2 offset:4096
.LBB8_68:                               ;   in Loop: Header=BB8_7 Depth=1
	s_or_b64 exec, exec, s[2:3]
	s_waitcnt lgkmcnt(0)
	s_barrier
	s_mov_b64 s[2:3], -1
	s_and_b64 vcc, exec, s[20:21]
	s_cbranch_vccnz .LBB8_22
	s_branch .LBB8_32
.LBB8_69:                               ;   in Loop: Header=BB8_7 Depth=1
	v_mov_b32_e32 v2, 0
	s_mov_b32 s9, 0
	s_cbranch_execnz .LBB8_74
	s_branch .LBB8_76
.LBB8_70:                               ;   in Loop: Header=BB8_7 Depth=1
	v_mov_b32_e32 v9, v8
	v_readlane_b32 s20, v50, 25
	v_mov_b64_e32 v[2:3], v[8:9]
	v_readlane_b32 s21, v50, 26
.LBB8_71:                               ;   in Loop: Header=BB8_7 Depth=1
	v_readlane_b32 s22, v50, 19
	v_readlane_b32 s23, v50, 20
	s_andn2_b64 vcc, exec, s[22:23]
	v_readlane_b32 s9, v50, 18
	s_cbranch_vccnz .LBB8_73
.LBB8_72:                               ;   Parent Loop BB8_7 Depth=1
                                        ; =>  This Inner Loop Header: Depth=2
	v_lshl_add_u32 v9, s20, 4, v5
	v_lshl_add_u32 v16, s21, 4, v5
	ds_read_b32 v16, v16
	ds_read_b32 v9, v9
	s_add_i32 s21, s21, 2
	s_add_i32 s20, s20, 2
	s_add_i32 s9, s9, -1
	s_cmp_lg_u32 s9, 0
	s_waitcnt lgkmcnt(1)
	v_add_u32_e32 v3, v16, v3
	s_waitcnt lgkmcnt(0)
	v_add_u32_e32 v2, v9, v2
	s_cbranch_scc1 .LBB8_72
.LBB8_73:                               ;   in Loop: Header=BB8_7 Depth=1
	v_readlane_b32 s20, v50, 23
	v_add_u32_e32 v2, v2, v3
	v_readlane_b32 s9, v50, 22
	v_readlane_b32 s21, v50, 24
	s_and_b64 vcc, exec, s[20:21]
	s_cbranch_vccz .LBB8_76
.LBB8_74:                               ;   in Loop: Header=BB8_7 Depth=1
	s_lshl_b32 s20, s61, 8
	s_lshl_b32 s21, s9, 4
	s_add_i32 s20, s20, s21
	v_add_u32_e32 v3, s20, v29
	v_readlane_b32 s20, v50, 21
	s_sub_i32 s9, s20, s9
.LBB8_75:                               ;   Parent Loop BB8_7 Depth=1
                                        ; =>  This Inner Loop Header: Depth=2
	ds_read_b32 v5, v3
	s_add_i32 s9, s9, -1
	v_add_u32_e32 v3, 16, v3
	s_cmp_eq_u32 s9, 0
	s_waitcnt lgkmcnt(0)
	v_add_u32_e32 v2, v5, v2
	s_cbranch_scc0 .LBB8_75
.LBB8_76:                               ;   in Loop: Header=BB8_7 Depth=1
	v_lshlrev_b32_e32 v3, 2, v4
	ds_write_b32 v3, v2 offset:3072
.LBB8_77:                               ;   in Loop: Header=BB8_7 Depth=1
	s_or_b64 exec, exec, s[2:3]
	s_lshl_b32 s2, s8, 2
	s_waitcnt vmcnt(0)
	v_mov_b32_e32 v2, s2
	s_waitcnt lgkmcnt(0)
	s_barrier
	ds_read_b128 v[2:5], v2 offset:3072
	v_cmp_eq_u32_e32 vcc, 1, v35
	s_mov_b64 s[20:21], -1
	s_mov_b64 s[28:29], -1
                                        ; implicit-def: $sgpr26_sgpr27
                                        ; implicit-def: $sgpr24_sgpr25
	s_waitcnt lgkmcnt(0)
	v_readfirstlane_b32 s9, v2
	s_cmp_eq_u32 s9, 1
	v_readfirstlane_b32 s54, v4
	v_lshlrev_b32_e64 v4, v31, 3
	s_cselect_b64 s[2:3], -1, 0
	v_readfirstlane_b32 s8, v3
	v_readfirstlane_b32 s82, v5
	v_not_b32_e32 v9, v4
	s_and_b64 s[22:23], s[2:3], vcc
	s_and_saveexec_b64 s[2:3], s[22:23]
	s_cbranch_execz .LBB8_103
; %bb.78:                               ;   in Loop: Header=BB8_7 Depth=1
	ds_read_b32 v2, v8 offset:4096
	s_waitcnt lgkmcnt(0)
	s_barrier
	v_readfirstlane_b32 s42, v2
	s_and_saveexec_b64 s[24:25], s[4:5]
; %bb.79:                               ;   in Loop: Header=BB8_7 Depth=1
	ds_write_b8 v0, v8 offset:3072
; %bb.80:                               ;   in Loop: Header=BB8_7 Depth=1
	s_or_b64 exec, exec, s[24:25]
	v_and_b32_e32 v27, v27, v9
	v_or_b32_e32 v33, v33, v4
	s_mov_b64 s[24:25], -1
	s_mov_b64 s[26:27], 0
	s_cmp_lt_i32 s42, 1
	s_mov_b64 s[28:29], 0
	s_mov_b64 s[30:31], -1
	s_waitcnt lgkmcnt(0)
	s_barrier
                                        ; implicit-def: $vgpr34
	s_cbranch_scc0 .LBB8_91
; %bb.81:                               ;   in Loop: Header=BB8_7 Depth=1
	s_mov_b64 s[30:31], 0
                                        ; implicit-def: $vgpr34
	s_and_saveexec_b64 s[34:35], s[16:17]
	s_cbranch_execz .LBB8_90
; %bb.82:                               ;   in Loop: Header=BB8_7 Depth=1
	v_mov_b32_e32 v2, v6
	v_mov_b32_e32 v5, v0
                                        ; implicit-def: $sgpr36_sgpr37
	s_branch .LBB8_85
.LBB8_83:                               ;   in Loop: Header=BB8_85 Depth=2
	s_or_b64 exec, exec, s[38:39]
	s_waitcnt lgkmcnt(0)
	s_barrier
	ds_read_u16 v3, v8 offset:3072
	s_mov_b64 s[38:39], -1
	s_waitcnt lgkmcnt(0)
	s_barrier
	v_cmp_ne_u32_sdwa s[40:41], v3, v8 src0_sel:BYTE_0 src1_sel:DWORD
	s_and_b64 vcc, exec, s[40:41]
	s_mov_b64 s[40:41], -1
	s_cbranch_vccz .LBB8_88
.LBB8_84:                               ;   in Loop: Header=BB8_85 Depth=2
	s_and_b64 s[38:39], exec, s[38:39]
	s_or_b64 s[28:29], s[38:39], s[28:29]
	s_andn2_b64 s[36:37], s[36:37], exec
	s_and_b64 s[38:39], s[40:41], exec
	s_or_b64 s[36:37], s[36:37], s[38:39]
	s_andn2_b64 exec, exec, s[28:29]
	s_cbranch_execz .LBB8_89
.LBB8_85:                               ;   Parent Loop BB8_7 Depth=1
                                        ; =>  This Inner Loop Header: Depth=2
	v_cmp_gt_i32_e32 vcc, s60, v5
	s_and_saveexec_b64 s[38:39], vcc
	s_cbranch_execz .LBB8_83
; %bb.86:                               ;   in Loop: Header=BB8_85 Depth=2
	v_ashrrev_i32_e32 v3, 31, v2
	v_lshl_add_u64 v[16:17], s[68:69], 0, v[2:3]
	global_load_ubyte v3, v[16:17], off
	s_waitcnt vmcnt(0)
	v_add_u32_sdwa v16, sext(v3), s7 dst_sel:DWORD dst_unused:UNUSED_PAD src0_sel:BYTE_0 src1_sel:DWORD
	v_and_b32_e32 v16, v16, v33
	v_cmp_eq_u32_e32 vcc, v16, v27
	s_and_b64 exec, exec, vcc
	s_cbranch_execz .LBB8_83
; %bb.87:                               ;   in Loop: Header=BB8_85 Depth=2
	v_lshlrev_b16_e32 v3, 8, v3
	v_or_b32_e32 v3, 1, v3
	ds_write_b16 v8, v3 offset:3072
	s_branch .LBB8_83
.LBB8_88:                               ;   in Loop: Header=BB8_85 Depth=2
	v_add_u32_e32 v5, s62, v5
	v_cmp_le_i32_e32 vcc, s86, v5
	v_add_u32_e32 v2, s84, v2
	s_mov_b64 s[40:41], 0
	s_orn2_b64 s[38:39], vcc, exec
	s_branch .LBB8_84
.LBB8_89:                               ;   in Loop: Header=BB8_7 Depth=1
	s_or_b64 exec, exec, s[28:29]
	v_lshrrev_b32_sdwa v34, v32, v3 dst_sel:DWORD dst_unused:UNUSED_PAD src0_sel:DWORD src1_sel:WORD_0
	s_and_b64 s[28:29], s[36:37], exec
.LBB8_90:                               ;   in Loop: Header=BB8_7 Depth=1
	s_or_b64 exec, exec, s[34:35]
.LBB8_91:                               ;   in Loop: Header=BB8_7 Depth=1
	s_and_b64 vcc, exec, s[30:31]
	s_cbranch_vccz .LBB8_102
; %bb.92:                               ;   in Loop: Header=BB8_7 Depth=1
	s_add_i32 s38, s42, s85
	s_abs_i32 s25, s38
	s_mul_hi_u32 s26, s25, s70
	s_mul_i32 s26, s26, s62
	s_sub_i32 s25, s25, s26
	s_ashr_i32 s24, s38, 31
	s_sub_i32 s26, s25, s62
	s_cmp_ge_u32 s25, s62
	s_cselect_b32 s25, s26, s25
	s_sub_i32 s26, s25, s62
	s_cmp_ge_u32 s25, s62
	s_cselect_b32 s25, s26, s25
	s_xor_b32 s25, s25, s24
	s_sub_i32 s24, s24, s25
	s_add_i32 s38, s38, s24
	v_cmp_gt_i32_e32 vcc, s38, v0
                                        ; implicit-def: $vgpr34
	s_and_saveexec_b64 s[24:25], vcc
	s_cbranch_execz .LBB8_101
; %bb.93:                               ;   in Loop: Header=BB8_7 Depth=1
	s_mov_b64 s[26:27], 0
	v_mov_b32_e32 v2, v0
                                        ; implicit-def: $sgpr30_sgpr31
	s_branch .LBB8_96
.LBB8_94:                               ;   in Loop: Header=BB8_96 Depth=2
	s_or_b64 exec, exec, s[34:35]
	s_waitcnt lgkmcnt(0)
	s_barrier
	ds_read_u16 v3, v8 offset:3072
	s_mov_b64 s[34:35], -1
	s_waitcnt lgkmcnt(0)
	s_barrier
	v_cmp_ne_u32_sdwa s[36:37], v3, v8 src0_sel:BYTE_0 src1_sel:DWORD
	s_and_b64 vcc, exec, s[36:37]
	s_mov_b64 s[36:37], -1
	s_cbranch_vccz .LBB8_99
.LBB8_95:                               ;   in Loop: Header=BB8_96 Depth=2
	s_and_b64 s[34:35], exec, s[34:35]
	s_or_b64 s[26:27], s[34:35], s[26:27]
	s_andn2_b64 s[30:31], s[30:31], exec
	s_and_b64 s[34:35], s[36:37], exec
	s_or_b64 s[30:31], s[30:31], s[34:35]
	s_andn2_b64 exec, exec, s[26:27]
	s_cbranch_execz .LBB8_100
.LBB8_96:                               ;   Parent Loop BB8_7 Depth=1
                                        ; =>  This Inner Loop Header: Depth=2
	v_cmp_gt_i32_e32 vcc, s42, v2
	s_and_saveexec_b64 s[34:35], vcc
	s_cbranch_execz .LBB8_94
; %bb.97:                               ;   in Loop: Header=BB8_96 Depth=2
	ds_read_u8 v3, v2
	s_waitcnt lgkmcnt(0)
	v_add_u32_sdwa v5, sext(v3), s7 dst_sel:DWORD dst_unused:UNUSED_PAD src0_sel:BYTE_0 src1_sel:DWORD
	v_and_b32_e32 v5, v5, v33
	v_cmp_eq_u32_e32 vcc, v5, v27
	s_and_b64 exec, exec, vcc
	s_cbranch_execz .LBB8_94
; %bb.98:                               ;   in Loop: Header=BB8_96 Depth=2
	v_lshlrev_b16_e32 v3, 8, v3
	v_or_b32_e32 v3, 1, v3
	ds_write_b16 v8, v3 offset:3072
	s_branch .LBB8_94
.LBB8_99:                               ;   in Loop: Header=BB8_96 Depth=2
	v_add_u32_e32 v2, s62, v2
	v_cmp_le_i32_e32 vcc, s38, v2
	s_mov_b64 s[36:37], 0
	s_orn2_b64 s[34:35], vcc, exec
	s_branch .LBB8_95
.LBB8_100:                              ;   in Loop: Header=BB8_7 Depth=1
	s_or_b64 exec, exec, s[26:27]
	s_andn2_b64 s[26:27], s[28:29], exec
	s_and_b64 s[28:29], s[30:31], exec
	v_lshrrev_b32_sdwa v34, v32, v3 dst_sel:DWORD dst_unused:UNUSED_PAD src0_sel:DWORD src1_sel:WORD_0
	s_or_b64 s[28:29], s[26:27], s[28:29]
.LBB8_101:                              ;   in Loop: Header=BB8_7 Depth=1
	s_or_b64 exec, exec, s[24:25]
	s_mov_b64 s[24:25], 0
	s_mov_b64 s[26:27], -1
.LBB8_102:                              ;   in Loop: Header=BB8_7 Depth=1
	s_orn2_b64 s[28:29], s[28:29], exec
.LBB8_103:                              ;   in Loop: Header=BB8_7 Depth=1
	s_or_b64 exec, exec, s[2:3]
	s_andn2_b64 s[2:3], s[64:65], exec
	s_and_b64 s[26:27], s[26:27], exec
	s_or_b64 s[64:65], s[2:3], s[26:27]
	s_andn2_b64 s[2:3], s[98:99], exec
	s_and_b64 s[24:25], s[24:25], exec
	v_readfirstlane_b32 s34, v0
	s_andn2_b64 s[96:97], s[96:97], exec
	s_or_b64 s[98:99], s[2:3], s[24:25]
                                        ; implicit-def: $vgpr16
	s_and_saveexec_b64 s[2:3], s[28:29]
	s_cbranch_execz .LBB8_6
; %bb.104:                              ;   in Loop: Header=BB8_7 Depth=1
	s_xor_b64 s[24:25], s[22:23], -1
	s_mov_b64 s[22:23], 0
	v_mov_b32_e32 v16, 1
	v_mov_b32_e32 v5, 1
	s_and_saveexec_b64 s[20:21], s[24:25]
	s_cbranch_execz .LBB8_113
; %bb.105:                              ;   in Loop: Header=BB8_7 Depth=1
	v_cmp_ge_i32_e32 vcc, s9, v35
	s_and_saveexec_b64 s[22:23], vcc
	s_xor_b64 s[22:23], exec, s[22:23]
	s_cbranch_execz .LBB8_110
; %bb.106:                              ;   in Loop: Header=BB8_7 Depth=1
	ds_read_b32 v2, v8 offset:4096
	v_and_b32_e32 v27, v27, v9
	v_or_b32_e32 v33, v33, v4
	s_waitcnt lgkmcnt(0)
	v_cmp_ne_u32_e32 vcc, 0, v2
	s_cbranch_vccnz .LBB8_110
; %bb.107:                              ;   in Loop: Header=BB8_7 Depth=1
	s_and_saveexec_b64 s[24:25], s[18:19]
; %bb.108:                              ;   in Loop: Header=BB8_7 Depth=1
	v_mov_b32_e32 v2, s9
	ds_write_b32 v8, v2 offset:4100
; %bb.109:                              ;   in Loop: Header=BB8_7 Depth=1
	s_or_b64 exec, exec, s[24:25]
	s_waitcnt lgkmcnt(0)
	s_barrier
.LBB8_110:                              ;   in Loop: Header=BB8_7 Depth=1
	s_or_saveexec_b64 s[22:23], s[22:23]
	s_mov_b64 s[24:25], 0
	v_mov_b32_e32 v5, 8
	s_xor_b64 exec, exec, s[22:23]
; %bb.111:                              ;   in Loop: Header=BB8_7 Depth=1
	s_mov_b64 s[24:25], exec
	v_subrev_u32_e32 v35, s9, v35
	v_mov_b32_e32 v5, 0
; %bb.112:                              ;   in Loop: Header=BB8_7 Depth=1
	s_or_b64 exec, exec, s[22:23]
	s_and_b64 s[22:23], s[24:25], exec
	v_mov_b32_e32 v16, v35
.LBB8_113:                              ;   in Loop: Header=BB8_7 Depth=1
	s_or_b64 exec, exec, s[20:21]
	s_mov_b64 s[20:21], -1
	s_mov_b64 s[28:29], -1
                                        ; implicit-def: $sgpr24_sgpr25
                                        ; implicit-def: $sgpr26_sgpr27
	s_and_saveexec_b64 s[30:31], s[22:23]
	s_xor_b64 s[22:23], exec, s[30:31]
	s_cbranch_execz .LBB8_230
; %bb.114:                              ;   in Loop: Header=BB8_7 Depth=1
	s_cmp_eq_u32 s8, 1
	s_cselect_b64 s[24:25], -1, 0
	v_cmp_eq_u32_e32 vcc, 1, v16
	s_and_b64 s[30:31], s[24:25], vcc
	s_mov_b64 s[34:35], -1
                                        ; implicit-def: $sgpr26_sgpr27
                                        ; implicit-def: $sgpr24_sgpr25
	s_and_saveexec_b64 s[28:29], s[30:31]
	s_cbranch_execz .LBB8_140
; %bb.115:                              ;   in Loop: Header=BB8_7 Depth=1
	ds_read_b32 v2, v8 offset:4096
	s_waitcnt lgkmcnt(0)
	s_barrier
	v_readfirstlane_b32 s9, v2
	s_and_saveexec_b64 s[24:25], s[4:5]
; %bb.116:                              ;   in Loop: Header=BB8_7 Depth=1
	ds_write_b8 v0, v8 offset:3072
; %bb.117:                              ;   in Loop: Header=BB8_7 Depth=1
	s_or_b64 exec, exec, s[24:25]
	v_and_b32_e32 v2, v27, v9
	v_lshl_or_b32 v27, 1, v31, v2
	v_or_b32_e32 v33, v33, v4
	s_mov_b64 s[24:25], -1
	s_mov_b64 s[26:27], 0
	s_cmp_gt_i32 s9, 0
	s_mov_b64 s[34:35], 0
	s_mov_b64 s[36:37], -1
	s_waitcnt lgkmcnt(0)
	s_barrier
                                        ; implicit-def: $vgpr34
	s_cbranch_scc1 .LBB8_128
; %bb.118:                              ;   in Loop: Header=BB8_7 Depth=1
	s_mov_b64 s[36:37], 0
                                        ; implicit-def: $vgpr34
	s_and_saveexec_b64 s[38:39], s[16:17]
	s_cbranch_execz .LBB8_127
; %bb.119:                              ;   in Loop: Header=BB8_7 Depth=1
	v_mov_b32_e32 v2, v6
	v_mov_b32_e32 v17, v0
                                        ; implicit-def: $sgpr40_sgpr41
	s_branch .LBB8_122
.LBB8_120:                              ;   in Loop: Header=BB8_122 Depth=2
	s_or_b64 exec, exec, s[42:43]
	s_waitcnt lgkmcnt(0)
	s_barrier
	ds_read_u16 v3, v8 offset:3072
	s_mov_b64 s[42:43], -1
	s_waitcnt lgkmcnt(0)
	s_barrier
	v_cmp_ne_u32_sdwa s[44:45], v3, v8 src0_sel:BYTE_0 src1_sel:DWORD
	s_and_b64 vcc, exec, s[44:45]
	s_mov_b64 s[44:45], -1
	s_cbranch_vccz .LBB8_125
.LBB8_121:                              ;   in Loop: Header=BB8_122 Depth=2
	s_and_b64 s[42:43], exec, s[42:43]
	s_or_b64 s[34:35], s[42:43], s[34:35]
	s_andn2_b64 s[40:41], s[40:41], exec
	s_and_b64 s[42:43], s[44:45], exec
	s_or_b64 s[40:41], s[40:41], s[42:43]
	s_andn2_b64 exec, exec, s[34:35]
	s_cbranch_execz .LBB8_126
.LBB8_122:                              ;   Parent Loop BB8_7 Depth=1
                                        ; =>  This Inner Loop Header: Depth=2
	v_cmp_gt_i32_e32 vcc, s60, v17
	s_and_saveexec_b64 s[42:43], vcc
	s_cbranch_execz .LBB8_120
; %bb.123:                              ;   in Loop: Header=BB8_122 Depth=2
	v_ashrrev_i32_e32 v3, 31, v2
	v_lshl_add_u64 v[18:19], s[68:69], 0, v[2:3]
	global_load_ubyte v3, v[18:19], off
	s_waitcnt vmcnt(0)
	v_add_u32_sdwa v18, sext(v3), s7 dst_sel:DWORD dst_unused:UNUSED_PAD src0_sel:BYTE_0 src1_sel:DWORD
	v_and_b32_e32 v18, v18, v33
	v_cmp_eq_u32_e32 vcc, v18, v27
	s_and_b64 exec, exec, vcc
	s_cbranch_execz .LBB8_120
; %bb.124:                              ;   in Loop: Header=BB8_122 Depth=2
	v_lshlrev_b16_e32 v3, 8, v3
	v_or_b32_e32 v3, 1, v3
	ds_write_b16 v8, v3 offset:3072
	s_branch .LBB8_120
.LBB8_125:                              ;   in Loop: Header=BB8_122 Depth=2
	v_add_u32_e32 v17, s62, v17
	v_cmp_le_i32_e32 vcc, s86, v17
	v_add_u32_e32 v2, s84, v2
	s_mov_b64 s[44:45], 0
	s_orn2_b64 s[42:43], vcc, exec
	s_branch .LBB8_121
.LBB8_126:                              ;   in Loop: Header=BB8_7 Depth=1
	s_or_b64 exec, exec, s[34:35]
	v_lshrrev_b32_sdwa v34, v32, v3 dst_sel:DWORD dst_unused:UNUSED_PAD src0_sel:DWORD src1_sel:WORD_0
	s_and_b64 s[34:35], s[40:41], exec
.LBB8_127:                              ;   in Loop: Header=BB8_7 Depth=1
	s_or_b64 exec, exec, s[38:39]
.LBB8_128:                              ;   in Loop: Header=BB8_7 Depth=1
	s_and_b64 vcc, exec, s[36:37]
	s_cbranch_vccz .LBB8_139
; %bb.129:                              ;   in Loop: Header=BB8_7 Depth=1
	s_add_i32 s42, s9, s85
	s_abs_i32 s25, s42
	s_mul_hi_u32 s26, s25, s70
	s_mul_i32 s26, s26, s62
	s_sub_i32 s25, s25, s26
	s_ashr_i32 s24, s42, 31
	s_sub_i32 s26, s25, s62
	s_cmp_ge_u32 s25, s62
	s_cselect_b32 s25, s26, s25
	s_sub_i32 s26, s25, s62
	s_cmp_ge_u32 s25, s62
	s_cselect_b32 s25, s26, s25
	s_xor_b32 s25, s25, s24
	s_sub_i32 s24, s24, s25
	s_add_i32 s42, s42, s24
	v_cmp_gt_i32_e32 vcc, s42, v0
                                        ; implicit-def: $vgpr34
	s_and_saveexec_b64 s[24:25], vcc
	s_cbranch_execz .LBB8_138
; %bb.130:                              ;   in Loop: Header=BB8_7 Depth=1
	s_mov_b64 s[26:27], 0
	v_mov_b32_e32 v2, v0
                                        ; implicit-def: $sgpr36_sgpr37
	s_branch .LBB8_133
.LBB8_131:                              ;   in Loop: Header=BB8_133 Depth=2
	s_or_b64 exec, exec, s[38:39]
	s_waitcnt lgkmcnt(0)
	s_barrier
	ds_read_u16 v3, v8 offset:3072
	s_mov_b64 s[38:39], -1
	s_waitcnt lgkmcnt(0)
	s_barrier
	v_cmp_eq_u32_sdwa s[40:41], v3, v8 src0_sel:BYTE_0 src1_sel:DWORD
	s_and_b64 vcc, exec, s[40:41]
	s_mov_b64 s[40:41], -1
	s_cbranch_vccnz .LBB8_136
.LBB8_132:                              ;   in Loop: Header=BB8_133 Depth=2
	s_and_b64 s[38:39], exec, s[38:39]
	s_or_b64 s[26:27], s[38:39], s[26:27]
	s_andn2_b64 s[36:37], s[36:37], exec
	s_and_b64 s[38:39], s[40:41], exec
	s_or_b64 s[36:37], s[36:37], s[38:39]
	s_andn2_b64 exec, exec, s[26:27]
	s_cbranch_execz .LBB8_137
.LBB8_133:                              ;   Parent Loop BB8_7 Depth=1
                                        ; =>  This Inner Loop Header: Depth=2
	v_cmp_gt_i32_e32 vcc, s9, v2
	s_and_saveexec_b64 s[38:39], vcc
	s_cbranch_execz .LBB8_131
; %bb.134:                              ;   in Loop: Header=BB8_133 Depth=2
	ds_read_u8 v3, v2
	s_waitcnt lgkmcnt(0)
	v_add_u32_sdwa v17, sext(v3), s7 dst_sel:DWORD dst_unused:UNUSED_PAD src0_sel:BYTE_0 src1_sel:DWORD
	v_and_b32_e32 v17, v17, v33
	v_cmp_eq_u32_e32 vcc, v17, v27
	s_and_b64 exec, exec, vcc
	s_cbranch_execz .LBB8_131
; %bb.135:                              ;   in Loop: Header=BB8_133 Depth=2
	v_lshlrev_b16_e32 v3, 8, v3
	v_or_b32_e32 v3, 1, v3
	ds_write_b16 v8, v3 offset:3072
	s_branch .LBB8_131
.LBB8_136:                              ;   in Loop: Header=BB8_133 Depth=2
	v_add_u32_e32 v2, s62, v2
	v_cmp_le_i32_e32 vcc, s42, v2
	s_mov_b64 s[40:41], 0
	s_orn2_b64 s[38:39], vcc, exec
	s_branch .LBB8_132
.LBB8_137:                              ;   in Loop: Header=BB8_7 Depth=1
	s_or_b64 exec, exec, s[26:27]
	s_andn2_b64 s[26:27], s[34:35], exec
	s_and_b64 s[34:35], s[36:37], exec
	v_lshrrev_b32_sdwa v34, v32, v3 dst_sel:DWORD dst_unused:UNUSED_PAD src0_sel:DWORD src1_sel:WORD_0
	s_or_b64 s[34:35], s[26:27], s[34:35]
.LBB8_138:                              ;   in Loop: Header=BB8_7 Depth=1
	s_or_b64 exec, exec, s[24:25]
	s_mov_b64 s[24:25], 0
	s_mov_b64 s[26:27], -1
.LBB8_139:                              ;   in Loop: Header=BB8_7 Depth=1
	s_orn2_b64 s[34:35], s[34:35], exec
.LBB8_140:                              ;   in Loop: Header=BB8_7 Depth=1
	s_or_b64 exec, exec, s[28:29]
	s_mov_b64 s[36:37], 0
	s_and_saveexec_b64 s[28:29], s[34:35]
	s_cbranch_execz .LBB8_229
; %bb.141:                              ;   in Loop: Header=BB8_7 Depth=1
	s_xor_b64 s[34:35], s[30:31], -1
	s_mov_b64 s[40:41], 0
	v_mov_b32_e32 v17, 1
	v_mov_b32_e32 v5, 1
	s_and_saveexec_b64 s[30:31], s[34:35]
	s_cbranch_execz .LBB8_150
; %bb.142:                              ;   in Loop: Header=BB8_7 Depth=1
	v_cmp_ge_i32_e32 vcc, s8, v16
	s_and_saveexec_b64 s[34:35], vcc
	s_xor_b64 s[34:35], exec, s[34:35]
	s_cbranch_execz .LBB8_147
; %bb.143:                              ;   in Loop: Header=BB8_7 Depth=1
	ds_read_b32 v2, v8 offset:4096
	v_and_b32_e32 v3, v27, v9
	v_lshl_or_b32 v27, 1, v31, v3
	v_or_b32_e32 v33, v33, v4
	s_waitcnt lgkmcnt(0)
	v_cmp_ne_u32_e32 vcc, 0, v2
	s_cbranch_vccnz .LBB8_147
; %bb.144:                              ;   in Loop: Header=BB8_7 Depth=1
	s_and_saveexec_b64 s[36:37], s[18:19]
; %bb.145:                              ;   in Loop: Header=BB8_7 Depth=1
	v_mov_b32_e32 v2, s8
	ds_write_b32 v8, v2 offset:4100
; %bb.146:                              ;   in Loop: Header=BB8_7 Depth=1
	s_or_b64 exec, exec, s[36:37]
	s_waitcnt lgkmcnt(0)
	s_barrier
.LBB8_147:                              ;   in Loop: Header=BB8_7 Depth=1
	s_or_saveexec_b64 s[34:35], s[34:35]
	s_mov_b64 s[36:37], 0
	v_mov_b32_e32 v5, 8
	s_xor_b64 exec, exec, s[34:35]
; %bb.148:                              ;   in Loop: Header=BB8_7 Depth=1
	s_mov_b64 s[36:37], exec
	v_subrev_u32_e32 v16, s8, v16
	v_mov_b32_e32 v5, 0
; %bb.149:                              ;   in Loop: Header=BB8_7 Depth=1
	s_or_b64 exec, exec, s[34:35]
	s_and_b64 s[40:41], s[36:37], exec
	v_mov_b32_e32 v17, v16
.LBB8_150:                              ;   in Loop: Header=BB8_7 Depth=1
	s_or_b64 exec, exec, s[30:31]
	s_mov_b64 s[38:39], -1
                                        ; implicit-def: $sgpr34_sgpr35
                                        ; implicit-def: $sgpr36_sgpr37
	s_and_saveexec_b64 s[30:31], s[40:41]
	s_cbranch_execz .LBB8_228
; %bb.151:                              ;   in Loop: Header=BB8_7 Depth=1
	s_cmp_eq_u32 s54, 1
	s_cselect_b64 s[8:9], -1, 0
	v_cmp_eq_u32_e32 vcc, 1, v17
	s_and_b64 s[40:41], s[8:9], vcc
	s_mov_b64 s[42:43], -1
                                        ; implicit-def: $sgpr36_sgpr37
                                        ; implicit-def: $sgpr34_sgpr35
	s_and_saveexec_b64 s[38:39], s[40:41]
	s_cbranch_execz .LBB8_177
; %bb.152:                              ;   in Loop: Header=BB8_7 Depth=1
	ds_read_b32 v2, v8 offset:4096
	s_waitcnt lgkmcnt(0)
	s_barrier
	v_readfirstlane_b32 s8, v2
	s_and_saveexec_b64 s[34:35], s[4:5]
; %bb.153:                              ;   in Loop: Header=BB8_7 Depth=1
	ds_write_b8 v0, v8 offset:3072
; %bb.154:                              ;   in Loop: Header=BB8_7 Depth=1
	s_or_b64 exec, exec, s[34:35]
	v_and_b32_e32 v2, v27, v9
	v_lshl_or_b32 v27, 2, v31, v2
	v_or_b32_e32 v33, v33, v4
	s_mov_b64 s[34:35], -1
	s_mov_b64 s[36:37], 0
	s_cmp_gt_i32 s8, 0
	s_mov_b64 s[42:43], 0
	s_mov_b64 s[44:45], -1
	s_waitcnt lgkmcnt(0)
	s_barrier
                                        ; implicit-def: $vgpr34
	s_cbranch_scc1 .LBB8_165
; %bb.155:                              ;   in Loop: Header=BB8_7 Depth=1
	s_mov_b64 s[44:45], 0
                                        ; implicit-def: $vgpr34
	s_and_saveexec_b64 s[46:47], s[16:17]
	s_cbranch_execz .LBB8_164
; %bb.156:                              ;   in Loop: Header=BB8_7 Depth=1
	v_mov_b32_e32 v2, v6
	v_mov_b32_e32 v16, v0
                                        ; implicit-def: $sgpr48_sgpr49
	s_branch .LBB8_159
.LBB8_157:                              ;   in Loop: Header=BB8_159 Depth=2
	s_or_b64 exec, exec, s[50:51]
	s_waitcnt lgkmcnt(0)
	s_barrier
	ds_read_u16 v3, v8 offset:3072
	s_mov_b64 s[50:51], -1
	s_waitcnt lgkmcnt(0)
	s_barrier
	v_cmp_ne_u32_sdwa s[52:53], v3, v8 src0_sel:BYTE_0 src1_sel:DWORD
	s_and_b64 vcc, exec, s[52:53]
	s_mov_b64 s[52:53], -1
	s_cbranch_vccz .LBB8_162
.LBB8_158:                              ;   in Loop: Header=BB8_159 Depth=2
	s_and_b64 s[50:51], exec, s[50:51]
	s_or_b64 s[42:43], s[50:51], s[42:43]
	s_andn2_b64 s[48:49], s[48:49], exec
	s_and_b64 s[50:51], s[52:53], exec
	s_or_b64 s[48:49], s[48:49], s[50:51]
	s_andn2_b64 exec, exec, s[42:43]
	s_cbranch_execz .LBB8_163
.LBB8_159:                              ;   Parent Loop BB8_7 Depth=1
                                        ; =>  This Inner Loop Header: Depth=2
	v_cmp_gt_i32_e32 vcc, s60, v16
	s_and_saveexec_b64 s[50:51], vcc
	s_cbranch_execz .LBB8_157
; %bb.160:                              ;   in Loop: Header=BB8_159 Depth=2
	v_ashrrev_i32_e32 v3, 31, v2
	v_lshl_add_u64 v[18:19], s[68:69], 0, v[2:3]
	global_load_ubyte v3, v[18:19], off
	s_waitcnt vmcnt(0)
	v_add_u32_sdwa v18, sext(v3), s7 dst_sel:DWORD dst_unused:UNUSED_PAD src0_sel:BYTE_0 src1_sel:DWORD
	v_and_b32_e32 v18, v18, v33
	v_cmp_eq_u32_e32 vcc, v18, v27
	s_and_b64 exec, exec, vcc
	s_cbranch_execz .LBB8_157
; %bb.161:                              ;   in Loop: Header=BB8_159 Depth=2
	v_lshlrev_b16_e32 v3, 8, v3
	v_or_b32_e32 v3, 1, v3
	ds_write_b16 v8, v3 offset:3072
	s_branch .LBB8_157
.LBB8_162:                              ;   in Loop: Header=BB8_159 Depth=2
	v_add_u32_e32 v16, s62, v16
	v_cmp_le_i32_e32 vcc, s86, v16
	v_add_u32_e32 v2, s84, v2
	s_mov_b64 s[52:53], 0
	s_orn2_b64 s[50:51], vcc, exec
	s_branch .LBB8_158
.LBB8_163:                              ;   in Loop: Header=BB8_7 Depth=1
	s_or_b64 exec, exec, s[42:43]
	v_lshrrev_b32_sdwa v34, v32, v3 dst_sel:DWORD dst_unused:UNUSED_PAD src0_sel:DWORD src1_sel:WORD_0
	s_and_b64 s[42:43], s[48:49], exec
.LBB8_164:                              ;   in Loop: Header=BB8_7 Depth=1
	s_or_b64 exec, exec, s[46:47]
.LBB8_165:                              ;   in Loop: Header=BB8_7 Depth=1
	s_and_b64 vcc, exec, s[44:45]
	s_cbranch_vccz .LBB8_176
; %bb.166:                              ;   in Loop: Header=BB8_7 Depth=1
	s_add_i32 s9, s8, s85
	s_abs_i32 s35, s9
	s_mul_hi_u32 s36, s35, s70
	s_mul_i32 s36, s36, s62
	s_sub_i32 s35, s35, s36
	s_ashr_i32 s34, s9, 31
	s_sub_i32 s36, s35, s62
	s_cmp_ge_u32 s35, s62
	s_cselect_b32 s35, s36, s35
	s_sub_i32 s36, s35, s62
	s_cmp_ge_u32 s35, s62
	s_cselect_b32 s35, s36, s35
	s_xor_b32 s35, s35, s34
	s_sub_i32 s34, s34, s35
	s_add_i32 s9, s9, s34
	v_cmp_gt_i32_e32 vcc, s9, v0
                                        ; implicit-def: $vgpr34
	s_and_saveexec_b64 s[34:35], vcc
	s_cbranch_execz .LBB8_175
; %bb.167:                              ;   in Loop: Header=BB8_7 Depth=1
	s_mov_b64 s[36:37], 0
	v_mov_b32_e32 v2, v0
                                        ; implicit-def: $sgpr44_sgpr45
	s_branch .LBB8_170
.LBB8_168:                              ;   in Loop: Header=BB8_170 Depth=2
	s_or_b64 exec, exec, s[46:47]
	s_waitcnt lgkmcnt(0)
	s_barrier
	ds_read_u16 v3, v8 offset:3072
	s_mov_b64 s[46:47], -1
	s_waitcnt lgkmcnt(0)
	s_barrier
	v_cmp_eq_u32_sdwa s[48:49], v3, v8 src0_sel:BYTE_0 src1_sel:DWORD
	s_and_b64 vcc, exec, s[48:49]
	s_mov_b64 s[48:49], -1
	s_cbranch_vccnz .LBB8_173
.LBB8_169:                              ;   in Loop: Header=BB8_170 Depth=2
	s_and_b64 s[46:47], exec, s[46:47]
	s_or_b64 s[36:37], s[46:47], s[36:37]
	s_andn2_b64 s[44:45], s[44:45], exec
	s_and_b64 s[46:47], s[48:49], exec
	s_or_b64 s[44:45], s[44:45], s[46:47]
	s_andn2_b64 exec, exec, s[36:37]
	s_cbranch_execz .LBB8_174
.LBB8_170:                              ;   Parent Loop BB8_7 Depth=1
                                        ; =>  This Inner Loop Header: Depth=2
	v_cmp_gt_i32_e32 vcc, s8, v2
	s_and_saveexec_b64 s[46:47], vcc
	s_cbranch_execz .LBB8_168
; %bb.171:                              ;   in Loop: Header=BB8_170 Depth=2
	ds_read_u8 v3, v2
	s_waitcnt lgkmcnt(0)
	v_add_u32_sdwa v16, sext(v3), s7 dst_sel:DWORD dst_unused:UNUSED_PAD src0_sel:BYTE_0 src1_sel:DWORD
	v_and_b32_e32 v16, v16, v33
	v_cmp_eq_u32_e32 vcc, v16, v27
	s_and_b64 exec, exec, vcc
	s_cbranch_execz .LBB8_168
; %bb.172:                              ;   in Loop: Header=BB8_170 Depth=2
	v_lshlrev_b16_e32 v3, 8, v3
	v_or_b32_e32 v3, 1, v3
	ds_write_b16 v8, v3 offset:3072
	s_branch .LBB8_168
.LBB8_173:                              ;   in Loop: Header=BB8_170 Depth=2
	v_add_u32_e32 v2, s62, v2
	v_cmp_le_i32_e32 vcc, s9, v2
	s_mov_b64 s[48:49], 0
	s_orn2_b64 s[46:47], vcc, exec
	s_branch .LBB8_169
.LBB8_174:                              ;   in Loop: Header=BB8_7 Depth=1
	s_or_b64 exec, exec, s[36:37]
	s_andn2_b64 s[8:9], s[42:43], exec
	s_and_b64 s[36:37], s[44:45], exec
	v_lshrrev_b32_sdwa v34, v32, v3 dst_sel:DWORD dst_unused:UNUSED_PAD src0_sel:DWORD src1_sel:WORD_0
	s_or_b64 s[42:43], s[8:9], s[36:37]
.LBB8_175:                              ;   in Loop: Header=BB8_7 Depth=1
	s_or_b64 exec, exec, s[34:35]
	s_mov_b64 s[34:35], 0
	s_mov_b64 s[36:37], -1
.LBB8_176:                              ;   in Loop: Header=BB8_7 Depth=1
	s_orn2_b64 s[42:43], s[42:43], exec
.LBB8_177:                              ;   in Loop: Header=BB8_7 Depth=1
	s_or_b64 exec, exec, s[38:39]
	s_mov_b64 s[44:45], 0
	s_and_saveexec_b64 s[38:39], s[42:43]
	s_cbranch_execz .LBB8_227
; %bb.178:                              ;   in Loop: Header=BB8_7 Depth=1
	s_xor_b64 s[8:9], s[40:41], -1
	s_mov_b64 s[48:49], 0
	v_mov_b32_e32 v16, 1
	v_mov_b32_e32 v5, 1
	s_and_saveexec_b64 s[40:41], s[8:9]
	s_cbranch_execz .LBB8_187
; %bb.179:                              ;   in Loop: Header=BB8_7 Depth=1
	v_cmp_ge_i32_e32 vcc, s54, v17
	s_and_saveexec_b64 s[8:9], vcc
	s_xor_b64 s[42:43], exec, s[8:9]
	s_cbranch_execz .LBB8_184
; %bb.180:                              ;   in Loop: Header=BB8_7 Depth=1
	ds_read_b32 v2, v8 offset:4096
	v_and_b32_e32 v3, v27, v9
	v_lshl_or_b32 v27, 2, v31, v3
	v_or_b32_e32 v33, v33, v4
	s_waitcnt lgkmcnt(0)
	v_cmp_ne_u32_e32 vcc, 0, v2
	s_cbranch_vccnz .LBB8_184
; %bb.181:                              ;   in Loop: Header=BB8_7 Depth=1
	s_and_saveexec_b64 s[44:45], s[18:19]
; %bb.182:                              ;   in Loop: Header=BB8_7 Depth=1
	v_mov_b32_e32 v2, s54
	ds_write_b32 v8, v2 offset:4100
; %bb.183:                              ;   in Loop: Header=BB8_7 Depth=1
	s_or_b64 exec, exec, s[44:45]
	s_waitcnt lgkmcnt(0)
	s_barrier
.LBB8_184:                              ;   in Loop: Header=BB8_7 Depth=1
	s_or_saveexec_b64 s[42:43], s[42:43]
	s_mov_b64 s[44:45], 0
	v_mov_b32_e32 v5, 8
	s_xor_b64 exec, exec, s[42:43]
; %bb.185:                              ;   in Loop: Header=BB8_7 Depth=1
	s_mov_b64 s[44:45], exec
	v_subrev_u32_e32 v17, s54, v17
	v_mov_b32_e32 v5, 0
; %bb.186:                              ;   in Loop: Header=BB8_7 Depth=1
	s_or_b64 exec, exec, s[42:43]
	s_and_b64 s[48:49], s[44:45], exec
	v_mov_b32_e32 v16, v17
.LBB8_187:                              ;   in Loop: Header=BB8_7 Depth=1
	s_or_b64 exec, exec, s[40:41]
	s_mov_b64 s[46:47], -1
                                        ; implicit-def: $sgpr44_sgpr45
                                        ; implicit-def: $sgpr42_sgpr43
	s_and_saveexec_b64 s[40:41], s[48:49]
	s_cbranch_execz .LBB8_226
; %bb.188:                              ;   in Loop: Header=BB8_7 Depth=1
	s_cmp_eq_u32 s82, 1
	s_cselect_b64 s[8:9], -1, 0
	v_cmp_eq_u32_e32 vcc, 1, v16
	s_and_b64 s[46:47], s[8:9], vcc
	s_mov_b64 s[50:51], -1
                                        ; implicit-def: $sgpr44_sgpr45
                                        ; implicit-def: $sgpr42_sgpr43
	s_and_saveexec_b64 s[48:49], s[46:47]
	s_cbranch_execz .LBB8_214
; %bb.189:                              ;   in Loop: Header=BB8_7 Depth=1
	ds_read_b32 v2, v8 offset:4096
	s_waitcnt lgkmcnt(0)
	s_barrier
	v_readfirstlane_b32 s8, v2
	s_and_saveexec_b64 s[42:43], s[4:5]
; %bb.190:                              ;   in Loop: Header=BB8_7 Depth=1
	ds_write_b8 v0, v8 offset:3072
; %bb.191:                              ;   in Loop: Header=BB8_7 Depth=1
	s_or_b64 exec, exec, s[42:43]
	v_or_b32_e32 v27, v27, v4
	v_or_b32_e32 v33, v33, v4
	s_mov_b64 s[42:43], -1
	s_mov_b64 s[44:45], 0
	s_cmp_gt_i32 s8, 0
	s_mov_b64 s[50:51], 0
	s_mov_b64 s[52:53], -1
	s_waitcnt lgkmcnt(0)
	s_barrier
                                        ; implicit-def: $vgpr34
	s_cbranch_scc1 .LBB8_202
; %bb.192:                              ;   in Loop: Header=BB8_7 Depth=1
	s_mov_b64 s[52:53], 0
                                        ; implicit-def: $vgpr34
	s_and_saveexec_b64 s[54:55], s[16:17]
	s_cbranch_execz .LBB8_201
; %bb.193:                              ;   in Loop: Header=BB8_7 Depth=1
	v_mov_b32_e32 v2, v6
	v_mov_b32_e32 v9, v0
                                        ; implicit-def: $sgpr56_sgpr57
	s_branch .LBB8_196
.LBB8_194:                              ;   in Loop: Header=BB8_196 Depth=2
	s_or_b64 exec, exec, s[58:59]
	s_waitcnt lgkmcnt(0)
	s_barrier
	ds_read_u16 v3, v8 offset:3072
	s_mov_b64 s[58:59], -1
	s_waitcnt lgkmcnt(0)
	s_barrier
	v_cmp_ne_u32_sdwa s[66:67], v3, v8 src0_sel:BYTE_0 src1_sel:DWORD
	s_and_b64 vcc, exec, s[66:67]
	s_mov_b64 s[66:67], -1
	s_cbranch_vccz .LBB8_199
.LBB8_195:                              ;   in Loop: Header=BB8_196 Depth=2
	s_and_b64 s[58:59], exec, s[58:59]
	s_or_b64 s[50:51], s[58:59], s[50:51]
	s_andn2_b64 s[56:57], s[56:57], exec
	s_and_b64 s[58:59], s[66:67], exec
	s_or_b64 s[56:57], s[56:57], s[58:59]
	s_andn2_b64 exec, exec, s[50:51]
	s_cbranch_execz .LBB8_200
.LBB8_196:                              ;   Parent Loop BB8_7 Depth=1
                                        ; =>  This Inner Loop Header: Depth=2
	v_cmp_gt_i32_e32 vcc, s60, v9
	s_and_saveexec_b64 s[58:59], vcc
	s_cbranch_execz .LBB8_194
; %bb.197:                              ;   in Loop: Header=BB8_196 Depth=2
	v_ashrrev_i32_e32 v3, 31, v2
	v_lshl_add_u64 v[18:19], s[68:69], 0, v[2:3]
	global_load_ubyte v3, v[18:19], off
	s_waitcnt vmcnt(0)
	v_add_u32_sdwa v17, sext(v3), s7 dst_sel:DWORD dst_unused:UNUSED_PAD src0_sel:BYTE_0 src1_sel:DWORD
	v_and_b32_e32 v17, v17, v33
	v_cmp_eq_u32_e32 vcc, v17, v27
	s_and_b64 exec, exec, vcc
	s_cbranch_execz .LBB8_194
; %bb.198:                              ;   in Loop: Header=BB8_196 Depth=2
	v_lshlrev_b16_e32 v3, 8, v3
	v_or_b32_e32 v3, 1, v3
	ds_write_b16 v8, v3 offset:3072
	s_branch .LBB8_194
.LBB8_199:                              ;   in Loop: Header=BB8_196 Depth=2
	v_add_u32_e32 v9, s62, v9
	v_cmp_le_i32_e32 vcc, s86, v9
	v_add_u32_e32 v2, s84, v2
	s_mov_b64 s[66:67], 0
	s_orn2_b64 s[58:59], vcc, exec
	s_branch .LBB8_195
.LBB8_200:                              ;   in Loop: Header=BB8_7 Depth=1
	s_or_b64 exec, exec, s[50:51]
	v_lshrrev_b32_sdwa v34, v32, v3 dst_sel:DWORD dst_unused:UNUSED_PAD src0_sel:DWORD src1_sel:WORD_0
	s_and_b64 s[50:51], s[56:57], exec
.LBB8_201:                              ;   in Loop: Header=BB8_7 Depth=1
	s_or_b64 exec, exec, s[54:55]
.LBB8_202:                              ;   in Loop: Header=BB8_7 Depth=1
	s_and_b64 vcc, exec, s[52:53]
	s_cbranch_vccz .LBB8_213
; %bb.203:                              ;   in Loop: Header=BB8_7 Depth=1
	s_add_i32 s9, s8, s85
	s_abs_i32 s43, s9
	s_mul_hi_u32 s44, s43, s70
	s_mul_i32 s44, s44, s62
	s_sub_i32 s43, s43, s44
	s_ashr_i32 s42, s9, 31
	s_sub_i32 s44, s43, s62
	s_cmp_ge_u32 s43, s62
	s_cselect_b32 s43, s44, s43
	s_sub_i32 s44, s43, s62
	s_cmp_ge_u32 s43, s62
	s_cselect_b32 s43, s44, s43
	s_xor_b32 s43, s43, s42
	s_sub_i32 s42, s42, s43
	s_add_i32 s9, s9, s42
	v_cmp_gt_i32_e32 vcc, s9, v0
                                        ; implicit-def: $vgpr34
	s_and_saveexec_b64 s[42:43], vcc
	s_cbranch_execz .LBB8_212
; %bb.204:                              ;   in Loop: Header=BB8_7 Depth=1
	s_mov_b64 s[44:45], 0
	v_mov_b32_e32 v2, v0
                                        ; implicit-def: $sgpr52_sgpr53
	s_branch .LBB8_207
.LBB8_205:                              ;   in Loop: Header=BB8_207 Depth=2
	s_or_b64 exec, exec, s[54:55]
	s_waitcnt lgkmcnt(0)
	s_barrier
	ds_read_u16 v3, v8 offset:3072
	s_mov_b64 s[54:55], -1
	s_waitcnt lgkmcnt(0)
	s_barrier
	v_cmp_eq_u32_sdwa s[56:57], v3, v8 src0_sel:BYTE_0 src1_sel:DWORD
	s_and_b64 vcc, exec, s[56:57]
	s_mov_b64 s[56:57], -1
	s_cbranch_vccnz .LBB8_210
.LBB8_206:                              ;   in Loop: Header=BB8_207 Depth=2
	s_and_b64 s[54:55], exec, s[54:55]
	s_or_b64 s[44:45], s[54:55], s[44:45]
	s_andn2_b64 s[52:53], s[52:53], exec
	s_and_b64 s[54:55], s[56:57], exec
	s_or_b64 s[52:53], s[52:53], s[54:55]
	s_andn2_b64 exec, exec, s[44:45]
	s_cbranch_execz .LBB8_211
.LBB8_207:                              ;   Parent Loop BB8_7 Depth=1
                                        ; =>  This Inner Loop Header: Depth=2
	v_cmp_gt_i32_e32 vcc, s8, v2
	s_and_saveexec_b64 s[54:55], vcc
	s_cbranch_execz .LBB8_205
; %bb.208:                              ;   in Loop: Header=BB8_207 Depth=2
	ds_read_u8 v3, v2
	s_waitcnt lgkmcnt(0)
	v_add_u32_sdwa v9, sext(v3), s7 dst_sel:DWORD dst_unused:UNUSED_PAD src0_sel:BYTE_0 src1_sel:DWORD
	v_and_b32_e32 v9, v9, v33
	v_cmp_eq_u32_e32 vcc, v9, v27
	s_and_b64 exec, exec, vcc
	s_cbranch_execz .LBB8_205
; %bb.209:                              ;   in Loop: Header=BB8_207 Depth=2
	v_lshlrev_b16_e32 v3, 8, v3
	v_or_b32_e32 v3, 1, v3
	ds_write_b16 v8, v3 offset:3072
	s_branch .LBB8_205
.LBB8_210:                              ;   in Loop: Header=BB8_207 Depth=2
	v_add_u32_e32 v2, s62, v2
	v_cmp_le_i32_e32 vcc, s9, v2
	s_mov_b64 s[56:57], 0
	s_orn2_b64 s[54:55], vcc, exec
	s_branch .LBB8_206
.LBB8_211:                              ;   in Loop: Header=BB8_7 Depth=1
	s_or_b64 exec, exec, s[44:45]
	s_andn2_b64 s[8:9], s[50:51], exec
	s_and_b64 s[44:45], s[52:53], exec
	v_lshrrev_b32_sdwa v34, v32, v3 dst_sel:DWORD dst_unused:UNUSED_PAD src0_sel:DWORD src1_sel:WORD_0
	s_or_b64 s[50:51], s[8:9], s[44:45]
.LBB8_212:                              ;   in Loop: Header=BB8_7 Depth=1
	s_or_b64 exec, exec, s[42:43]
	s_mov_b64 s[42:43], 0
	s_mov_b64 s[44:45], -1
.LBB8_213:                              ;   in Loop: Header=BB8_7 Depth=1
	s_orn2_b64 s[50:51], s[50:51], exec
.LBB8_214:                              ;   in Loop: Header=BB8_7 Depth=1
	s_or_b64 exec, exec, s[48:49]
	s_mov_b64 s[52:53], 0
	s_and_saveexec_b64 s[48:49], s[50:51]
	s_cbranch_execz .LBB8_225
; %bb.215:                              ;   in Loop: Header=BB8_7 Depth=1
	s_xor_b64 s[8:9], s[46:47], -1
	v_mov_b32_e32 v5, 1
	v_mov_b32_e32 v2, 1
	s_and_saveexec_b64 s[46:47], s[8:9]
	s_cbranch_execz .LBB8_224
; %bb.216:                              ;   in Loop: Header=BB8_7 Depth=1
	v_cmp_ge_i32_e32 vcc, s82, v16
	s_and_saveexec_b64 s[8:9], vcc
	s_xor_b64 s[50:51], exec, s[8:9]
	s_cbranch_execz .LBB8_221
; %bb.217:                              ;   in Loop: Header=BB8_7 Depth=1
	ds_read_b32 v2, v8 offset:4096
	v_or_b32_e32 v27, v27, v4
	v_or_b32_e32 v33, v33, v4
	s_waitcnt lgkmcnt(0)
	v_cmp_ne_u32_e32 vcc, 0, v2
	s_cbranch_vccnz .LBB8_221
; %bb.218:                              ;   in Loop: Header=BB8_7 Depth=1
	s_and_saveexec_b64 s[52:53], s[18:19]
; %bb.219:                              ;   in Loop: Header=BB8_7 Depth=1
	v_mov_b32_e32 v2, s82
	ds_write_b32 v8, v2 offset:4100
; %bb.220:                              ;   in Loop: Header=BB8_7 Depth=1
	s_or_b64 exec, exec, s[52:53]
	s_waitcnt lgkmcnt(0)
	s_barrier
.LBB8_221:                              ;   in Loop: Header=BB8_7 Depth=1
	s_andn2_saveexec_b64 s[50:51], s[50:51]
; %bb.222:                              ;   in Loop: Header=BB8_7 Depth=1
	v_subrev_u32_e32 v16, s82, v16
; %bb.223:                              ;   in Loop: Header=BB8_7 Depth=1
	s_or_b64 exec, exec, s[50:51]
	v_mov_b32_e32 v5, 8
	v_mov_b32_e32 v2, v16
.LBB8_224:                              ;   in Loop: Header=BB8_7 Depth=1
	s_or_b64 exec, exec, s[46:47]
	s_mov_b64 s[52:53], exec
	v_mov_b32_e32 v16, v2
.LBB8_225:                              ;   in Loop: Header=BB8_7 Depth=1
	s_or_b64 exec, exec, s[48:49]
	s_orn2_b64 s[46:47], s[52:53], exec
.LBB8_226:                              ;   in Loop: Header=BB8_7 Depth=1
	s_or_b64 exec, exec, s[40:41]
	s_andn2_b64 s[8:9], s[36:37], exec
	s_and_b64 s[36:37], s[44:45], exec
	s_or_b64 s[36:37], s[8:9], s[36:37]
	s_andn2_b64 s[8:9], s[34:35], exec
	s_and_b64 s[34:35], s[42:43], exec
	s_or_b64 s[34:35], s[8:9], s[34:35]
	s_and_b64 s[44:45], s[46:47], exec
	v_mov_b32_e32 v17, v16
.LBB8_227:                              ;   in Loop: Header=BB8_7 Depth=1
	s_or_b64 exec, exec, s[38:39]
	s_orn2_b64 s[38:39], s[44:45], exec
.LBB8_228:                              ;   in Loop: Header=BB8_7 Depth=1
	s_or_b64 exec, exec, s[30:31]
	s_andn2_b64 s[8:9], s[26:27], exec
	s_and_b64 s[26:27], s[36:37], exec
	s_or_b64 s[26:27], s[8:9], s[26:27]
	s_andn2_b64 s[8:9], s[24:25], exec
	s_and_b64 s[24:25], s[34:35], exec
	s_or_b64 s[24:25], s[8:9], s[24:25]
	s_and_b64 s[36:37], s[38:39], exec
	v_mov_b32_e32 v16, v17
.LBB8_229:                              ;   in Loop: Header=BB8_7 Depth=1
	s_or_b64 exec, exec, s[28:29]
	s_orn2_b64 s[28:29], s[36:37], exec
.LBB8_230:                              ;   in Loop: Header=BB8_7 Depth=1
	s_or_b64 exec, exec, s[22:23]
	s_mov_b64 s[30:31], 0
                                        ; implicit-def: $sgpr34
	s_and_saveexec_b64 s[8:9], s[28:29]
	s_xor_b64 s[22:23], exec, s[8:9]
	s_cbranch_execz .LBB8_5
; %bb.231:                              ;   in Loop: Header=BB8_7 Depth=1
	v_and_b32_e32 v2, 7, v5
	v_cmp_eq_u32_e32 vcc, 0, v2
	s_mov_b64 s[20:21], -1
	s_mov_b64 s[28:29], -1
                                        ; implicit-def: $sgpr34
	s_and_saveexec_b64 s[30:31], vcc
	s_cbranch_execz .LBB8_4
; %bb.232:                              ;   in Loop: Header=BB8_7 Depth=1
	v_add_u32_e32 v2, -2, v31
	v_cmp_eq_u32_e32 vcc, 0, v31
	s_xor_b32 s34, s61, 1
	s_xor_b64 s[28:29], exec, -1
	s_orn2_b64 s[20:21], vcc, exec
	v_mov_b32_e32 v31, v2
	s_branch .LBB8_4
.LBB8_233:
	s_or_b64 exec, exec, s[88:89]
	s_xor_b64 s[6:7], s[94:95], -1
	s_xor_b64 s[0:1], s[90:91], -1
	;; [unrolled: 1-line block ×3, first 2 shown]
	s_mov_b64 s[2:3], 0
	s_and_saveexec_b64 s[8:9], s[0:1]
	s_xor_b64 s[0:1], exec, s[8:9]
	s_cbranch_execnz .LBB8_238
; %bb.234:
	s_andn2_saveexec_b64 s[0:1], s[0:1]
	s_cbranch_execnz .LBB8_258
.LBB8_235:
	s_or_b64 exec, exec, s[0:1]
	s_and_saveexec_b64 s[0:1], s[2:3]
.LBB8_236:
	; divergent unreachable
.LBB8_237:
	s_endpgm
.LBB8_238:
	s_and_saveexec_b64 s[2:3], s[6:7]
	s_xor_b64 s[2:3], exec, s[2:3]
	s_cbranch_execz .LBB8_256
; %bb.239:
	s_and_saveexec_b64 s[6:7], s[4:5]
	s_xor_b64 s[4:5], exec, s[6:7]
; %bb.240:
	v_xor_b32_e32 v34, 0xffffff80, v27
; %bb.241:
	s_or_b64 exec, exec, s[4:5]
	s_and_saveexec_b64 s[4:5], s[18:19]
	v_readlane_b32 s20, v50, 6
; %bb.242:
	v_mov_b32_e32 v1, 0
	v_mov_b32_e32 v2, s60
	ds_write_b32 v1, v2 offset:4108
; %bb.243:
	s_or_b64 exec, exec, s[4:5]
	v_mov_b32_e32 v1, 0
	s_waitcnt lgkmcnt(0)
	s_barrier
	ds_read_b32 v1, v1 offset:4108
	s_waitcnt lgkmcnt(0)
	v_min_i32_e32 v2, s60, v1
	v_cmp_lt_i32_e32 vcc, v0, v2
	s_and_saveexec_b64 s[4:5], vcc
	s_cbranch_execz .LBB8_253
; %bb.244:
	s_mov_b64 s[6:7], 0
                                        ; implicit-def: $sgpr8_sgpr9
                                        ; implicit-def: $sgpr12_sgpr13
                                        ; implicit-def: $sgpr10_sgpr11
	s_branch .LBB8_246
.LBB8_245:                              ;   in Loop: Header=BB8_246 Depth=1
	s_or_b64 exec, exec, s[14:15]
	s_and_b64 s[14:15], exec, s[12:13]
	s_or_b64 s[6:7], s[14:15], s[6:7]
	s_andn2_b64 s[8:9], s[8:9], exec
	s_and_b64 s[14:15], s[10:11], exec
	s_or_b64 s[8:9], s[8:9], s[14:15]
	s_andn2_b64 exec, exec, s[6:7]
	s_cbranch_execz .LBB8_248
.LBB8_246:                              ; =>This Inner Loop Header: Depth=1
	v_ashrrev_i32_e32 v7, 31, v6
	v_lshl_add_u64 v[4:5], s[68:69], 0, v[6:7]
	global_load_ubyte v3, v[4:5], off
	v_mov_b32_e32 v1, v0
	s_or_b64 s[10:11], s[10:11], exec
	s_or_b64 s[12:13], s[12:13], exec
                                        ; implicit-def: $vgpr0
	s_waitcnt vmcnt(0)
	v_cmp_ne_u16_sdwa s[16:17], v3, v34 src0_sel:DWORD src1_sel:BYTE_0
	s_and_saveexec_b64 s[14:15], s[16:17]
	s_cbranch_execz .LBB8_245
; %bb.247:                              ;   in Loop: Header=BB8_246 Depth=1
	v_add_u32_e32 v0, s62, v1
	v_cmp_ge_i32_e32 vcc, v0, v2
	s_andn2_b64 s[12:13], s[12:13], exec
	s_and_b64 s[16:17], vcc, exec
	v_add_u32_e32 v6, s84, v6
	s_andn2_b64 s[10:11], s[10:11], exec
	s_or_b64 s[12:13], s[12:13], s[16:17]
	s_branch .LBB8_245
.LBB8_248:
	s_or_b64 exec, exec, s[6:7]
	s_and_saveexec_b64 s[6:7], s[8:9]
	s_xor_b64 s[6:7], exec, s[6:7]
	s_cbranch_execz .LBB8_253
; %bb.249:
	s_mov_b64 s[6:7], exec
	s_brev_b32 s8, -2
.LBB8_250:                              ; =>This Inner Loop Header: Depth=1
	s_ff1_i32_b64 s9, s[6:7]
	v_readlane_b32 s12, v1, s9
	s_lshl_b64 s[10:11], 1, s9
	s_min_i32 s8, s8, s12
	s_andn2_b64 s[6:7], s[6:7], s[10:11]
	s_cmp_lg_u64 s[6:7], 0
	s_cbranch_scc1 .LBB8_250
; %bb.251:
	v_mbcnt_lo_u32_b32 v0, exec_lo, 0
	v_mbcnt_hi_u32_b32 v0, exec_hi, v0
	v_cmp_eq_u32_e32 vcc, 0, v0
	s_and_saveexec_b64 s[6:7], vcc
	s_xor_b64 s[6:7], exec, s[6:7]
; %bb.252:
	v_mov_b32_e32 v0, 0
	v_mov_b32_e32 v1, s8
	ds_min_i32 v0, v1 offset:4108
.LBB8_253:
	s_or_b64 exec, exec, s[4:5]
	s_waitcnt lgkmcnt(0)
	s_barrier
	s_and_saveexec_b64 s[4:5], s[18:19]
	s_cbranch_execz .LBB8_255
; %bb.254:
	v_readlane_b32 s6, v50, 5
	s_mul_i32 s7, s6, s20
	v_mov_b32_e32 v2, 0
	v_readlane_b32 s6, v50, 4
	s_ashr_i32 s9, s7, 31
	v_readlane_b32 s10, v50, 2
	ds_read_b32 v0, v2 offset:4108
	s_mul_i32 s6, s6, s20
	v_readlane_b32 s11, v50, 3
	s_add_u32 s8, s10, s7
	s_addc_u32 s9, s11, s9
	s_ashr_i32 s7, s6, 31
	s_lshl_b64 s[6:7], s[6:7], 3
	v_readlane_b32 s10, v50, 0
	v_readlane_b32 s11, v50, 1
	s_add_u32 s6, s10, s6
	s_addc_u32 s7, s11, s7
	s_waitcnt lgkmcnt(0)
	v_ashrrev_i32_e32 v1, 31, v0
	global_store_dwordx2 v2, v[0:1], s[6:7]
	global_store_byte v2, v34, s[8:9]
.LBB8_255:
	s_or_b64 exec, exec, s[4:5]
.LBB8_256:
	s_or_saveexec_b64 s[2:3], s[2:3]
	s_mov_b64 s[4:5], 0
	s_xor_b64 exec, exec, s[2:3]
	s_cbranch_execnz .LBB8_259
.LBB8_257:
	s_or_b64 exec, exec, s[2:3]
	s_and_b64 s[2:3], s[4:5], exec
	s_andn2_saveexec_b64 s[0:1], s[0:1]
	s_cbranch_execz .LBB8_235
.LBB8_258:
	s_or_b64 s[2:3], s[2:3], exec
	s_trap 2
	s_or_b64 exec, exec, s[0:1]
	s_and_saveexec_b64 s[0:1], s[2:3]
	s_cbranch_execnz .LBB8_236
	s_branch .LBB8_237
.LBB8_259:
	s_mov_b64 s[4:5], exec
	s_trap 2
	s_branch .LBB8_257
	.section	.rodata,"a",@progbits
	.p2align	6, 0x0
	.amdhsa_kernel _ZN2at6native12_GLOBAL__N_114gatherKthValueIaiLi1EEEvNS_4cuda6detail10TensorInfoIKT_T0_EES8_S8_S8_S8_NS5_IS6_S8_EENS5_IlS8_EE
		.amdhsa_group_segment_fixed_size 4112
		.amdhsa_private_segment_fixed_size 0
		.amdhsa_kernarg_size 920
		.amdhsa_user_sgpr_count 2
		.amdhsa_user_sgpr_dispatch_ptr 0
		.amdhsa_user_sgpr_queue_ptr 0
		.amdhsa_user_sgpr_kernarg_segment_ptr 1
		.amdhsa_user_sgpr_dispatch_id 0
		.amdhsa_user_sgpr_kernarg_preload_length 0
		.amdhsa_user_sgpr_kernarg_preload_offset 0
		.amdhsa_user_sgpr_private_segment_size 0
		.amdhsa_uses_dynamic_stack 0
		.amdhsa_enable_private_segment 0
		.amdhsa_system_sgpr_workgroup_id_x 1
		.amdhsa_system_sgpr_workgroup_id_y 1
		.amdhsa_system_sgpr_workgroup_id_z 1
		.amdhsa_system_sgpr_workgroup_info 0
		.amdhsa_system_vgpr_workitem_id 0
		.amdhsa_next_free_vgpr 51
		.amdhsa_next_free_sgpr 100
		.amdhsa_accum_offset 52
		.amdhsa_reserve_vcc 1
		.amdhsa_float_round_mode_32 0
		.amdhsa_float_round_mode_16_64 0
		.amdhsa_float_denorm_mode_32 3
		.amdhsa_float_denorm_mode_16_64 3
		.amdhsa_dx10_clamp 1
		.amdhsa_ieee_mode 1
		.amdhsa_fp16_overflow 0
		.amdhsa_tg_split 0
		.amdhsa_exception_fp_ieee_invalid_op 0
		.amdhsa_exception_fp_denorm_src 0
		.amdhsa_exception_fp_ieee_div_zero 0
		.amdhsa_exception_fp_ieee_overflow 0
		.amdhsa_exception_fp_ieee_underflow 0
		.amdhsa_exception_fp_ieee_inexact 0
		.amdhsa_exception_int_div_zero 0
	.end_amdhsa_kernel
	.section	.text._ZN2at6native12_GLOBAL__N_114gatherKthValueIaiLi1EEEvNS_4cuda6detail10TensorInfoIKT_T0_EES8_S8_S8_S8_NS5_IS6_S8_EENS5_IlS8_EE,"axG",@progbits,_ZN2at6native12_GLOBAL__N_114gatherKthValueIaiLi1EEEvNS_4cuda6detail10TensorInfoIKT_T0_EES8_S8_S8_S8_NS5_IS6_S8_EENS5_IlS8_EE,comdat
.Lfunc_end8:
	.size	_ZN2at6native12_GLOBAL__N_114gatherKthValueIaiLi1EEEvNS_4cuda6detail10TensorInfoIKT_T0_EES8_S8_S8_S8_NS5_IS6_S8_EENS5_IlS8_EE, .Lfunc_end8-_ZN2at6native12_GLOBAL__N_114gatherKthValueIaiLi1EEEvNS_4cuda6detail10TensorInfoIKT_T0_EES8_S8_S8_S8_NS5_IS6_S8_EENS5_IlS8_EE
                                        ; -- End function
	.set _ZN2at6native12_GLOBAL__N_114gatherKthValueIaiLi1EEEvNS_4cuda6detail10TensorInfoIKT_T0_EES8_S8_S8_S8_NS5_IS6_S8_EENS5_IlS8_EE.num_vgpr, 51
	.set _ZN2at6native12_GLOBAL__N_114gatherKthValueIaiLi1EEEvNS_4cuda6detail10TensorInfoIKT_T0_EES8_S8_S8_S8_NS5_IS6_S8_EENS5_IlS8_EE.num_agpr, 0
	.set _ZN2at6native12_GLOBAL__N_114gatherKthValueIaiLi1EEEvNS_4cuda6detail10TensorInfoIKT_T0_EES8_S8_S8_S8_NS5_IS6_S8_EENS5_IlS8_EE.numbered_sgpr, 100
	.set _ZN2at6native12_GLOBAL__N_114gatherKthValueIaiLi1EEEvNS_4cuda6detail10TensorInfoIKT_T0_EES8_S8_S8_S8_NS5_IS6_S8_EENS5_IlS8_EE.num_named_barrier, 0
	.set _ZN2at6native12_GLOBAL__N_114gatherKthValueIaiLi1EEEvNS_4cuda6detail10TensorInfoIKT_T0_EES8_S8_S8_S8_NS5_IS6_S8_EENS5_IlS8_EE.private_seg_size, 0
	.set _ZN2at6native12_GLOBAL__N_114gatherKthValueIaiLi1EEEvNS_4cuda6detail10TensorInfoIKT_T0_EES8_S8_S8_S8_NS5_IS6_S8_EENS5_IlS8_EE.uses_vcc, 1
	.set _ZN2at6native12_GLOBAL__N_114gatherKthValueIaiLi1EEEvNS_4cuda6detail10TensorInfoIKT_T0_EES8_S8_S8_S8_NS5_IS6_S8_EENS5_IlS8_EE.uses_flat_scratch, 0
	.set _ZN2at6native12_GLOBAL__N_114gatherKthValueIaiLi1EEEvNS_4cuda6detail10TensorInfoIKT_T0_EES8_S8_S8_S8_NS5_IS6_S8_EENS5_IlS8_EE.has_dyn_sized_stack, 0
	.set _ZN2at6native12_GLOBAL__N_114gatherKthValueIaiLi1EEEvNS_4cuda6detail10TensorInfoIKT_T0_EES8_S8_S8_S8_NS5_IS6_S8_EENS5_IlS8_EE.has_recursion, 0
	.set _ZN2at6native12_GLOBAL__N_114gatherKthValueIaiLi1EEEvNS_4cuda6detail10TensorInfoIKT_T0_EES8_S8_S8_S8_NS5_IS6_S8_EENS5_IlS8_EE.has_indirect_call, 0
	.section	.AMDGPU.csdata,"",@progbits
; Kernel info:
; codeLenInByte = 8956
; TotalNumSgprs: 106
; NumVgprs: 51
; NumAgprs: 0
; TotalNumVgprs: 51
; ScratchSize: 0
; MemoryBound: 0
; FloatMode: 240
; IeeeMode: 1
; LDSByteSize: 4112 bytes/workgroup (compile time only)
; SGPRBlocks: 13
; VGPRBlocks: 6
; NumSGPRsForWavesPerEU: 106
; NumVGPRsForWavesPerEU: 51
; AccumOffset: 52
; Occupancy: 7
; WaveLimiterHint : 1
; COMPUTE_PGM_RSRC2:SCRATCH_EN: 0
; COMPUTE_PGM_RSRC2:USER_SGPR: 2
; COMPUTE_PGM_RSRC2:TRAP_HANDLER: 0
; COMPUTE_PGM_RSRC2:TGID_X_EN: 1
; COMPUTE_PGM_RSRC2:TGID_Y_EN: 1
; COMPUTE_PGM_RSRC2:TGID_Z_EN: 1
; COMPUTE_PGM_RSRC2:TIDIG_COMP_CNT: 0
; COMPUTE_PGM_RSRC3_GFX90A:ACCUM_OFFSET: 12
; COMPUTE_PGM_RSRC3_GFX90A:TG_SPLIT: 0
	.section	.text._ZN2at6native12_GLOBAL__N_114gatherKthValueIaiLi2EEEvNS_4cuda6detail10TensorInfoIKT_T0_EES8_S8_S8_S8_NS5_IS6_S8_EENS5_IlS8_EE,"axG",@progbits,_ZN2at6native12_GLOBAL__N_114gatherKthValueIaiLi2EEEvNS_4cuda6detail10TensorInfoIKT_T0_EES8_S8_S8_S8_NS5_IS6_S8_EENS5_IlS8_EE,comdat
	.globl	_ZN2at6native12_GLOBAL__N_114gatherKthValueIaiLi2EEEvNS_4cuda6detail10TensorInfoIKT_T0_EES8_S8_S8_S8_NS5_IS6_S8_EENS5_IlS8_EE ; -- Begin function _ZN2at6native12_GLOBAL__N_114gatherKthValueIaiLi2EEEvNS_4cuda6detail10TensorInfoIKT_T0_EES8_S8_S8_S8_NS5_IS6_S8_EENS5_IlS8_EE
	.p2align	8
	.type	_ZN2at6native12_GLOBAL__N_114gatherKthValueIaiLi2EEEvNS_4cuda6detail10TensorInfoIKT_T0_EES8_S8_S8_S8_NS5_IS6_S8_EENS5_IlS8_EE,@function
_ZN2at6native12_GLOBAL__N_114gatherKthValueIaiLi2EEEvNS_4cuda6detail10TensorInfoIKT_T0_EES8_S8_S8_S8_NS5_IS6_S8_EENS5_IlS8_EE: ; @_ZN2at6native12_GLOBAL__N_114gatherKthValueIaiLi2EEEvNS_4cuda6detail10TensorInfoIKT_T0_EES8_S8_S8_S8_NS5_IS6_S8_EENS5_IlS8_EE
; %bb.0:
	s_load_dwordx2 s[12:13], s[0:1], 0x298
	s_load_dwordx4 s[60:63], s[0:1], 0xd8
	s_add_u32 s10, s0, 0x298
	s_addc_u32 s11, s1, 0
	s_waitcnt lgkmcnt(0)
	s_mul_i32 s4, s13, s4
	s_add_i32 s3, s4, s3
	s_mul_i32 s3, s3, s12
	s_add_i32 s18, s3, s2
	s_cmp_ge_i32 s18, s62
	s_cbranch_scc1 .LBB9_237
; %bb.1:
	s_load_dword s3, s[0:1], 0xc
	s_load_dwordx2 s[4:5], s[0:1], 0xe8
                                        ; implicit-def: $vgpr50 : SGPR spill to VGPR lane
                                        ; kill: killed $sgpr0 killed $sgpr1
	s_abs_i32 s21, s18
	s_ashr_i32 s20, s18, 31
	s_load_dword s22, s[0:1], 0xf4
	s_waitcnt lgkmcnt(0)
	s_abs_i32 s13, s3
	v_writelane_b32 v50, s4, 0
	v_cvt_f32_u32_e32 v1, s13
	s_ashr_i32 s14, s3, 31
	v_writelane_b32 v50, s5, 1
	s_load_dwordx2 s[6:7], s[0:1], 0x6c
	s_load_dwordx2 s[4:5], s[0:1], 0x0
	;; [unrolled: 1-line block ×3, first 2 shown]
	v_rcp_iflag_f32_e32 v1, v1
	s_waitcnt lgkmcnt(0)
	v_writelane_b32 v50, s8, 2
	s_nop 1
	v_writelane_b32 v50, s9, 3
	s_load_dword s19, s[0:1], 0x1cc
	s_load_dwordx2 s[8:9], s[0:1], 0x1c0
	v_mul_f32_e32 v1, 0x4f7ffffe, v1
	v_cvt_u32_f32_e32 v1, v1
	s_waitcnt lgkmcnt(0)
	v_writelane_b32 v50, s8, 4
	s_nop 1
	v_writelane_b32 v50, s9, 5
	s_load_dwordx2 s[8:9], s[0:1], 0x154
	v_readfirstlane_b32 s1, v1
	s_sub_i32 s0, 0, s13
	s_mul_i32 s0, s0, s1
	s_mul_hi_u32 s0, s1, s0
	s_waitcnt lgkmcnt(0)
	v_writelane_b32 v50, s8, 6
	s_add_i32 s1, s1, s0
	s_mul_hi_u32 s15, s21, s1
	v_writelane_b32 v50, s9, 7
	s_abs_i32 s9, s22
	v_cvt_f32_u32_e32 v2, s9
	s_abs_i32 s8, s19
	s_sub_i32 s0, 0, s9
	v_writelane_b32 v50, s9, 8
	v_rcp_iflag_f32_e32 v1, v2
	v_cvt_f32_u32_e32 v2, s8
	v_mul_f32_e32 v1, 0x4f7ffffe, v1
	v_cvt_u32_f32_e32 v1, v1
	v_rcp_iflag_f32_e32 v2, v2
	v_readfirstlane_b32 s1, v1
	v_mul_f32_e32 v1, 0x4f7ffffe, v2
	s_mul_i32 s0, s0, s1
	v_cvt_u32_f32_e32 v1, v1
	s_mul_hi_u32 s0, s1, s0
	s_add_i32 s1, s1, s0
	s_mul_hi_u32 s0, s21, s1
	v_writelane_b32 v50, s0, 9
	s_sub_i32 s0, 0, s8
	v_readfirstlane_b32 s1, v1
	s_mul_i32 s0, s0, s1
	s_mul_hi_u32 s0, s1, s0
	s_add_i32 s1, s1, s0
	v_writelane_b32 v50, s8, 10
	s_mul_hi_u32 s0, s21, s1
	v_writelane_b32 v50, s0, 11
	v_cmp_eq_u32_e64 s[0:1], 0, v0
	s_and_saveexec_b64 s[8:9], s[0:1]
; %bb.2:
	v_mov_b32_e32 v2, 0
	v_mov_b32_e32 v3, s60
	;; [unrolled: 1-line block ×3, first 2 shown]
	ds_write_b96 v2, v[2:4] offset:4096
; %bb.3:
	s_or_b64 exec, exec, s[8:9]
	v_writelane_b32 v50, s22, 12
	s_ashr_i32 s8, s22, 31
	v_writelane_b32 v50, s8, 13
	s_mul_i32 s9, s15, s13
	v_writelane_b32 v50, s19, 14
	s_ashr_i32 s8, s19, 31
	s_sub_i32 s9, s21, s9
	v_writelane_b32 v50, s8, 15
	s_xor_b32 s8, s20, s14
	s_add_i32 s14, s15, 1
	s_sub_i32 s16, s9, s13
	s_cmp_ge_u32 s9, s13
	s_cselect_b32 s14, s14, s15
	s_cselect_b32 s9, s16, s9
	s_add_i32 s15, s14, 1
	s_cmp_ge_u32 s9, s13
	s_cselect_b32 s9, s15, s14
	s_xor_b32 s9, s9, s8
	s_sub_i32 s8, s9, s8
	s_mul_i32 s3, s8, s3
	s_sub_i32 s3, s18, s3
	s_mul_i32 s3, s3, s7
	s_waitcnt lgkmcnt(0)
	s_barrier
	s_load_dword s7, s[10:11], 0xc
	s_mul_i32 s6, s8, s6
	s_add_i32 s6, s6, s3
	s_ashr_i32 s3, s6, 31
	s_add_u32 s72, s4, s6
	v_mbcnt_lo_u32_b32 v1, -1, 0
	s_addc_u32 s73, s5, s3
	s_waitcnt lgkmcnt(0)
	s_and_b32 s62, s7, 0xffff
	v_mbcnt_hi_u32_b32 v20, -1, v1
	v_cmp_gt_u32_e32 vcc, 64, v0
	v_cmp_gt_i32_e64 s[4:5], 4, v20
	s_add_i32 s90, s62, -1
	v_writelane_b32 v50, s20, 16
	s_lshl_b32 s89, s62, 2
	s_and_b64 s[76:77], vcc, s[4:5]
	s_add_i32 s91, s90, s60
	v_writelane_b32 v50, s21, 17
	s_cmpk_gt_i32 s60, 0xc00
	v_writelane_b32 v50, s18, 18
	s_cselect_b64 s[78:79], -1, 0
	v_cmp_gt_u32_e64 s[8:9], s60, v0
	s_cmp_gt_u32 s62, 63
	s_cselect_b64 s[80:81], -1, 0
	v_writelane_b32 v50, s8, 19
	s_cmp_lt_u32 s2, s12
	s_cselect_b32 s2, 12, 18
	v_writelane_b32 v50, s9, 20
	v_cmp_gt_i32_e64 s[8:9], s60, v0
	s_add_u32 s2, s10, s2
	s_addc_u32 s3, s11, 0
	v_writelane_b32 v50, s8, 21
	s_bfe_u32 s6, s7, 0xa0006
	v_lshlrev_b64 v[2:3], v20, -1
	v_writelane_b32 v50, s9, 22
	v_writelane_b32 v50, s2, 23
	v_not_b32_e32 v12, v2
	v_lshrrev_b32_e32 v2, 2, v0
	v_writelane_b32 v50, s3, 24
	s_add_i32 s2, s6, -2
	s_lshr_b32 s3, s2, 1
	s_add_i32 s3, s3, 1
	s_cmpk_gt_u32 s62, 0x7f
	v_and_b32_e32 v2, 0xf0, v2
	s_cselect_b64 s[8:9], -1, 0
	v_or_b32_e32 v21, 0xc00, v2
	v_writelane_b32 v50, s8, 25
	v_cvt_f32_u32_e32 v2, s89
	s_and_b32 s7, s6, 0x3fe
	v_writelane_b32 v50, s9, 26
	s_and_b32 s8, s3, 7
	s_cmp_gt_u32 s2, 13
	s_cselect_b64 s[10:11], -1, 0
	v_writelane_b32 v50, s10, 27
	v_rcp_iflag_f32_e32 v2, v2
	s_and_b32 s2, s3, -8
	v_writelane_b32 v50, s11, 28
	v_writelane_b32 v50, s2, 29
	s_cmp_lg_u32 s8, 0
	v_writelane_b32 v50, s8, 30
	s_cselect_b64 s[2:3], -1, 0
	v_writelane_b32 v50, s2, 31
	v_mul_f32_e32 v2, 0x4f7ffffe, v2
	v_cvt_u32_f32_e32 v2, v2
	v_writelane_b32 v50, s3, 32
	v_writelane_b32 v50, s6, 33
	s_cmp_lg_u32 s7, s6
	v_writelane_b32 v50, s7, 34
	s_cselect_b64 s[2:3], -1, 0
	v_writelane_b32 v50, s2, 35
	v_not_b32_e32 v1, v3
	v_cvt_f32_u32_e32 v3, s62
	v_writelane_b32 v50, s3, 36
	s_sub_i32 s2, 0, s89
	v_readfirstlane_b32 s3, v2
	s_mul_i32 s2, s2, s3
	s_mul_hi_u32 s2, s3, s2
	s_add_i32 s74, s3, s2
	s_mul_hi_u32 s2, s60, s74
	s_mul_i32 s2, s2, s89
	s_sub_i32 s2, s60, s2
	s_sub_i32 s3, s2, s89
	s_cmp_ge_u32 s2, s89
	s_cselect_b32 s2, s3, s2
	s_sub_i32 s3, s2, s89
	s_cmp_ge_u32 s2, s89
	s_cselect_b32 s2, s3, s2
	s_sub_i32 s75, s60, s2
	v_rcp_iflag_f32_e32 v5, v3
	v_add_u32_e32 v22, s75, v0
	v_mul_lo_u32 v2, v22, s63
	v_ashrrev_i32_e32 v3, 31, v2
	v_lshl_add_u64 v[14:15], s[72:73], 0, v[2:3]
	v_mul_f32_e32 v2, 0x4f7ffffe, v5
	v_cvt_u32_f32_e32 v2, v2
	s_sub_i32 s7, 0, s62
	s_abs_i32 s6, s91
	s_ashr_i32 s3, s91, 31
	v_readfirstlane_b32 s8, v2
	s_mul_i32 s7, s7, s8
	s_mul_hi_u32 s7, s8, s7
	s_add_i32 s33, s8, s7
	s_mul_hi_u32 s7, s6, s33
	s_mul_i32 s7, s7, s62
	s_sub_i32 s6, s6, s7
	s_sub_i32 s7, s6, s62
	s_cmp_ge_u32 s6, s62
	s_cselect_b32 s6, s7, s6
	s_sub_i32 s7, s6, s62
	s_cmp_ge_u32 s6, s62
	v_lshlrev_b32_e32 v13, 2, v0
	s_cselect_b32 s6, s7, s6
	s_xor_b32 s6, s6, s3
	v_mul_lo_u32 v2, s63, v13
	s_sub_i32 s3, s3, s6
	v_add_u32_e32 v23, s63, v2
	v_or_b32_e32 v2, 2, v13
	s_add_i32 s91, s91, s3
	v_mul_lo_u32 v24, s63, v2
	v_or_b32_e32 v2, 3, v13
	s_add_i32 s3, s62, s60
	v_mov_b32_e32 v8, 0
	v_mul_lo_u32 v25, s63, v2
	v_add_u32_e32 v2, s3, v0
	s_mov_b32 s20, 0
	s_mov_b32 s21, 1
	v_mul_lo_u32 v6, s63, v0
	v_mov_b32_e32 v7, v8
	v_lshlrev_b32_e32 v4, 2, v20
	s_mul_i32 s88, s63, s62
	v_subrev_u32_e32 v2, s2, v2
	v_cmp_eq_u32_e64 s[18:19], 0, v20
	v_cmp_gt_u32_e64 s[4:5], 2, v0
	v_lshl_add_u64 v[10:11], s[72:73], 0, v[6:7]
	v_and_b32_e32 v7, 0x100, v4
	v_cmp_gt_i32_e64 s[10:11], s75, v13
	v_cmp_gt_u32_e64 s[12:13], s60, v22
	v_cmp_gt_i32_e64 s[14:15], s60, v22
	v_cmp_gt_i32_e64 s[16:17], s91, v0
	s_lshl_b32 s6, s88, 2
	v_lshlrev_b32_e32 v27, 2, v6
	v_mul_lo_u32 v28, s63, v2
	v_or_b32_e32 v29, 0xc00, v4
	s_mov_b64 s[92:93], 0
	v_mov_b32_e32 v31, 6
	v_mov_b32_e32 v35, s61
	s_movk_i32 s7, 0x80
	v_mov_b32_e32 v36, s60
	v_mov_b32_e32 v30, 0xc00
	v_mov_b32_e32 v32, 8
	v_mov_b32_e32 v34, 0
	v_mov_b32_e32 v26, 0
	v_mov_b32_e32 v33, 0
	v_writelane_b32 v50, s20, 37
	s_mov_b32 s61, s20
                                        ; implicit-def: $sgpr94_sgpr95
                                        ; implicit-def: $sgpr98_sgpr99
                                        ; implicit-def: $sgpr96_sgpr97
                                        ; implicit-def: $sgpr66_sgpr67
                                        ; implicit-def: $sgpr68_sgpr69
                                        ; implicit-def: $sgpr64_sgpr65
	s_nop 0
	v_writelane_b32 v50, s21, 38
	s_branch .LBB9_7
.LBB9_4:                                ;   in Loop: Header=BB9_7 Depth=1
	s_or_b64 exec, exec, s[30:31]
	s_and_b64 s[30:31], s[28:29], exec
	s_andn2_b64 s[26:27], s[26:27], exec
	s_andn2_b64 s[24:25], s[24:25], exec
	s_orn2_b64 s[20:21], s[20:21], exec
.LBB9_5:                                ;   in Loop: Header=BB9_7 Depth=1
	s_or_b64 exec, exec, s[22:23]
	s_andn2_b64 s[8:9], s[64:65], exec
	s_and_b64 s[22:23], s[30:31], exec
	s_or_b64 s[64:65], s[8:9], s[22:23]
	s_andn2_b64 s[8:9], s[68:69], exec
	s_and_b64 s[22:23], s[26:27], exec
	s_or_b64 s[68:69], s[8:9], s[22:23]
	;; [unrolled: 3-line block ×3, first 2 shown]
	s_orn2_b64 s[20:21], s[20:21], exec
.LBB9_6:                                ;   in Loop: Header=BB9_7 Depth=1
	s_or_b64 exec, exec, s[2:3]
	s_and_b64 s[2:3], exec, s[20:21]
	s_or_b64 s[92:93], s[2:3], s[92:93]
	s_andn2_b64 s[2:3], s[96:97], exec
	s_and_b64 s[8:9], s[64:65], exec
	s_or_b64 s[96:97], s[2:3], s[8:9]
	s_andn2_b64 s[2:3], s[98:99], exec
	s_and_b64 s[8:9], s[68:69], exec
	;; [unrolled: 3-line block ×3, first 2 shown]
	s_or_b64 s[94:95], s[2:3], s[8:9]
	s_mov_b32 s61, s34
	v_mov_b32_e32 v35, v16
	s_andn2_b64 exec, exec, s[92:93]
	s_cbranch_execz .LBB9_233
.LBB9_7:                                ; =>This Loop Header: Depth=1
                                        ;     Child Loop BB9_12 Depth 2
                                        ;     Child Loop BB9_27 Depth 2
	;; [unrolled: 1-line block ×17, first 2 shown]
	ds_read_b64 v[2:3], v8 offset:4096
	s_waitcnt lgkmcnt(0)
	v_readfirstlane_b32 s8, v2
	s_cmp_gt_i32 s8, 0
	s_cbranch_scc1 .LBB9_34
; %bb.8:                                ;   in Loop: Header=BB9_7 Depth=1
	s_and_b64 vcc, exec, s[78:79]
	s_cbranch_vccz .LBB9_20
; %bb.9:                                ;   in Loop: Header=BB9_7 Depth=1
	s_movk_i32 s2, 0xc01
	v_cmp_gt_i32_e32 vcc, s2, v3
	s_mov_b64 s[20:21], 0
	s_mov_b64 s[2:3], 0
	s_cbranch_vccz .LBB9_21
; %bb.10:                               ;   in Loop: Header=BB9_7 Depth=1
	v_readlane_b32 s2, v50, 23
	v_readlane_b32 s3, v50, 24
	s_nop 4
	global_load_ushort v2, v8, s[2:3]
	global_load_ubyte v5, v[10:11], off
	s_mov_b64 s[22:23], 0
	v_mov_b32_e32 v9, v0
	s_waitcnt vmcnt(1)
	v_add_u32_e32 v4, v0, v2
	v_mul_lo_u32 v3, s63, v2
	v_mul_lo_u32 v4, s63, v4
	s_branch .LBB9_12
.LBB9_11:                               ;   in Loop: Header=BB9_12 Depth=2
	s_or_b64 exec, exec, s[2:3]
	v_cmp_le_i32_e32 vcc, s60, v9
	v_add_u32_e32 v4, v4, v3
	s_or_b64 s[22:23], vcc, s[22:23]
	v_mov_b32_e32 v5, v16
	s_andn2_b64 exec, exec, s[22:23]
	s_cbranch_execz .LBB9_66
.LBB9_12:                               ;   Parent Loop BB9_7 Depth=1
                                        ; =>  This Inner Loop Header: Depth=2
	v_add_u32_e32 v9, v9, v2
	v_cmp_gt_u32_e32 vcc, s60, v9
	s_waitcnt lgkmcnt(0)
	v_mov_b32_e32 v17, 0
	v_mov_b32_e32 v16, 0
	s_and_saveexec_b64 s[2:3], vcc
	s_cbranch_execz .LBB9_14
; %bb.13:                               ;   in Loop: Header=BB9_12 Depth=2
	global_load_ubyte v16, v4, s[72:73]
.LBB9_14:                               ;   in Loop: Header=BB9_12 Depth=2
	s_or_b64 exec, exec, s[2:3]
	s_waitcnt vmcnt(0)
	v_add_u32_sdwa v18, sext(v5), s7 dst_sel:DWORD dst_unused:UNUSED_PAD src0_sel:BYTE_0 src1_sel:DWORD
	v_and_b32_e32 v18, v18, v33
	v_cmp_eq_u32_e32 vcc, v18, v26
	s_cmp_lg_u64 vcc, 0
	s_cselect_b64 s[2:3], -1, 0
	s_and_b64 s[2:3], s[18:19], s[2:3]
	s_and_saveexec_b64 s[24:25], s[2:3]
	s_cbranch_execz .LBB9_18
; %bb.15:                               ;   in Loop: Header=BB9_12 Depth=2
	s_mov_b64 s[28:29], exec
	v_mbcnt_lo_u32_b32 v17, s28, 0
	v_mbcnt_hi_u32_b32 v17, s29, v17
	s_bcnt1_i32_b64 s9, vcc
	v_cmp_eq_u32_e64 s[2:3], 0, v17
                                        ; implicit-def: $vgpr18
	s_and_saveexec_b64 s[26:27], s[2:3]
; %bb.16:                               ;   in Loop: Header=BB9_12 Depth=2
	s_bcnt1_i32_b64 s2, s[28:29]
	s_mul_i32 s2, s9, s2
	v_mov_b32_e32 v18, s2
	ds_add_rtn_u32 v18, v8, v18 offset:4104
; %bb.17:                               ;   in Loop: Header=BB9_12 Depth=2
	s_or_b64 exec, exec, s[26:27]
	s_waitcnt lgkmcnt(0)
	v_readfirstlane_b32 s2, v18
	s_nop 1
	v_mov_b32_e32 v18, s2
	v_mad_u32_u24 v17, s9, v17, v18
.LBB9_18:                               ;   in Loop: Header=BB9_12 Depth=2
	s_or_b64 exec, exec, s[24:25]
	ds_bpermute_b32 v17, v7, v17
	s_and_saveexec_b64 s[2:3], vcc
	s_cbranch_execz .LBB9_11
; %bb.19:                               ;   in Loop: Header=BB9_12 Depth=2
	v_and_b32_e32 v19, vcc_lo, v12
	v_and_b32_e32 v18, vcc_hi, v1
	v_bcnt_u32_b32 v19, v19, 0
	v_bcnt_u32_b32 v18, v18, v19
	s_waitcnt lgkmcnt(0)
	v_add_u32_e32 v17, v17, v18
	ds_write_b8 v17, v5
	s_branch .LBB9_11
.LBB9_20:                               ;   in Loop: Header=BB9_7 Depth=1
	s_mov_b64 s[20:21], -1
	s_mov_b64 s[2:3], 0
.LBB9_21:                               ;   in Loop: Header=BB9_7 Depth=1
	s_and_b64 vcc, exec, s[20:21]
	s_cbranch_vccz .LBB9_32
.LBB9_22:                               ;   in Loop: Header=BB9_7 Depth=1
	v_mov_b32_e32 v2, 0
	s_mov_b64 s[2:3], exec
	v_readlane_b32 s20, v50, 19
	v_readlane_b32 s21, v50, 20
	s_and_b64 s[20:21], s[2:3], s[20:21]
	s_mov_b64 exec, s[20:21]
	s_cbranch_execz .LBB9_24
; %bb.23:                               ;   in Loop: Header=BB9_7 Depth=1
	global_load_ubyte v2, v[10:11], off
.LBB9_24:                               ;   in Loop: Header=BB9_7 Depth=1
	s_or_b64 exec, exec, s[2:3]
	s_mov_b64 s[2:3], exec
	v_readlane_b32 s20, v50, 21
	v_readlane_b32 s21, v50, 22
	s_and_b64 s[20:21], s[2:3], s[20:21]
	s_mov_b64 exec, s[20:21]
	s_cbranch_execz .LBB9_29
; %bb.25:                               ;   in Loop: Header=BB9_7 Depth=1
	v_readlane_b32 s20, v50, 23
	v_readlane_b32 s21, v50, 24
	v_mov_b32_e32 v9, v0
	s_nop 3
	global_load_ushort v3, v8, s[20:21]
	s_mov_b64 s[20:21], 0
	s_waitcnt vmcnt(0)
	v_add_u32_e32 v5, v0, v3
	v_mul_lo_u32 v4, s63, v3
	v_mul_lo_u32 v5, s63, v5
	s_branch .LBB9_27
.LBB9_26:                               ;   in Loop: Header=BB9_27 Depth=2
	s_or_b64 exec, exec, s[22:23]
	v_cmp_le_i32_e32 vcc, s60, v16
	ds_write_b8 v9, v2
	v_add_u32_e32 v5, v5, v4
	s_or_b64 s[20:21], vcc, s[20:21]
	s_waitcnt vmcnt(0)
	v_mov_b32_e32 v2, v17
	v_mov_b32_e32 v9, v16
	s_andn2_b64 exec, exec, s[20:21]
	s_cbranch_execz .LBB9_29
.LBB9_27:                               ;   Parent Loop BB9_7 Depth=1
                                        ; =>  This Inner Loop Header: Depth=2
	v_add_u32_e32 v16, v9, v3
	v_cmp_gt_u32_e32 vcc, s60, v16
	v_mov_b32_e32 v17, 0
	s_and_saveexec_b64 s[22:23], vcc
	s_cbranch_execz .LBB9_26
; %bb.28:                               ;   in Loop: Header=BB9_27 Depth=2
	global_load_ubyte v17, v5, s[72:73]
	s_branch .LBB9_26
.LBB9_29:                               ;   in Loop: Header=BB9_7 Depth=1
	s_or_b64 exec, exec, s[2:3]
	s_waitcnt lgkmcnt(0)
	s_barrier
	s_and_saveexec_b64 s[2:3], s[0:1]
; %bb.30:                               ;   in Loop: Header=BB9_7 Depth=1
	ds_write_b32 v8, v36 offset:4096
; %bb.31:                               ;   in Loop: Header=BB9_7 Depth=1
	s_or_b64 exec, exec, s[2:3]
	s_mov_b64 s[2:3], -1
	s_waitcnt lgkmcnt(0)
	s_barrier
.LBB9_32:                               ;   in Loop: Header=BB9_7 Depth=1
	s_and_b64 vcc, exec, s[2:3]
	s_cbranch_vccz .LBB9_34
; %bb.33:                               ;   in Loop: Header=BB9_7 Depth=1
	s_waitcnt vmcnt(0)
	ds_read_b32 v2, v8 offset:4096
	s_waitcnt lgkmcnt(0)
	v_readfirstlane_b32 s8, v2
.LBB9_34:                               ;   in Loop: Header=BB9_7 Depth=1
	s_cmp_lt_i32 s8, 1
	s_mov_b64 s[2:3], -1
                                        ; implicit-def: $vgpr5
	s_cbranch_scc1 .LBB9_44
; %bb.35:                               ;   in Loop: Header=BB9_7 Depth=1
	s_and_b64 vcc, exec, s[2:3]
	s_cbranch_vccnz .LBB9_57
.LBB9_36:                               ;   in Loop: Header=BB9_7 Depth=1
	s_lshl_b32 s8, s61, 6
	s_and_saveexec_b64 s[2:3], s[18:19]
	s_cbranch_execz .LBB9_38
.LBB9_37:                               ;   in Loop: Header=BB9_7 Depth=1
	v_lshl_add_u32 v9, s8, 2, v21
	s_waitcnt vmcnt(0)
	ds_write_b128 v9, v[2:5]
.LBB9_38:                               ;   in Loop: Header=BB9_7 Depth=1
	s_or_b64 exec, exec, s[2:3]
	s_waitcnt lgkmcnt(0)
	s_barrier
	s_and_saveexec_b64 s[2:3], s[76:77]
	s_cbranch_execz .LBB9_77
; %bb.39:                               ;   in Loop: Header=BB9_7 Depth=1
	v_add_u32_e32 v4, s8, v20
	s_andn2_b64 vcc, exec, s[80:81]
	s_waitcnt vmcnt(0)
	v_mov_b32_e32 v2, 0
	s_cbranch_vccnz .LBB9_76
; %bb.40:                               ;   in Loop: Header=BB9_7 Depth=1
	v_readlane_b32 s20, v50, 25
	v_readlane_b32 s21, v50, 26
	s_andn2_b64 vcc, exec, s[20:21]
	s_cbranch_vccnz .LBB9_69
; %bb.41:                               ;   in Loop: Header=BB9_7 Depth=1
	v_readlane_b32 s20, v50, 27
	v_readlane_b32 s21, v50, 28
	s_andn2_b64 vcc, exec, s[20:21]
	v_lshl_add_u32 v5, v4, 2, v30
	s_cbranch_vccnz .LBB9_70
; %bb.42:                               ;   in Loop: Header=BB9_7 Depth=1
	s_mov_b32 s21, 1
	s_mov_b32 s20, 0
	v_mov_b32_e32 v2, 0
	v_mov_b32_e32 v3, 0
	v_readlane_b32 s9, v50, 29
.LBB9_43:                               ;   Parent Loop BB9_7 Depth=1
                                        ; =>  This Inner Loop Header: Depth=2
	v_lshl_add_u32 v9, s20, 4, v5
	v_lshl_add_u32 v37, s21, 4, v5
	ds_read2_b32 v[16:17], v9 offset1:8
	ds_read2_b32 v[18:19], v37 offset1:8
	ds_read2_b32 v[38:39], v9 offset0:16 offset1:24
	ds_read2_b32 v[40:41], v37 offset0:16 offset1:24
	;; [unrolled: 1-line block ×6, first 2 shown]
	s_waitcnt lgkmcnt(7)
	v_add3_u32 v2, v16, v2, v17
	s_waitcnt lgkmcnt(6)
	v_add3_u32 v3, v18, v3, v19
	;; [unrolled: 2-line block ×3, first 2 shown]
	v_add3_u32 v2, v38, v2, v39
	s_add_i32 s21, s21, 16
	s_add_i32 s20, s20, 16
	s_add_i32 s9, s9, -8
	s_waitcnt lgkmcnt(3)
	v_add3_u32 v2, v42, v2, v43
	s_waitcnt lgkmcnt(2)
	v_add3_u32 v3, v44, v3, v45
	s_cmp_lg_u32 s9, 0
	s_waitcnt lgkmcnt(0)
	v_add3_u32 v3, v48, v3, v49
	v_add3_u32 v2, v46, v2, v47
	s_cbranch_scc1 .LBB9_43
	s_branch .LBB9_71
.LBB9_44:                               ;   in Loop: Header=BB9_7 Depth=1
	s_waitcnt vmcnt(0)
	v_mov_b32_e32 v2, 0
	v_mov_b32_e32 v3, 0
	;; [unrolled: 1-line block ×4, first 2 shown]
	s_and_saveexec_b64 s[70:71], s[10:11]
	s_cbranch_execnz .LBB9_47
; %bb.45:                               ;   in Loop: Header=BB9_7 Depth=1
	s_or_b64 exec, exec, s[70:71]
	v_mov_b32_e32 v18, 0
	s_and_saveexec_b64 s[2:3], s[12:13]
	s_cbranch_execnz .LBB9_50
.LBB9_46:                               ;   in Loop: Header=BB9_7 Depth=1
	s_or_b64 exec, exec, s[2:3]
	s_and_saveexec_b64 s[20:21], s[14:15]
	s_cbranch_execnz .LBB9_51
	s_branch .LBB9_56
.LBB9_47:                               ;   in Loop: Header=BB9_7 Depth=1
	s_mov_b32 s9, 0
	s_mov_b64 s[86:87], 0
	s_mov_b32 s84, 0
	s_mov_b32 s85, 0
	;; [unrolled: 1-line block ×4, first 2 shown]
	v_mov_b32_e32 v9, v13
.LBB9_48:                               ;   Parent Loop BB9_7 Depth=1
                                        ; =>  This Inner Loop Header: Depth=2
	v_add_u32_e32 v2, s9, v27
	v_add_u32_e32 v4, s9, v23
	v_add_u32_e32 v16, s9, v24
	v_add_u32_e32 v18, s9, v25
	v_ashrrev_i32_e32 v3, 31, v2
	v_ashrrev_i32_e32 v5, 31, v4
	;; [unrolled: 1-line block ×4, first 2 shown]
	v_lshl_add_u64 v[2:3], s[72:73], 0, v[2:3]
	v_lshl_add_u64 v[4:5], s[72:73], 0, v[4:5]
	;; [unrolled: 1-line block ×4, first 2 shown]
	global_load_sbyte v2, v[2:3], off
	s_nop 0
	global_load_sbyte v3, v[4:5], off
	s_nop 0
	global_load_sbyte v4, v[16:17], off
	global_load_sbyte v5, v[18:19], off
	v_add_u32_e32 v9, s89, v9
	s_add_i32 s9, s9, s6
	v_cmp_le_i32_e32 vcc, s75, v9
	s_waitcnt vmcnt(3)
	v_add_u32_e32 v2, 0x80, v2
	s_waitcnt vmcnt(2)
	v_add_u32_e32 v3, 0x80, v3
	v_and_b32_e32 v16, v2, v33
	v_bfe_u32 v2, v2, v31, 2
	s_waitcnt vmcnt(1)
	v_add_u32_e32 v4, 0x80, v4
	v_and_b32_e32 v17, v3, v33
	v_bfe_u32 v3, v3, v31, 2
	v_cmp_eq_u32_e64 s[2:3], v16, v26
	v_cmp_eq_u32_e64 s[26:27], 0, v2
	s_waitcnt vmcnt(0)
	v_add_u32_e32 v5, 0x80, v5
	v_and_b32_e32 v18, v4, v33
	v_bfe_u32 v4, v4, v31, 2
	v_cmp_eq_u32_e64 s[20:21], v17, v26
	v_cmp_eq_u32_e64 s[28:29], 0, v3
	s_and_b64 s[26:27], s[2:3], s[26:27]
	v_and_b32_e32 v19, v5, v33
	v_bfe_u32 v5, v5, v31, 2
	v_cmp_eq_u32_e64 s[22:23], v18, v26
	v_cmp_eq_u32_e64 s[30:31], 0, v4
	v_cmp_eq_u32_e64 s[36:37], 1, v2
	v_cmp_eq_u32_e64 s[44:45], 2, v2
	v_cmp_eq_u32_e64 s[52:53], 3, v2
	v_cndmask_b32_e64 v2, 0, 1, s[26:27]
	s_and_b64 s[26:27], s[20:21], s[28:29]
	v_cmp_eq_u32_e64 s[24:25], v19, v26
	v_cmp_eq_u32_e64 s[34:35], 0, v5
	;; [unrolled: 1-line block ×5, first 2 shown]
	v_cndmask_b32_e64 v3, 0, 1, s[26:27]
	s_and_b64 s[26:27], s[22:23], s[30:31]
	v_cmp_eq_u32_e64 s[40:41], 1, v4
	v_cmp_eq_u32_e64 s[48:49], 2, v4
	;; [unrolled: 1-line block ×3, first 2 shown]
	v_cndmask_b32_e64 v4, 0, 1, s[26:27]
	s_and_b64 s[26:27], s[24:25], s[34:35]
	v_cmp_eq_u32_e64 s[42:43], 1, v5
	v_cmp_eq_u32_e64 s[50:51], 2, v5
	;; [unrolled: 1-line block ×3, first 2 shown]
	v_cndmask_b32_e64 v5, 0, 1, s[26:27]
	s_and_b64 s[26:27], s[2:3], s[36:37]
	v_cndmask_b32_e64 v16, 0, 1, s[26:27]
	s_and_b64 s[26:27], s[20:21], s[38:39]
	;; [unrolled: 2-line block ×5, first 2 shown]
	s_and_b64 s[2:3], s[2:3], s[52:53]
	v_cndmask_b32_e64 v37, 0, 1, s[26:27]
	s_and_b64 s[26:27], s[20:21], s[46:47]
	v_cndmask_b32_e64 v41, 0, 1, s[2:3]
	;; [unrolled: 2-line block ×7, first 2 shown]
	v_cndmask_b32_e64 v44, 0, 1, s[2:3]
	v_cmp_ne_u32_e64 s[2:3], 0, v2
	v_cmp_ne_u32_e64 s[20:21], 0, v3
	;; [unrolled: 1-line block ×11, first 2 shown]
	s_bcnt1_i32_b64 s2, s[2:3]
	s_bcnt1_i32_b64 s3, s[20:21]
	;; [unrolled: 1-line block ×8, first 2 shown]
	v_cmp_ne_u32_e64 s[34:35], 0, v19
	v_cmp_ne_u32_e64 s[40:41], 0, v39
	;; [unrolled: 1-line block ×3, first 2 shown]
	s_bcnt1_i32_b64 s23, s[28:29]
	s_bcnt1_i32_b64 s27, s[38:39]
	;; [unrolled: 1-line block ×3, first 2 shown]
	s_add_i32 s2, s83, s2
	s_add_i32 s22, s82, s22
	;; [unrolled: 1-line block ×4, first 2 shown]
	v_cmp_ne_u32_e64 s[42:43], 0, v40
	v_cmp_ne_u32_e64 s[50:51], 0, v44
	s_bcnt1_i32_b64 s25, s[34:35]
	s_bcnt1_i32_b64 s28, s[40:41]
	;; [unrolled: 1-line block ×3, first 2 shown]
	s_add_i32 s2, s2, s3
	s_add_i32 s3, s22, s23
	;; [unrolled: 1-line block ×4, first 2 shown]
	s_bcnt1_i32_b64 s29, s[42:43]
	s_bcnt1_i32_b64 s35, s[50:51]
	s_add_i32 s2, s2, s20
	s_add_i32 s3, s3, s24
	;; [unrolled: 1-line block ×8, first 2 shown]
	s_or_b64 s[86:87], vcc, s[86:87]
	v_mov_b32_e32 v2, s83
	v_mov_b32_e32 v3, s82
	;; [unrolled: 1-line block ×4, first 2 shown]
	s_andn2_b64 exec, exec, s[86:87]
	s_cbranch_execnz .LBB9_48
; %bb.49:                               ;   in Loop: Header=BB9_7 Depth=1
	s_or_b64 exec, exec, s[86:87]
	s_or_b64 exec, exec, s[70:71]
	v_mov_b32_e32 v18, 0
	s_and_saveexec_b64 s[2:3], s[12:13]
	s_cbranch_execz .LBB9_46
.LBB9_50:                               ;   in Loop: Header=BB9_7 Depth=1
	global_load_ubyte v18, v[14:15], off
	s_or_b64 exec, exec, s[2:3]
	s_and_saveexec_b64 s[20:21], s[14:15]
	s_cbranch_execz .LBB9_56
.LBB9_51:                               ;   in Loop: Header=BB9_7 Depth=1
	s_mov_b64 s[22:23], 0
	v_mov_b32_e32 v16, v28
	v_mov_b32_e32 v9, v22
	s_branch .LBB9_53
.LBB9_52:                               ;   in Loop: Header=BB9_53 Depth=2
	s_or_b64 exec, exec, s[2:3]
	s_waitcnt vmcnt(0)
	v_add_u32_sdwa v18, sext(v18), s7 dst_sel:DWORD dst_unused:UNUSED_PAD src0_sel:BYTE_0 src1_sel:DWORD
	v_and_b32_e32 v19, v18, v33
	v_bfe_u32 v18, v18, v31, 2
	v_cmp_eq_u32_e32 vcc, v19, v26
	v_cmp_eq_u32_e64 s[2:3], 0, v18
	s_and_b64 s[2:3], vcc, s[2:3]
	v_add_u32_e32 v16, s88, v16
	v_cndmask_b32_e64 v19, 0, 1, s[2:3]
	v_cmp_ne_u32_e64 s[2:3], 0, v19
	s_bcnt1_i32_b64 s2, s[2:3]
	s_nop 0
	v_add_u32_e32 v2, s2, v2
	v_cmp_eq_u32_e64 s[2:3], 1, v18
	s_and_b64 s[2:3], vcc, s[2:3]
	s_nop 0
	v_cndmask_b32_e64 v19, 0, 1, s[2:3]
	v_cmp_ne_u32_e64 s[2:3], 0, v19
	s_bcnt1_i32_b64 s2, s[2:3]
	s_nop 0
	v_add_u32_e32 v3, s2, v3
	v_cmp_eq_u32_e64 s[2:3], 2, v18
	s_and_b64 s[2:3], vcc, s[2:3]
	s_nop 0
	;; [unrolled: 8-line block ×3, first 2 shown]
	v_cndmask_b32_e64 v18, 0, 1, s[2:3]
	v_cmp_ne_u32_e32 vcc, 0, v18
	s_bcnt1_i32_b64 s2, vcc
	v_cmp_le_i32_e32 vcc, s60, v9
	v_add_u32_e32 v5, s2, v5
	s_or_b64 s[22:23], vcc, s[22:23]
	v_mov_b32_e32 v18, v17
	s_andn2_b64 exec, exec, s[22:23]
	s_cbranch_execz .LBB9_55
.LBB9_53:                               ;   Parent Loop BB9_7 Depth=1
                                        ; =>  This Inner Loop Header: Depth=2
	v_add_u32_e32 v9, s62, v9
	v_cmp_gt_u32_e32 vcc, s60, v9
	v_mov_b32_e32 v17, 0
	s_and_saveexec_b64 s[2:3], vcc
	s_cbranch_execz .LBB9_52
; %bb.54:                               ;   in Loop: Header=BB9_53 Depth=2
	v_ashrrev_i32_e32 v17, 31, v16
	v_lshl_add_u64 v[38:39], s[72:73], 0, v[16:17]
	global_load_ubyte v17, v[38:39], off
	s_branch .LBB9_52
.LBB9_55:                               ;   in Loop: Header=BB9_7 Depth=1
	s_or_b64 exec, exec, s[22:23]
.LBB9_56:                               ;   in Loop: Header=BB9_7 Depth=1
	s_or_b64 exec, exec, s[20:21]
	s_branch .LBB9_36
.LBB9_57:                               ;   in Loop: Header=BB9_7 Depth=1
	s_mul_hi_u32 s2, s8, s74
	s_mul_i32 s2, s2, s89
	s_sub_i32 s2, s8, s2
	s_sub_i32 s3, s2, s89
	s_cmp_ge_u32 s2, s89
	s_cselect_b32 s2, s3, s2
	s_sub_i32 s3, s2, s89
	s_cmp_ge_u32 s2, s89
	s_cselect_b32 s2, s3, s2
	s_sub_i32 s9, s8, s2
	v_cmp_gt_u32_e32 vcc, s9, v13
	s_waitcnt vmcnt(0)
	v_mov_b32_e32 v2, 0
	v_mov_b32_e32 v3, 0
	;; [unrolled: 1-line block ×4, first 2 shown]
	s_and_saveexec_b64 s[70:71], vcc
	s_cbranch_execz .LBB9_61
; %bb.58:                               ;   in Loop: Header=BB9_7 Depth=1
	s_mov_b32 s82, 0
	s_mov_b64 s[86:87], 0
	s_mov_b32 s83, 0
	s_mov_b32 s84, 0
	;; [unrolled: 1-line block ×3, first 2 shown]
	v_mov_b32_e32 v9, v13
.LBB9_59:                               ;   Parent Loop BB9_7 Depth=1
                                        ; =>  This Inner Loop Header: Depth=2
	ds_read_b32 v2, v9
	v_add_u32_e32 v9, s89, v9
	v_cmp_le_i32_e32 vcc, s9, v9
	s_waitcnt lgkmcnt(0)
	v_add_u32_sdwa v3, sext(v2), s7 dst_sel:DWORD dst_unused:UNUSED_PAD src0_sel:BYTE_0 src1_sel:DWORD
	v_add_u32_sdwa v4, sext(v2), s7 dst_sel:DWORD dst_unused:UNUSED_PAD src0_sel:BYTE_1 src1_sel:DWORD
	v_and_b32_e32 v16, v3, v33
	v_bfe_u32 v3, v3, v31, 2
	v_add_u32_sdwa v5, sext(v2), s7 dst_sel:DWORD dst_unused:UNUSED_PAD src0_sel:BYTE_2 src1_sel:DWORD
	v_add_u32_sdwa v2, sext(v2), s7 dst_sel:DWORD dst_unused:UNUSED_PAD src0_sel:BYTE_3 src1_sel:DWORD
	v_and_b32_e32 v17, v4, v33
	v_bfe_u32 v4, v4, v31, 2
	v_cmp_eq_u32_e64 s[2:3], v16, v26
	v_cmp_eq_u32_e64 s[26:27], 0, v3
	v_and_b32_e32 v18, v5, v33
	v_and_b32_e32 v19, v2, v33
	v_bfe_u32 v5, v5, v31, 2
	v_bfe_u32 v2, v2, v31, 2
	v_cmp_eq_u32_e64 s[20:21], v17, v26
	v_cmp_eq_u32_e64 s[28:29], 0, v4
	s_and_b64 s[26:27], s[2:3], s[26:27]
	v_cmp_eq_u32_e64 s[22:23], v18, v26
	v_cmp_eq_u32_e64 s[30:31], 0, v5
	;; [unrolled: 1-line block ×6, first 2 shown]
	v_cndmask_b32_e64 v2, 0, 1, s[26:27]
	s_and_b64 s[26:27], s[20:21], s[28:29]
	v_cmp_eq_u32_e64 s[24:25], v19, v26
	v_cmp_eq_u32_e64 s[36:37], 1, v3
	;; [unrolled: 1-line block ×4, first 2 shown]
	v_cndmask_b32_e64 v3, 0, 1, s[26:27]
	s_and_b64 s[26:27], s[22:23], s[30:31]
	v_cmp_eq_u32_e64 s[38:39], 1, v4
	v_cmp_eq_u32_e64 s[46:47], 2, v4
	;; [unrolled: 1-line block ×3, first 2 shown]
	v_cndmask_b32_e64 v4, 0, 1, s[26:27]
	s_and_b64 s[26:27], s[24:25], s[34:35]
	v_cmp_eq_u32_e64 s[40:41], 1, v5
	v_cmp_eq_u32_e64 s[48:49], 2, v5
	v_cmp_eq_u32_e64 s[56:57], 3, v5
	v_cndmask_b32_e64 v5, 0, 1, s[26:27]
	s_and_b64 s[26:27], s[2:3], s[36:37]
	v_cndmask_b32_e64 v16, 0, 1, s[26:27]
	s_and_b64 s[26:27], s[20:21], s[38:39]
	;; [unrolled: 2-line block ×5, first 2 shown]
	s_and_b64 s[2:3], s[2:3], s[52:53]
	v_cndmask_b32_e64 v37, 0, 1, s[26:27]
	s_and_b64 s[26:27], s[20:21], s[46:47]
	v_cndmask_b32_e64 v41, 0, 1, s[2:3]
	;; [unrolled: 2-line block ×7, first 2 shown]
	v_cndmask_b32_e64 v44, 0, 1, s[2:3]
	v_cmp_ne_u32_e64 s[2:3], 0, v2
	v_cmp_ne_u32_e64 s[20:21], 0, v3
	;; [unrolled: 1-line block ×11, first 2 shown]
	s_bcnt1_i32_b64 s2, s[2:3]
	s_bcnt1_i32_b64 s3, s[20:21]
	;; [unrolled: 1-line block ×8, first 2 shown]
	v_cmp_ne_u32_e64 s[34:35], 0, v19
	v_cmp_ne_u32_e64 s[40:41], 0, v39
	;; [unrolled: 1-line block ×3, first 2 shown]
	s_bcnt1_i32_b64 s23, s[28:29]
	s_bcnt1_i32_b64 s27, s[38:39]
	;; [unrolled: 1-line block ×3, first 2 shown]
	s_add_i32 s2, s85, s2
	s_add_i32 s22, s84, s22
	;; [unrolled: 1-line block ×4, first 2 shown]
	v_cmp_ne_u32_e64 s[42:43], 0, v40
	v_cmp_ne_u32_e64 s[50:51], 0, v44
	s_bcnt1_i32_b64 s25, s[34:35]
	s_bcnt1_i32_b64 s28, s[40:41]
	;; [unrolled: 1-line block ×3, first 2 shown]
	s_add_i32 s2, s2, s3
	s_add_i32 s3, s22, s23
	s_add_i32 s22, s26, s27
	s_add_i32 s23, s30, s31
	s_bcnt1_i32_b64 s29, s[42:43]
	s_bcnt1_i32_b64 s35, s[50:51]
	s_add_i32 s2, s2, s20
	s_add_i32 s3, s3, s24
	;; [unrolled: 1-line block ×8, first 2 shown]
	s_or_b64 s[86:87], vcc, s[86:87]
	v_mov_b32_e32 v2, s85
	v_mov_b32_e32 v3, s84
	;; [unrolled: 1-line block ×4, first 2 shown]
	s_andn2_b64 exec, exec, s[86:87]
	s_cbranch_execnz .LBB9_59
; %bb.60:                               ;   in Loop: Header=BB9_7 Depth=1
	s_or_b64 exec, exec, s[86:87]
.LBB9_61:                               ;   in Loop: Header=BB9_7 Depth=1
	s_or_b64 exec, exec, s[70:71]
	v_add_u32_e32 v9, s9, v0
	v_cmp_gt_i32_e32 vcc, s8, v9
	s_and_saveexec_b64 s[28:29], vcc
	s_cbranch_execz .LBB9_65
; %bb.62:                               ;   in Loop: Header=BB9_7 Depth=1
	s_mov_b64 s[30:31], 0
.LBB9_63:                               ;   Parent Loop BB9_7 Depth=1
                                        ; =>  This Inner Loop Header: Depth=2
	ds_read_i8 v16, v9
	v_add_u32_e32 v9, s62, v9
	v_cmp_le_i32_e32 vcc, s8, v9
	s_waitcnt lgkmcnt(0)
	v_add_u32_e32 v16, 0x80, v16
	v_and_b32_e32 v17, v16, v33
	v_bfe_u32 v16, v16, v31, 2
	v_cmp_eq_u32_e64 s[2:3], v17, v26
	v_cmp_eq_u32_e64 s[20:21], 0, v16
	;; [unrolled: 1-line block ×3, first 2 shown]
	s_and_b64 s[20:21], s[2:3], s[20:21]
	v_cmp_eq_u32_e64 s[24:25], 2, v16
	v_cmp_eq_u32_e64 s[26:27], 3, v16
	v_cndmask_b32_e64 v16, 0, 1, s[20:21]
	s_and_b64 s[20:21], s[2:3], s[22:23]
	v_cndmask_b32_e64 v17, 0, 1, s[20:21]
	s_and_b64 s[20:21], s[2:3], s[24:25]
	s_and_b64 s[2:3], s[2:3], s[26:27]
	v_cndmask_b32_e64 v18, 0, 1, s[20:21]
	v_cndmask_b32_e64 v19, 0, 1, s[2:3]
	v_cmp_ne_u32_e64 s[2:3], 0, v16
	v_cmp_ne_u32_e64 s[20:21], 0, v17
	;; [unrolled: 1-line block ×4, first 2 shown]
	s_bcnt1_i32_b64 s2, s[2:3]
	s_bcnt1_i32_b64 s3, s[20:21]
	;; [unrolled: 1-line block ×4, first 2 shown]
	v_add_u32_e32 v2, s2, v2
	v_add_u32_e32 v3, s3, v3
	;; [unrolled: 1-line block ×3, first 2 shown]
	s_or_b64 s[30:31], vcc, s[30:31]
	v_add_u32_e32 v5, s20, v5
	s_andn2_b64 exec, exec, s[30:31]
	s_cbranch_execnz .LBB9_63
; %bb.64:                               ;   in Loop: Header=BB9_7 Depth=1
	s_or_b64 exec, exec, s[30:31]
.LBB9_65:                               ;   in Loop: Header=BB9_7 Depth=1
	s_or_b64 exec, exec, s[28:29]
	s_lshl_b32 s8, s61, 6
	s_and_saveexec_b64 s[2:3], s[18:19]
	s_cbranch_execnz .LBB9_37
	s_branch .LBB9_38
.LBB9_66:                               ;   in Loop: Header=BB9_7 Depth=1
	s_or_b64 exec, exec, s[22:23]
	s_waitcnt lgkmcnt(0)
	s_barrier
	s_and_saveexec_b64 s[2:3], s[0:1]
	s_cbranch_execz .LBB9_68
; %bb.67:                               ;   in Loop: Header=BB9_7 Depth=1
	ds_read_b32 v2, v8 offset:4104
	s_waitcnt lgkmcnt(0)
	ds_write_b32 v8, v2 offset:4096
.LBB9_68:                               ;   in Loop: Header=BB9_7 Depth=1
	s_or_b64 exec, exec, s[2:3]
	s_waitcnt lgkmcnt(0)
	s_barrier
	s_mov_b64 s[2:3], -1
	s_and_b64 vcc, exec, s[20:21]
	s_cbranch_vccnz .LBB9_22
	s_branch .LBB9_32
.LBB9_69:                               ;   in Loop: Header=BB9_7 Depth=1
	v_mov_b32_e32 v2, 0
	s_mov_b32 s9, 0
	s_cbranch_execnz .LBB9_74
	s_branch .LBB9_76
.LBB9_70:                               ;   in Loop: Header=BB9_7 Depth=1
	v_mov_b32_e32 v9, v8
	v_readlane_b32 s20, v50, 37
	v_mov_b64_e32 v[2:3], v[8:9]
	v_readlane_b32 s21, v50, 38
.LBB9_71:                               ;   in Loop: Header=BB9_7 Depth=1
	v_readlane_b32 s22, v50, 31
	v_readlane_b32 s23, v50, 32
	s_andn2_b64 vcc, exec, s[22:23]
	v_readlane_b32 s9, v50, 30
	s_cbranch_vccnz .LBB9_73
.LBB9_72:                               ;   Parent Loop BB9_7 Depth=1
                                        ; =>  This Inner Loop Header: Depth=2
	v_lshl_add_u32 v9, s20, 4, v5
	v_lshl_add_u32 v16, s21, 4, v5
	ds_read_b32 v16, v16
	ds_read_b32 v9, v9
	s_add_i32 s21, s21, 2
	s_add_i32 s20, s20, 2
	s_add_i32 s9, s9, -1
	s_cmp_lg_u32 s9, 0
	s_waitcnt lgkmcnt(1)
	v_add_u32_e32 v3, v16, v3
	s_waitcnt lgkmcnt(0)
	v_add_u32_e32 v2, v9, v2
	s_cbranch_scc1 .LBB9_72
.LBB9_73:                               ;   in Loop: Header=BB9_7 Depth=1
	v_readlane_b32 s20, v50, 35
	v_add_u32_e32 v2, v2, v3
	v_readlane_b32 s9, v50, 34
	v_readlane_b32 s21, v50, 36
	s_and_b64 vcc, exec, s[20:21]
	s_cbranch_vccz .LBB9_76
.LBB9_74:                               ;   in Loop: Header=BB9_7 Depth=1
	s_lshl_b32 s20, s61, 8
	s_lshl_b32 s21, s9, 4
	s_add_i32 s20, s20, s21
	v_add_u32_e32 v3, s20, v29
	v_readlane_b32 s20, v50, 33
	s_sub_i32 s9, s20, s9
.LBB9_75:                               ;   Parent Loop BB9_7 Depth=1
                                        ; =>  This Inner Loop Header: Depth=2
	ds_read_b32 v5, v3
	s_add_i32 s9, s9, -1
	v_add_u32_e32 v3, 16, v3
	s_cmp_eq_u32 s9, 0
	s_waitcnt lgkmcnt(0)
	v_add_u32_e32 v2, v5, v2
	s_cbranch_scc0 .LBB9_75
.LBB9_76:                               ;   in Loop: Header=BB9_7 Depth=1
	v_lshlrev_b32_e32 v3, 2, v4
	ds_write_b32 v3, v2 offset:3072
.LBB9_77:                               ;   in Loop: Header=BB9_7 Depth=1
	s_or_b64 exec, exec, s[2:3]
	s_lshl_b32 s2, s8, 2
	s_waitcnt vmcnt(0)
	v_mov_b32_e32 v2, s2
	s_waitcnt lgkmcnt(0)
	s_barrier
	ds_read_b128 v[2:5], v2 offset:3072
	v_cmp_eq_u32_e32 vcc, 1, v35
	s_mov_b64 s[20:21], -1
	s_mov_b64 s[28:29], -1
                                        ; implicit-def: $sgpr26_sgpr27
                                        ; implicit-def: $sgpr24_sgpr25
	s_waitcnt lgkmcnt(0)
	v_readfirstlane_b32 s9, v2
	s_cmp_eq_u32 s9, 1
	v_readfirstlane_b32 s54, v4
	v_lshlrev_b32_e64 v4, v31, 3
	s_cselect_b64 s[2:3], -1, 0
	v_readfirstlane_b32 s8, v3
	v_readfirstlane_b32 s86, v5
	v_not_b32_e32 v9, v4
	s_and_b64 s[22:23], s[2:3], vcc
	s_and_saveexec_b64 s[2:3], s[22:23]
	s_cbranch_execz .LBB9_103
; %bb.78:                               ;   in Loop: Header=BB9_7 Depth=1
	ds_read_b32 v2, v8 offset:4096
	s_waitcnt lgkmcnt(0)
	s_barrier
	v_readfirstlane_b32 s42, v2
	s_and_saveexec_b64 s[24:25], s[4:5]
; %bb.79:                               ;   in Loop: Header=BB9_7 Depth=1
	ds_write_b8 v0, v8 offset:3072
; %bb.80:                               ;   in Loop: Header=BB9_7 Depth=1
	s_or_b64 exec, exec, s[24:25]
	v_and_b32_e32 v26, v26, v9
	v_or_b32_e32 v33, v33, v4
	s_mov_b64 s[24:25], -1
	s_mov_b64 s[26:27], 0
	s_cmp_lt_i32 s42, 1
	s_mov_b64 s[28:29], 0
	s_mov_b64 s[30:31], -1
	s_waitcnt lgkmcnt(0)
	s_barrier
                                        ; implicit-def: $vgpr34
	s_cbranch_scc0 .LBB9_91
; %bb.81:                               ;   in Loop: Header=BB9_7 Depth=1
	s_mov_b64 s[30:31], 0
                                        ; implicit-def: $vgpr34
	s_and_saveexec_b64 s[34:35], s[16:17]
	s_cbranch_execz .LBB9_90
; %bb.82:                               ;   in Loop: Header=BB9_7 Depth=1
	v_mov_b32_e32 v2, v6
	v_mov_b32_e32 v5, v0
                                        ; implicit-def: $sgpr36_sgpr37
	s_branch .LBB9_85
.LBB9_83:                               ;   in Loop: Header=BB9_85 Depth=2
	s_or_b64 exec, exec, s[38:39]
	s_waitcnt lgkmcnt(0)
	s_barrier
	ds_read_u16 v3, v8 offset:3072
	s_mov_b64 s[38:39], -1
	s_waitcnt lgkmcnt(0)
	s_barrier
	v_cmp_ne_u32_sdwa s[40:41], v3, v8 src0_sel:BYTE_0 src1_sel:DWORD
	s_and_b64 vcc, exec, s[40:41]
	s_mov_b64 s[40:41], -1
	s_cbranch_vccz .LBB9_88
.LBB9_84:                               ;   in Loop: Header=BB9_85 Depth=2
	s_and_b64 s[38:39], exec, s[38:39]
	s_or_b64 s[28:29], s[38:39], s[28:29]
	s_andn2_b64 s[36:37], s[36:37], exec
	s_and_b64 s[38:39], s[40:41], exec
	s_or_b64 s[36:37], s[36:37], s[38:39]
	s_andn2_b64 exec, exec, s[28:29]
	s_cbranch_execz .LBB9_89
.LBB9_85:                               ;   Parent Loop BB9_7 Depth=1
                                        ; =>  This Inner Loop Header: Depth=2
	v_cmp_gt_i32_e32 vcc, s60, v5
	s_and_saveexec_b64 s[38:39], vcc
	s_cbranch_execz .LBB9_83
; %bb.86:                               ;   in Loop: Header=BB9_85 Depth=2
	v_ashrrev_i32_e32 v3, 31, v2
	v_lshl_add_u64 v[16:17], s[72:73], 0, v[2:3]
	global_load_ubyte v3, v[16:17], off
	s_waitcnt vmcnt(0)
	v_add_u32_sdwa v16, sext(v3), s7 dst_sel:DWORD dst_unused:UNUSED_PAD src0_sel:BYTE_0 src1_sel:DWORD
	v_and_b32_e32 v16, v16, v33
	v_cmp_eq_u32_e32 vcc, v16, v26
	s_and_b64 exec, exec, vcc
	s_cbranch_execz .LBB9_83
; %bb.87:                               ;   in Loop: Header=BB9_85 Depth=2
	v_lshlrev_b16_e32 v3, 8, v3
	v_or_b32_e32 v3, 1, v3
	ds_write_b16 v8, v3 offset:3072
	s_branch .LBB9_83
.LBB9_88:                               ;   in Loop: Header=BB9_85 Depth=2
	v_add_u32_e32 v5, s62, v5
	v_cmp_le_i32_e32 vcc, s91, v5
	v_add_u32_e32 v2, s88, v2
	s_mov_b64 s[40:41], 0
	s_orn2_b64 s[38:39], vcc, exec
	s_branch .LBB9_84
.LBB9_89:                               ;   in Loop: Header=BB9_7 Depth=1
	s_or_b64 exec, exec, s[28:29]
	v_lshrrev_b32_sdwa v34, v32, v3 dst_sel:DWORD dst_unused:UNUSED_PAD src0_sel:DWORD src1_sel:WORD_0
	s_and_b64 s[28:29], s[36:37], exec
.LBB9_90:                               ;   in Loop: Header=BB9_7 Depth=1
	s_or_b64 exec, exec, s[34:35]
.LBB9_91:                               ;   in Loop: Header=BB9_7 Depth=1
	s_and_b64 vcc, exec, s[30:31]
	s_cbranch_vccz .LBB9_102
; %bb.92:                               ;   in Loop: Header=BB9_7 Depth=1
	s_add_i32 s38, s42, s90
	s_abs_i32 s25, s38
	s_mul_hi_u32 s26, s25, s33
	s_mul_i32 s26, s26, s62
	s_sub_i32 s25, s25, s26
	s_ashr_i32 s24, s38, 31
	s_sub_i32 s26, s25, s62
	s_cmp_ge_u32 s25, s62
	s_cselect_b32 s25, s26, s25
	s_sub_i32 s26, s25, s62
	s_cmp_ge_u32 s25, s62
	s_cselect_b32 s25, s26, s25
	s_xor_b32 s25, s25, s24
	s_sub_i32 s24, s24, s25
	s_add_i32 s38, s38, s24
	v_cmp_gt_i32_e32 vcc, s38, v0
                                        ; implicit-def: $vgpr34
	s_and_saveexec_b64 s[24:25], vcc
	s_cbranch_execz .LBB9_101
; %bb.93:                               ;   in Loop: Header=BB9_7 Depth=1
	s_mov_b64 s[26:27], 0
	v_mov_b32_e32 v2, v0
                                        ; implicit-def: $sgpr30_sgpr31
	s_branch .LBB9_96
.LBB9_94:                               ;   in Loop: Header=BB9_96 Depth=2
	s_or_b64 exec, exec, s[34:35]
	s_waitcnt lgkmcnt(0)
	s_barrier
	ds_read_u16 v3, v8 offset:3072
	s_mov_b64 s[34:35], -1
	s_waitcnt lgkmcnt(0)
	s_barrier
	v_cmp_ne_u32_sdwa s[36:37], v3, v8 src0_sel:BYTE_0 src1_sel:DWORD
	s_and_b64 vcc, exec, s[36:37]
	s_mov_b64 s[36:37], -1
	s_cbranch_vccz .LBB9_99
.LBB9_95:                               ;   in Loop: Header=BB9_96 Depth=2
	s_and_b64 s[34:35], exec, s[34:35]
	s_or_b64 s[26:27], s[34:35], s[26:27]
	s_andn2_b64 s[30:31], s[30:31], exec
	s_and_b64 s[34:35], s[36:37], exec
	s_or_b64 s[30:31], s[30:31], s[34:35]
	s_andn2_b64 exec, exec, s[26:27]
	s_cbranch_execz .LBB9_100
.LBB9_96:                               ;   Parent Loop BB9_7 Depth=1
                                        ; =>  This Inner Loop Header: Depth=2
	v_cmp_gt_i32_e32 vcc, s42, v2
	s_and_saveexec_b64 s[34:35], vcc
	s_cbranch_execz .LBB9_94
; %bb.97:                               ;   in Loop: Header=BB9_96 Depth=2
	ds_read_u8 v3, v2
	s_waitcnt lgkmcnt(0)
	v_add_u32_sdwa v5, sext(v3), s7 dst_sel:DWORD dst_unused:UNUSED_PAD src0_sel:BYTE_0 src1_sel:DWORD
	v_and_b32_e32 v5, v5, v33
	v_cmp_eq_u32_e32 vcc, v5, v26
	s_and_b64 exec, exec, vcc
	s_cbranch_execz .LBB9_94
; %bb.98:                               ;   in Loop: Header=BB9_96 Depth=2
	v_lshlrev_b16_e32 v3, 8, v3
	v_or_b32_e32 v3, 1, v3
	ds_write_b16 v8, v3 offset:3072
	s_branch .LBB9_94
.LBB9_99:                               ;   in Loop: Header=BB9_96 Depth=2
	v_add_u32_e32 v2, s62, v2
	v_cmp_le_i32_e32 vcc, s38, v2
	s_mov_b64 s[36:37], 0
	s_orn2_b64 s[34:35], vcc, exec
	s_branch .LBB9_95
.LBB9_100:                              ;   in Loop: Header=BB9_7 Depth=1
	s_or_b64 exec, exec, s[26:27]
	s_andn2_b64 s[26:27], s[28:29], exec
	s_and_b64 s[28:29], s[30:31], exec
	v_lshrrev_b32_sdwa v34, v32, v3 dst_sel:DWORD dst_unused:UNUSED_PAD src0_sel:DWORD src1_sel:WORD_0
	s_or_b64 s[28:29], s[26:27], s[28:29]
.LBB9_101:                              ;   in Loop: Header=BB9_7 Depth=1
	s_or_b64 exec, exec, s[24:25]
	s_mov_b64 s[24:25], 0
	s_mov_b64 s[26:27], -1
.LBB9_102:                              ;   in Loop: Header=BB9_7 Depth=1
	s_orn2_b64 s[28:29], s[28:29], exec
.LBB9_103:                              ;   in Loop: Header=BB9_7 Depth=1
	s_or_b64 exec, exec, s[2:3]
	s_andn2_b64 s[2:3], s[68:69], exec
	s_and_b64 s[26:27], s[26:27], exec
	s_or_b64 s[68:69], s[2:3], s[26:27]
	s_andn2_b64 s[2:3], s[66:67], exec
	s_and_b64 s[24:25], s[24:25], exec
	v_readfirstlane_b32 s34, v0
	s_andn2_b64 s[64:65], s[64:65], exec
	s_or_b64 s[66:67], s[2:3], s[24:25]
                                        ; implicit-def: $vgpr16
	s_and_saveexec_b64 s[2:3], s[28:29]
	s_cbranch_execz .LBB9_6
; %bb.104:                              ;   in Loop: Header=BB9_7 Depth=1
	s_xor_b64 s[24:25], s[22:23], -1
	s_mov_b64 s[22:23], 0
	v_mov_b32_e32 v16, 1
	v_mov_b32_e32 v5, 1
	s_and_saveexec_b64 s[20:21], s[24:25]
	s_cbranch_execz .LBB9_113
; %bb.105:                              ;   in Loop: Header=BB9_7 Depth=1
	v_cmp_ge_i32_e32 vcc, s9, v35
	s_and_saveexec_b64 s[22:23], vcc
	s_xor_b64 s[22:23], exec, s[22:23]
	s_cbranch_execz .LBB9_110
; %bb.106:                              ;   in Loop: Header=BB9_7 Depth=1
	ds_read_b32 v2, v8 offset:4096
	v_and_b32_e32 v26, v26, v9
	v_or_b32_e32 v33, v33, v4
	s_waitcnt lgkmcnt(0)
	v_cmp_ne_u32_e32 vcc, 0, v2
	s_cbranch_vccnz .LBB9_110
; %bb.107:                              ;   in Loop: Header=BB9_7 Depth=1
	s_and_saveexec_b64 s[24:25], s[0:1]
; %bb.108:                              ;   in Loop: Header=BB9_7 Depth=1
	v_mov_b32_e32 v2, s9
	ds_write_b32 v8, v2 offset:4100
; %bb.109:                              ;   in Loop: Header=BB9_7 Depth=1
	s_or_b64 exec, exec, s[24:25]
	s_waitcnt lgkmcnt(0)
	s_barrier
.LBB9_110:                              ;   in Loop: Header=BB9_7 Depth=1
	s_or_saveexec_b64 s[22:23], s[22:23]
	s_mov_b64 s[24:25], 0
	v_mov_b32_e32 v5, 8
	s_xor_b64 exec, exec, s[22:23]
; %bb.111:                              ;   in Loop: Header=BB9_7 Depth=1
	s_mov_b64 s[24:25], exec
	v_subrev_u32_e32 v35, s9, v35
	v_mov_b32_e32 v5, 0
; %bb.112:                              ;   in Loop: Header=BB9_7 Depth=1
	s_or_b64 exec, exec, s[22:23]
	s_and_b64 s[22:23], s[24:25], exec
	v_mov_b32_e32 v16, v35
.LBB9_113:                              ;   in Loop: Header=BB9_7 Depth=1
	s_or_b64 exec, exec, s[20:21]
	s_mov_b64 s[20:21], -1
	s_mov_b64 s[28:29], -1
                                        ; implicit-def: $sgpr24_sgpr25
                                        ; implicit-def: $sgpr26_sgpr27
	s_and_saveexec_b64 s[30:31], s[22:23]
	s_xor_b64 s[22:23], exec, s[30:31]
	s_cbranch_execz .LBB9_230
; %bb.114:                              ;   in Loop: Header=BB9_7 Depth=1
	s_cmp_eq_u32 s8, 1
	s_cselect_b64 s[24:25], -1, 0
	v_cmp_eq_u32_e32 vcc, 1, v16
	s_and_b64 s[30:31], s[24:25], vcc
	s_mov_b64 s[34:35], -1
                                        ; implicit-def: $sgpr26_sgpr27
                                        ; implicit-def: $sgpr24_sgpr25
	s_and_saveexec_b64 s[28:29], s[30:31]
	s_cbranch_execz .LBB9_140
; %bb.115:                              ;   in Loop: Header=BB9_7 Depth=1
	ds_read_b32 v2, v8 offset:4096
	s_waitcnt lgkmcnt(0)
	s_barrier
	v_readfirstlane_b32 s9, v2
	s_and_saveexec_b64 s[24:25], s[4:5]
; %bb.116:                              ;   in Loop: Header=BB9_7 Depth=1
	ds_write_b8 v0, v8 offset:3072
; %bb.117:                              ;   in Loop: Header=BB9_7 Depth=1
	s_or_b64 exec, exec, s[24:25]
	v_and_b32_e32 v2, v26, v9
	v_lshl_or_b32 v26, 1, v31, v2
	v_or_b32_e32 v33, v33, v4
	s_mov_b64 s[24:25], -1
	s_mov_b64 s[26:27], 0
	s_cmp_gt_i32 s9, 0
	s_mov_b64 s[34:35], 0
	s_mov_b64 s[36:37], -1
	s_waitcnt lgkmcnt(0)
	s_barrier
                                        ; implicit-def: $vgpr34
	s_cbranch_scc1 .LBB9_128
; %bb.118:                              ;   in Loop: Header=BB9_7 Depth=1
	s_mov_b64 s[36:37], 0
                                        ; implicit-def: $vgpr34
	s_and_saveexec_b64 s[38:39], s[16:17]
	s_cbranch_execz .LBB9_127
; %bb.119:                              ;   in Loop: Header=BB9_7 Depth=1
	v_mov_b32_e32 v2, v6
	v_mov_b32_e32 v17, v0
                                        ; implicit-def: $sgpr40_sgpr41
	s_branch .LBB9_122
.LBB9_120:                              ;   in Loop: Header=BB9_122 Depth=2
	s_or_b64 exec, exec, s[42:43]
	s_waitcnt lgkmcnt(0)
	s_barrier
	ds_read_u16 v3, v8 offset:3072
	s_mov_b64 s[42:43], -1
	s_waitcnt lgkmcnt(0)
	s_barrier
	v_cmp_ne_u32_sdwa s[44:45], v3, v8 src0_sel:BYTE_0 src1_sel:DWORD
	s_and_b64 vcc, exec, s[44:45]
	s_mov_b64 s[44:45], -1
	s_cbranch_vccz .LBB9_125
.LBB9_121:                              ;   in Loop: Header=BB9_122 Depth=2
	s_and_b64 s[42:43], exec, s[42:43]
	s_or_b64 s[34:35], s[42:43], s[34:35]
	s_andn2_b64 s[40:41], s[40:41], exec
	s_and_b64 s[42:43], s[44:45], exec
	s_or_b64 s[40:41], s[40:41], s[42:43]
	s_andn2_b64 exec, exec, s[34:35]
	s_cbranch_execz .LBB9_126
.LBB9_122:                              ;   Parent Loop BB9_7 Depth=1
                                        ; =>  This Inner Loop Header: Depth=2
	v_cmp_gt_i32_e32 vcc, s60, v17
	s_and_saveexec_b64 s[42:43], vcc
	s_cbranch_execz .LBB9_120
; %bb.123:                              ;   in Loop: Header=BB9_122 Depth=2
	v_ashrrev_i32_e32 v3, 31, v2
	v_lshl_add_u64 v[18:19], s[72:73], 0, v[2:3]
	global_load_ubyte v3, v[18:19], off
	s_waitcnt vmcnt(0)
	v_add_u32_sdwa v18, sext(v3), s7 dst_sel:DWORD dst_unused:UNUSED_PAD src0_sel:BYTE_0 src1_sel:DWORD
	v_and_b32_e32 v18, v18, v33
	v_cmp_eq_u32_e32 vcc, v18, v26
	s_and_b64 exec, exec, vcc
	s_cbranch_execz .LBB9_120
; %bb.124:                              ;   in Loop: Header=BB9_122 Depth=2
	v_lshlrev_b16_e32 v3, 8, v3
	v_or_b32_e32 v3, 1, v3
	ds_write_b16 v8, v3 offset:3072
	s_branch .LBB9_120
.LBB9_125:                              ;   in Loop: Header=BB9_122 Depth=2
	v_add_u32_e32 v17, s62, v17
	v_cmp_le_i32_e32 vcc, s91, v17
	v_add_u32_e32 v2, s88, v2
	s_mov_b64 s[44:45], 0
	s_orn2_b64 s[42:43], vcc, exec
	s_branch .LBB9_121
.LBB9_126:                              ;   in Loop: Header=BB9_7 Depth=1
	s_or_b64 exec, exec, s[34:35]
	v_lshrrev_b32_sdwa v34, v32, v3 dst_sel:DWORD dst_unused:UNUSED_PAD src0_sel:DWORD src1_sel:WORD_0
	s_and_b64 s[34:35], s[40:41], exec
.LBB9_127:                              ;   in Loop: Header=BB9_7 Depth=1
	s_or_b64 exec, exec, s[38:39]
.LBB9_128:                              ;   in Loop: Header=BB9_7 Depth=1
	s_and_b64 vcc, exec, s[36:37]
	s_cbranch_vccz .LBB9_139
; %bb.129:                              ;   in Loop: Header=BB9_7 Depth=1
	s_add_i32 s42, s9, s90
	s_abs_i32 s25, s42
	s_mul_hi_u32 s26, s25, s33
	s_mul_i32 s26, s26, s62
	s_sub_i32 s25, s25, s26
	s_ashr_i32 s24, s42, 31
	s_sub_i32 s26, s25, s62
	s_cmp_ge_u32 s25, s62
	s_cselect_b32 s25, s26, s25
	s_sub_i32 s26, s25, s62
	s_cmp_ge_u32 s25, s62
	s_cselect_b32 s25, s26, s25
	s_xor_b32 s25, s25, s24
	s_sub_i32 s24, s24, s25
	s_add_i32 s42, s42, s24
	v_cmp_gt_i32_e32 vcc, s42, v0
                                        ; implicit-def: $vgpr34
	s_and_saveexec_b64 s[24:25], vcc
	s_cbranch_execz .LBB9_138
; %bb.130:                              ;   in Loop: Header=BB9_7 Depth=1
	s_mov_b64 s[26:27], 0
	v_mov_b32_e32 v2, v0
                                        ; implicit-def: $sgpr36_sgpr37
	s_branch .LBB9_133
.LBB9_131:                              ;   in Loop: Header=BB9_133 Depth=2
	s_or_b64 exec, exec, s[38:39]
	s_waitcnt lgkmcnt(0)
	s_barrier
	ds_read_u16 v3, v8 offset:3072
	s_mov_b64 s[38:39], -1
	s_waitcnt lgkmcnt(0)
	s_barrier
	v_cmp_eq_u32_sdwa s[40:41], v3, v8 src0_sel:BYTE_0 src1_sel:DWORD
	s_and_b64 vcc, exec, s[40:41]
	s_mov_b64 s[40:41], -1
	s_cbranch_vccnz .LBB9_136
.LBB9_132:                              ;   in Loop: Header=BB9_133 Depth=2
	s_and_b64 s[38:39], exec, s[38:39]
	s_or_b64 s[26:27], s[38:39], s[26:27]
	s_andn2_b64 s[36:37], s[36:37], exec
	s_and_b64 s[38:39], s[40:41], exec
	s_or_b64 s[36:37], s[36:37], s[38:39]
	s_andn2_b64 exec, exec, s[26:27]
	s_cbranch_execz .LBB9_137
.LBB9_133:                              ;   Parent Loop BB9_7 Depth=1
                                        ; =>  This Inner Loop Header: Depth=2
	v_cmp_gt_i32_e32 vcc, s9, v2
	s_and_saveexec_b64 s[38:39], vcc
	s_cbranch_execz .LBB9_131
; %bb.134:                              ;   in Loop: Header=BB9_133 Depth=2
	ds_read_u8 v3, v2
	s_waitcnt lgkmcnt(0)
	v_add_u32_sdwa v17, sext(v3), s7 dst_sel:DWORD dst_unused:UNUSED_PAD src0_sel:BYTE_0 src1_sel:DWORD
	v_and_b32_e32 v17, v17, v33
	v_cmp_eq_u32_e32 vcc, v17, v26
	s_and_b64 exec, exec, vcc
	s_cbranch_execz .LBB9_131
; %bb.135:                              ;   in Loop: Header=BB9_133 Depth=2
	v_lshlrev_b16_e32 v3, 8, v3
	v_or_b32_e32 v3, 1, v3
	ds_write_b16 v8, v3 offset:3072
	s_branch .LBB9_131
.LBB9_136:                              ;   in Loop: Header=BB9_133 Depth=2
	v_add_u32_e32 v2, s62, v2
	v_cmp_le_i32_e32 vcc, s42, v2
	s_mov_b64 s[40:41], 0
	s_orn2_b64 s[38:39], vcc, exec
	s_branch .LBB9_132
.LBB9_137:                              ;   in Loop: Header=BB9_7 Depth=1
	s_or_b64 exec, exec, s[26:27]
	s_andn2_b64 s[26:27], s[34:35], exec
	s_and_b64 s[34:35], s[36:37], exec
	v_lshrrev_b32_sdwa v34, v32, v3 dst_sel:DWORD dst_unused:UNUSED_PAD src0_sel:DWORD src1_sel:WORD_0
	s_or_b64 s[34:35], s[26:27], s[34:35]
.LBB9_138:                              ;   in Loop: Header=BB9_7 Depth=1
	s_or_b64 exec, exec, s[24:25]
	s_mov_b64 s[24:25], 0
	s_mov_b64 s[26:27], -1
.LBB9_139:                              ;   in Loop: Header=BB9_7 Depth=1
	s_orn2_b64 s[34:35], s[34:35], exec
.LBB9_140:                              ;   in Loop: Header=BB9_7 Depth=1
	s_or_b64 exec, exec, s[28:29]
	s_mov_b64 s[36:37], 0
	s_and_saveexec_b64 s[28:29], s[34:35]
	s_cbranch_execz .LBB9_229
; %bb.141:                              ;   in Loop: Header=BB9_7 Depth=1
	s_xor_b64 s[34:35], s[30:31], -1
	s_mov_b64 s[40:41], 0
	v_mov_b32_e32 v17, 1
	v_mov_b32_e32 v5, 1
	s_and_saveexec_b64 s[30:31], s[34:35]
	s_cbranch_execz .LBB9_150
; %bb.142:                              ;   in Loop: Header=BB9_7 Depth=1
	v_cmp_ge_i32_e32 vcc, s8, v16
	s_and_saveexec_b64 s[34:35], vcc
	s_xor_b64 s[34:35], exec, s[34:35]
	s_cbranch_execz .LBB9_147
; %bb.143:                              ;   in Loop: Header=BB9_7 Depth=1
	ds_read_b32 v2, v8 offset:4096
	v_and_b32_e32 v3, v26, v9
	v_lshl_or_b32 v26, 1, v31, v3
	v_or_b32_e32 v33, v33, v4
	s_waitcnt lgkmcnt(0)
	v_cmp_ne_u32_e32 vcc, 0, v2
	s_cbranch_vccnz .LBB9_147
; %bb.144:                              ;   in Loop: Header=BB9_7 Depth=1
	s_and_saveexec_b64 s[36:37], s[0:1]
; %bb.145:                              ;   in Loop: Header=BB9_7 Depth=1
	v_mov_b32_e32 v2, s8
	ds_write_b32 v8, v2 offset:4100
; %bb.146:                              ;   in Loop: Header=BB9_7 Depth=1
	s_or_b64 exec, exec, s[36:37]
	s_waitcnt lgkmcnt(0)
	s_barrier
.LBB9_147:                              ;   in Loop: Header=BB9_7 Depth=1
	s_or_saveexec_b64 s[34:35], s[34:35]
	s_mov_b64 s[36:37], 0
	v_mov_b32_e32 v5, 8
	s_xor_b64 exec, exec, s[34:35]
; %bb.148:                              ;   in Loop: Header=BB9_7 Depth=1
	s_mov_b64 s[36:37], exec
	v_subrev_u32_e32 v16, s8, v16
	v_mov_b32_e32 v5, 0
; %bb.149:                              ;   in Loop: Header=BB9_7 Depth=1
	s_or_b64 exec, exec, s[34:35]
	s_and_b64 s[40:41], s[36:37], exec
	v_mov_b32_e32 v17, v16
.LBB9_150:                              ;   in Loop: Header=BB9_7 Depth=1
	s_or_b64 exec, exec, s[30:31]
	s_mov_b64 s[38:39], -1
                                        ; implicit-def: $sgpr34_sgpr35
                                        ; implicit-def: $sgpr36_sgpr37
	s_and_saveexec_b64 s[30:31], s[40:41]
	s_cbranch_execz .LBB9_228
; %bb.151:                              ;   in Loop: Header=BB9_7 Depth=1
	s_cmp_eq_u32 s54, 1
	s_cselect_b64 s[8:9], -1, 0
	v_cmp_eq_u32_e32 vcc, 1, v17
	s_and_b64 s[40:41], s[8:9], vcc
	s_mov_b64 s[42:43], -1
                                        ; implicit-def: $sgpr36_sgpr37
                                        ; implicit-def: $sgpr34_sgpr35
	s_and_saveexec_b64 s[38:39], s[40:41]
	s_cbranch_execz .LBB9_177
; %bb.152:                              ;   in Loop: Header=BB9_7 Depth=1
	ds_read_b32 v2, v8 offset:4096
	s_waitcnt lgkmcnt(0)
	s_barrier
	v_readfirstlane_b32 s8, v2
	s_and_saveexec_b64 s[34:35], s[4:5]
; %bb.153:                              ;   in Loop: Header=BB9_7 Depth=1
	ds_write_b8 v0, v8 offset:3072
; %bb.154:                              ;   in Loop: Header=BB9_7 Depth=1
	s_or_b64 exec, exec, s[34:35]
	v_and_b32_e32 v2, v26, v9
	v_lshl_or_b32 v26, 2, v31, v2
	v_or_b32_e32 v33, v33, v4
	s_mov_b64 s[34:35], -1
	s_mov_b64 s[36:37], 0
	s_cmp_gt_i32 s8, 0
	s_mov_b64 s[42:43], 0
	s_mov_b64 s[44:45], -1
	s_waitcnt lgkmcnt(0)
	s_barrier
                                        ; implicit-def: $vgpr34
	s_cbranch_scc1 .LBB9_165
; %bb.155:                              ;   in Loop: Header=BB9_7 Depth=1
	s_mov_b64 s[44:45], 0
                                        ; implicit-def: $vgpr34
	s_and_saveexec_b64 s[46:47], s[16:17]
	s_cbranch_execz .LBB9_164
; %bb.156:                              ;   in Loop: Header=BB9_7 Depth=1
	v_mov_b32_e32 v2, v6
	v_mov_b32_e32 v16, v0
                                        ; implicit-def: $sgpr48_sgpr49
	s_branch .LBB9_159
.LBB9_157:                              ;   in Loop: Header=BB9_159 Depth=2
	s_or_b64 exec, exec, s[50:51]
	s_waitcnt lgkmcnt(0)
	s_barrier
	ds_read_u16 v3, v8 offset:3072
	s_mov_b64 s[50:51], -1
	s_waitcnt lgkmcnt(0)
	s_barrier
	v_cmp_ne_u32_sdwa s[52:53], v3, v8 src0_sel:BYTE_0 src1_sel:DWORD
	s_and_b64 vcc, exec, s[52:53]
	s_mov_b64 s[52:53], -1
	s_cbranch_vccz .LBB9_162
.LBB9_158:                              ;   in Loop: Header=BB9_159 Depth=2
	s_and_b64 s[50:51], exec, s[50:51]
	s_or_b64 s[42:43], s[50:51], s[42:43]
	s_andn2_b64 s[48:49], s[48:49], exec
	s_and_b64 s[50:51], s[52:53], exec
	s_or_b64 s[48:49], s[48:49], s[50:51]
	s_andn2_b64 exec, exec, s[42:43]
	s_cbranch_execz .LBB9_163
.LBB9_159:                              ;   Parent Loop BB9_7 Depth=1
                                        ; =>  This Inner Loop Header: Depth=2
	v_cmp_gt_i32_e32 vcc, s60, v16
	s_and_saveexec_b64 s[50:51], vcc
	s_cbranch_execz .LBB9_157
; %bb.160:                              ;   in Loop: Header=BB9_159 Depth=2
	v_ashrrev_i32_e32 v3, 31, v2
	v_lshl_add_u64 v[18:19], s[72:73], 0, v[2:3]
	global_load_ubyte v3, v[18:19], off
	s_waitcnt vmcnt(0)
	v_add_u32_sdwa v18, sext(v3), s7 dst_sel:DWORD dst_unused:UNUSED_PAD src0_sel:BYTE_0 src1_sel:DWORD
	v_and_b32_e32 v18, v18, v33
	v_cmp_eq_u32_e32 vcc, v18, v26
	s_and_b64 exec, exec, vcc
	s_cbranch_execz .LBB9_157
; %bb.161:                              ;   in Loop: Header=BB9_159 Depth=2
	v_lshlrev_b16_e32 v3, 8, v3
	v_or_b32_e32 v3, 1, v3
	ds_write_b16 v8, v3 offset:3072
	s_branch .LBB9_157
.LBB9_162:                              ;   in Loop: Header=BB9_159 Depth=2
	v_add_u32_e32 v16, s62, v16
	v_cmp_le_i32_e32 vcc, s91, v16
	v_add_u32_e32 v2, s88, v2
	s_mov_b64 s[52:53], 0
	s_orn2_b64 s[50:51], vcc, exec
	s_branch .LBB9_158
.LBB9_163:                              ;   in Loop: Header=BB9_7 Depth=1
	s_or_b64 exec, exec, s[42:43]
	v_lshrrev_b32_sdwa v34, v32, v3 dst_sel:DWORD dst_unused:UNUSED_PAD src0_sel:DWORD src1_sel:WORD_0
	s_and_b64 s[42:43], s[48:49], exec
.LBB9_164:                              ;   in Loop: Header=BB9_7 Depth=1
	s_or_b64 exec, exec, s[46:47]
.LBB9_165:                              ;   in Loop: Header=BB9_7 Depth=1
	s_and_b64 vcc, exec, s[44:45]
	s_cbranch_vccz .LBB9_176
; %bb.166:                              ;   in Loop: Header=BB9_7 Depth=1
	s_add_i32 s9, s8, s90
	s_abs_i32 s35, s9
	s_mul_hi_u32 s36, s35, s33
	s_mul_i32 s36, s36, s62
	s_sub_i32 s35, s35, s36
	s_ashr_i32 s34, s9, 31
	s_sub_i32 s36, s35, s62
	s_cmp_ge_u32 s35, s62
	s_cselect_b32 s35, s36, s35
	s_sub_i32 s36, s35, s62
	s_cmp_ge_u32 s35, s62
	s_cselect_b32 s35, s36, s35
	s_xor_b32 s35, s35, s34
	s_sub_i32 s34, s34, s35
	s_add_i32 s9, s9, s34
	v_cmp_gt_i32_e32 vcc, s9, v0
                                        ; implicit-def: $vgpr34
	s_and_saveexec_b64 s[34:35], vcc
	s_cbranch_execz .LBB9_175
; %bb.167:                              ;   in Loop: Header=BB9_7 Depth=1
	s_mov_b64 s[36:37], 0
	v_mov_b32_e32 v2, v0
                                        ; implicit-def: $sgpr44_sgpr45
	s_branch .LBB9_170
.LBB9_168:                              ;   in Loop: Header=BB9_170 Depth=2
	s_or_b64 exec, exec, s[46:47]
	s_waitcnt lgkmcnt(0)
	s_barrier
	ds_read_u16 v3, v8 offset:3072
	s_mov_b64 s[46:47], -1
	s_waitcnt lgkmcnt(0)
	s_barrier
	v_cmp_eq_u32_sdwa s[48:49], v3, v8 src0_sel:BYTE_0 src1_sel:DWORD
	s_and_b64 vcc, exec, s[48:49]
	s_mov_b64 s[48:49], -1
	s_cbranch_vccnz .LBB9_173
.LBB9_169:                              ;   in Loop: Header=BB9_170 Depth=2
	s_and_b64 s[46:47], exec, s[46:47]
	s_or_b64 s[36:37], s[46:47], s[36:37]
	s_andn2_b64 s[44:45], s[44:45], exec
	s_and_b64 s[46:47], s[48:49], exec
	s_or_b64 s[44:45], s[44:45], s[46:47]
	s_andn2_b64 exec, exec, s[36:37]
	s_cbranch_execz .LBB9_174
.LBB9_170:                              ;   Parent Loop BB9_7 Depth=1
                                        ; =>  This Inner Loop Header: Depth=2
	v_cmp_gt_i32_e32 vcc, s8, v2
	s_and_saveexec_b64 s[46:47], vcc
	s_cbranch_execz .LBB9_168
; %bb.171:                              ;   in Loop: Header=BB9_170 Depth=2
	ds_read_u8 v3, v2
	s_waitcnt lgkmcnt(0)
	v_add_u32_sdwa v16, sext(v3), s7 dst_sel:DWORD dst_unused:UNUSED_PAD src0_sel:BYTE_0 src1_sel:DWORD
	v_and_b32_e32 v16, v16, v33
	v_cmp_eq_u32_e32 vcc, v16, v26
	s_and_b64 exec, exec, vcc
	s_cbranch_execz .LBB9_168
; %bb.172:                              ;   in Loop: Header=BB9_170 Depth=2
	v_lshlrev_b16_e32 v3, 8, v3
	v_or_b32_e32 v3, 1, v3
	ds_write_b16 v8, v3 offset:3072
	s_branch .LBB9_168
.LBB9_173:                              ;   in Loop: Header=BB9_170 Depth=2
	v_add_u32_e32 v2, s62, v2
	v_cmp_le_i32_e32 vcc, s9, v2
	s_mov_b64 s[48:49], 0
	s_orn2_b64 s[46:47], vcc, exec
	s_branch .LBB9_169
.LBB9_174:                              ;   in Loop: Header=BB9_7 Depth=1
	s_or_b64 exec, exec, s[36:37]
	s_andn2_b64 s[8:9], s[42:43], exec
	s_and_b64 s[36:37], s[44:45], exec
	v_lshrrev_b32_sdwa v34, v32, v3 dst_sel:DWORD dst_unused:UNUSED_PAD src0_sel:DWORD src1_sel:WORD_0
	s_or_b64 s[42:43], s[8:9], s[36:37]
.LBB9_175:                              ;   in Loop: Header=BB9_7 Depth=1
	s_or_b64 exec, exec, s[34:35]
	s_mov_b64 s[34:35], 0
	s_mov_b64 s[36:37], -1
.LBB9_176:                              ;   in Loop: Header=BB9_7 Depth=1
	s_orn2_b64 s[42:43], s[42:43], exec
.LBB9_177:                              ;   in Loop: Header=BB9_7 Depth=1
	s_or_b64 exec, exec, s[38:39]
	s_mov_b64 s[44:45], 0
	s_and_saveexec_b64 s[38:39], s[42:43]
	s_cbranch_execz .LBB9_227
; %bb.178:                              ;   in Loop: Header=BB9_7 Depth=1
	s_xor_b64 s[8:9], s[40:41], -1
	s_mov_b64 s[48:49], 0
	v_mov_b32_e32 v16, 1
	v_mov_b32_e32 v5, 1
	s_and_saveexec_b64 s[40:41], s[8:9]
	s_cbranch_execz .LBB9_187
; %bb.179:                              ;   in Loop: Header=BB9_7 Depth=1
	v_cmp_ge_i32_e32 vcc, s54, v17
	s_and_saveexec_b64 s[8:9], vcc
	s_xor_b64 s[42:43], exec, s[8:9]
	s_cbranch_execz .LBB9_184
; %bb.180:                              ;   in Loop: Header=BB9_7 Depth=1
	ds_read_b32 v2, v8 offset:4096
	v_and_b32_e32 v3, v26, v9
	v_lshl_or_b32 v26, 2, v31, v3
	v_or_b32_e32 v33, v33, v4
	s_waitcnt lgkmcnt(0)
	v_cmp_ne_u32_e32 vcc, 0, v2
	s_cbranch_vccnz .LBB9_184
; %bb.181:                              ;   in Loop: Header=BB9_7 Depth=1
	s_and_saveexec_b64 s[44:45], s[0:1]
; %bb.182:                              ;   in Loop: Header=BB9_7 Depth=1
	v_mov_b32_e32 v2, s54
	ds_write_b32 v8, v2 offset:4100
; %bb.183:                              ;   in Loop: Header=BB9_7 Depth=1
	s_or_b64 exec, exec, s[44:45]
	s_waitcnt lgkmcnt(0)
	s_barrier
.LBB9_184:                              ;   in Loop: Header=BB9_7 Depth=1
	s_or_saveexec_b64 s[42:43], s[42:43]
	s_mov_b64 s[44:45], 0
	v_mov_b32_e32 v5, 8
	s_xor_b64 exec, exec, s[42:43]
; %bb.185:                              ;   in Loop: Header=BB9_7 Depth=1
	s_mov_b64 s[44:45], exec
	v_subrev_u32_e32 v17, s54, v17
	v_mov_b32_e32 v5, 0
; %bb.186:                              ;   in Loop: Header=BB9_7 Depth=1
	s_or_b64 exec, exec, s[42:43]
	s_and_b64 s[48:49], s[44:45], exec
	v_mov_b32_e32 v16, v17
.LBB9_187:                              ;   in Loop: Header=BB9_7 Depth=1
	s_or_b64 exec, exec, s[40:41]
	s_mov_b64 s[46:47], -1
                                        ; implicit-def: $sgpr44_sgpr45
                                        ; implicit-def: $sgpr42_sgpr43
	s_and_saveexec_b64 s[40:41], s[48:49]
	s_cbranch_execz .LBB9_226
; %bb.188:                              ;   in Loop: Header=BB9_7 Depth=1
	s_cmp_eq_u32 s86, 1
	s_cselect_b64 s[8:9], -1, 0
	v_cmp_eq_u32_e32 vcc, 1, v16
	s_and_b64 s[46:47], s[8:9], vcc
	s_mov_b64 s[50:51], -1
                                        ; implicit-def: $sgpr44_sgpr45
                                        ; implicit-def: $sgpr42_sgpr43
	s_and_saveexec_b64 s[48:49], s[46:47]
	s_cbranch_execz .LBB9_214
; %bb.189:                              ;   in Loop: Header=BB9_7 Depth=1
	ds_read_b32 v2, v8 offset:4096
	s_waitcnt lgkmcnt(0)
	s_barrier
	v_readfirstlane_b32 s8, v2
	s_and_saveexec_b64 s[42:43], s[4:5]
; %bb.190:                              ;   in Loop: Header=BB9_7 Depth=1
	ds_write_b8 v0, v8 offset:3072
; %bb.191:                              ;   in Loop: Header=BB9_7 Depth=1
	s_or_b64 exec, exec, s[42:43]
	v_or_b32_e32 v26, v26, v4
	v_or_b32_e32 v33, v33, v4
	s_mov_b64 s[42:43], -1
	s_mov_b64 s[44:45], 0
	s_cmp_gt_i32 s8, 0
	s_mov_b64 s[50:51], 0
	s_mov_b64 s[52:53], -1
	s_waitcnt lgkmcnt(0)
	s_barrier
                                        ; implicit-def: $vgpr34
	s_cbranch_scc1 .LBB9_202
; %bb.192:                              ;   in Loop: Header=BB9_7 Depth=1
	s_mov_b64 s[52:53], 0
                                        ; implicit-def: $vgpr34
	s_and_saveexec_b64 s[54:55], s[16:17]
	s_cbranch_execz .LBB9_201
; %bb.193:                              ;   in Loop: Header=BB9_7 Depth=1
	v_mov_b32_e32 v2, v6
	v_mov_b32_e32 v9, v0
                                        ; implicit-def: $sgpr56_sgpr57
	s_branch .LBB9_196
.LBB9_194:                              ;   in Loop: Header=BB9_196 Depth=2
	s_or_b64 exec, exec, s[58:59]
	s_waitcnt lgkmcnt(0)
	s_barrier
	ds_read_u16 v3, v8 offset:3072
	s_mov_b64 s[58:59], -1
	s_waitcnt lgkmcnt(0)
	s_barrier
	v_cmp_ne_u32_sdwa s[70:71], v3, v8 src0_sel:BYTE_0 src1_sel:DWORD
	s_and_b64 vcc, exec, s[70:71]
	s_mov_b64 s[70:71], -1
	s_cbranch_vccz .LBB9_199
.LBB9_195:                              ;   in Loop: Header=BB9_196 Depth=2
	s_and_b64 s[58:59], exec, s[58:59]
	s_or_b64 s[50:51], s[58:59], s[50:51]
	s_andn2_b64 s[56:57], s[56:57], exec
	s_and_b64 s[58:59], s[70:71], exec
	s_or_b64 s[56:57], s[56:57], s[58:59]
	s_andn2_b64 exec, exec, s[50:51]
	s_cbranch_execz .LBB9_200
.LBB9_196:                              ;   Parent Loop BB9_7 Depth=1
                                        ; =>  This Inner Loop Header: Depth=2
	v_cmp_gt_i32_e32 vcc, s60, v9
	s_and_saveexec_b64 s[58:59], vcc
	s_cbranch_execz .LBB9_194
; %bb.197:                              ;   in Loop: Header=BB9_196 Depth=2
	v_ashrrev_i32_e32 v3, 31, v2
	v_lshl_add_u64 v[18:19], s[72:73], 0, v[2:3]
	global_load_ubyte v3, v[18:19], off
	s_waitcnt vmcnt(0)
	v_add_u32_sdwa v17, sext(v3), s7 dst_sel:DWORD dst_unused:UNUSED_PAD src0_sel:BYTE_0 src1_sel:DWORD
	v_and_b32_e32 v17, v17, v33
	v_cmp_eq_u32_e32 vcc, v17, v26
	s_and_b64 exec, exec, vcc
	s_cbranch_execz .LBB9_194
; %bb.198:                              ;   in Loop: Header=BB9_196 Depth=2
	v_lshlrev_b16_e32 v3, 8, v3
	v_or_b32_e32 v3, 1, v3
	ds_write_b16 v8, v3 offset:3072
	s_branch .LBB9_194
.LBB9_199:                              ;   in Loop: Header=BB9_196 Depth=2
	v_add_u32_e32 v9, s62, v9
	v_cmp_le_i32_e32 vcc, s91, v9
	v_add_u32_e32 v2, s88, v2
	s_mov_b64 s[70:71], 0
	s_orn2_b64 s[58:59], vcc, exec
	s_branch .LBB9_195
.LBB9_200:                              ;   in Loop: Header=BB9_7 Depth=1
	s_or_b64 exec, exec, s[50:51]
	v_lshrrev_b32_sdwa v34, v32, v3 dst_sel:DWORD dst_unused:UNUSED_PAD src0_sel:DWORD src1_sel:WORD_0
	s_and_b64 s[50:51], s[56:57], exec
.LBB9_201:                              ;   in Loop: Header=BB9_7 Depth=1
	s_or_b64 exec, exec, s[54:55]
.LBB9_202:                              ;   in Loop: Header=BB9_7 Depth=1
	s_and_b64 vcc, exec, s[52:53]
	s_cbranch_vccz .LBB9_213
; %bb.203:                              ;   in Loop: Header=BB9_7 Depth=1
	s_add_i32 s9, s8, s90
	s_abs_i32 s43, s9
	s_mul_hi_u32 s44, s43, s33
	s_mul_i32 s44, s44, s62
	s_sub_i32 s43, s43, s44
	s_ashr_i32 s42, s9, 31
	s_sub_i32 s44, s43, s62
	s_cmp_ge_u32 s43, s62
	s_cselect_b32 s43, s44, s43
	s_sub_i32 s44, s43, s62
	s_cmp_ge_u32 s43, s62
	s_cselect_b32 s43, s44, s43
	s_xor_b32 s43, s43, s42
	s_sub_i32 s42, s42, s43
	s_add_i32 s9, s9, s42
	v_cmp_gt_i32_e32 vcc, s9, v0
                                        ; implicit-def: $vgpr34
	s_and_saveexec_b64 s[42:43], vcc
	s_cbranch_execz .LBB9_212
; %bb.204:                              ;   in Loop: Header=BB9_7 Depth=1
	s_mov_b64 s[44:45], 0
	v_mov_b32_e32 v2, v0
                                        ; implicit-def: $sgpr52_sgpr53
	s_branch .LBB9_207
.LBB9_205:                              ;   in Loop: Header=BB9_207 Depth=2
	s_or_b64 exec, exec, s[54:55]
	s_waitcnt lgkmcnt(0)
	s_barrier
	ds_read_u16 v3, v8 offset:3072
	s_mov_b64 s[54:55], -1
	s_waitcnt lgkmcnt(0)
	s_barrier
	v_cmp_eq_u32_sdwa s[56:57], v3, v8 src0_sel:BYTE_0 src1_sel:DWORD
	s_and_b64 vcc, exec, s[56:57]
	s_mov_b64 s[56:57], -1
	s_cbranch_vccnz .LBB9_210
.LBB9_206:                              ;   in Loop: Header=BB9_207 Depth=2
	s_and_b64 s[54:55], exec, s[54:55]
	s_or_b64 s[44:45], s[54:55], s[44:45]
	s_andn2_b64 s[52:53], s[52:53], exec
	s_and_b64 s[54:55], s[56:57], exec
	s_or_b64 s[52:53], s[52:53], s[54:55]
	s_andn2_b64 exec, exec, s[44:45]
	s_cbranch_execz .LBB9_211
.LBB9_207:                              ;   Parent Loop BB9_7 Depth=1
                                        ; =>  This Inner Loop Header: Depth=2
	v_cmp_gt_i32_e32 vcc, s8, v2
	s_and_saveexec_b64 s[54:55], vcc
	s_cbranch_execz .LBB9_205
; %bb.208:                              ;   in Loop: Header=BB9_207 Depth=2
	ds_read_u8 v3, v2
	s_waitcnt lgkmcnt(0)
	v_add_u32_sdwa v9, sext(v3), s7 dst_sel:DWORD dst_unused:UNUSED_PAD src0_sel:BYTE_0 src1_sel:DWORD
	v_and_b32_e32 v9, v9, v33
	v_cmp_eq_u32_e32 vcc, v9, v26
	s_and_b64 exec, exec, vcc
	s_cbranch_execz .LBB9_205
; %bb.209:                              ;   in Loop: Header=BB9_207 Depth=2
	v_lshlrev_b16_e32 v3, 8, v3
	v_or_b32_e32 v3, 1, v3
	ds_write_b16 v8, v3 offset:3072
	s_branch .LBB9_205
.LBB9_210:                              ;   in Loop: Header=BB9_207 Depth=2
	v_add_u32_e32 v2, s62, v2
	v_cmp_le_i32_e32 vcc, s9, v2
	s_mov_b64 s[56:57], 0
	s_orn2_b64 s[54:55], vcc, exec
	s_branch .LBB9_206
.LBB9_211:                              ;   in Loop: Header=BB9_7 Depth=1
	s_or_b64 exec, exec, s[44:45]
	s_andn2_b64 s[8:9], s[50:51], exec
	s_and_b64 s[44:45], s[52:53], exec
	v_lshrrev_b32_sdwa v34, v32, v3 dst_sel:DWORD dst_unused:UNUSED_PAD src0_sel:DWORD src1_sel:WORD_0
	s_or_b64 s[50:51], s[8:9], s[44:45]
.LBB9_212:                              ;   in Loop: Header=BB9_7 Depth=1
	s_or_b64 exec, exec, s[42:43]
	s_mov_b64 s[42:43], 0
	s_mov_b64 s[44:45], -1
.LBB9_213:                              ;   in Loop: Header=BB9_7 Depth=1
	s_orn2_b64 s[50:51], s[50:51], exec
.LBB9_214:                              ;   in Loop: Header=BB9_7 Depth=1
	s_or_b64 exec, exec, s[48:49]
	s_mov_b64 s[52:53], 0
	s_and_saveexec_b64 s[48:49], s[50:51]
	s_cbranch_execz .LBB9_225
; %bb.215:                              ;   in Loop: Header=BB9_7 Depth=1
	s_xor_b64 s[8:9], s[46:47], -1
	v_mov_b32_e32 v5, 1
	v_mov_b32_e32 v2, 1
	s_and_saveexec_b64 s[46:47], s[8:9]
	s_cbranch_execz .LBB9_224
; %bb.216:                              ;   in Loop: Header=BB9_7 Depth=1
	v_cmp_ge_i32_e32 vcc, s86, v16
	s_and_saveexec_b64 s[8:9], vcc
	s_xor_b64 s[50:51], exec, s[8:9]
	s_cbranch_execz .LBB9_221
; %bb.217:                              ;   in Loop: Header=BB9_7 Depth=1
	ds_read_b32 v2, v8 offset:4096
	v_or_b32_e32 v26, v26, v4
	v_or_b32_e32 v33, v33, v4
	s_waitcnt lgkmcnt(0)
	v_cmp_ne_u32_e32 vcc, 0, v2
	s_cbranch_vccnz .LBB9_221
; %bb.218:                              ;   in Loop: Header=BB9_7 Depth=1
	s_and_saveexec_b64 s[52:53], s[0:1]
; %bb.219:                              ;   in Loop: Header=BB9_7 Depth=1
	v_mov_b32_e32 v2, s86
	ds_write_b32 v8, v2 offset:4100
; %bb.220:                              ;   in Loop: Header=BB9_7 Depth=1
	s_or_b64 exec, exec, s[52:53]
	s_waitcnt lgkmcnt(0)
	s_barrier
.LBB9_221:                              ;   in Loop: Header=BB9_7 Depth=1
	s_andn2_saveexec_b64 s[50:51], s[50:51]
; %bb.222:                              ;   in Loop: Header=BB9_7 Depth=1
	v_subrev_u32_e32 v16, s86, v16
; %bb.223:                              ;   in Loop: Header=BB9_7 Depth=1
	s_or_b64 exec, exec, s[50:51]
	v_mov_b32_e32 v5, 8
	v_mov_b32_e32 v2, v16
.LBB9_224:                              ;   in Loop: Header=BB9_7 Depth=1
	s_or_b64 exec, exec, s[46:47]
	s_mov_b64 s[52:53], exec
	v_mov_b32_e32 v16, v2
.LBB9_225:                              ;   in Loop: Header=BB9_7 Depth=1
	s_or_b64 exec, exec, s[48:49]
	s_orn2_b64 s[46:47], s[52:53], exec
.LBB9_226:                              ;   in Loop: Header=BB9_7 Depth=1
	s_or_b64 exec, exec, s[40:41]
	s_andn2_b64 s[8:9], s[36:37], exec
	s_and_b64 s[36:37], s[44:45], exec
	s_or_b64 s[36:37], s[8:9], s[36:37]
	s_andn2_b64 s[8:9], s[34:35], exec
	s_and_b64 s[34:35], s[42:43], exec
	s_or_b64 s[34:35], s[8:9], s[34:35]
	s_and_b64 s[44:45], s[46:47], exec
	v_mov_b32_e32 v17, v16
.LBB9_227:                              ;   in Loop: Header=BB9_7 Depth=1
	s_or_b64 exec, exec, s[38:39]
	s_orn2_b64 s[38:39], s[44:45], exec
.LBB9_228:                              ;   in Loop: Header=BB9_7 Depth=1
	s_or_b64 exec, exec, s[30:31]
	s_andn2_b64 s[8:9], s[26:27], exec
	s_and_b64 s[26:27], s[36:37], exec
	s_or_b64 s[26:27], s[8:9], s[26:27]
	s_andn2_b64 s[8:9], s[24:25], exec
	s_and_b64 s[24:25], s[34:35], exec
	s_or_b64 s[24:25], s[8:9], s[24:25]
	s_and_b64 s[36:37], s[38:39], exec
	v_mov_b32_e32 v16, v17
.LBB9_229:                              ;   in Loop: Header=BB9_7 Depth=1
	s_or_b64 exec, exec, s[28:29]
	s_orn2_b64 s[28:29], s[36:37], exec
.LBB9_230:                              ;   in Loop: Header=BB9_7 Depth=1
	s_or_b64 exec, exec, s[22:23]
	s_mov_b64 s[30:31], 0
                                        ; implicit-def: $sgpr34
	s_and_saveexec_b64 s[8:9], s[28:29]
	s_xor_b64 s[22:23], exec, s[8:9]
	s_cbranch_execz .LBB9_5
; %bb.231:                              ;   in Loop: Header=BB9_7 Depth=1
	v_and_b32_e32 v2, 7, v5
	v_cmp_eq_u32_e32 vcc, 0, v2
	s_mov_b64 s[20:21], -1
	s_mov_b64 s[28:29], -1
                                        ; implicit-def: $sgpr34
	s_and_saveexec_b64 s[30:31], vcc
	s_cbranch_execz .LBB9_4
; %bb.232:                              ;   in Loop: Header=BB9_7 Depth=1
	v_add_u32_e32 v2, -2, v31
	v_cmp_eq_u32_e32 vcc, 0, v31
	s_xor_b32 s34, s61, 1
	s_xor_b64 s[28:29], exec, -1
	s_orn2_b64 s[20:21], vcc, exec
	v_mov_b32_e32 v31, v2
	s_branch .LBB9_4
.LBB9_233:
	s_or_b64 exec, exec, s[92:93]
	s_xor_b64 s[8:9], s[98:99], -1
	s_xor_b64 s[2:3], s[94:95], -1
	;; [unrolled: 1-line block ×3, first 2 shown]
	s_mov_b64 s[4:5], 0
	s_and_saveexec_b64 s[10:11], s[2:3]
	s_xor_b64 s[2:3], exec, s[10:11]
	s_cbranch_execnz .LBB9_238
; %bb.234:
	s_andn2_saveexec_b64 s[0:1], s[2:3]
	s_cbranch_execnz .LBB9_258
.LBB9_235:
	s_or_b64 exec, exec, s[0:1]
	s_and_saveexec_b64 s[0:1], s[4:5]
.LBB9_236:
	; divergent unreachable
.LBB9_237:
	s_endpgm
.LBB9_238:
	s_and_saveexec_b64 s[4:5], s[8:9]
	s_xor_b64 s[4:5], exec, s[4:5]
	s_cbranch_execz .LBB9_256
; %bb.239:
	s_and_saveexec_b64 s[8:9], s[6:7]
	s_xor_b64 s[6:7], exec, s[8:9]
; %bb.240:
	v_xor_b32_e32 v34, 0xffffff80, v26
; %bb.241:
	s_or_b64 exec, exec, s[6:7]
	s_and_saveexec_b64 s[6:7], s[0:1]
	v_readlane_b32 s20, v50, 18
	v_readlane_b32 s21, v50, 14
	;; [unrolled: 1-line block ×5, first 2 shown]
; %bb.242:
	v_mov_b32_e32 v1, 0
	v_mov_b32_e32 v2, s60
	ds_write_b32 v1, v2 offset:4108
; %bb.243:
	s_or_b64 exec, exec, s[6:7]
	v_mov_b32_e32 v1, 0
	s_waitcnt lgkmcnt(0)
	s_barrier
	ds_read_b32 v1, v1 offset:4108
	s_waitcnt lgkmcnt(0)
	v_min_i32_e32 v2, s60, v1
	v_cmp_lt_i32_e32 vcc, v0, v2
	s_and_saveexec_b64 s[6:7], vcc
	s_cbranch_execz .LBB9_253
; %bb.244:
	s_mov_b64 s[8:9], 0
                                        ; implicit-def: $sgpr10_sgpr11
                                        ; implicit-def: $sgpr14_sgpr15
                                        ; implicit-def: $sgpr12_sgpr13
	s_branch .LBB9_246
.LBB9_245:                              ;   in Loop: Header=BB9_246 Depth=1
	s_or_b64 exec, exec, s[16:17]
	s_and_b64 s[16:17], exec, s[14:15]
	s_or_b64 s[8:9], s[16:17], s[8:9]
	s_andn2_b64 s[10:11], s[10:11], exec
	s_and_b64 s[16:17], s[12:13], exec
	s_or_b64 s[10:11], s[10:11], s[16:17]
	s_andn2_b64 exec, exec, s[8:9]
	s_cbranch_execz .LBB9_248
.LBB9_246:                              ; =>This Inner Loop Header: Depth=1
	v_ashrrev_i32_e32 v7, 31, v6
	v_lshl_add_u64 v[4:5], s[72:73], 0, v[6:7]
	global_load_ubyte v3, v[4:5], off
	v_mov_b32_e32 v1, v0
	s_or_b64 s[12:13], s[12:13], exec
	s_or_b64 s[14:15], s[14:15], exec
                                        ; implicit-def: $vgpr0
	s_waitcnt vmcnt(0)
	v_cmp_ne_u16_sdwa s[18:19], v3, v34 src0_sel:DWORD src1_sel:BYTE_0
	s_and_saveexec_b64 s[16:17], s[18:19]
	s_cbranch_execz .LBB9_245
; %bb.247:                              ;   in Loop: Header=BB9_246 Depth=1
	v_add_u32_e32 v0, s62, v1
	v_cmp_ge_i32_e32 vcc, v0, v2
	s_andn2_b64 s[14:15], s[14:15], exec
	s_and_b64 s[18:19], vcc, exec
	v_add_u32_e32 v6, s88, v6
	s_andn2_b64 s[12:13], s[12:13], exec
	s_or_b64 s[14:15], s[14:15], s[18:19]
	s_branch .LBB9_245
.LBB9_248:
	s_or_b64 exec, exec, s[8:9]
	s_and_saveexec_b64 s[8:9], s[10:11]
	s_xor_b64 s[8:9], exec, s[8:9]
	s_cbranch_execz .LBB9_253
; %bb.249:
	s_mov_b64 s[8:9], exec
	s_brev_b32 s10, -2
.LBB9_250:                              ; =>This Inner Loop Header: Depth=1
	s_ff1_i32_b64 s11, s[8:9]
	v_readlane_b32 s14, v1, s11
	s_lshl_b64 s[12:13], 1, s11
	s_min_i32 s10, s10, s14
	s_andn2_b64 s[8:9], s[8:9], s[12:13]
	s_cmp_lg_u64 s[8:9], 0
	s_cbranch_scc1 .LBB9_250
; %bb.251:
	v_mbcnt_lo_u32_b32 v0, exec_lo, 0
	v_mbcnt_hi_u32_b32 v0, exec_hi, v0
	v_cmp_eq_u32_e32 vcc, 0, v0
	s_and_saveexec_b64 s[8:9], vcc
	s_xor_b64 s[8:9], exec, s[8:9]
; %bb.252:
	v_mov_b32_e32 v0, 0
	v_mov_b32_e32 v1, s10
	ds_min_i32 v0, v1 offset:4108
.LBB9_253:
	s_or_b64 exec, exec, s[6:7]
	s_waitcnt lgkmcnt(0)
	s_barrier
	s_and_saveexec_b64 s[6:7], s[0:1]
	s_cbranch_execz .LBB9_255
; %bb.254:
	v_readlane_b32 s10, v50, 8
	v_readlane_b32 s11, v50, 9
	s_mul_i32 s1, s11, s10
	v_readlane_b32 s0, v50, 13
	s_sub_i32 s1, s23, s1
	s_xor_b32 s0, s22, s0
	s_add_i32 s8, s11, 1
	s_sub_i32 s9, s1, s10
	s_cmp_ge_u32 s1, s10
	s_cselect_b32 s8, s8, s11
	s_cselect_b32 s1, s9, s1
	s_add_i32 s9, s8, 1
	s_cmp_ge_u32 s1, s10
	s_cselect_b32 s1, s9, s8
	s_xor_b32 s1, s1, s0
	s_sub_i32 s0, s1, s0
	s_mul_i32 s1, s0, s24
	v_readlane_b32 s8, v50, 6
	s_sub_i32 s1, s20, s1
	v_readlane_b32 s9, v50, 7
	v_readlane_b32 s11, v50, 10
	;; [unrolled: 1-line block ×3, first 2 shown]
	s_mul_i32 s1, s1, s9
	s_mul_i32 s0, s0, s8
	;; [unrolled: 1-line block ×3, first 2 shown]
	s_add_i32 s1, s0, s1
	v_readlane_b32 s0, v50, 15
	s_sub_i32 s8, s23, s8
	s_xor_b32 s0, s22, s0
	s_add_i32 s9, s12, 1
	s_sub_i32 s10, s8, s11
	s_cmp_ge_u32 s8, s11
	s_cselect_b32 s9, s9, s12
	s_cselect_b32 s8, s10, s8
	s_add_i32 s10, s9, 1
	s_cmp_ge_u32 s8, s11
	s_cselect_b32 s8, s10, s9
	s_xor_b32 s8, s8, s0
	s_sub_i32 s0, s8, s0
	s_mul_i32 s8, s0, s21
	v_readlane_b32 s10, v50, 2
	s_sub_i32 s8, s20, s8
	v_readlane_b32 s11, v50, 3
	s_mul_i32 s8, s8, s11
	s_mul_i32 s0, s0, s10
	v_mov_b32_e32 v2, 0
	s_add_i32 s0, s0, s8
	s_ashr_i32 s9, s1, 31
	v_readlane_b32 s10, v50, 0
	ds_read_b32 v0, v2 offset:4108
	v_readlane_b32 s11, v50, 1
	s_add_u32 s8, s10, s1
	s_addc_u32 s9, s11, s9
	s_ashr_i32 s1, s0, 31
	s_lshl_b64 s[0:1], s[0:1], 3
	v_readlane_b32 s10, v50, 4
	v_readlane_b32 s11, v50, 5
	s_add_u32 s0, s10, s0
	s_addc_u32 s1, s11, s1
	s_waitcnt lgkmcnt(0)
	v_ashrrev_i32_e32 v1, 31, v0
	global_store_dwordx2 v2, v[0:1], s[0:1]
	global_store_byte v2, v34, s[8:9]
.LBB9_255:
	s_or_b64 exec, exec, s[6:7]
.LBB9_256:
	s_or_saveexec_b64 s[0:1], s[4:5]
	s_mov_b64 s[4:5], 0
	s_xor_b64 exec, exec, s[0:1]
	s_cbranch_execnz .LBB9_259
.LBB9_257:
	s_or_b64 exec, exec, s[0:1]
	s_and_b64 s[4:5], s[4:5], exec
	s_andn2_saveexec_b64 s[0:1], s[2:3]
	s_cbranch_execz .LBB9_235
.LBB9_258:
	s_or_b64 s[4:5], s[4:5], exec
	s_trap 2
	s_or_b64 exec, exec, s[0:1]
	s_and_saveexec_b64 s[0:1], s[4:5]
	s_cbranch_execnz .LBB9_236
	s_branch .LBB9_237
.LBB9_259:
	s_mov_b64 s[4:5], exec
	s_trap 2
	s_branch .LBB9_257
	.section	.rodata,"a",@progbits
	.p2align	6, 0x0
	.amdhsa_kernel _ZN2at6native12_GLOBAL__N_114gatherKthValueIaiLi2EEEvNS_4cuda6detail10TensorInfoIKT_T0_EES8_S8_S8_S8_NS5_IS6_S8_EENS5_IlS8_EE
		.amdhsa_group_segment_fixed_size 4112
		.amdhsa_private_segment_fixed_size 0
		.amdhsa_kernarg_size 920
		.amdhsa_user_sgpr_count 2
		.amdhsa_user_sgpr_dispatch_ptr 0
		.amdhsa_user_sgpr_queue_ptr 0
		.amdhsa_user_sgpr_kernarg_segment_ptr 1
		.amdhsa_user_sgpr_dispatch_id 0
		.amdhsa_user_sgpr_kernarg_preload_length 0
		.amdhsa_user_sgpr_kernarg_preload_offset 0
		.amdhsa_user_sgpr_private_segment_size 0
		.amdhsa_uses_dynamic_stack 0
		.amdhsa_enable_private_segment 0
		.amdhsa_system_sgpr_workgroup_id_x 1
		.amdhsa_system_sgpr_workgroup_id_y 1
		.amdhsa_system_sgpr_workgroup_id_z 1
		.amdhsa_system_sgpr_workgroup_info 0
		.amdhsa_system_vgpr_workitem_id 0
		.amdhsa_next_free_vgpr 51
		.amdhsa_next_free_sgpr 100
		.amdhsa_accum_offset 52
		.amdhsa_reserve_vcc 1
		.amdhsa_float_round_mode_32 0
		.amdhsa_float_round_mode_16_64 0
		.amdhsa_float_denorm_mode_32 3
		.amdhsa_float_denorm_mode_16_64 3
		.amdhsa_dx10_clamp 1
		.amdhsa_ieee_mode 1
		.amdhsa_fp16_overflow 0
		.amdhsa_tg_split 0
		.amdhsa_exception_fp_ieee_invalid_op 0
		.amdhsa_exception_fp_denorm_src 0
		.amdhsa_exception_fp_ieee_div_zero 0
		.amdhsa_exception_fp_ieee_overflow 0
		.amdhsa_exception_fp_ieee_underflow 0
		.amdhsa_exception_fp_ieee_inexact 0
		.amdhsa_exception_int_div_zero 0
	.end_amdhsa_kernel
	.section	.text._ZN2at6native12_GLOBAL__N_114gatherKthValueIaiLi2EEEvNS_4cuda6detail10TensorInfoIKT_T0_EES8_S8_S8_S8_NS5_IS6_S8_EENS5_IlS8_EE,"axG",@progbits,_ZN2at6native12_GLOBAL__N_114gatherKthValueIaiLi2EEEvNS_4cuda6detail10TensorInfoIKT_T0_EES8_S8_S8_S8_NS5_IS6_S8_EENS5_IlS8_EE,comdat
.Lfunc_end9:
	.size	_ZN2at6native12_GLOBAL__N_114gatherKthValueIaiLi2EEEvNS_4cuda6detail10TensorInfoIKT_T0_EES8_S8_S8_S8_NS5_IS6_S8_EENS5_IlS8_EE, .Lfunc_end9-_ZN2at6native12_GLOBAL__N_114gatherKthValueIaiLi2EEEvNS_4cuda6detail10TensorInfoIKT_T0_EES8_S8_S8_S8_NS5_IS6_S8_EENS5_IlS8_EE
                                        ; -- End function
	.set _ZN2at6native12_GLOBAL__N_114gatherKthValueIaiLi2EEEvNS_4cuda6detail10TensorInfoIKT_T0_EES8_S8_S8_S8_NS5_IS6_S8_EENS5_IlS8_EE.num_vgpr, 51
	.set _ZN2at6native12_GLOBAL__N_114gatherKthValueIaiLi2EEEvNS_4cuda6detail10TensorInfoIKT_T0_EES8_S8_S8_S8_NS5_IS6_S8_EENS5_IlS8_EE.num_agpr, 0
	.set _ZN2at6native12_GLOBAL__N_114gatherKthValueIaiLi2EEEvNS_4cuda6detail10TensorInfoIKT_T0_EES8_S8_S8_S8_NS5_IS6_S8_EENS5_IlS8_EE.numbered_sgpr, 100
	.set _ZN2at6native12_GLOBAL__N_114gatherKthValueIaiLi2EEEvNS_4cuda6detail10TensorInfoIKT_T0_EES8_S8_S8_S8_NS5_IS6_S8_EENS5_IlS8_EE.num_named_barrier, 0
	.set _ZN2at6native12_GLOBAL__N_114gatherKthValueIaiLi2EEEvNS_4cuda6detail10TensorInfoIKT_T0_EES8_S8_S8_S8_NS5_IS6_S8_EENS5_IlS8_EE.private_seg_size, 0
	.set _ZN2at6native12_GLOBAL__N_114gatherKthValueIaiLi2EEEvNS_4cuda6detail10TensorInfoIKT_T0_EES8_S8_S8_S8_NS5_IS6_S8_EENS5_IlS8_EE.uses_vcc, 1
	.set _ZN2at6native12_GLOBAL__N_114gatherKthValueIaiLi2EEEvNS_4cuda6detail10TensorInfoIKT_T0_EES8_S8_S8_S8_NS5_IS6_S8_EENS5_IlS8_EE.uses_flat_scratch, 0
	.set _ZN2at6native12_GLOBAL__N_114gatherKthValueIaiLi2EEEvNS_4cuda6detail10TensorInfoIKT_T0_EES8_S8_S8_S8_NS5_IS6_S8_EENS5_IlS8_EE.has_dyn_sized_stack, 0
	.set _ZN2at6native12_GLOBAL__N_114gatherKthValueIaiLi2EEEvNS_4cuda6detail10TensorInfoIKT_T0_EES8_S8_S8_S8_NS5_IS6_S8_EENS5_IlS8_EE.has_recursion, 0
	.set _ZN2at6native12_GLOBAL__N_114gatherKthValueIaiLi2EEEvNS_4cuda6detail10TensorInfoIKT_T0_EES8_S8_S8_S8_NS5_IS6_S8_EENS5_IlS8_EE.has_indirect_call, 0
	.section	.AMDGPU.csdata,"",@progbits
; Kernel info:
; codeLenInByte = 9548
; TotalNumSgprs: 106
; NumVgprs: 51
; NumAgprs: 0
; TotalNumVgprs: 51
; ScratchSize: 0
; MemoryBound: 0
; FloatMode: 240
; IeeeMode: 1
; LDSByteSize: 4112 bytes/workgroup (compile time only)
; SGPRBlocks: 13
; VGPRBlocks: 6
; NumSGPRsForWavesPerEU: 106
; NumVGPRsForWavesPerEU: 51
; AccumOffset: 52
; Occupancy: 7
; WaveLimiterHint : 1
; COMPUTE_PGM_RSRC2:SCRATCH_EN: 0
; COMPUTE_PGM_RSRC2:USER_SGPR: 2
; COMPUTE_PGM_RSRC2:TRAP_HANDLER: 0
; COMPUTE_PGM_RSRC2:TGID_X_EN: 1
; COMPUTE_PGM_RSRC2:TGID_Y_EN: 1
; COMPUTE_PGM_RSRC2:TGID_Z_EN: 1
; COMPUTE_PGM_RSRC2:TIDIG_COMP_CNT: 0
; COMPUTE_PGM_RSRC3_GFX90A:ACCUM_OFFSET: 12
; COMPUTE_PGM_RSRC3_GFX90A:TG_SPLIT: 0
	.section	.text._ZN2at6native12_GLOBAL__N_114gatherKthValueIaiLi3EEEvNS_4cuda6detail10TensorInfoIKT_T0_EES8_S8_S8_S8_NS5_IS6_S8_EENS5_IlS8_EE,"axG",@progbits,_ZN2at6native12_GLOBAL__N_114gatherKthValueIaiLi3EEEvNS_4cuda6detail10TensorInfoIKT_T0_EES8_S8_S8_S8_NS5_IS6_S8_EENS5_IlS8_EE,comdat
	.globl	_ZN2at6native12_GLOBAL__N_114gatherKthValueIaiLi3EEEvNS_4cuda6detail10TensorInfoIKT_T0_EES8_S8_S8_S8_NS5_IS6_S8_EENS5_IlS8_EE ; -- Begin function _ZN2at6native12_GLOBAL__N_114gatherKthValueIaiLi3EEEvNS_4cuda6detail10TensorInfoIKT_T0_EES8_S8_S8_S8_NS5_IS6_S8_EENS5_IlS8_EE
	.p2align	8
	.type	_ZN2at6native12_GLOBAL__N_114gatherKthValueIaiLi3EEEvNS_4cuda6detail10TensorInfoIKT_T0_EES8_S8_S8_S8_NS5_IS6_S8_EENS5_IlS8_EE,@function
_ZN2at6native12_GLOBAL__N_114gatherKthValueIaiLi3EEEvNS_4cuda6detail10TensorInfoIKT_T0_EES8_S8_S8_S8_NS5_IS6_S8_EENS5_IlS8_EE: ; @_ZN2at6native12_GLOBAL__N_114gatherKthValueIaiLi3EEEvNS_4cuda6detail10TensorInfoIKT_T0_EES8_S8_S8_S8_NS5_IS6_S8_EENS5_IlS8_EE
; %bb.0:
	s_load_dwordx2 s[12:13], s[0:1], 0x298
	s_load_dwordx4 s[68:71], s[0:1], 0xd8
	s_add_u32 s10, s0, 0x298
	s_addc_u32 s11, s1, 0
	s_waitcnt lgkmcnt(0)
	s_mul_i32 s4, s13, s4
	s_add_i32 s3, s4, s3
	s_mul_i32 s3, s3, s12
	s_add_i32 s24, s3, s2
	s_cmp_ge_i32 s24, s70
	s_cbranch_scc1 .LBB10_237
; %bb.1:
	s_load_dwordx2 s[8:9], s[0:1], 0xc
	s_load_dwordx2 s[26:27], s[0:1], 0xf4
	s_abs_i32 s5, s24
	s_ashr_i32 s4, s24, 31
	s_load_dwordx4 s[28:31], s[0:1], 0x154
	s_waitcnt lgkmcnt(0)
	s_abs_i32 s3, s9
	v_cvt_f32_u32_e32 v1, s3
	s_sub_i32 s7, 0, s3
	s_ashr_i32 s6, s9, 31
	s_xor_b32 s6, s4, s6
	v_rcp_iflag_f32_e32 v1, v1
                                        ; implicit-def: $vgpr50 : SGPR spill to VGPR lane
                                        ; kill: killed $sgpr0 killed $sgpr1
	v_writelane_b32 v50, s28, 0
	v_mul_f32_e32 v1, 0x4f7ffffe, v1
	v_cvt_u32_f32_e32 v1, v1
	v_writelane_b32 v50, s29, 1
	v_writelane_b32 v50, s30, 2
	;; [unrolled: 1-line block ×3, first 2 shown]
	v_readfirstlane_b32 s13, v1
	s_mul_i32 s7, s7, s13
	s_mul_hi_u32 s7, s13, s7
	s_add_i32 s13, s13, s7
	s_mul_hi_u32 s7, s5, s13
	s_mul_i32 s13, s7, s3
	s_sub_i32 s13, s5, s13
	s_add_i32 s14, s7, 1
	s_sub_i32 s15, s13, s3
	s_cmp_ge_u32 s13, s3
	s_cselect_b32 s7, s14, s7
	s_cselect_b32 s13, s15, s13
	s_add_i32 s14, s7, 1
	s_cmp_ge_u32 s13, s3
	s_cselect_b32 s7, s14, s7
	s_abs_i32 s3, s8
	v_cvt_f32_u32_e32 v1, s3
	s_abs_i32 s15, s27
	v_cvt_f32_u32_e32 v2, s15
	s_xor_b32 s7, s7, s6
	v_rcp_iflag_f32_e32 v1, v1
	s_sub_i32 s16, 0, s3
	v_rcp_iflag_f32_e32 v2, v2
	s_sub_i32 s18, s7, s6
	v_mul_f32_e32 v1, 0x4f7ffffe, v1
	v_cvt_u32_f32_e32 v1, v1
	v_mul_f32_e32 v2, 0x4f7ffffe, v2
	v_cvt_u32_f32_e32 v2, v2
	s_ashr_i32 s14, s27, 31
	v_readfirstlane_b32 s6, v1
	s_mul_i32 s16, s16, s6
	s_mul_hi_u32 s7, s6, s16
	s_add_i32 s16, s6, s7
	s_sub_i32 s6, 0, s15
	v_readfirstlane_b32 s7, v2
	s_mul_i32 s6, s6, s7
	s_mul_hi_u32 s6, s7, s6
	s_add_i32 s7, s7, s6
	s_mul_hi_u32 s6, s5, s7
	s_mul_i32 s7, s6, s15
	s_sub_i32 s7, s5, s7
	s_ashr_i32 s13, s8, 31
	s_xor_b32 s17, s4, s14
	s_ashr_i32 s19, s18, 31
	s_abs_i32 s20, s18
	s_add_i32 s14, s6, 1
	s_sub_i32 s21, s7, s15
	s_cmp_ge_u32 s7, s15
	s_cselect_b32 s6, s14, s6
	s_cselect_b32 s7, s21, s7
	s_add_i32 s14, s6, 1
	s_cmp_ge_u32 s7, s15
	s_cselect_b32 s6, s14, s6
	s_load_dwordx2 s[14:15], s[0:1], 0x0
	s_load_dwordx4 s[28:31], s[0:1], 0x22c
	s_abs_i32 s7, s26
	v_cvt_f32_u32_e32 v1, s7
	s_xor_b32 s6, s6, s17
	s_sub_i32 s25, s6, s17
	s_waitcnt lgkmcnt(0)
	v_writelane_b32 v50, s28, 4
	v_rcp_iflag_f32_e32 v1, v1
	s_nop 0
	v_writelane_b32 v50, s29, 5
	v_writelane_b32 v50, s30, 6
	;; [unrolled: 1-line block ×3, first 2 shown]
	s_load_dwordx2 s[28:29], s[0:1], 0x1cc
	s_load_dwordx2 s[22:23], s[0:1], 0x1c0
	v_mul_f32_e32 v1, 0x4f7ffffe, v1
	v_cvt_u32_f32_e32 v1, v1
	s_waitcnt lgkmcnt(0)
	s_abs_i32 s6, s29
	v_cvt_f32_u32_e32 v2, s6
	v_readfirstlane_b32 s17, v1
	v_writelane_b32 v50, s22, 8
	v_rcp_iflag_f32_e32 v1, v2
	s_nop 0
	v_writelane_b32 v50, s23, 9
	v_writelane_b32 v50, s7, 10
	s_sub_i32 s7, 0, s7
	v_mul_f32_e32 v1, 0x4f7ffffe, v1
	v_cvt_u32_f32_e32 v1, v1
	s_mul_i32 s7, s7, s17
	s_mul_hi_u32 s7, s17, s7
	s_add_i32 s17, s17, s7
	s_ashr_i32 s7, s29, 31
	s_xor_b32 s21, s4, s7
	s_sub_i32 s4, 0, s6
	v_readfirstlane_b32 s7, v1
	s_mul_i32 s4, s4, s7
	s_mul_hi_u32 s4, s7, s4
	s_add_i32 s7, s7, s4
	s_mul_hi_u32 s4, s5, s7
	s_mul_i32 s7, s4, s6
	s_sub_i32 s5, s5, s7
	s_abs_i32 s23, s25
	s_add_i32 s7, s4, 1
	s_sub_i32 s22, s5, s6
	s_cmp_ge_u32 s5, s6
	s_cselect_b32 s4, s7, s4
	s_cselect_b32 s5, s22, s5
	s_add_i32 s7, s4, 1
	s_cmp_ge_u32 s5, s6
	s_cselect_b32 s22, s7, s4
	s_abs_i32 s30, s28
	v_cvt_f32_u32_e32 v1, s30
	s_load_dwordx2 s[4:5], s[0:1], 0xe8
	v_rcp_iflag_f32_e32 v1, v1
	s_waitcnt lgkmcnt(0)
	v_writelane_b32 v50, s4, 11
	v_mul_f32_e32 v1, 0x4f7ffffe, v1
	v_cvt_u32_f32_e32 v1, v1
	v_writelane_b32 v50, s5, 12
	s_load_dwordx4 s[4:7], s[0:1], 0x6c
	v_writelane_b32 v50, s23, 13
	s_mul_hi_u32 s0, s23, s17
	v_writelane_b32 v50, s0, 14
	s_xor_b32 s0, s22, s21
	s_sub_i32 s21, s0, s21
	s_sub_i32 s0, 0, s30
	v_readfirstlane_b32 s1, v1
	s_mul_i32 s0, s0, s1
	s_mul_hi_u32 s0, s1, s0
	s_waitcnt lgkmcnt(0)
	s_mul_hi_u32 s7, s20, s16
	s_abs_i32 s16, s21
	v_writelane_b32 v50, s30, 15
	s_add_i32 s1, s1, s0
	v_writelane_b32 v50, s16, 16
	s_mul_hi_u32 s0, s16, s1
	v_writelane_b32 v50, s0, 17
	v_cmp_eq_u32_e64 s[0:1], 0, v0
	s_and_saveexec_b64 s[16:17], s[0:1]
; %bb.2:
	v_mov_b32_e32 v2, 0
	v_mov_b32_e32 v3, s68
	;; [unrolled: 1-line block ×3, first 2 shown]
	ds_write_b96 v2, v[2:4] offset:4096
; %bb.3:
	s_or_b64 exec, exec, s[16:17]
	v_writelane_b32 v50, s25, 18
	s_ashr_i32 s16, s25, 31
	v_writelane_b32 v50, s16, 19
	v_writelane_b32 v50, s26, 20
	s_ashr_i32 s16, s26, 31
	s_mul_i32 s9, s18, s9
	v_writelane_b32 v50, s27, 21
	v_writelane_b32 v50, s16, 22
	;; [unrolled: 1-line block ×3, first 2 shown]
	s_ashr_i32 s16, s21, 31
	v_writelane_b32 v50, s16, 24
	s_sub_i32 s9, s24, s9
	v_writelane_b32 v50, s28, 25
	s_mul_i32 s9, s9, s6
	s_xor_b32 s6, s19, s13
	s_mul_i32 s13, s7, s3
	v_writelane_b32 v50, s29, 26
	s_ashr_i32 s16, s28, 31
	s_sub_i32 s13, s20, s13
	v_writelane_b32 v50, s16, 27
	s_add_i32 s16, s7, 1
	s_sub_i32 s17, s13, s3
	s_cmp_ge_u32 s13, s3
	s_cselect_b32 s7, s16, s7
	s_cselect_b32 s13, s17, s13
	s_add_i32 s16, s7, 1
	s_cmp_ge_u32 s13, s3
	s_cselect_b32 s3, s16, s7
	s_xor_b32 s3, s3, s6
	s_sub_i32 s3, s3, s6
	s_mul_i32 s6, s3, s8
	s_sub_i32 s6, s18, s6
	s_mul_i32 s5, s6, s5
	s_waitcnt lgkmcnt(0)
	s_barrier
	s_load_dword s6, s[10:11], 0xc
	s_add_i32 s5, s5, s9
	s_mul_i32 s3, s3, s4
	s_add_i32 s5, s5, s3
	s_ashr_i32 s3, s5, 31
	s_add_u32 s80, s14, s5
	v_mbcnt_lo_u32_b32 v1, -1, 0
	s_addc_u32 s81, s15, s3
	s_waitcnt lgkmcnt(0)
	s_and_b32 s70, s6, 0xffff
	v_mbcnt_hi_u32_b32 v20, -1, v1
	v_cmp_gt_u32_e32 vcc, 64, v0
	v_cmp_gt_i32_e64 s[4:5], 4, v20
	s_add_i32 s96, s70, -1
	s_lshl_b32 s95, s70, 2
	s_and_b64 s[84:85], vcc, s[4:5]
	s_add_i32 s97, s96, s68
	s_cmpk_gt_i32 s68, 0xc00
	v_writelane_b32 v50, s24, 28
	s_cselect_b64 s[86:87], -1, 0
	v_cmp_gt_u32_e64 s[8:9], s68, v0
	s_cmp_gt_u32 s70, 63
	s_cselect_b64 s[88:89], -1, 0
	v_writelane_b32 v50, s8, 29
	s_cmp_lt_u32 s2, s12
	s_cselect_b32 s2, 12, 18
	v_writelane_b32 v50, s9, 30
	v_cmp_gt_i32_e64 s[8:9], s68, v0
	s_add_u32 s2, s10, s2
	s_addc_u32 s3, s11, 0
	v_writelane_b32 v50, s8, 31
	s_bfe_u32 s6, s6, 0xa0006
	v_lshlrev_b64 v[2:3], v20, -1
	v_writelane_b32 v50, s9, 32
	v_writelane_b32 v50, s2, 33
	v_not_b32_e32 v12, v2
	v_lshrrev_b32_e32 v2, 2, v0
	v_writelane_b32 v50, s3, 34
	s_add_i32 s2, s6, -2
	s_lshr_b32 s3, s2, 1
	s_add_i32 s3, s3, 1
	s_cmpk_gt_u32 s70, 0x7f
	v_and_b32_e32 v2, 0xf0, v2
	s_cselect_b64 s[8:9], -1, 0
	v_or_b32_e32 v21, 0xc00, v2
	v_writelane_b32 v50, s8, 35
	v_cvt_f32_u32_e32 v2, s95
	s_and_b32 s7, s6, 0x3fe
	v_writelane_b32 v50, s9, 36
	s_and_b32 s8, s3, 7
	s_cmp_gt_u32 s2, 13
	s_cselect_b64 s[10:11], -1, 0
	v_writelane_b32 v50, s10, 37
	v_rcp_iflag_f32_e32 v2, v2
	s_and_b32 s2, s3, -8
	v_writelane_b32 v50, s11, 38
	v_writelane_b32 v50, s2, 39
	s_cmp_lg_u32 s8, 0
	v_writelane_b32 v50, s8, 40
	s_cselect_b64 s[2:3], -1, 0
	v_writelane_b32 v50, s2, 41
	v_mul_f32_e32 v2, 0x4f7ffffe, v2
	v_cvt_u32_f32_e32 v2, v2
	v_writelane_b32 v50, s3, 42
	v_writelane_b32 v50, s6, 43
	s_cmp_lg_u32 s7, s6
	v_writelane_b32 v50, s7, 44
	s_cselect_b64 s[2:3], -1, 0
	v_writelane_b32 v50, s2, 45
	v_not_b32_e32 v1, v3
	v_cvt_f32_u32_e32 v3, s70
	v_writelane_b32 v50, s3, 46
	s_sub_i32 s2, 0, s95
	v_readfirstlane_b32 s3, v2
	s_mul_i32 s2, s2, s3
	s_mul_hi_u32 s2, s3, s2
	s_add_i32 s98, s3, s2
	s_mul_hi_u32 s2, s68, s98
	s_mul_i32 s2, s2, s95
	s_sub_i32 s2, s68, s2
	s_sub_i32 s3, s2, s95
	s_cmp_ge_u32 s2, s95
	s_cselect_b32 s2, s3, s2
	s_sub_i32 s3, s2, s95
	s_cmp_ge_u32 s2, s95
	s_cselect_b32 s2, s3, s2
	s_sub_i32 s99, s68, s2
	v_rcp_iflag_f32_e32 v5, v3
	v_add_u32_e32 v22, s99, v0
	v_mul_lo_u32 v2, v22, s71
	v_ashrrev_i32_e32 v3, 31, v2
	v_lshl_add_u64 v[14:15], s[80:81], 0, v[2:3]
	v_mul_f32_e32 v2, 0x4f7ffffe, v5
	v_cvt_u32_f32_e32 v2, v2
	s_sub_i32 s7, 0, s70
	s_abs_i32 s6, s97
	s_ashr_i32 s3, s97, 31
	v_readfirstlane_b32 s8, v2
	s_mul_i32 s7, s7, s8
	s_mul_hi_u32 s7, s8, s7
	s_add_i32 s33, s8, s7
	s_mul_hi_u32 s7, s6, s33
	s_mul_i32 s7, s7, s70
	s_sub_i32 s6, s6, s7
	s_sub_i32 s7, s6, s70
	s_cmp_ge_u32 s6, s70
	s_cselect_b32 s6, s7, s6
	s_sub_i32 s7, s6, s70
	s_cmp_ge_u32 s6, s70
	v_lshlrev_b32_e32 v13, 2, v0
	s_cselect_b32 s6, s7, s6
	s_xor_b32 s6, s6, s3
	v_mul_lo_u32 v2, s71, v13
	s_sub_i32 s3, s3, s6
	v_add_u32_e32 v23, s71, v2
	v_or_b32_e32 v2, 2, v13
	s_add_i32 s97, s97, s3
	v_mul_lo_u32 v24, s71, v2
	v_or_b32_e32 v2, 3, v13
	s_add_i32 s3, s70, s68
	v_mov_b32_e32 v8, 0
	v_mul_lo_u32 v25, s71, v2
	v_add_u32_e32 v2, s3, v0
	v_mul_lo_u32 v6, s71, v0
	v_mov_b32_e32 v7, v8
	v_lshlrev_b32_e32 v4, 2, v20
	s_mul_i32 s94, s71, s70
	v_subrev_u32_e32 v2, s2, v2
	s_mov_b32 s2, 0
	v_cmp_eq_u32_e64 s[18:19], 0, v20
	v_cmp_gt_u32_e64 s[4:5], 2, v0
	v_lshl_add_u64 v[10:11], s[80:81], 0, v[6:7]
	v_and_b32_e32 v7, 0x100, v4
	v_cmp_gt_i32_e64 s[10:11], s99, v13
	v_cmp_gt_u32_e64 s[12:13], s68, v22
	v_cmp_gt_i32_e64 s[14:15], s68, v22
	v_cmp_gt_i32_e64 s[16:17], s97, v0
	s_lshl_b32 s6, s94, 2
	v_lshlrev_b32_e32 v27, 2, v6
	v_mul_lo_u32 v28, s71, v2
	v_or_b32_e32 v29, 0xc00, v4
	s_mov_b64 s[74:75], 0
	v_mov_b32_e32 v31, 6
	v_mov_b32_e32 v35, s69
	s_movk_i32 s7, 0x80
	v_mov_b32_e32 v36, s68
	v_mov_b32_e32 v30, 0xc00
	;; [unrolled: 1-line block ×6, first 2 shown]
	s_mov_b32 s3, 1
	s_mov_b32 s69, s2
                                        ; implicit-def: $sgpr78_sgpr79
                                        ; implicit-def: $sgpr62_sgpr63
                                        ; implicit-def: $sgpr60_sgpr61
                                        ; implicit-def: $sgpr64_sgpr65
                                        ; implicit-def: $sgpr82_sgpr83
                                        ; implicit-def: $sgpr66_sgpr67
	s_branch .LBB10_7
.LBB10_4:                               ;   in Loop: Header=BB10_7 Depth=1
	s_or_b64 exec, exec, s[30:31]
	s_and_b64 s[30:31], s[28:29], exec
	s_andn2_b64 s[26:27], s[26:27], exec
	s_andn2_b64 s[24:25], s[24:25], exec
	s_orn2_b64 s[20:21], s[20:21], exec
.LBB10_5:                               ;   in Loop: Header=BB10_7 Depth=1
	s_or_b64 exec, exec, s[22:23]
	s_andn2_b64 s[8:9], s[66:67], exec
	s_and_b64 s[22:23], s[30:31], exec
	s_or_b64 s[66:67], s[8:9], s[22:23]
	s_andn2_b64 s[8:9], s[82:83], exec
	s_and_b64 s[22:23], s[26:27], exec
	s_or_b64 s[82:83], s[8:9], s[22:23]
	s_andn2_b64 s[8:9], s[64:65], exec
	s_and_b64 s[22:23], s[24:25], exec
	s_or_b64 s[64:65], s[8:9], s[22:23]
	s_orn2_b64 s[20:21], s[20:21], exec
.LBB10_6:                               ;   in Loop: Header=BB10_7 Depth=1
	s_or_b64 exec, exec, s[2:3]
	s_and_b64 s[2:3], exec, s[20:21]
	s_or_b64 s[74:75], s[2:3], s[74:75]
	s_andn2_b64 s[2:3], s[60:61], exec
	s_and_b64 s[8:9], s[66:67], exec
	s_or_b64 s[60:61], s[2:3], s[8:9]
	s_andn2_b64 s[2:3], s[62:63], exec
	s_and_b64 s[8:9], s[82:83], exec
	;; [unrolled: 3-line block ×3, first 2 shown]
	s_or_b64 s[78:79], s[2:3], s[8:9]
	s_mov_b32 s69, s34
	v_mov_b32_e32 v35, v16
	s_andn2_b64 exec, exec, s[74:75]
	s_cbranch_execz .LBB10_233
.LBB10_7:                               ; =>This Loop Header: Depth=1
                                        ;     Child Loop BB10_12 Depth 2
                                        ;     Child Loop BB10_27 Depth 2
	;; [unrolled: 1-line block ×17, first 2 shown]
	ds_read_b64 v[2:3], v8 offset:4096
	s_waitcnt lgkmcnt(0)
	v_readfirstlane_b32 s8, v2
	s_cmp_gt_i32 s8, 0
	s_cbranch_scc1 .LBB10_34
; %bb.8:                                ;   in Loop: Header=BB10_7 Depth=1
	s_and_b64 vcc, exec, s[86:87]
	s_cbranch_vccz .LBB10_20
; %bb.9:                                ;   in Loop: Header=BB10_7 Depth=1
	s_movk_i32 s2, 0xc01
	v_cmp_gt_i32_e32 vcc, s2, v3
	s_mov_b64 s[20:21], 0
	s_mov_b64 s[2:3], 0
	s_cbranch_vccz .LBB10_21
; %bb.10:                               ;   in Loop: Header=BB10_7 Depth=1
	v_readlane_b32 s2, v50, 33
	v_readlane_b32 s3, v50, 34
	s_nop 4
	global_load_ushort v2, v8, s[2:3]
	global_load_ubyte v5, v[10:11], off
	s_mov_b64 s[22:23], 0
	v_mov_b32_e32 v9, v0
	s_waitcnt vmcnt(1)
	v_add_u32_e32 v4, v0, v2
	v_mul_lo_u32 v3, s71, v2
	v_mul_lo_u32 v4, s71, v4
	s_branch .LBB10_12
.LBB10_11:                              ;   in Loop: Header=BB10_12 Depth=2
	s_or_b64 exec, exec, s[2:3]
	v_cmp_le_i32_e32 vcc, s68, v9
	v_add_u32_e32 v4, v4, v3
	s_or_b64 s[22:23], vcc, s[22:23]
	v_mov_b32_e32 v5, v16
	s_andn2_b64 exec, exec, s[22:23]
	s_cbranch_execz .LBB10_66
.LBB10_12:                              ;   Parent Loop BB10_7 Depth=1
                                        ; =>  This Inner Loop Header: Depth=2
	v_add_u32_e32 v9, v9, v2
	v_cmp_gt_u32_e32 vcc, s68, v9
	s_waitcnt lgkmcnt(0)
	v_mov_b32_e32 v17, 0
	v_mov_b32_e32 v16, 0
	s_and_saveexec_b64 s[2:3], vcc
	s_cbranch_execz .LBB10_14
; %bb.13:                               ;   in Loop: Header=BB10_12 Depth=2
	global_load_ubyte v16, v4, s[80:81]
.LBB10_14:                              ;   in Loop: Header=BB10_12 Depth=2
	s_or_b64 exec, exec, s[2:3]
	s_waitcnt vmcnt(0)
	v_add_u32_sdwa v18, sext(v5), s7 dst_sel:DWORD dst_unused:UNUSED_PAD src0_sel:BYTE_0 src1_sel:DWORD
	v_and_b32_e32 v18, v18, v33
	v_cmp_eq_u32_e32 vcc, v18, v26
	s_cmp_lg_u64 vcc, 0
	s_cselect_b64 s[2:3], -1, 0
	s_and_b64 s[2:3], s[18:19], s[2:3]
	s_and_saveexec_b64 s[24:25], s[2:3]
	s_cbranch_execz .LBB10_18
; %bb.15:                               ;   in Loop: Header=BB10_12 Depth=2
	s_mov_b64 s[28:29], exec
	v_mbcnt_lo_u32_b32 v17, s28, 0
	v_mbcnt_hi_u32_b32 v17, s29, v17
	s_bcnt1_i32_b64 s9, vcc
	v_cmp_eq_u32_e64 s[2:3], 0, v17
                                        ; implicit-def: $vgpr18
	s_and_saveexec_b64 s[26:27], s[2:3]
; %bb.16:                               ;   in Loop: Header=BB10_12 Depth=2
	s_bcnt1_i32_b64 s2, s[28:29]
	s_mul_i32 s2, s9, s2
	v_mov_b32_e32 v18, s2
	ds_add_rtn_u32 v18, v8, v18 offset:4104
; %bb.17:                               ;   in Loop: Header=BB10_12 Depth=2
	s_or_b64 exec, exec, s[26:27]
	s_waitcnt lgkmcnt(0)
	v_readfirstlane_b32 s2, v18
	s_nop 1
	v_mov_b32_e32 v18, s2
	v_mad_u32_u24 v17, s9, v17, v18
.LBB10_18:                              ;   in Loop: Header=BB10_12 Depth=2
	s_or_b64 exec, exec, s[24:25]
	ds_bpermute_b32 v17, v7, v17
	s_and_saveexec_b64 s[2:3], vcc
	s_cbranch_execz .LBB10_11
; %bb.19:                               ;   in Loop: Header=BB10_12 Depth=2
	v_and_b32_e32 v19, vcc_lo, v12
	v_and_b32_e32 v18, vcc_hi, v1
	v_bcnt_u32_b32 v19, v19, 0
	v_bcnt_u32_b32 v18, v18, v19
	s_waitcnt lgkmcnt(0)
	v_add_u32_e32 v17, v17, v18
	ds_write_b8 v17, v5
	s_branch .LBB10_11
.LBB10_20:                              ;   in Loop: Header=BB10_7 Depth=1
	s_mov_b64 s[20:21], -1
	s_mov_b64 s[2:3], 0
.LBB10_21:                              ;   in Loop: Header=BB10_7 Depth=1
	s_and_b64 vcc, exec, s[20:21]
	s_cbranch_vccz .LBB10_32
.LBB10_22:                              ;   in Loop: Header=BB10_7 Depth=1
	v_mov_b32_e32 v2, 0
	s_mov_b64 s[2:3], exec
	v_readlane_b32 s20, v50, 29
	v_readlane_b32 s21, v50, 30
	s_and_b64 s[20:21], s[2:3], s[20:21]
	s_mov_b64 exec, s[20:21]
	s_cbranch_execz .LBB10_24
; %bb.23:                               ;   in Loop: Header=BB10_7 Depth=1
	global_load_ubyte v2, v[10:11], off
.LBB10_24:                              ;   in Loop: Header=BB10_7 Depth=1
	s_or_b64 exec, exec, s[2:3]
	s_mov_b64 s[2:3], exec
	v_readlane_b32 s20, v50, 31
	v_readlane_b32 s21, v50, 32
	s_and_b64 s[20:21], s[2:3], s[20:21]
	s_mov_b64 exec, s[20:21]
	s_cbranch_execz .LBB10_29
; %bb.25:                               ;   in Loop: Header=BB10_7 Depth=1
	v_readlane_b32 s20, v50, 33
	v_readlane_b32 s21, v50, 34
	v_mov_b32_e32 v9, v0
	s_nop 3
	global_load_ushort v3, v8, s[20:21]
	s_mov_b64 s[20:21], 0
	s_waitcnt vmcnt(0)
	v_add_u32_e32 v5, v0, v3
	v_mul_lo_u32 v4, s71, v3
	v_mul_lo_u32 v5, s71, v5
	s_branch .LBB10_27
.LBB10_26:                              ;   in Loop: Header=BB10_27 Depth=2
	s_or_b64 exec, exec, s[22:23]
	v_cmp_le_i32_e32 vcc, s68, v16
	ds_write_b8 v9, v2
	v_add_u32_e32 v5, v5, v4
	s_or_b64 s[20:21], vcc, s[20:21]
	s_waitcnt vmcnt(0)
	v_mov_b32_e32 v2, v17
	v_mov_b32_e32 v9, v16
	s_andn2_b64 exec, exec, s[20:21]
	s_cbranch_execz .LBB10_29
.LBB10_27:                              ;   Parent Loop BB10_7 Depth=1
                                        ; =>  This Inner Loop Header: Depth=2
	v_add_u32_e32 v16, v9, v3
	v_cmp_gt_u32_e32 vcc, s68, v16
	v_mov_b32_e32 v17, 0
	s_and_saveexec_b64 s[22:23], vcc
	s_cbranch_execz .LBB10_26
; %bb.28:                               ;   in Loop: Header=BB10_27 Depth=2
	global_load_ubyte v17, v5, s[80:81]
	s_branch .LBB10_26
.LBB10_29:                              ;   in Loop: Header=BB10_7 Depth=1
	s_or_b64 exec, exec, s[2:3]
	s_waitcnt lgkmcnt(0)
	s_barrier
	s_and_saveexec_b64 s[2:3], s[0:1]
; %bb.30:                               ;   in Loop: Header=BB10_7 Depth=1
	ds_write_b32 v8, v36 offset:4096
; %bb.31:                               ;   in Loop: Header=BB10_7 Depth=1
	s_or_b64 exec, exec, s[2:3]
	s_mov_b64 s[2:3], -1
	s_waitcnt lgkmcnt(0)
	s_barrier
.LBB10_32:                              ;   in Loop: Header=BB10_7 Depth=1
	s_and_b64 vcc, exec, s[2:3]
	s_cbranch_vccz .LBB10_34
; %bb.33:                               ;   in Loop: Header=BB10_7 Depth=1
	s_waitcnt vmcnt(0)
	ds_read_b32 v2, v8 offset:4096
	s_waitcnt lgkmcnt(0)
	v_readfirstlane_b32 s8, v2
.LBB10_34:                              ;   in Loop: Header=BB10_7 Depth=1
	s_cmp_lt_i32 s8, 1
	s_mov_b64 s[2:3], -1
                                        ; implicit-def: $vgpr5
	s_cbranch_scc1 .LBB10_44
; %bb.35:                               ;   in Loop: Header=BB10_7 Depth=1
	s_and_b64 vcc, exec, s[2:3]
	s_cbranch_vccnz .LBB10_57
.LBB10_36:                              ;   in Loop: Header=BB10_7 Depth=1
	s_lshl_b32 s8, s69, 6
	s_and_saveexec_b64 s[2:3], s[18:19]
	s_cbranch_execz .LBB10_38
.LBB10_37:                              ;   in Loop: Header=BB10_7 Depth=1
	v_lshl_add_u32 v9, s8, 2, v21
	s_waitcnt vmcnt(0)
	ds_write_b128 v9, v[2:5]
.LBB10_38:                              ;   in Loop: Header=BB10_7 Depth=1
	s_or_b64 exec, exec, s[2:3]
	s_waitcnt lgkmcnt(0)
	s_barrier
	s_and_saveexec_b64 s[2:3], s[84:85]
	s_cbranch_execz .LBB10_77
; %bb.39:                               ;   in Loop: Header=BB10_7 Depth=1
	v_add_u32_e32 v4, s8, v20
	s_andn2_b64 vcc, exec, s[88:89]
	s_waitcnt vmcnt(0)
	v_mov_b32_e32 v2, 0
	s_cbranch_vccnz .LBB10_76
; %bb.40:                               ;   in Loop: Header=BB10_7 Depth=1
	v_readlane_b32 s20, v50, 35
	v_readlane_b32 s21, v50, 36
	s_andn2_b64 vcc, exec, s[20:21]
	s_cbranch_vccnz .LBB10_69
; %bb.41:                               ;   in Loop: Header=BB10_7 Depth=1
	v_readlane_b32 s20, v50, 37
	v_readlane_b32 s21, v50, 38
	s_andn2_b64 vcc, exec, s[20:21]
	v_lshl_add_u32 v5, v4, 2, v30
	s_cbranch_vccnz .LBB10_70
; %bb.42:                               ;   in Loop: Header=BB10_7 Depth=1
	s_mov_b32 s21, 1
	s_mov_b32 s20, 0
	v_mov_b32_e32 v2, 0
	v_mov_b32_e32 v3, 0
	v_readlane_b32 s9, v50, 39
.LBB10_43:                              ;   Parent Loop BB10_7 Depth=1
                                        ; =>  This Inner Loop Header: Depth=2
	v_lshl_add_u32 v9, s20, 4, v5
	v_lshl_add_u32 v37, s21, 4, v5
	ds_read2_b32 v[16:17], v9 offset1:8
	ds_read2_b32 v[18:19], v37 offset1:8
	ds_read2_b32 v[38:39], v9 offset0:16 offset1:24
	ds_read2_b32 v[40:41], v37 offset0:16 offset1:24
	;; [unrolled: 1-line block ×6, first 2 shown]
	s_waitcnt lgkmcnt(7)
	v_add3_u32 v2, v16, v2, v17
	s_waitcnt lgkmcnt(6)
	v_add3_u32 v3, v18, v3, v19
	;; [unrolled: 2-line block ×3, first 2 shown]
	v_add3_u32 v2, v38, v2, v39
	s_add_i32 s21, s21, 16
	s_add_i32 s20, s20, 16
	s_add_i32 s9, s9, -8
	s_waitcnt lgkmcnt(3)
	v_add3_u32 v2, v42, v2, v43
	s_waitcnt lgkmcnt(2)
	v_add3_u32 v3, v44, v3, v45
	s_cmp_lg_u32 s9, 0
	s_waitcnt lgkmcnt(0)
	v_add3_u32 v3, v48, v3, v49
	v_add3_u32 v2, v46, v2, v47
	s_cbranch_scc1 .LBB10_43
	s_branch .LBB10_71
.LBB10_44:                              ;   in Loop: Header=BB10_7 Depth=1
	s_waitcnt vmcnt(0)
	v_mov_b32_e32 v2, 0
	v_mov_b32_e32 v3, 0
	;; [unrolled: 1-line block ×4, first 2 shown]
	s_and_saveexec_b64 s[72:73], s[10:11]
	s_cbranch_execnz .LBB10_47
; %bb.45:                               ;   in Loop: Header=BB10_7 Depth=1
	s_or_b64 exec, exec, s[72:73]
	v_mov_b32_e32 v18, 0
	s_and_saveexec_b64 s[2:3], s[12:13]
	s_cbranch_execnz .LBB10_50
.LBB10_46:                              ;   in Loop: Header=BB10_7 Depth=1
	s_or_b64 exec, exec, s[2:3]
	s_and_saveexec_b64 s[20:21], s[14:15]
	s_cbranch_execnz .LBB10_51
	s_branch .LBB10_56
.LBB10_47:                              ;   in Loop: Header=BB10_7 Depth=1
	s_mov_b32 s9, 0
	s_mov_b64 s[76:77], 0
	s_mov_b32 s92, 0
	s_mov_b32 s93, 0
	;; [unrolled: 1-line block ×4, first 2 shown]
	v_mov_b32_e32 v9, v13
.LBB10_48:                              ;   Parent Loop BB10_7 Depth=1
                                        ; =>  This Inner Loop Header: Depth=2
	v_add_u32_e32 v2, s9, v27
	v_add_u32_e32 v4, s9, v23
	;; [unrolled: 1-line block ×4, first 2 shown]
	v_ashrrev_i32_e32 v3, 31, v2
	v_ashrrev_i32_e32 v5, 31, v4
	;; [unrolled: 1-line block ×4, first 2 shown]
	v_lshl_add_u64 v[2:3], s[80:81], 0, v[2:3]
	v_lshl_add_u64 v[4:5], s[80:81], 0, v[4:5]
	;; [unrolled: 1-line block ×4, first 2 shown]
	global_load_sbyte v2, v[2:3], off
	s_nop 0
	global_load_sbyte v3, v[4:5], off
	s_nop 0
	global_load_sbyte v4, v[16:17], off
	global_load_sbyte v5, v[18:19], off
	v_add_u32_e32 v9, s95, v9
	s_add_i32 s9, s9, s6
	v_cmp_le_i32_e32 vcc, s99, v9
	s_waitcnt vmcnt(3)
	v_add_u32_e32 v2, 0x80, v2
	s_waitcnt vmcnt(2)
	v_add_u32_e32 v3, 0x80, v3
	v_and_b32_e32 v16, v2, v33
	v_bfe_u32 v2, v2, v31, 2
	s_waitcnt vmcnt(1)
	v_add_u32_e32 v4, 0x80, v4
	v_and_b32_e32 v17, v3, v33
	v_bfe_u32 v3, v3, v31, 2
	v_cmp_eq_u32_e64 s[2:3], v16, v26
	v_cmp_eq_u32_e64 s[26:27], 0, v2
	s_waitcnt vmcnt(0)
	v_add_u32_e32 v5, 0x80, v5
	v_and_b32_e32 v18, v4, v33
	v_bfe_u32 v4, v4, v31, 2
	v_cmp_eq_u32_e64 s[20:21], v17, v26
	v_cmp_eq_u32_e64 s[28:29], 0, v3
	s_and_b64 s[26:27], s[2:3], s[26:27]
	v_and_b32_e32 v19, v5, v33
	v_bfe_u32 v5, v5, v31, 2
	v_cmp_eq_u32_e64 s[22:23], v18, v26
	v_cmp_eq_u32_e64 s[30:31], 0, v4
	;; [unrolled: 1-line block ×5, first 2 shown]
	v_cndmask_b32_e64 v2, 0, 1, s[26:27]
	s_and_b64 s[26:27], s[20:21], s[28:29]
	v_cmp_eq_u32_e64 s[24:25], v19, v26
	v_cmp_eq_u32_e64 s[34:35], 0, v5
	;; [unrolled: 1-line block ×5, first 2 shown]
	v_cndmask_b32_e64 v3, 0, 1, s[26:27]
	s_and_b64 s[26:27], s[22:23], s[30:31]
	v_cmp_eq_u32_e64 s[40:41], 1, v4
	v_cmp_eq_u32_e64 s[48:49], 2, v4
	;; [unrolled: 1-line block ×3, first 2 shown]
	v_cndmask_b32_e64 v4, 0, 1, s[26:27]
	s_and_b64 s[26:27], s[24:25], s[34:35]
	v_cmp_eq_u32_e64 s[42:43], 1, v5
	v_cmp_eq_u32_e64 s[50:51], 2, v5
	v_cmp_eq_u32_e64 s[58:59], 3, v5
	v_cndmask_b32_e64 v5, 0, 1, s[26:27]
	s_and_b64 s[26:27], s[2:3], s[36:37]
	v_cndmask_b32_e64 v16, 0, 1, s[26:27]
	s_and_b64 s[26:27], s[20:21], s[38:39]
	;; [unrolled: 2-line block ×5, first 2 shown]
	s_and_b64 s[2:3], s[2:3], s[52:53]
	v_cndmask_b32_e64 v37, 0, 1, s[26:27]
	s_and_b64 s[26:27], s[20:21], s[46:47]
	v_cndmask_b32_e64 v41, 0, 1, s[2:3]
	s_and_b64 s[2:3], s[20:21], s[54:55]
	v_cndmask_b32_e64 v38, 0, 1, s[26:27]
	s_and_b64 s[26:27], s[22:23], s[48:49]
	v_cndmask_b32_e64 v42, 0, 1, s[2:3]
	s_and_b64 s[2:3], s[22:23], s[56:57]
	v_cndmask_b32_e64 v39, 0, 1, s[26:27]
	s_and_b64 s[26:27], s[24:25], s[50:51]
	v_cndmask_b32_e64 v43, 0, 1, s[2:3]
	s_and_b64 s[2:3], s[24:25], s[58:59]
	v_cndmask_b32_e64 v40, 0, 1, s[26:27]
	v_cndmask_b32_e64 v44, 0, 1, s[2:3]
	v_cmp_ne_u32_e64 s[2:3], 0, v2
	v_cmp_ne_u32_e64 s[20:21], 0, v3
	;; [unrolled: 1-line block ×11, first 2 shown]
	s_bcnt1_i32_b64 s2, s[2:3]
	s_bcnt1_i32_b64 s3, s[20:21]
	;; [unrolled: 1-line block ×8, first 2 shown]
	v_cmp_ne_u32_e64 s[34:35], 0, v19
	v_cmp_ne_u32_e64 s[40:41], 0, v39
	;; [unrolled: 1-line block ×3, first 2 shown]
	s_bcnt1_i32_b64 s23, s[28:29]
	s_bcnt1_i32_b64 s27, s[38:39]
	;; [unrolled: 1-line block ×3, first 2 shown]
	s_add_i32 s2, s91, s2
	s_add_i32 s22, s90, s22
	;; [unrolled: 1-line block ×4, first 2 shown]
	v_cmp_ne_u32_e64 s[42:43], 0, v40
	v_cmp_ne_u32_e64 s[50:51], 0, v44
	s_bcnt1_i32_b64 s25, s[34:35]
	s_bcnt1_i32_b64 s28, s[40:41]
	;; [unrolled: 1-line block ×3, first 2 shown]
	s_add_i32 s2, s2, s3
	s_add_i32 s3, s22, s23
	;; [unrolled: 1-line block ×4, first 2 shown]
	s_bcnt1_i32_b64 s29, s[42:43]
	s_bcnt1_i32_b64 s35, s[50:51]
	s_add_i32 s2, s2, s20
	s_add_i32 s3, s3, s24
	;; [unrolled: 1-line block ×8, first 2 shown]
	s_or_b64 s[76:77], vcc, s[76:77]
	v_mov_b32_e32 v2, s91
	v_mov_b32_e32 v3, s90
	;; [unrolled: 1-line block ×4, first 2 shown]
	s_andn2_b64 exec, exec, s[76:77]
	s_cbranch_execnz .LBB10_48
; %bb.49:                               ;   in Loop: Header=BB10_7 Depth=1
	s_or_b64 exec, exec, s[76:77]
	s_or_b64 exec, exec, s[72:73]
	v_mov_b32_e32 v18, 0
	s_and_saveexec_b64 s[2:3], s[12:13]
	s_cbranch_execz .LBB10_46
.LBB10_50:                              ;   in Loop: Header=BB10_7 Depth=1
	global_load_ubyte v18, v[14:15], off
	s_or_b64 exec, exec, s[2:3]
	s_and_saveexec_b64 s[20:21], s[14:15]
	s_cbranch_execz .LBB10_56
.LBB10_51:                              ;   in Loop: Header=BB10_7 Depth=1
	s_mov_b64 s[22:23], 0
	v_mov_b32_e32 v16, v28
	v_mov_b32_e32 v9, v22
	s_branch .LBB10_53
.LBB10_52:                              ;   in Loop: Header=BB10_53 Depth=2
	s_or_b64 exec, exec, s[2:3]
	s_waitcnt vmcnt(0)
	v_add_u32_sdwa v18, sext(v18), s7 dst_sel:DWORD dst_unused:UNUSED_PAD src0_sel:BYTE_0 src1_sel:DWORD
	v_and_b32_e32 v19, v18, v33
	v_bfe_u32 v18, v18, v31, 2
	v_cmp_eq_u32_e32 vcc, v19, v26
	v_cmp_eq_u32_e64 s[2:3], 0, v18
	s_and_b64 s[2:3], vcc, s[2:3]
	v_add_u32_e32 v16, s94, v16
	v_cndmask_b32_e64 v19, 0, 1, s[2:3]
	v_cmp_ne_u32_e64 s[2:3], 0, v19
	s_bcnt1_i32_b64 s2, s[2:3]
	s_nop 0
	v_add_u32_e32 v2, s2, v2
	v_cmp_eq_u32_e64 s[2:3], 1, v18
	s_and_b64 s[2:3], vcc, s[2:3]
	s_nop 0
	v_cndmask_b32_e64 v19, 0, 1, s[2:3]
	v_cmp_ne_u32_e64 s[2:3], 0, v19
	s_bcnt1_i32_b64 s2, s[2:3]
	s_nop 0
	v_add_u32_e32 v3, s2, v3
	v_cmp_eq_u32_e64 s[2:3], 2, v18
	s_and_b64 s[2:3], vcc, s[2:3]
	s_nop 0
	;; [unrolled: 8-line block ×3, first 2 shown]
	v_cndmask_b32_e64 v18, 0, 1, s[2:3]
	v_cmp_ne_u32_e32 vcc, 0, v18
	s_bcnt1_i32_b64 s2, vcc
	v_cmp_le_i32_e32 vcc, s68, v9
	v_add_u32_e32 v5, s2, v5
	s_or_b64 s[22:23], vcc, s[22:23]
	v_mov_b32_e32 v18, v17
	s_andn2_b64 exec, exec, s[22:23]
	s_cbranch_execz .LBB10_55
.LBB10_53:                              ;   Parent Loop BB10_7 Depth=1
                                        ; =>  This Inner Loop Header: Depth=2
	v_add_u32_e32 v9, s70, v9
	v_cmp_gt_u32_e32 vcc, s68, v9
	v_mov_b32_e32 v17, 0
	s_and_saveexec_b64 s[2:3], vcc
	s_cbranch_execz .LBB10_52
; %bb.54:                               ;   in Loop: Header=BB10_53 Depth=2
	v_ashrrev_i32_e32 v17, 31, v16
	v_lshl_add_u64 v[38:39], s[80:81], 0, v[16:17]
	global_load_ubyte v17, v[38:39], off
	s_branch .LBB10_52
.LBB10_55:                              ;   in Loop: Header=BB10_7 Depth=1
	s_or_b64 exec, exec, s[22:23]
.LBB10_56:                              ;   in Loop: Header=BB10_7 Depth=1
	s_or_b64 exec, exec, s[20:21]
	s_branch .LBB10_36
.LBB10_57:                              ;   in Loop: Header=BB10_7 Depth=1
	s_mul_hi_u32 s2, s8, s98
	s_mul_i32 s2, s2, s95
	s_sub_i32 s2, s8, s2
	s_sub_i32 s3, s2, s95
	s_cmp_ge_u32 s2, s95
	s_cselect_b32 s2, s3, s2
	s_sub_i32 s3, s2, s95
	s_cmp_ge_u32 s2, s95
	s_cselect_b32 s2, s3, s2
	s_sub_i32 s9, s8, s2
	v_cmp_gt_u32_e32 vcc, s9, v13
	s_waitcnt vmcnt(0)
	v_mov_b32_e32 v2, 0
	v_mov_b32_e32 v3, 0
	;; [unrolled: 1-line block ×4, first 2 shown]
	s_and_saveexec_b64 s[72:73], vcc
	s_cbranch_execz .LBB10_61
; %bb.58:                               ;   in Loop: Header=BB10_7 Depth=1
	s_mov_b32 s90, 0
	s_mov_b64 s[76:77], 0
	s_mov_b32 s91, 0
	s_mov_b32 s92, 0
	;; [unrolled: 1-line block ×3, first 2 shown]
	v_mov_b32_e32 v9, v13
.LBB10_59:                              ;   Parent Loop BB10_7 Depth=1
                                        ; =>  This Inner Loop Header: Depth=2
	ds_read_b32 v2, v9
	v_add_u32_e32 v9, s95, v9
	v_cmp_le_i32_e32 vcc, s9, v9
	s_waitcnt lgkmcnt(0)
	v_add_u32_sdwa v3, sext(v2), s7 dst_sel:DWORD dst_unused:UNUSED_PAD src0_sel:BYTE_0 src1_sel:DWORD
	v_add_u32_sdwa v4, sext(v2), s7 dst_sel:DWORD dst_unused:UNUSED_PAD src0_sel:BYTE_1 src1_sel:DWORD
	v_and_b32_e32 v16, v3, v33
	v_bfe_u32 v3, v3, v31, 2
	v_add_u32_sdwa v5, sext(v2), s7 dst_sel:DWORD dst_unused:UNUSED_PAD src0_sel:BYTE_2 src1_sel:DWORD
	v_add_u32_sdwa v2, sext(v2), s7 dst_sel:DWORD dst_unused:UNUSED_PAD src0_sel:BYTE_3 src1_sel:DWORD
	v_and_b32_e32 v17, v4, v33
	v_bfe_u32 v4, v4, v31, 2
	v_cmp_eq_u32_e64 s[2:3], v16, v26
	v_cmp_eq_u32_e64 s[26:27], 0, v3
	v_and_b32_e32 v18, v5, v33
	v_and_b32_e32 v19, v2, v33
	v_bfe_u32 v5, v5, v31, 2
	v_bfe_u32 v2, v2, v31, 2
	v_cmp_eq_u32_e64 s[20:21], v17, v26
	v_cmp_eq_u32_e64 s[28:29], 0, v4
	s_and_b64 s[26:27], s[2:3], s[26:27]
	v_cmp_eq_u32_e64 s[22:23], v18, v26
	v_cmp_eq_u32_e64 s[30:31], 0, v5
	;; [unrolled: 1-line block ×6, first 2 shown]
	v_cndmask_b32_e64 v2, 0, 1, s[26:27]
	s_and_b64 s[26:27], s[20:21], s[28:29]
	v_cmp_eq_u32_e64 s[24:25], v19, v26
	v_cmp_eq_u32_e64 s[36:37], 1, v3
	;; [unrolled: 1-line block ×4, first 2 shown]
	v_cndmask_b32_e64 v3, 0, 1, s[26:27]
	s_and_b64 s[26:27], s[22:23], s[30:31]
	v_cmp_eq_u32_e64 s[38:39], 1, v4
	v_cmp_eq_u32_e64 s[46:47], 2, v4
	;; [unrolled: 1-line block ×3, first 2 shown]
	v_cndmask_b32_e64 v4, 0, 1, s[26:27]
	s_and_b64 s[26:27], s[24:25], s[34:35]
	v_cmp_eq_u32_e64 s[40:41], 1, v5
	v_cmp_eq_u32_e64 s[48:49], 2, v5
	v_cmp_eq_u32_e64 s[56:57], 3, v5
	v_cndmask_b32_e64 v5, 0, 1, s[26:27]
	s_and_b64 s[26:27], s[2:3], s[36:37]
	v_cndmask_b32_e64 v16, 0, 1, s[26:27]
	s_and_b64 s[26:27], s[20:21], s[38:39]
	;; [unrolled: 2-line block ×5, first 2 shown]
	s_and_b64 s[2:3], s[2:3], s[52:53]
	v_cndmask_b32_e64 v37, 0, 1, s[26:27]
	s_and_b64 s[26:27], s[20:21], s[46:47]
	v_cndmask_b32_e64 v41, 0, 1, s[2:3]
	;; [unrolled: 2-line block ×7, first 2 shown]
	v_cndmask_b32_e64 v44, 0, 1, s[2:3]
	v_cmp_ne_u32_e64 s[2:3], 0, v2
	v_cmp_ne_u32_e64 s[20:21], 0, v3
	;; [unrolled: 1-line block ×11, first 2 shown]
	s_bcnt1_i32_b64 s2, s[2:3]
	s_bcnt1_i32_b64 s3, s[20:21]
	;; [unrolled: 1-line block ×8, first 2 shown]
	v_cmp_ne_u32_e64 s[34:35], 0, v19
	v_cmp_ne_u32_e64 s[40:41], 0, v39
	;; [unrolled: 1-line block ×3, first 2 shown]
	s_bcnt1_i32_b64 s23, s[28:29]
	s_bcnt1_i32_b64 s27, s[38:39]
	s_bcnt1_i32_b64 s31, s[46:47]
	s_add_i32 s2, s93, s2
	s_add_i32 s22, s92, s22
	;; [unrolled: 1-line block ×4, first 2 shown]
	v_cmp_ne_u32_e64 s[42:43], 0, v40
	v_cmp_ne_u32_e64 s[50:51], 0, v44
	s_bcnt1_i32_b64 s25, s[34:35]
	s_bcnt1_i32_b64 s28, s[40:41]
	;; [unrolled: 1-line block ×3, first 2 shown]
	s_add_i32 s2, s2, s3
	s_add_i32 s3, s22, s23
	;; [unrolled: 1-line block ×4, first 2 shown]
	s_bcnt1_i32_b64 s29, s[42:43]
	s_bcnt1_i32_b64 s35, s[50:51]
	s_add_i32 s2, s2, s20
	s_add_i32 s3, s3, s24
	;; [unrolled: 1-line block ×8, first 2 shown]
	s_or_b64 s[76:77], vcc, s[76:77]
	v_mov_b32_e32 v2, s93
	v_mov_b32_e32 v3, s92
	;; [unrolled: 1-line block ×4, first 2 shown]
	s_andn2_b64 exec, exec, s[76:77]
	s_cbranch_execnz .LBB10_59
; %bb.60:                               ;   in Loop: Header=BB10_7 Depth=1
	s_or_b64 exec, exec, s[76:77]
.LBB10_61:                              ;   in Loop: Header=BB10_7 Depth=1
	s_or_b64 exec, exec, s[72:73]
	v_add_u32_e32 v9, s9, v0
	v_cmp_gt_i32_e32 vcc, s8, v9
	s_and_saveexec_b64 s[28:29], vcc
	s_cbranch_execz .LBB10_65
; %bb.62:                               ;   in Loop: Header=BB10_7 Depth=1
	s_mov_b64 s[30:31], 0
.LBB10_63:                              ;   Parent Loop BB10_7 Depth=1
                                        ; =>  This Inner Loop Header: Depth=2
	ds_read_i8 v16, v9
	v_add_u32_e32 v9, s70, v9
	v_cmp_le_i32_e32 vcc, s8, v9
	s_waitcnt lgkmcnt(0)
	v_add_u32_e32 v16, 0x80, v16
	v_and_b32_e32 v17, v16, v33
	v_bfe_u32 v16, v16, v31, 2
	v_cmp_eq_u32_e64 s[2:3], v17, v26
	v_cmp_eq_u32_e64 s[20:21], 0, v16
	v_cmp_eq_u32_e64 s[22:23], 1, v16
	s_and_b64 s[20:21], s[2:3], s[20:21]
	v_cmp_eq_u32_e64 s[24:25], 2, v16
	v_cmp_eq_u32_e64 s[26:27], 3, v16
	v_cndmask_b32_e64 v16, 0, 1, s[20:21]
	s_and_b64 s[20:21], s[2:3], s[22:23]
	v_cndmask_b32_e64 v17, 0, 1, s[20:21]
	s_and_b64 s[20:21], s[2:3], s[24:25]
	s_and_b64 s[2:3], s[2:3], s[26:27]
	v_cndmask_b32_e64 v18, 0, 1, s[20:21]
	v_cndmask_b32_e64 v19, 0, 1, s[2:3]
	v_cmp_ne_u32_e64 s[2:3], 0, v16
	v_cmp_ne_u32_e64 s[20:21], 0, v17
	;; [unrolled: 1-line block ×4, first 2 shown]
	s_bcnt1_i32_b64 s2, s[2:3]
	s_bcnt1_i32_b64 s3, s[20:21]
	;; [unrolled: 1-line block ×4, first 2 shown]
	v_add_u32_e32 v2, s2, v2
	v_add_u32_e32 v3, s3, v3
	;; [unrolled: 1-line block ×3, first 2 shown]
	s_or_b64 s[30:31], vcc, s[30:31]
	v_add_u32_e32 v5, s20, v5
	s_andn2_b64 exec, exec, s[30:31]
	s_cbranch_execnz .LBB10_63
; %bb.64:                               ;   in Loop: Header=BB10_7 Depth=1
	s_or_b64 exec, exec, s[30:31]
.LBB10_65:                              ;   in Loop: Header=BB10_7 Depth=1
	s_or_b64 exec, exec, s[28:29]
	s_lshl_b32 s8, s69, 6
	s_and_saveexec_b64 s[2:3], s[18:19]
	s_cbranch_execnz .LBB10_37
	s_branch .LBB10_38
.LBB10_66:                              ;   in Loop: Header=BB10_7 Depth=1
	s_or_b64 exec, exec, s[22:23]
	s_waitcnt lgkmcnt(0)
	s_barrier
	s_and_saveexec_b64 s[2:3], s[0:1]
	s_cbranch_execz .LBB10_68
; %bb.67:                               ;   in Loop: Header=BB10_7 Depth=1
	ds_read_b32 v2, v8 offset:4104
	s_waitcnt lgkmcnt(0)
	ds_write_b32 v8, v2 offset:4096
.LBB10_68:                              ;   in Loop: Header=BB10_7 Depth=1
	s_or_b64 exec, exec, s[2:3]
	s_waitcnt lgkmcnt(0)
	s_barrier
	s_mov_b64 s[2:3], -1
	s_and_b64 vcc, exec, s[20:21]
	s_cbranch_vccnz .LBB10_22
	s_branch .LBB10_32
.LBB10_69:                              ;   in Loop: Header=BB10_7 Depth=1
	v_mov_b32_e32 v2, 0
	s_mov_b32 s9, 0
	s_cbranch_execnz .LBB10_74
	s_branch .LBB10_76
.LBB10_70:                              ;   in Loop: Header=BB10_7 Depth=1
	v_mov_b32_e32 v9, v8
	s_mov_b32 s20, 0
	v_mov_b64_e32 v[2:3], v[8:9]
	s_mov_b32 s21, 1
.LBB10_71:                              ;   in Loop: Header=BB10_7 Depth=1
	v_readlane_b32 s22, v50, 41
	v_readlane_b32 s23, v50, 42
	s_andn2_b64 vcc, exec, s[22:23]
	v_readlane_b32 s9, v50, 40
	s_cbranch_vccnz .LBB10_73
.LBB10_72:                              ;   Parent Loop BB10_7 Depth=1
                                        ; =>  This Inner Loop Header: Depth=2
	v_lshl_add_u32 v9, s20, 4, v5
	v_lshl_add_u32 v16, s21, 4, v5
	ds_read_b32 v16, v16
	ds_read_b32 v9, v9
	s_add_i32 s21, s21, 2
	s_add_i32 s20, s20, 2
	s_add_i32 s9, s9, -1
	s_cmp_lg_u32 s9, 0
	s_waitcnt lgkmcnt(1)
	v_add_u32_e32 v3, v16, v3
	s_waitcnt lgkmcnt(0)
	v_add_u32_e32 v2, v9, v2
	s_cbranch_scc1 .LBB10_72
.LBB10_73:                              ;   in Loop: Header=BB10_7 Depth=1
	v_readlane_b32 s20, v50, 45
	v_add_u32_e32 v2, v2, v3
	v_readlane_b32 s9, v50, 44
	v_readlane_b32 s21, v50, 46
	s_and_b64 vcc, exec, s[20:21]
	s_cbranch_vccz .LBB10_76
.LBB10_74:                              ;   in Loop: Header=BB10_7 Depth=1
	s_lshl_b32 s20, s69, 8
	s_lshl_b32 s21, s9, 4
	s_add_i32 s20, s20, s21
	v_add_u32_e32 v3, s20, v29
	v_readlane_b32 s20, v50, 43
	s_sub_i32 s9, s20, s9
.LBB10_75:                              ;   Parent Loop BB10_7 Depth=1
                                        ; =>  This Inner Loop Header: Depth=2
	ds_read_b32 v5, v3
	s_add_i32 s9, s9, -1
	v_add_u32_e32 v3, 16, v3
	s_cmp_eq_u32 s9, 0
	s_waitcnt lgkmcnt(0)
	v_add_u32_e32 v2, v5, v2
	s_cbranch_scc0 .LBB10_75
.LBB10_76:                              ;   in Loop: Header=BB10_7 Depth=1
	v_lshlrev_b32_e32 v3, 2, v4
	ds_write_b32 v3, v2 offset:3072
.LBB10_77:                              ;   in Loop: Header=BB10_7 Depth=1
	s_or_b64 exec, exec, s[2:3]
	s_lshl_b32 s2, s8, 2
	s_waitcnt vmcnt(0)
	v_mov_b32_e32 v2, s2
	s_waitcnt lgkmcnt(0)
	s_barrier
	ds_read_b128 v[2:5], v2 offset:3072
	v_cmp_eq_u32_e32 vcc, 1, v35
	s_mov_b64 s[20:21], -1
	s_mov_b64 s[28:29], -1
                                        ; implicit-def: $sgpr26_sgpr27
                                        ; implicit-def: $sgpr24_sgpr25
	s_waitcnt lgkmcnt(0)
	v_readfirstlane_b32 s9, v2
	s_cmp_eq_u32 s9, 1
	v_readfirstlane_b32 s54, v4
	v_lshlrev_b32_e64 v4, v31, 3
	s_cselect_b64 s[2:3], -1, 0
	v_readfirstlane_b32 s8, v3
	v_readfirstlane_b32 s76, v5
	v_not_b32_e32 v9, v4
	s_and_b64 s[22:23], s[2:3], vcc
	s_and_saveexec_b64 s[2:3], s[22:23]
	s_cbranch_execz .LBB10_103
; %bb.78:                               ;   in Loop: Header=BB10_7 Depth=1
	ds_read_b32 v2, v8 offset:4096
	s_waitcnt lgkmcnt(0)
	s_barrier
	v_readfirstlane_b32 s42, v2
	s_and_saveexec_b64 s[24:25], s[4:5]
; %bb.79:                               ;   in Loop: Header=BB10_7 Depth=1
	ds_write_b8 v0, v8 offset:3072
; %bb.80:                               ;   in Loop: Header=BB10_7 Depth=1
	s_or_b64 exec, exec, s[24:25]
	v_and_b32_e32 v26, v26, v9
	v_or_b32_e32 v33, v33, v4
	s_mov_b64 s[24:25], -1
	s_mov_b64 s[26:27], 0
	s_cmp_lt_i32 s42, 1
	s_mov_b64 s[28:29], 0
	s_mov_b64 s[30:31], -1
	s_waitcnt lgkmcnt(0)
	s_barrier
                                        ; implicit-def: $vgpr34
	s_cbranch_scc0 .LBB10_91
; %bb.81:                               ;   in Loop: Header=BB10_7 Depth=1
	s_mov_b64 s[30:31], 0
                                        ; implicit-def: $vgpr34
	s_and_saveexec_b64 s[34:35], s[16:17]
	s_cbranch_execz .LBB10_90
; %bb.82:                               ;   in Loop: Header=BB10_7 Depth=1
	v_mov_b32_e32 v2, v6
	v_mov_b32_e32 v5, v0
                                        ; implicit-def: $sgpr36_sgpr37
	s_branch .LBB10_85
.LBB10_83:                              ;   in Loop: Header=BB10_85 Depth=2
	s_or_b64 exec, exec, s[38:39]
	s_waitcnt lgkmcnt(0)
	s_barrier
	ds_read_u16 v3, v8 offset:3072
	s_mov_b64 s[38:39], -1
	s_waitcnt lgkmcnt(0)
	s_barrier
	v_cmp_ne_u32_sdwa s[40:41], v3, v8 src0_sel:BYTE_0 src1_sel:DWORD
	s_and_b64 vcc, exec, s[40:41]
	s_mov_b64 s[40:41], -1
	s_cbranch_vccz .LBB10_88
.LBB10_84:                              ;   in Loop: Header=BB10_85 Depth=2
	s_and_b64 s[38:39], exec, s[38:39]
	s_or_b64 s[28:29], s[38:39], s[28:29]
	s_andn2_b64 s[36:37], s[36:37], exec
	s_and_b64 s[38:39], s[40:41], exec
	s_or_b64 s[36:37], s[36:37], s[38:39]
	s_andn2_b64 exec, exec, s[28:29]
	s_cbranch_execz .LBB10_89
.LBB10_85:                              ;   Parent Loop BB10_7 Depth=1
                                        ; =>  This Inner Loop Header: Depth=2
	v_cmp_gt_i32_e32 vcc, s68, v5
	s_and_saveexec_b64 s[38:39], vcc
	s_cbranch_execz .LBB10_83
; %bb.86:                               ;   in Loop: Header=BB10_85 Depth=2
	v_ashrrev_i32_e32 v3, 31, v2
	v_lshl_add_u64 v[16:17], s[80:81], 0, v[2:3]
	global_load_ubyte v3, v[16:17], off
	s_waitcnt vmcnt(0)
	v_add_u32_sdwa v16, sext(v3), s7 dst_sel:DWORD dst_unused:UNUSED_PAD src0_sel:BYTE_0 src1_sel:DWORD
	v_and_b32_e32 v16, v16, v33
	v_cmp_eq_u32_e32 vcc, v16, v26
	s_and_b64 exec, exec, vcc
	s_cbranch_execz .LBB10_83
; %bb.87:                               ;   in Loop: Header=BB10_85 Depth=2
	v_lshlrev_b16_e32 v3, 8, v3
	v_or_b32_e32 v3, 1, v3
	ds_write_b16 v8, v3 offset:3072
	s_branch .LBB10_83
.LBB10_88:                              ;   in Loop: Header=BB10_85 Depth=2
	v_add_u32_e32 v5, s70, v5
	v_cmp_le_i32_e32 vcc, s97, v5
	v_add_u32_e32 v2, s94, v2
	s_mov_b64 s[40:41], 0
	s_orn2_b64 s[38:39], vcc, exec
	s_branch .LBB10_84
.LBB10_89:                              ;   in Loop: Header=BB10_7 Depth=1
	s_or_b64 exec, exec, s[28:29]
	v_lshrrev_b32_sdwa v34, v32, v3 dst_sel:DWORD dst_unused:UNUSED_PAD src0_sel:DWORD src1_sel:WORD_0
	s_and_b64 s[28:29], s[36:37], exec
.LBB10_90:                              ;   in Loop: Header=BB10_7 Depth=1
	s_or_b64 exec, exec, s[34:35]
.LBB10_91:                              ;   in Loop: Header=BB10_7 Depth=1
	s_and_b64 vcc, exec, s[30:31]
	s_cbranch_vccz .LBB10_102
; %bb.92:                               ;   in Loop: Header=BB10_7 Depth=1
	s_add_i32 s38, s42, s96
	s_abs_i32 s25, s38
	s_mul_hi_u32 s26, s25, s33
	s_mul_i32 s26, s26, s70
	s_sub_i32 s25, s25, s26
	s_ashr_i32 s24, s38, 31
	s_sub_i32 s26, s25, s70
	s_cmp_ge_u32 s25, s70
	s_cselect_b32 s25, s26, s25
	s_sub_i32 s26, s25, s70
	s_cmp_ge_u32 s25, s70
	s_cselect_b32 s25, s26, s25
	s_xor_b32 s25, s25, s24
	s_sub_i32 s24, s24, s25
	s_add_i32 s38, s38, s24
	v_cmp_gt_i32_e32 vcc, s38, v0
                                        ; implicit-def: $vgpr34
	s_and_saveexec_b64 s[24:25], vcc
	s_cbranch_execz .LBB10_101
; %bb.93:                               ;   in Loop: Header=BB10_7 Depth=1
	s_mov_b64 s[26:27], 0
	v_mov_b32_e32 v2, v0
                                        ; implicit-def: $sgpr30_sgpr31
	s_branch .LBB10_96
.LBB10_94:                              ;   in Loop: Header=BB10_96 Depth=2
	s_or_b64 exec, exec, s[34:35]
	s_waitcnt lgkmcnt(0)
	s_barrier
	ds_read_u16 v3, v8 offset:3072
	s_mov_b64 s[34:35], -1
	s_waitcnt lgkmcnt(0)
	s_barrier
	v_cmp_ne_u32_sdwa s[36:37], v3, v8 src0_sel:BYTE_0 src1_sel:DWORD
	s_and_b64 vcc, exec, s[36:37]
	s_mov_b64 s[36:37], -1
	s_cbranch_vccz .LBB10_99
.LBB10_95:                              ;   in Loop: Header=BB10_96 Depth=2
	s_and_b64 s[34:35], exec, s[34:35]
	s_or_b64 s[26:27], s[34:35], s[26:27]
	s_andn2_b64 s[30:31], s[30:31], exec
	s_and_b64 s[34:35], s[36:37], exec
	s_or_b64 s[30:31], s[30:31], s[34:35]
	s_andn2_b64 exec, exec, s[26:27]
	s_cbranch_execz .LBB10_100
.LBB10_96:                              ;   Parent Loop BB10_7 Depth=1
                                        ; =>  This Inner Loop Header: Depth=2
	v_cmp_gt_i32_e32 vcc, s42, v2
	s_and_saveexec_b64 s[34:35], vcc
	s_cbranch_execz .LBB10_94
; %bb.97:                               ;   in Loop: Header=BB10_96 Depth=2
	ds_read_u8 v3, v2
	s_waitcnt lgkmcnt(0)
	v_add_u32_sdwa v5, sext(v3), s7 dst_sel:DWORD dst_unused:UNUSED_PAD src0_sel:BYTE_0 src1_sel:DWORD
	v_and_b32_e32 v5, v5, v33
	v_cmp_eq_u32_e32 vcc, v5, v26
	s_and_b64 exec, exec, vcc
	s_cbranch_execz .LBB10_94
; %bb.98:                               ;   in Loop: Header=BB10_96 Depth=2
	v_lshlrev_b16_e32 v3, 8, v3
	v_or_b32_e32 v3, 1, v3
	ds_write_b16 v8, v3 offset:3072
	s_branch .LBB10_94
.LBB10_99:                              ;   in Loop: Header=BB10_96 Depth=2
	v_add_u32_e32 v2, s70, v2
	v_cmp_le_i32_e32 vcc, s38, v2
	s_mov_b64 s[36:37], 0
	s_orn2_b64 s[34:35], vcc, exec
	s_branch .LBB10_95
.LBB10_100:                             ;   in Loop: Header=BB10_7 Depth=1
	s_or_b64 exec, exec, s[26:27]
	s_andn2_b64 s[26:27], s[28:29], exec
	s_and_b64 s[28:29], s[30:31], exec
	v_lshrrev_b32_sdwa v34, v32, v3 dst_sel:DWORD dst_unused:UNUSED_PAD src0_sel:DWORD src1_sel:WORD_0
	s_or_b64 s[28:29], s[26:27], s[28:29]
.LBB10_101:                             ;   in Loop: Header=BB10_7 Depth=1
	s_or_b64 exec, exec, s[24:25]
	s_mov_b64 s[24:25], 0
	s_mov_b64 s[26:27], -1
.LBB10_102:                             ;   in Loop: Header=BB10_7 Depth=1
	s_orn2_b64 s[28:29], s[28:29], exec
.LBB10_103:                             ;   in Loop: Header=BB10_7 Depth=1
	s_or_b64 exec, exec, s[2:3]
	s_andn2_b64 s[2:3], s[82:83], exec
	s_and_b64 s[26:27], s[26:27], exec
	s_or_b64 s[82:83], s[2:3], s[26:27]
	s_andn2_b64 s[2:3], s[64:65], exec
	s_and_b64 s[24:25], s[24:25], exec
	v_readfirstlane_b32 s34, v0
	s_andn2_b64 s[66:67], s[66:67], exec
	s_or_b64 s[64:65], s[2:3], s[24:25]
                                        ; implicit-def: $vgpr16
	s_and_saveexec_b64 s[2:3], s[28:29]
	s_cbranch_execz .LBB10_6
; %bb.104:                              ;   in Loop: Header=BB10_7 Depth=1
	s_xor_b64 s[24:25], s[22:23], -1
	s_mov_b64 s[22:23], 0
	v_mov_b32_e32 v16, 1
	v_mov_b32_e32 v5, 1
	s_and_saveexec_b64 s[20:21], s[24:25]
	s_cbranch_execz .LBB10_113
; %bb.105:                              ;   in Loop: Header=BB10_7 Depth=1
	v_cmp_ge_i32_e32 vcc, s9, v35
	s_and_saveexec_b64 s[22:23], vcc
	s_xor_b64 s[22:23], exec, s[22:23]
	s_cbranch_execz .LBB10_110
; %bb.106:                              ;   in Loop: Header=BB10_7 Depth=1
	ds_read_b32 v2, v8 offset:4096
	v_and_b32_e32 v26, v26, v9
	v_or_b32_e32 v33, v33, v4
	s_waitcnt lgkmcnt(0)
	v_cmp_ne_u32_e32 vcc, 0, v2
	s_cbranch_vccnz .LBB10_110
; %bb.107:                              ;   in Loop: Header=BB10_7 Depth=1
	s_and_saveexec_b64 s[24:25], s[0:1]
; %bb.108:                              ;   in Loop: Header=BB10_7 Depth=1
	v_mov_b32_e32 v2, s9
	ds_write_b32 v8, v2 offset:4100
; %bb.109:                              ;   in Loop: Header=BB10_7 Depth=1
	s_or_b64 exec, exec, s[24:25]
	s_waitcnt lgkmcnt(0)
	s_barrier
.LBB10_110:                             ;   in Loop: Header=BB10_7 Depth=1
	s_or_saveexec_b64 s[22:23], s[22:23]
	s_mov_b64 s[24:25], 0
	v_mov_b32_e32 v5, 8
	s_xor_b64 exec, exec, s[22:23]
; %bb.111:                              ;   in Loop: Header=BB10_7 Depth=1
	s_mov_b64 s[24:25], exec
	v_subrev_u32_e32 v35, s9, v35
	v_mov_b32_e32 v5, 0
; %bb.112:                              ;   in Loop: Header=BB10_7 Depth=1
	s_or_b64 exec, exec, s[22:23]
	s_and_b64 s[22:23], s[24:25], exec
	v_mov_b32_e32 v16, v35
.LBB10_113:                             ;   in Loop: Header=BB10_7 Depth=1
	s_or_b64 exec, exec, s[20:21]
	s_mov_b64 s[20:21], -1
	s_mov_b64 s[28:29], -1
                                        ; implicit-def: $sgpr24_sgpr25
                                        ; implicit-def: $sgpr26_sgpr27
	s_and_saveexec_b64 s[30:31], s[22:23]
	s_xor_b64 s[22:23], exec, s[30:31]
	s_cbranch_execz .LBB10_230
; %bb.114:                              ;   in Loop: Header=BB10_7 Depth=1
	s_cmp_eq_u32 s8, 1
	s_cselect_b64 s[24:25], -1, 0
	v_cmp_eq_u32_e32 vcc, 1, v16
	s_and_b64 s[30:31], s[24:25], vcc
	s_mov_b64 s[34:35], -1
                                        ; implicit-def: $sgpr26_sgpr27
                                        ; implicit-def: $sgpr24_sgpr25
	s_and_saveexec_b64 s[28:29], s[30:31]
	s_cbranch_execz .LBB10_140
; %bb.115:                              ;   in Loop: Header=BB10_7 Depth=1
	ds_read_b32 v2, v8 offset:4096
	s_waitcnt lgkmcnt(0)
	s_barrier
	v_readfirstlane_b32 s9, v2
	s_and_saveexec_b64 s[24:25], s[4:5]
; %bb.116:                              ;   in Loop: Header=BB10_7 Depth=1
	ds_write_b8 v0, v8 offset:3072
; %bb.117:                              ;   in Loop: Header=BB10_7 Depth=1
	s_or_b64 exec, exec, s[24:25]
	v_and_b32_e32 v2, v26, v9
	v_lshl_or_b32 v26, 1, v31, v2
	v_or_b32_e32 v33, v33, v4
	s_mov_b64 s[24:25], -1
	s_mov_b64 s[26:27], 0
	s_cmp_gt_i32 s9, 0
	s_mov_b64 s[34:35], 0
	s_mov_b64 s[36:37], -1
	s_waitcnt lgkmcnt(0)
	s_barrier
                                        ; implicit-def: $vgpr34
	s_cbranch_scc1 .LBB10_128
; %bb.118:                              ;   in Loop: Header=BB10_7 Depth=1
	s_mov_b64 s[36:37], 0
                                        ; implicit-def: $vgpr34
	s_and_saveexec_b64 s[38:39], s[16:17]
	s_cbranch_execz .LBB10_127
; %bb.119:                              ;   in Loop: Header=BB10_7 Depth=1
	v_mov_b32_e32 v2, v6
	v_mov_b32_e32 v17, v0
                                        ; implicit-def: $sgpr40_sgpr41
	s_branch .LBB10_122
.LBB10_120:                             ;   in Loop: Header=BB10_122 Depth=2
	s_or_b64 exec, exec, s[42:43]
	s_waitcnt lgkmcnt(0)
	s_barrier
	ds_read_u16 v3, v8 offset:3072
	s_mov_b64 s[42:43], -1
	s_waitcnt lgkmcnt(0)
	s_barrier
	v_cmp_ne_u32_sdwa s[44:45], v3, v8 src0_sel:BYTE_0 src1_sel:DWORD
	s_and_b64 vcc, exec, s[44:45]
	s_mov_b64 s[44:45], -1
	s_cbranch_vccz .LBB10_125
.LBB10_121:                             ;   in Loop: Header=BB10_122 Depth=2
	s_and_b64 s[42:43], exec, s[42:43]
	s_or_b64 s[34:35], s[42:43], s[34:35]
	s_andn2_b64 s[40:41], s[40:41], exec
	s_and_b64 s[42:43], s[44:45], exec
	s_or_b64 s[40:41], s[40:41], s[42:43]
	s_andn2_b64 exec, exec, s[34:35]
	s_cbranch_execz .LBB10_126
.LBB10_122:                             ;   Parent Loop BB10_7 Depth=1
                                        ; =>  This Inner Loop Header: Depth=2
	v_cmp_gt_i32_e32 vcc, s68, v17
	s_and_saveexec_b64 s[42:43], vcc
	s_cbranch_execz .LBB10_120
; %bb.123:                              ;   in Loop: Header=BB10_122 Depth=2
	v_ashrrev_i32_e32 v3, 31, v2
	v_lshl_add_u64 v[18:19], s[80:81], 0, v[2:3]
	global_load_ubyte v3, v[18:19], off
	s_waitcnt vmcnt(0)
	v_add_u32_sdwa v18, sext(v3), s7 dst_sel:DWORD dst_unused:UNUSED_PAD src0_sel:BYTE_0 src1_sel:DWORD
	v_and_b32_e32 v18, v18, v33
	v_cmp_eq_u32_e32 vcc, v18, v26
	s_and_b64 exec, exec, vcc
	s_cbranch_execz .LBB10_120
; %bb.124:                              ;   in Loop: Header=BB10_122 Depth=2
	v_lshlrev_b16_e32 v3, 8, v3
	v_or_b32_e32 v3, 1, v3
	ds_write_b16 v8, v3 offset:3072
	s_branch .LBB10_120
.LBB10_125:                             ;   in Loop: Header=BB10_122 Depth=2
	v_add_u32_e32 v17, s70, v17
	v_cmp_le_i32_e32 vcc, s97, v17
	v_add_u32_e32 v2, s94, v2
	s_mov_b64 s[44:45], 0
	s_orn2_b64 s[42:43], vcc, exec
	s_branch .LBB10_121
.LBB10_126:                             ;   in Loop: Header=BB10_7 Depth=1
	s_or_b64 exec, exec, s[34:35]
	v_lshrrev_b32_sdwa v34, v32, v3 dst_sel:DWORD dst_unused:UNUSED_PAD src0_sel:DWORD src1_sel:WORD_0
	s_and_b64 s[34:35], s[40:41], exec
.LBB10_127:                             ;   in Loop: Header=BB10_7 Depth=1
	s_or_b64 exec, exec, s[38:39]
.LBB10_128:                             ;   in Loop: Header=BB10_7 Depth=1
	s_and_b64 vcc, exec, s[36:37]
	s_cbranch_vccz .LBB10_139
; %bb.129:                              ;   in Loop: Header=BB10_7 Depth=1
	s_add_i32 s42, s9, s96
	s_abs_i32 s25, s42
	s_mul_hi_u32 s26, s25, s33
	s_mul_i32 s26, s26, s70
	s_sub_i32 s25, s25, s26
	s_ashr_i32 s24, s42, 31
	s_sub_i32 s26, s25, s70
	s_cmp_ge_u32 s25, s70
	s_cselect_b32 s25, s26, s25
	s_sub_i32 s26, s25, s70
	s_cmp_ge_u32 s25, s70
	s_cselect_b32 s25, s26, s25
	s_xor_b32 s25, s25, s24
	s_sub_i32 s24, s24, s25
	s_add_i32 s42, s42, s24
	v_cmp_gt_i32_e32 vcc, s42, v0
                                        ; implicit-def: $vgpr34
	s_and_saveexec_b64 s[24:25], vcc
	s_cbranch_execz .LBB10_138
; %bb.130:                              ;   in Loop: Header=BB10_7 Depth=1
	s_mov_b64 s[26:27], 0
	v_mov_b32_e32 v2, v0
                                        ; implicit-def: $sgpr36_sgpr37
	s_branch .LBB10_133
.LBB10_131:                             ;   in Loop: Header=BB10_133 Depth=2
	s_or_b64 exec, exec, s[38:39]
	s_waitcnt lgkmcnt(0)
	s_barrier
	ds_read_u16 v3, v8 offset:3072
	s_mov_b64 s[38:39], -1
	s_waitcnt lgkmcnt(0)
	s_barrier
	v_cmp_eq_u32_sdwa s[40:41], v3, v8 src0_sel:BYTE_0 src1_sel:DWORD
	s_and_b64 vcc, exec, s[40:41]
	s_mov_b64 s[40:41], -1
	s_cbranch_vccnz .LBB10_136
.LBB10_132:                             ;   in Loop: Header=BB10_133 Depth=2
	s_and_b64 s[38:39], exec, s[38:39]
	s_or_b64 s[26:27], s[38:39], s[26:27]
	s_andn2_b64 s[36:37], s[36:37], exec
	s_and_b64 s[38:39], s[40:41], exec
	s_or_b64 s[36:37], s[36:37], s[38:39]
	s_andn2_b64 exec, exec, s[26:27]
	s_cbranch_execz .LBB10_137
.LBB10_133:                             ;   Parent Loop BB10_7 Depth=1
                                        ; =>  This Inner Loop Header: Depth=2
	v_cmp_gt_i32_e32 vcc, s9, v2
	s_and_saveexec_b64 s[38:39], vcc
	s_cbranch_execz .LBB10_131
; %bb.134:                              ;   in Loop: Header=BB10_133 Depth=2
	ds_read_u8 v3, v2
	s_waitcnt lgkmcnt(0)
	v_add_u32_sdwa v17, sext(v3), s7 dst_sel:DWORD dst_unused:UNUSED_PAD src0_sel:BYTE_0 src1_sel:DWORD
	v_and_b32_e32 v17, v17, v33
	v_cmp_eq_u32_e32 vcc, v17, v26
	s_and_b64 exec, exec, vcc
	s_cbranch_execz .LBB10_131
; %bb.135:                              ;   in Loop: Header=BB10_133 Depth=2
	v_lshlrev_b16_e32 v3, 8, v3
	v_or_b32_e32 v3, 1, v3
	ds_write_b16 v8, v3 offset:3072
	s_branch .LBB10_131
.LBB10_136:                             ;   in Loop: Header=BB10_133 Depth=2
	v_add_u32_e32 v2, s70, v2
	v_cmp_le_i32_e32 vcc, s42, v2
	s_mov_b64 s[40:41], 0
	s_orn2_b64 s[38:39], vcc, exec
	s_branch .LBB10_132
.LBB10_137:                             ;   in Loop: Header=BB10_7 Depth=1
	s_or_b64 exec, exec, s[26:27]
	s_andn2_b64 s[26:27], s[34:35], exec
	s_and_b64 s[34:35], s[36:37], exec
	v_lshrrev_b32_sdwa v34, v32, v3 dst_sel:DWORD dst_unused:UNUSED_PAD src0_sel:DWORD src1_sel:WORD_0
	s_or_b64 s[34:35], s[26:27], s[34:35]
.LBB10_138:                             ;   in Loop: Header=BB10_7 Depth=1
	s_or_b64 exec, exec, s[24:25]
	s_mov_b64 s[24:25], 0
	s_mov_b64 s[26:27], -1
.LBB10_139:                             ;   in Loop: Header=BB10_7 Depth=1
	s_orn2_b64 s[34:35], s[34:35], exec
.LBB10_140:                             ;   in Loop: Header=BB10_7 Depth=1
	s_or_b64 exec, exec, s[28:29]
	s_mov_b64 s[36:37], 0
	s_and_saveexec_b64 s[28:29], s[34:35]
	s_cbranch_execz .LBB10_229
; %bb.141:                              ;   in Loop: Header=BB10_7 Depth=1
	s_xor_b64 s[34:35], s[30:31], -1
	s_mov_b64 s[40:41], 0
	v_mov_b32_e32 v17, 1
	v_mov_b32_e32 v5, 1
	s_and_saveexec_b64 s[30:31], s[34:35]
	s_cbranch_execz .LBB10_150
; %bb.142:                              ;   in Loop: Header=BB10_7 Depth=1
	v_cmp_ge_i32_e32 vcc, s8, v16
	s_and_saveexec_b64 s[34:35], vcc
	s_xor_b64 s[34:35], exec, s[34:35]
	s_cbranch_execz .LBB10_147
; %bb.143:                              ;   in Loop: Header=BB10_7 Depth=1
	ds_read_b32 v2, v8 offset:4096
	v_and_b32_e32 v3, v26, v9
	v_lshl_or_b32 v26, 1, v31, v3
	v_or_b32_e32 v33, v33, v4
	s_waitcnt lgkmcnt(0)
	v_cmp_ne_u32_e32 vcc, 0, v2
	s_cbranch_vccnz .LBB10_147
; %bb.144:                              ;   in Loop: Header=BB10_7 Depth=1
	s_and_saveexec_b64 s[36:37], s[0:1]
; %bb.145:                              ;   in Loop: Header=BB10_7 Depth=1
	v_mov_b32_e32 v2, s8
	ds_write_b32 v8, v2 offset:4100
; %bb.146:                              ;   in Loop: Header=BB10_7 Depth=1
	s_or_b64 exec, exec, s[36:37]
	s_waitcnt lgkmcnt(0)
	s_barrier
.LBB10_147:                             ;   in Loop: Header=BB10_7 Depth=1
	s_or_saveexec_b64 s[34:35], s[34:35]
	s_mov_b64 s[36:37], 0
	v_mov_b32_e32 v5, 8
	s_xor_b64 exec, exec, s[34:35]
; %bb.148:                              ;   in Loop: Header=BB10_7 Depth=1
	s_mov_b64 s[36:37], exec
	v_subrev_u32_e32 v16, s8, v16
	v_mov_b32_e32 v5, 0
; %bb.149:                              ;   in Loop: Header=BB10_7 Depth=1
	s_or_b64 exec, exec, s[34:35]
	s_and_b64 s[40:41], s[36:37], exec
	v_mov_b32_e32 v17, v16
.LBB10_150:                             ;   in Loop: Header=BB10_7 Depth=1
	s_or_b64 exec, exec, s[30:31]
	s_mov_b64 s[38:39], -1
                                        ; implicit-def: $sgpr34_sgpr35
                                        ; implicit-def: $sgpr36_sgpr37
	s_and_saveexec_b64 s[30:31], s[40:41]
	s_cbranch_execz .LBB10_228
; %bb.151:                              ;   in Loop: Header=BB10_7 Depth=1
	s_cmp_eq_u32 s54, 1
	s_cselect_b64 s[8:9], -1, 0
	v_cmp_eq_u32_e32 vcc, 1, v17
	s_and_b64 s[40:41], s[8:9], vcc
	s_mov_b64 s[42:43], -1
                                        ; implicit-def: $sgpr36_sgpr37
                                        ; implicit-def: $sgpr34_sgpr35
	s_and_saveexec_b64 s[38:39], s[40:41]
	s_cbranch_execz .LBB10_177
; %bb.152:                              ;   in Loop: Header=BB10_7 Depth=1
	ds_read_b32 v2, v8 offset:4096
	s_waitcnt lgkmcnt(0)
	s_barrier
	v_readfirstlane_b32 s8, v2
	s_and_saveexec_b64 s[34:35], s[4:5]
; %bb.153:                              ;   in Loop: Header=BB10_7 Depth=1
	ds_write_b8 v0, v8 offset:3072
; %bb.154:                              ;   in Loop: Header=BB10_7 Depth=1
	s_or_b64 exec, exec, s[34:35]
	v_and_b32_e32 v2, v26, v9
	v_lshl_or_b32 v26, 2, v31, v2
	v_or_b32_e32 v33, v33, v4
	s_mov_b64 s[34:35], -1
	s_mov_b64 s[36:37], 0
	s_cmp_gt_i32 s8, 0
	s_mov_b64 s[42:43], 0
	s_mov_b64 s[44:45], -1
	s_waitcnt lgkmcnt(0)
	s_barrier
                                        ; implicit-def: $vgpr34
	s_cbranch_scc1 .LBB10_165
; %bb.155:                              ;   in Loop: Header=BB10_7 Depth=1
	s_mov_b64 s[44:45], 0
                                        ; implicit-def: $vgpr34
	s_and_saveexec_b64 s[46:47], s[16:17]
	s_cbranch_execz .LBB10_164
; %bb.156:                              ;   in Loop: Header=BB10_7 Depth=1
	v_mov_b32_e32 v2, v6
	v_mov_b32_e32 v16, v0
                                        ; implicit-def: $sgpr48_sgpr49
	s_branch .LBB10_159
.LBB10_157:                             ;   in Loop: Header=BB10_159 Depth=2
	s_or_b64 exec, exec, s[50:51]
	s_waitcnt lgkmcnt(0)
	s_barrier
	ds_read_u16 v3, v8 offset:3072
	s_mov_b64 s[50:51], -1
	s_waitcnt lgkmcnt(0)
	s_barrier
	v_cmp_ne_u32_sdwa s[52:53], v3, v8 src0_sel:BYTE_0 src1_sel:DWORD
	s_and_b64 vcc, exec, s[52:53]
	s_mov_b64 s[52:53], -1
	s_cbranch_vccz .LBB10_162
.LBB10_158:                             ;   in Loop: Header=BB10_159 Depth=2
	s_and_b64 s[50:51], exec, s[50:51]
	s_or_b64 s[42:43], s[50:51], s[42:43]
	s_andn2_b64 s[48:49], s[48:49], exec
	s_and_b64 s[50:51], s[52:53], exec
	s_or_b64 s[48:49], s[48:49], s[50:51]
	s_andn2_b64 exec, exec, s[42:43]
	s_cbranch_execz .LBB10_163
.LBB10_159:                             ;   Parent Loop BB10_7 Depth=1
                                        ; =>  This Inner Loop Header: Depth=2
	v_cmp_gt_i32_e32 vcc, s68, v16
	s_and_saveexec_b64 s[50:51], vcc
	s_cbranch_execz .LBB10_157
; %bb.160:                              ;   in Loop: Header=BB10_159 Depth=2
	v_ashrrev_i32_e32 v3, 31, v2
	v_lshl_add_u64 v[18:19], s[80:81], 0, v[2:3]
	global_load_ubyte v3, v[18:19], off
	s_waitcnt vmcnt(0)
	v_add_u32_sdwa v18, sext(v3), s7 dst_sel:DWORD dst_unused:UNUSED_PAD src0_sel:BYTE_0 src1_sel:DWORD
	v_and_b32_e32 v18, v18, v33
	v_cmp_eq_u32_e32 vcc, v18, v26
	s_and_b64 exec, exec, vcc
	s_cbranch_execz .LBB10_157
; %bb.161:                              ;   in Loop: Header=BB10_159 Depth=2
	v_lshlrev_b16_e32 v3, 8, v3
	v_or_b32_e32 v3, 1, v3
	ds_write_b16 v8, v3 offset:3072
	s_branch .LBB10_157
.LBB10_162:                             ;   in Loop: Header=BB10_159 Depth=2
	v_add_u32_e32 v16, s70, v16
	v_cmp_le_i32_e32 vcc, s97, v16
	v_add_u32_e32 v2, s94, v2
	s_mov_b64 s[52:53], 0
	s_orn2_b64 s[50:51], vcc, exec
	s_branch .LBB10_158
.LBB10_163:                             ;   in Loop: Header=BB10_7 Depth=1
	s_or_b64 exec, exec, s[42:43]
	v_lshrrev_b32_sdwa v34, v32, v3 dst_sel:DWORD dst_unused:UNUSED_PAD src0_sel:DWORD src1_sel:WORD_0
	s_and_b64 s[42:43], s[48:49], exec
.LBB10_164:                             ;   in Loop: Header=BB10_7 Depth=1
	s_or_b64 exec, exec, s[46:47]
.LBB10_165:                             ;   in Loop: Header=BB10_7 Depth=1
	s_and_b64 vcc, exec, s[44:45]
	s_cbranch_vccz .LBB10_176
; %bb.166:                              ;   in Loop: Header=BB10_7 Depth=1
	s_add_i32 s9, s8, s96
	s_abs_i32 s35, s9
	s_mul_hi_u32 s36, s35, s33
	s_mul_i32 s36, s36, s70
	s_sub_i32 s35, s35, s36
	s_ashr_i32 s34, s9, 31
	s_sub_i32 s36, s35, s70
	s_cmp_ge_u32 s35, s70
	s_cselect_b32 s35, s36, s35
	s_sub_i32 s36, s35, s70
	s_cmp_ge_u32 s35, s70
	s_cselect_b32 s35, s36, s35
	s_xor_b32 s35, s35, s34
	s_sub_i32 s34, s34, s35
	s_add_i32 s9, s9, s34
	v_cmp_gt_i32_e32 vcc, s9, v0
                                        ; implicit-def: $vgpr34
	s_and_saveexec_b64 s[34:35], vcc
	s_cbranch_execz .LBB10_175
; %bb.167:                              ;   in Loop: Header=BB10_7 Depth=1
	s_mov_b64 s[36:37], 0
	v_mov_b32_e32 v2, v0
                                        ; implicit-def: $sgpr44_sgpr45
	s_branch .LBB10_170
.LBB10_168:                             ;   in Loop: Header=BB10_170 Depth=2
	s_or_b64 exec, exec, s[46:47]
	s_waitcnt lgkmcnt(0)
	s_barrier
	ds_read_u16 v3, v8 offset:3072
	s_mov_b64 s[46:47], -1
	s_waitcnt lgkmcnt(0)
	s_barrier
	v_cmp_eq_u32_sdwa s[48:49], v3, v8 src0_sel:BYTE_0 src1_sel:DWORD
	s_and_b64 vcc, exec, s[48:49]
	s_mov_b64 s[48:49], -1
	s_cbranch_vccnz .LBB10_173
.LBB10_169:                             ;   in Loop: Header=BB10_170 Depth=2
	s_and_b64 s[46:47], exec, s[46:47]
	s_or_b64 s[36:37], s[46:47], s[36:37]
	s_andn2_b64 s[44:45], s[44:45], exec
	s_and_b64 s[46:47], s[48:49], exec
	s_or_b64 s[44:45], s[44:45], s[46:47]
	s_andn2_b64 exec, exec, s[36:37]
	s_cbranch_execz .LBB10_174
.LBB10_170:                             ;   Parent Loop BB10_7 Depth=1
                                        ; =>  This Inner Loop Header: Depth=2
	v_cmp_gt_i32_e32 vcc, s8, v2
	s_and_saveexec_b64 s[46:47], vcc
	s_cbranch_execz .LBB10_168
; %bb.171:                              ;   in Loop: Header=BB10_170 Depth=2
	ds_read_u8 v3, v2
	s_waitcnt lgkmcnt(0)
	v_add_u32_sdwa v16, sext(v3), s7 dst_sel:DWORD dst_unused:UNUSED_PAD src0_sel:BYTE_0 src1_sel:DWORD
	v_and_b32_e32 v16, v16, v33
	v_cmp_eq_u32_e32 vcc, v16, v26
	s_and_b64 exec, exec, vcc
	s_cbranch_execz .LBB10_168
; %bb.172:                              ;   in Loop: Header=BB10_170 Depth=2
	v_lshlrev_b16_e32 v3, 8, v3
	v_or_b32_e32 v3, 1, v3
	ds_write_b16 v8, v3 offset:3072
	s_branch .LBB10_168
.LBB10_173:                             ;   in Loop: Header=BB10_170 Depth=2
	v_add_u32_e32 v2, s70, v2
	v_cmp_le_i32_e32 vcc, s9, v2
	s_mov_b64 s[48:49], 0
	s_orn2_b64 s[46:47], vcc, exec
	s_branch .LBB10_169
.LBB10_174:                             ;   in Loop: Header=BB10_7 Depth=1
	s_or_b64 exec, exec, s[36:37]
	s_andn2_b64 s[8:9], s[42:43], exec
	s_and_b64 s[36:37], s[44:45], exec
	v_lshrrev_b32_sdwa v34, v32, v3 dst_sel:DWORD dst_unused:UNUSED_PAD src0_sel:DWORD src1_sel:WORD_0
	s_or_b64 s[42:43], s[8:9], s[36:37]
.LBB10_175:                             ;   in Loop: Header=BB10_7 Depth=1
	s_or_b64 exec, exec, s[34:35]
	s_mov_b64 s[34:35], 0
	s_mov_b64 s[36:37], -1
.LBB10_176:                             ;   in Loop: Header=BB10_7 Depth=1
	s_orn2_b64 s[42:43], s[42:43], exec
.LBB10_177:                             ;   in Loop: Header=BB10_7 Depth=1
	s_or_b64 exec, exec, s[38:39]
	s_mov_b64 s[44:45], 0
	s_and_saveexec_b64 s[38:39], s[42:43]
	s_cbranch_execz .LBB10_227
; %bb.178:                              ;   in Loop: Header=BB10_7 Depth=1
	s_xor_b64 s[8:9], s[40:41], -1
	s_mov_b64 s[48:49], 0
	v_mov_b32_e32 v16, 1
	v_mov_b32_e32 v5, 1
	s_and_saveexec_b64 s[40:41], s[8:9]
	s_cbranch_execz .LBB10_187
; %bb.179:                              ;   in Loop: Header=BB10_7 Depth=1
	v_cmp_ge_i32_e32 vcc, s54, v17
	s_and_saveexec_b64 s[8:9], vcc
	s_xor_b64 s[42:43], exec, s[8:9]
	s_cbranch_execz .LBB10_184
; %bb.180:                              ;   in Loop: Header=BB10_7 Depth=1
	ds_read_b32 v2, v8 offset:4096
	v_and_b32_e32 v3, v26, v9
	v_lshl_or_b32 v26, 2, v31, v3
	v_or_b32_e32 v33, v33, v4
	s_waitcnt lgkmcnt(0)
	v_cmp_ne_u32_e32 vcc, 0, v2
	s_cbranch_vccnz .LBB10_184
; %bb.181:                              ;   in Loop: Header=BB10_7 Depth=1
	s_and_saveexec_b64 s[44:45], s[0:1]
; %bb.182:                              ;   in Loop: Header=BB10_7 Depth=1
	v_mov_b32_e32 v2, s54
	ds_write_b32 v8, v2 offset:4100
; %bb.183:                              ;   in Loop: Header=BB10_7 Depth=1
	s_or_b64 exec, exec, s[44:45]
	s_waitcnt lgkmcnt(0)
	s_barrier
.LBB10_184:                             ;   in Loop: Header=BB10_7 Depth=1
	s_or_saveexec_b64 s[42:43], s[42:43]
	s_mov_b64 s[44:45], 0
	v_mov_b32_e32 v5, 8
	s_xor_b64 exec, exec, s[42:43]
; %bb.185:                              ;   in Loop: Header=BB10_7 Depth=1
	s_mov_b64 s[44:45], exec
	v_subrev_u32_e32 v17, s54, v17
	v_mov_b32_e32 v5, 0
; %bb.186:                              ;   in Loop: Header=BB10_7 Depth=1
	s_or_b64 exec, exec, s[42:43]
	s_and_b64 s[48:49], s[44:45], exec
	v_mov_b32_e32 v16, v17
.LBB10_187:                             ;   in Loop: Header=BB10_7 Depth=1
	s_or_b64 exec, exec, s[40:41]
	s_mov_b64 s[46:47], -1
                                        ; implicit-def: $sgpr44_sgpr45
                                        ; implicit-def: $sgpr42_sgpr43
	s_and_saveexec_b64 s[40:41], s[48:49]
	s_cbranch_execz .LBB10_226
; %bb.188:                              ;   in Loop: Header=BB10_7 Depth=1
	s_cmp_eq_u32 s76, 1
	s_cselect_b64 s[8:9], -1, 0
	v_cmp_eq_u32_e32 vcc, 1, v16
	s_and_b64 s[46:47], s[8:9], vcc
	s_mov_b64 s[50:51], -1
                                        ; implicit-def: $sgpr44_sgpr45
                                        ; implicit-def: $sgpr42_sgpr43
	s_and_saveexec_b64 s[48:49], s[46:47]
	s_cbranch_execz .LBB10_214
; %bb.189:                              ;   in Loop: Header=BB10_7 Depth=1
	ds_read_b32 v2, v8 offset:4096
	s_waitcnt lgkmcnt(0)
	s_barrier
	v_readfirstlane_b32 s8, v2
	s_and_saveexec_b64 s[42:43], s[4:5]
; %bb.190:                              ;   in Loop: Header=BB10_7 Depth=1
	ds_write_b8 v0, v8 offset:3072
; %bb.191:                              ;   in Loop: Header=BB10_7 Depth=1
	s_or_b64 exec, exec, s[42:43]
	v_or_b32_e32 v26, v26, v4
	v_or_b32_e32 v33, v33, v4
	s_mov_b64 s[42:43], -1
	s_mov_b64 s[44:45], 0
	s_cmp_gt_i32 s8, 0
	s_mov_b64 s[50:51], 0
	s_mov_b64 s[52:53], -1
	s_waitcnt lgkmcnt(0)
	s_barrier
                                        ; implicit-def: $vgpr34
	s_cbranch_scc1 .LBB10_202
; %bb.192:                              ;   in Loop: Header=BB10_7 Depth=1
	s_mov_b64 s[52:53], 0
                                        ; implicit-def: $vgpr34
	s_and_saveexec_b64 s[54:55], s[16:17]
	s_cbranch_execz .LBB10_201
; %bb.193:                              ;   in Loop: Header=BB10_7 Depth=1
	v_mov_b32_e32 v2, v6
	v_mov_b32_e32 v9, v0
                                        ; implicit-def: $sgpr56_sgpr57
	s_branch .LBB10_196
.LBB10_194:                             ;   in Loop: Header=BB10_196 Depth=2
	s_or_b64 exec, exec, s[58:59]
	s_waitcnt lgkmcnt(0)
	s_barrier
	ds_read_u16 v3, v8 offset:3072
	s_mov_b64 s[58:59], -1
	s_waitcnt lgkmcnt(0)
	s_barrier
	v_cmp_ne_u32_sdwa s[72:73], v3, v8 src0_sel:BYTE_0 src1_sel:DWORD
	s_and_b64 vcc, exec, s[72:73]
	s_mov_b64 s[72:73], -1
	s_cbranch_vccz .LBB10_199
.LBB10_195:                             ;   in Loop: Header=BB10_196 Depth=2
	s_and_b64 s[58:59], exec, s[58:59]
	s_or_b64 s[50:51], s[58:59], s[50:51]
	s_andn2_b64 s[56:57], s[56:57], exec
	s_and_b64 s[58:59], s[72:73], exec
	s_or_b64 s[56:57], s[56:57], s[58:59]
	s_andn2_b64 exec, exec, s[50:51]
	s_cbranch_execz .LBB10_200
.LBB10_196:                             ;   Parent Loop BB10_7 Depth=1
                                        ; =>  This Inner Loop Header: Depth=2
	v_cmp_gt_i32_e32 vcc, s68, v9
	s_and_saveexec_b64 s[58:59], vcc
	s_cbranch_execz .LBB10_194
; %bb.197:                              ;   in Loop: Header=BB10_196 Depth=2
	v_ashrrev_i32_e32 v3, 31, v2
	v_lshl_add_u64 v[18:19], s[80:81], 0, v[2:3]
	global_load_ubyte v3, v[18:19], off
	s_waitcnt vmcnt(0)
	v_add_u32_sdwa v17, sext(v3), s7 dst_sel:DWORD dst_unused:UNUSED_PAD src0_sel:BYTE_0 src1_sel:DWORD
	v_and_b32_e32 v17, v17, v33
	v_cmp_eq_u32_e32 vcc, v17, v26
	s_and_b64 exec, exec, vcc
	s_cbranch_execz .LBB10_194
; %bb.198:                              ;   in Loop: Header=BB10_196 Depth=2
	v_lshlrev_b16_e32 v3, 8, v3
	v_or_b32_e32 v3, 1, v3
	ds_write_b16 v8, v3 offset:3072
	s_branch .LBB10_194
.LBB10_199:                             ;   in Loop: Header=BB10_196 Depth=2
	v_add_u32_e32 v9, s70, v9
	v_cmp_le_i32_e32 vcc, s97, v9
	v_add_u32_e32 v2, s94, v2
	s_mov_b64 s[72:73], 0
	s_orn2_b64 s[58:59], vcc, exec
	s_branch .LBB10_195
.LBB10_200:                             ;   in Loop: Header=BB10_7 Depth=1
	s_or_b64 exec, exec, s[50:51]
	v_lshrrev_b32_sdwa v34, v32, v3 dst_sel:DWORD dst_unused:UNUSED_PAD src0_sel:DWORD src1_sel:WORD_0
	s_and_b64 s[50:51], s[56:57], exec
.LBB10_201:                             ;   in Loop: Header=BB10_7 Depth=1
	s_or_b64 exec, exec, s[54:55]
.LBB10_202:                             ;   in Loop: Header=BB10_7 Depth=1
	s_and_b64 vcc, exec, s[52:53]
	s_cbranch_vccz .LBB10_213
; %bb.203:                              ;   in Loop: Header=BB10_7 Depth=1
	s_add_i32 s9, s8, s96
	s_abs_i32 s43, s9
	s_mul_hi_u32 s44, s43, s33
	s_mul_i32 s44, s44, s70
	s_sub_i32 s43, s43, s44
	s_ashr_i32 s42, s9, 31
	s_sub_i32 s44, s43, s70
	s_cmp_ge_u32 s43, s70
	s_cselect_b32 s43, s44, s43
	s_sub_i32 s44, s43, s70
	s_cmp_ge_u32 s43, s70
	s_cselect_b32 s43, s44, s43
	s_xor_b32 s43, s43, s42
	s_sub_i32 s42, s42, s43
	s_add_i32 s9, s9, s42
	v_cmp_gt_i32_e32 vcc, s9, v0
                                        ; implicit-def: $vgpr34
	s_and_saveexec_b64 s[42:43], vcc
	s_cbranch_execz .LBB10_212
; %bb.204:                              ;   in Loop: Header=BB10_7 Depth=1
	s_mov_b64 s[44:45], 0
	v_mov_b32_e32 v2, v0
                                        ; implicit-def: $sgpr52_sgpr53
	s_branch .LBB10_207
.LBB10_205:                             ;   in Loop: Header=BB10_207 Depth=2
	s_or_b64 exec, exec, s[54:55]
	s_waitcnt lgkmcnt(0)
	s_barrier
	ds_read_u16 v3, v8 offset:3072
	s_mov_b64 s[54:55], -1
	s_waitcnt lgkmcnt(0)
	s_barrier
	v_cmp_eq_u32_sdwa s[56:57], v3, v8 src0_sel:BYTE_0 src1_sel:DWORD
	s_and_b64 vcc, exec, s[56:57]
	s_mov_b64 s[56:57], -1
	s_cbranch_vccnz .LBB10_210
.LBB10_206:                             ;   in Loop: Header=BB10_207 Depth=2
	s_and_b64 s[54:55], exec, s[54:55]
	s_or_b64 s[44:45], s[54:55], s[44:45]
	s_andn2_b64 s[52:53], s[52:53], exec
	s_and_b64 s[54:55], s[56:57], exec
	s_or_b64 s[52:53], s[52:53], s[54:55]
	s_andn2_b64 exec, exec, s[44:45]
	s_cbranch_execz .LBB10_211
.LBB10_207:                             ;   Parent Loop BB10_7 Depth=1
                                        ; =>  This Inner Loop Header: Depth=2
	v_cmp_gt_i32_e32 vcc, s8, v2
	s_and_saveexec_b64 s[54:55], vcc
	s_cbranch_execz .LBB10_205
; %bb.208:                              ;   in Loop: Header=BB10_207 Depth=2
	ds_read_u8 v3, v2
	s_waitcnt lgkmcnt(0)
	v_add_u32_sdwa v9, sext(v3), s7 dst_sel:DWORD dst_unused:UNUSED_PAD src0_sel:BYTE_0 src1_sel:DWORD
	v_and_b32_e32 v9, v9, v33
	v_cmp_eq_u32_e32 vcc, v9, v26
	s_and_b64 exec, exec, vcc
	s_cbranch_execz .LBB10_205
; %bb.209:                              ;   in Loop: Header=BB10_207 Depth=2
	v_lshlrev_b16_e32 v3, 8, v3
	v_or_b32_e32 v3, 1, v3
	ds_write_b16 v8, v3 offset:3072
	s_branch .LBB10_205
.LBB10_210:                             ;   in Loop: Header=BB10_207 Depth=2
	v_add_u32_e32 v2, s70, v2
	v_cmp_le_i32_e32 vcc, s9, v2
	s_mov_b64 s[56:57], 0
	s_orn2_b64 s[54:55], vcc, exec
	s_branch .LBB10_206
.LBB10_211:                             ;   in Loop: Header=BB10_7 Depth=1
	s_or_b64 exec, exec, s[44:45]
	s_andn2_b64 s[8:9], s[50:51], exec
	s_and_b64 s[44:45], s[52:53], exec
	v_lshrrev_b32_sdwa v34, v32, v3 dst_sel:DWORD dst_unused:UNUSED_PAD src0_sel:DWORD src1_sel:WORD_0
	s_or_b64 s[50:51], s[8:9], s[44:45]
.LBB10_212:                             ;   in Loop: Header=BB10_7 Depth=1
	s_or_b64 exec, exec, s[42:43]
	s_mov_b64 s[42:43], 0
	s_mov_b64 s[44:45], -1
.LBB10_213:                             ;   in Loop: Header=BB10_7 Depth=1
	s_orn2_b64 s[50:51], s[50:51], exec
.LBB10_214:                             ;   in Loop: Header=BB10_7 Depth=1
	s_or_b64 exec, exec, s[48:49]
	s_mov_b64 s[52:53], 0
	s_and_saveexec_b64 s[48:49], s[50:51]
	s_cbranch_execz .LBB10_225
; %bb.215:                              ;   in Loop: Header=BB10_7 Depth=1
	s_xor_b64 s[8:9], s[46:47], -1
	v_mov_b32_e32 v5, 1
	v_mov_b32_e32 v2, 1
	s_and_saveexec_b64 s[46:47], s[8:9]
	s_cbranch_execz .LBB10_224
; %bb.216:                              ;   in Loop: Header=BB10_7 Depth=1
	v_cmp_ge_i32_e32 vcc, s76, v16
	s_and_saveexec_b64 s[8:9], vcc
	s_xor_b64 s[50:51], exec, s[8:9]
	s_cbranch_execz .LBB10_221
; %bb.217:                              ;   in Loop: Header=BB10_7 Depth=1
	ds_read_b32 v2, v8 offset:4096
	v_or_b32_e32 v26, v26, v4
	v_or_b32_e32 v33, v33, v4
	s_waitcnt lgkmcnt(0)
	v_cmp_ne_u32_e32 vcc, 0, v2
	s_cbranch_vccnz .LBB10_221
; %bb.218:                              ;   in Loop: Header=BB10_7 Depth=1
	s_and_saveexec_b64 s[52:53], s[0:1]
; %bb.219:                              ;   in Loop: Header=BB10_7 Depth=1
	v_mov_b32_e32 v2, s76
	ds_write_b32 v8, v2 offset:4100
; %bb.220:                              ;   in Loop: Header=BB10_7 Depth=1
	s_or_b64 exec, exec, s[52:53]
	s_waitcnt lgkmcnt(0)
	s_barrier
.LBB10_221:                             ;   in Loop: Header=BB10_7 Depth=1
	s_andn2_saveexec_b64 s[50:51], s[50:51]
; %bb.222:                              ;   in Loop: Header=BB10_7 Depth=1
	v_subrev_u32_e32 v16, s76, v16
; %bb.223:                              ;   in Loop: Header=BB10_7 Depth=1
	s_or_b64 exec, exec, s[50:51]
	v_mov_b32_e32 v5, 8
	v_mov_b32_e32 v2, v16
.LBB10_224:                             ;   in Loop: Header=BB10_7 Depth=1
	s_or_b64 exec, exec, s[46:47]
	s_mov_b64 s[52:53], exec
	v_mov_b32_e32 v16, v2
.LBB10_225:                             ;   in Loop: Header=BB10_7 Depth=1
	s_or_b64 exec, exec, s[48:49]
	s_orn2_b64 s[46:47], s[52:53], exec
.LBB10_226:                             ;   in Loop: Header=BB10_7 Depth=1
	s_or_b64 exec, exec, s[40:41]
	s_andn2_b64 s[8:9], s[36:37], exec
	s_and_b64 s[36:37], s[44:45], exec
	s_or_b64 s[36:37], s[8:9], s[36:37]
	s_andn2_b64 s[8:9], s[34:35], exec
	s_and_b64 s[34:35], s[42:43], exec
	s_or_b64 s[34:35], s[8:9], s[34:35]
	s_and_b64 s[44:45], s[46:47], exec
	v_mov_b32_e32 v17, v16
.LBB10_227:                             ;   in Loop: Header=BB10_7 Depth=1
	s_or_b64 exec, exec, s[38:39]
	s_orn2_b64 s[38:39], s[44:45], exec
.LBB10_228:                             ;   in Loop: Header=BB10_7 Depth=1
	s_or_b64 exec, exec, s[30:31]
	s_andn2_b64 s[8:9], s[26:27], exec
	s_and_b64 s[26:27], s[36:37], exec
	s_or_b64 s[26:27], s[8:9], s[26:27]
	s_andn2_b64 s[8:9], s[24:25], exec
	s_and_b64 s[24:25], s[34:35], exec
	s_or_b64 s[24:25], s[8:9], s[24:25]
	s_and_b64 s[36:37], s[38:39], exec
	v_mov_b32_e32 v16, v17
.LBB10_229:                             ;   in Loop: Header=BB10_7 Depth=1
	s_or_b64 exec, exec, s[28:29]
	s_orn2_b64 s[28:29], s[36:37], exec
.LBB10_230:                             ;   in Loop: Header=BB10_7 Depth=1
	s_or_b64 exec, exec, s[22:23]
	s_mov_b64 s[30:31], 0
                                        ; implicit-def: $sgpr34
	s_and_saveexec_b64 s[8:9], s[28:29]
	s_xor_b64 s[22:23], exec, s[8:9]
	s_cbranch_execz .LBB10_5
; %bb.231:                              ;   in Loop: Header=BB10_7 Depth=1
	v_and_b32_e32 v2, 7, v5
	v_cmp_eq_u32_e32 vcc, 0, v2
	s_mov_b64 s[20:21], -1
	s_mov_b64 s[28:29], -1
                                        ; implicit-def: $sgpr34
	s_and_saveexec_b64 s[30:31], vcc
	s_cbranch_execz .LBB10_4
; %bb.232:                              ;   in Loop: Header=BB10_7 Depth=1
	v_add_u32_e32 v2, -2, v31
	v_cmp_eq_u32_e32 vcc, 0, v31
	s_xor_b32 s34, s69, 1
	s_xor_b64 s[28:29], exec, -1
	s_orn2_b64 s[20:21], vcc, exec
	v_mov_b32_e32 v31, v2
	s_branch .LBB10_4
.LBB10_233:
	s_or_b64 exec, exec, s[74:75]
	s_xor_b64 s[8:9], s[62:63], -1
	s_xor_b64 s[2:3], s[78:79], -1
	;; [unrolled: 1-line block ×3, first 2 shown]
	s_mov_b64 s[4:5], 0
	s_and_saveexec_b64 s[10:11], s[2:3]
	s_xor_b64 s[2:3], exec, s[10:11]
	s_cbranch_execnz .LBB10_238
; %bb.234:
	s_andn2_saveexec_b64 s[0:1], s[2:3]
	s_cbranch_execnz .LBB10_258
.LBB10_235:
	s_or_b64 exec, exec, s[0:1]
	s_and_saveexec_b64 s[0:1], s[4:5]
.LBB10_236:
	; divergent unreachable
.LBB10_237:
	s_endpgm
.LBB10_238:
	s_and_saveexec_b64 s[4:5], s[8:9]
	s_xor_b64 s[4:5], exec, s[4:5]
	s_cbranch_execz .LBB10_256
; %bb.239:
	s_and_saveexec_b64 s[8:9], s[6:7]
	s_xor_b64 s[6:7], exec, s[8:9]
; %bb.240:
	v_xor_b32_e32 v34, 0xffffff80, v26
; %bb.241:
	s_or_b64 exec, exec, s[6:7]
	s_and_saveexec_b64 s[6:7], s[0:1]
	v_readlane_b32 s22, v50, 20
	v_readlane_b32 s24, v50, 25
	;; [unrolled: 1-line block ×7, first 2 shown]
; %bb.242:
	v_mov_b32_e32 v1, 0
	v_mov_b32_e32 v2, s68
	ds_write_b32 v1, v2 offset:4108
; %bb.243:
	s_or_b64 exec, exec, s[6:7]
	v_mov_b32_e32 v1, 0
	s_waitcnt lgkmcnt(0)
	s_barrier
	ds_read_b32 v1, v1 offset:4108
	s_waitcnt lgkmcnt(0)
	v_min_i32_e32 v2, s68, v1
	v_cmp_lt_i32_e32 vcc, v0, v2
	s_and_saveexec_b64 s[6:7], vcc
	s_cbranch_execz .LBB10_253
; %bb.244:
	s_mov_b64 s[8:9], 0
                                        ; implicit-def: $sgpr10_sgpr11
                                        ; implicit-def: $sgpr14_sgpr15
                                        ; implicit-def: $sgpr12_sgpr13
	s_branch .LBB10_246
.LBB10_245:                             ;   in Loop: Header=BB10_246 Depth=1
	s_or_b64 exec, exec, s[16:17]
	s_and_b64 s[16:17], exec, s[14:15]
	s_or_b64 s[8:9], s[16:17], s[8:9]
	s_andn2_b64 s[10:11], s[10:11], exec
	s_and_b64 s[16:17], s[12:13], exec
	s_or_b64 s[10:11], s[10:11], s[16:17]
	s_andn2_b64 exec, exec, s[8:9]
	s_cbranch_execz .LBB10_248
.LBB10_246:                             ; =>This Inner Loop Header: Depth=1
	v_ashrrev_i32_e32 v7, 31, v6
	v_lshl_add_u64 v[4:5], s[80:81], 0, v[6:7]
	global_load_ubyte v3, v[4:5], off
	v_mov_b32_e32 v1, v0
	s_or_b64 s[12:13], s[12:13], exec
	s_or_b64 s[14:15], s[14:15], exec
                                        ; implicit-def: $vgpr0
	s_waitcnt vmcnt(0)
	v_cmp_ne_u16_sdwa s[18:19], v3, v34 src0_sel:DWORD src1_sel:BYTE_0
	s_and_saveexec_b64 s[16:17], s[18:19]
	s_cbranch_execz .LBB10_245
; %bb.247:                              ;   in Loop: Header=BB10_246 Depth=1
	v_add_u32_e32 v0, s70, v1
	v_cmp_ge_i32_e32 vcc, v0, v2
	s_andn2_b64 s[14:15], s[14:15], exec
	s_and_b64 s[18:19], vcc, exec
	v_add_u32_e32 v6, s94, v6
	s_andn2_b64 s[12:13], s[12:13], exec
	s_or_b64 s[14:15], s[14:15], s[18:19]
	s_branch .LBB10_245
.LBB10_248:
	s_or_b64 exec, exec, s[8:9]
	s_and_saveexec_b64 s[8:9], s[10:11]
	s_xor_b64 s[8:9], exec, s[8:9]
	s_cbranch_execz .LBB10_253
; %bb.249:
	s_mov_b64 s[8:9], exec
	s_brev_b32 s10, -2
.LBB10_250:                             ; =>This Inner Loop Header: Depth=1
	s_ff1_i32_b64 s11, s[8:9]
	v_readlane_b32 s14, v1, s11
	s_lshl_b64 s[12:13], 1, s11
	s_min_i32 s10, s10, s14
	s_andn2_b64 s[8:9], s[8:9], s[12:13]
	s_cmp_lg_u64 s[8:9], 0
	s_cbranch_scc1 .LBB10_250
; %bb.251:
	v_mbcnt_lo_u32_b32 v0, exec_lo, 0
	v_mbcnt_hi_u32_b32 v0, exec_hi, v0
	v_cmp_eq_u32_e32 vcc, 0, v0
	s_and_saveexec_b64 s[8:9], vcc
	s_xor_b64 s[8:9], exec, s[8:9]
; %bb.252:
	v_mov_b32_e32 v0, 0
	v_mov_b32_e32 v1, s10
	ds_min_i32 v0, v1 offset:4108
.LBB10_253:
	s_or_b64 exec, exec, s[6:7]
	s_waitcnt lgkmcnt(0)
	s_barrier
	s_and_saveexec_b64 s[6:7], s[0:1]
	s_cbranch_execz .LBB10_255
; %bb.254:
	v_readlane_b32 s8, v50, 0
	s_mul_i32 s0, s21, s23
	v_readlane_b32 s10, v50, 2
	s_sub_i32 s0, s20, s0
	v_readlane_b32 s9, v50, 1
	v_readlane_b32 s11, v50, 3
	s_mov_b32 s14, s10
	s_mov_b64 s[12:13], s[8:9]
	s_mul_i32 s0, s0, s14
	v_readlane_b32 s1, v50, 19
	v_readlane_b32 s8, v50, 22
	;; [unrolled: 1-line block ×4, first 2 shown]
	s_xor_b32 s1, s1, s8
	s_mul_i32 s8, s14, s11
	v_readlane_b32 s9, v50, 13
	s_sub_i32 s8, s9, s8
	s_add_i32 s9, s14, 1
	s_sub_i32 s10, s8, s11
	s_cmp_ge_u32 s8, s11
	s_cselect_b32 s9, s9, s14
	s_cselect_b32 s8, s10, s8
	s_add_i32 s10, s9, 1
	s_cmp_ge_u32 s8, s11
	s_cselect_b32 s8, s10, s9
	s_xor_b32 s8, s8, s1
	s_sub_i32 s1, s8, s1
	s_mul_i32 s8, s1, s22
	s_sub_i32 s8, s21, s8
	s_mul_i32 s8, s8, s13
	s_add_i32 s0, s8, s0
	s_mul_i32 s1, s1, s12
	v_readlane_b32 s8, v50, 4
	s_add_i32 s1, s0, s1
	s_mul_i32 s0, s26, s25
	v_readlane_b32 s10, v50, 6
	s_sub_i32 s0, s20, s0
	v_readlane_b32 s9, v50, 5
	s_mov_b32 s14, s10
	s_mov_b64 s[12:13], s[8:9]
	s_mul_i32 s0, s0, s14
	v_readlane_b32 s8, v50, 24
	v_readlane_b32 s9, v50, 27
	;; [unrolled: 1-line block ×4, first 2 shown]
	s_xor_b32 s8, s8, s9
	s_mul_i32 s9, s15, s14
	v_readlane_b32 s10, v50, 16
	v_readlane_b32 s11, v50, 7
	s_sub_i32 s9, s10, s9
	s_add_i32 s10, s15, 1
	s_sub_i32 s11, s9, s14
	s_cmp_ge_u32 s9, s14
	s_cselect_b32 s10, s10, s15
	s_cselect_b32 s9, s11, s9
	s_add_i32 s11, s10, 1
	s_cmp_ge_u32 s9, s14
	s_cselect_b32 s9, s11, s10
	s_xor_b32 s9, s9, s8
	s_sub_i32 s8, s9, s8
	s_mul_i32 s9, s8, s24
	s_sub_i32 s9, s26, s9
	s_mul_i32 s9, s9, s13
	s_add_i32 s0, s9, s0
	s_mul_i32 s8, s8, s12
	v_mov_b32_e32 v2, 0
	s_add_i32 s0, s0, s8
	s_ashr_i32 s9, s1, 31
	v_readlane_b32 s10, v50, 11
	ds_read_b32 v0, v2 offset:4108
	v_readlane_b32 s11, v50, 12
	s_add_u32 s8, s10, s1
	s_addc_u32 s9, s11, s9
	s_ashr_i32 s1, s0, 31
	s_lshl_b64 s[0:1], s[0:1], 3
	v_readlane_b32 s10, v50, 8
	v_readlane_b32 s11, v50, 9
	s_add_u32 s0, s10, s0
	s_addc_u32 s1, s11, s1
	s_waitcnt lgkmcnt(0)
	v_ashrrev_i32_e32 v1, 31, v0
	global_store_dwordx2 v2, v[0:1], s[0:1]
	global_store_byte v2, v34, s[8:9]
.LBB10_255:
	s_or_b64 exec, exec, s[6:7]
.LBB10_256:
	s_or_saveexec_b64 s[0:1], s[4:5]
	s_mov_b64 s[4:5], 0
	s_xor_b64 exec, exec, s[0:1]
	s_cbranch_execnz .LBB10_259
.LBB10_257:
	s_or_b64 exec, exec, s[0:1]
	s_and_b64 s[4:5], s[4:5], exec
	s_andn2_saveexec_b64 s[0:1], s[2:3]
	s_cbranch_execz .LBB10_235
.LBB10_258:
	s_or_b64 s[4:5], s[4:5], exec
	s_trap 2
	s_or_b64 exec, exec, s[0:1]
	s_and_saveexec_b64 s[0:1], s[4:5]
	s_cbranch_execnz .LBB10_236
	s_branch .LBB10_237
.LBB10_259:
	s_mov_b64 s[4:5], exec
	s_trap 2
	s_branch .LBB10_257
	.section	.rodata,"a",@progbits
	.p2align	6, 0x0
	.amdhsa_kernel _ZN2at6native12_GLOBAL__N_114gatherKthValueIaiLi3EEEvNS_4cuda6detail10TensorInfoIKT_T0_EES8_S8_S8_S8_NS5_IS6_S8_EENS5_IlS8_EE
		.amdhsa_group_segment_fixed_size 4112
		.amdhsa_private_segment_fixed_size 0
		.amdhsa_kernarg_size 920
		.amdhsa_user_sgpr_count 2
		.amdhsa_user_sgpr_dispatch_ptr 0
		.amdhsa_user_sgpr_queue_ptr 0
		.amdhsa_user_sgpr_kernarg_segment_ptr 1
		.amdhsa_user_sgpr_dispatch_id 0
		.amdhsa_user_sgpr_kernarg_preload_length 0
		.amdhsa_user_sgpr_kernarg_preload_offset 0
		.amdhsa_user_sgpr_private_segment_size 0
		.amdhsa_uses_dynamic_stack 0
		.amdhsa_enable_private_segment 0
		.amdhsa_system_sgpr_workgroup_id_x 1
		.amdhsa_system_sgpr_workgroup_id_y 1
		.amdhsa_system_sgpr_workgroup_id_z 1
		.amdhsa_system_sgpr_workgroup_info 0
		.amdhsa_system_vgpr_workitem_id 0
		.amdhsa_next_free_vgpr 51
		.amdhsa_next_free_sgpr 100
		.amdhsa_accum_offset 52
		.amdhsa_reserve_vcc 1
		.amdhsa_float_round_mode_32 0
		.amdhsa_float_round_mode_16_64 0
		.amdhsa_float_denorm_mode_32 3
		.amdhsa_float_denorm_mode_16_64 3
		.amdhsa_dx10_clamp 1
		.amdhsa_ieee_mode 1
		.amdhsa_fp16_overflow 0
		.amdhsa_tg_split 0
		.amdhsa_exception_fp_ieee_invalid_op 0
		.amdhsa_exception_fp_denorm_src 0
		.amdhsa_exception_fp_ieee_div_zero 0
		.amdhsa_exception_fp_ieee_overflow 0
		.amdhsa_exception_fp_ieee_underflow 0
		.amdhsa_exception_fp_ieee_inexact 0
		.amdhsa_exception_int_div_zero 0
	.end_amdhsa_kernel
	.section	.text._ZN2at6native12_GLOBAL__N_114gatherKthValueIaiLi3EEEvNS_4cuda6detail10TensorInfoIKT_T0_EES8_S8_S8_S8_NS5_IS6_S8_EENS5_IlS8_EE,"axG",@progbits,_ZN2at6native12_GLOBAL__N_114gatherKthValueIaiLi3EEEvNS_4cuda6detail10TensorInfoIKT_T0_EES8_S8_S8_S8_NS5_IS6_S8_EENS5_IlS8_EE,comdat
.Lfunc_end10:
	.size	_ZN2at6native12_GLOBAL__N_114gatherKthValueIaiLi3EEEvNS_4cuda6detail10TensorInfoIKT_T0_EES8_S8_S8_S8_NS5_IS6_S8_EENS5_IlS8_EE, .Lfunc_end10-_ZN2at6native12_GLOBAL__N_114gatherKthValueIaiLi3EEEvNS_4cuda6detail10TensorInfoIKT_T0_EES8_S8_S8_S8_NS5_IS6_S8_EENS5_IlS8_EE
                                        ; -- End function
	.set _ZN2at6native12_GLOBAL__N_114gatherKthValueIaiLi3EEEvNS_4cuda6detail10TensorInfoIKT_T0_EES8_S8_S8_S8_NS5_IS6_S8_EENS5_IlS8_EE.num_vgpr, 51
	.set _ZN2at6native12_GLOBAL__N_114gatherKthValueIaiLi3EEEvNS_4cuda6detail10TensorInfoIKT_T0_EES8_S8_S8_S8_NS5_IS6_S8_EENS5_IlS8_EE.num_agpr, 0
	.set _ZN2at6native12_GLOBAL__N_114gatherKthValueIaiLi3EEEvNS_4cuda6detail10TensorInfoIKT_T0_EES8_S8_S8_S8_NS5_IS6_S8_EENS5_IlS8_EE.numbered_sgpr, 100
	.set _ZN2at6native12_GLOBAL__N_114gatherKthValueIaiLi3EEEvNS_4cuda6detail10TensorInfoIKT_T0_EES8_S8_S8_S8_NS5_IS6_S8_EENS5_IlS8_EE.num_named_barrier, 0
	.set _ZN2at6native12_GLOBAL__N_114gatherKthValueIaiLi3EEEvNS_4cuda6detail10TensorInfoIKT_T0_EES8_S8_S8_S8_NS5_IS6_S8_EENS5_IlS8_EE.private_seg_size, 0
	.set _ZN2at6native12_GLOBAL__N_114gatherKthValueIaiLi3EEEvNS_4cuda6detail10TensorInfoIKT_T0_EES8_S8_S8_S8_NS5_IS6_S8_EENS5_IlS8_EE.uses_vcc, 1
	.set _ZN2at6native12_GLOBAL__N_114gatherKthValueIaiLi3EEEvNS_4cuda6detail10TensorInfoIKT_T0_EES8_S8_S8_S8_NS5_IS6_S8_EENS5_IlS8_EE.uses_flat_scratch, 0
	.set _ZN2at6native12_GLOBAL__N_114gatherKthValueIaiLi3EEEvNS_4cuda6detail10TensorInfoIKT_T0_EES8_S8_S8_S8_NS5_IS6_S8_EENS5_IlS8_EE.has_dyn_sized_stack, 0
	.set _ZN2at6native12_GLOBAL__N_114gatherKthValueIaiLi3EEEvNS_4cuda6detail10TensorInfoIKT_T0_EES8_S8_S8_S8_NS5_IS6_S8_EENS5_IlS8_EE.has_recursion, 0
	.set _ZN2at6native12_GLOBAL__N_114gatherKthValueIaiLi3EEEvNS_4cuda6detail10TensorInfoIKT_T0_EES8_S8_S8_S8_NS5_IS6_S8_EENS5_IlS8_EE.has_indirect_call, 0
	.section	.AMDGPU.csdata,"",@progbits
; Kernel info:
; codeLenInByte = 10084
; TotalNumSgprs: 106
; NumVgprs: 51
; NumAgprs: 0
; TotalNumVgprs: 51
; ScratchSize: 0
; MemoryBound: 0
; FloatMode: 240
; IeeeMode: 1
; LDSByteSize: 4112 bytes/workgroup (compile time only)
; SGPRBlocks: 13
; VGPRBlocks: 6
; NumSGPRsForWavesPerEU: 106
; NumVGPRsForWavesPerEU: 51
; AccumOffset: 52
; Occupancy: 7
; WaveLimiterHint : 1
; COMPUTE_PGM_RSRC2:SCRATCH_EN: 0
; COMPUTE_PGM_RSRC2:USER_SGPR: 2
; COMPUTE_PGM_RSRC2:TRAP_HANDLER: 0
; COMPUTE_PGM_RSRC2:TGID_X_EN: 1
; COMPUTE_PGM_RSRC2:TGID_Y_EN: 1
; COMPUTE_PGM_RSRC2:TGID_Z_EN: 1
; COMPUTE_PGM_RSRC2:TIDIG_COMP_CNT: 0
; COMPUTE_PGM_RSRC3_GFX90A:ACCUM_OFFSET: 12
; COMPUTE_PGM_RSRC3_GFX90A:TG_SPLIT: 0
	.section	.text._ZN2at6native12_GLOBAL__N_114gatherKthValueIaiLin1EEEvNS_4cuda6detail10TensorInfoIKT_T0_EES8_S8_S8_S8_NS5_IS6_S8_EENS5_IlS8_EE,"axG",@progbits,_ZN2at6native12_GLOBAL__N_114gatherKthValueIaiLin1EEEvNS_4cuda6detail10TensorInfoIKT_T0_EES8_S8_S8_S8_NS5_IS6_S8_EENS5_IlS8_EE,comdat
	.globl	_ZN2at6native12_GLOBAL__N_114gatherKthValueIaiLin1EEEvNS_4cuda6detail10TensorInfoIKT_T0_EES8_S8_S8_S8_NS5_IS6_S8_EENS5_IlS8_EE ; -- Begin function _ZN2at6native12_GLOBAL__N_114gatherKthValueIaiLin1EEEvNS_4cuda6detail10TensorInfoIKT_T0_EES8_S8_S8_S8_NS5_IS6_S8_EENS5_IlS8_EE
	.p2align	8
	.type	_ZN2at6native12_GLOBAL__N_114gatherKthValueIaiLin1EEEvNS_4cuda6detail10TensorInfoIKT_T0_EES8_S8_S8_S8_NS5_IS6_S8_EENS5_IlS8_EE,@function
_ZN2at6native12_GLOBAL__N_114gatherKthValueIaiLin1EEEvNS_4cuda6detail10TensorInfoIKT_T0_EES8_S8_S8_S8_NS5_IS6_S8_EENS5_IlS8_EE: ; @_ZN2at6native12_GLOBAL__N_114gatherKthValueIaiLin1EEEvNS_4cuda6detail10TensorInfoIKT_T0_EES8_S8_S8_S8_NS5_IS6_S8_EENS5_IlS8_EE
; %bb.0:
	s_load_dwordx2 s[12:13], s[0:1], 0x298
	s_load_dwordx4 s[60:63], s[0:1], 0xd8
	s_add_u32 s10, s0, 0x298
	s_addc_u32 s11, s1, 0
	s_waitcnt lgkmcnt(0)
	s_mul_i32 s4, s13, s4
	s_add_i32 s3, s4, s3
	s_mul_i32 s3, s3, s12
	s_add_i32 s33, s3, s2
	s_cmp_ge_i32 s33, s62
	s_cbranch_scc1 .LBB11_246
; %bb.1:
	s_load_dword s4, s[0:1], 0xd0
	s_mov_b32 s5, 0
	s_mov_b32 s3, s33
	s_waitcnt lgkmcnt(0)
	s_cmp_lt_i32 s4, 2
	s_cbranch_scc1 .LBB11_4
; %bb.2:
	s_add_i32 s8, s4, 1
	s_add_i32 s4, s4, -1
	s_lshl_b64 s[6:7], s[4:5], 2
	s_add_u32 s3, s0, s6
	s_addc_u32 s4, s1, s7
	s_add_u32 s6, s3, 8
	s_addc_u32 s7, s4, 0
	s_mov_b32 s3, s33
.LBB11_3:                               ; =>This Inner Loop Header: Depth=1
	s_load_dword s4, s[6:7], 0x0
	s_load_dword s13, s[6:7], 0x64
	s_mov_b32 s9, s3
	s_abs_i32 s3, s3
	s_waitcnt lgkmcnt(0)
	s_abs_i32 s15, s4
	v_cvt_f32_u32_e32 v1, s15
	s_sub_i32 s16, 0, s15
	s_xor_b32 s14, s9, s4
	s_ashr_i32 s14, s14, 31
	v_rcp_iflag_f32_e32 v1, v1
	s_nop 0
	v_mul_f32_e32 v1, 0x4f7ffffe, v1
	v_cvt_u32_f32_e32 v1, v1
	s_nop 0
	v_readfirstlane_b32 s17, v1
	s_mul_i32 s16, s16, s17
	s_mul_hi_u32 s16, s17, s16
	s_add_i32 s17, s17, s16
	s_mul_hi_u32 s16, s3, s17
	s_mul_i32 s17, s16, s15
	s_sub_i32 s3, s3, s17
	s_add_i32 s18, s16, 1
	s_sub_i32 s17, s3, s15
	s_cmp_ge_u32 s3, s15
	s_cselect_b32 s16, s18, s16
	s_cselect_b32 s3, s17, s3
	s_add_i32 s17, s16, 1
	s_cmp_ge_u32 s3, s15
	s_cselect_b32 s3, s17, s16
	s_xor_b32 s3, s3, s14
	s_sub_i32 s3, s3, s14
	s_mul_i32 s4, s3, s4
	s_sub_i32 s4, s9, s4
	s_mul_i32 s4, s13, s4
	s_add_i32 s8, s8, -1
	s_add_i32 s5, s4, s5
	s_add_u32 s6, s6, -4
	s_addc_u32 s7, s7, -1
	s_cmp_gt_u32 s8, 2
	s_cbranch_scc1 .LBB11_3
.LBB11_4:
	s_load_dword s8, s[0:1], 0x1b8
	s_add_u32 s6, s0, 0xe8
	s_addc_u32 s7, s1, 0
	s_mov_b32 s65, 0
	s_mov_b32 s62, s33
	s_waitcnt lgkmcnt(0)
	s_cmp_lt_i32 s8, 2
	s_cbranch_scc1 .LBB11_7
; %bb.5:
	s_add_i32 s64, s8, -1
	s_add_i32 s4, s8, 1
	s_lshl_b64 s[8:9], s[64:65], 2
	s_add_u32 s8, s6, s8
	s_addc_u32 s9, s7, s9
	s_add_u32 s8, s8, 8
	s_addc_u32 s9, s9, 0
	s_mov_b32 s62, s33
.LBB11_6:                               ; =>This Inner Loop Header: Depth=1
	s_load_dword s13, s[8:9], 0x0
	s_load_dword s15, s[8:9], 0x64
	s_abs_i32 s16, s62
	s_mov_b32 s14, s62
	s_waitcnt lgkmcnt(0)
	s_abs_i32 s18, s13
	v_cvt_f32_u32_e32 v1, s18
	s_sub_i32 s19, 0, s18
	s_xor_b32 s17, s62, s13
	s_ashr_i32 s17, s17, 31
	v_rcp_iflag_f32_e32 v1, v1
	s_nop 0
	v_mul_f32_e32 v1, 0x4f7ffffe, v1
	v_cvt_u32_f32_e32 v1, v1
	s_nop 0
	v_readfirstlane_b32 s20, v1
	s_mul_i32 s19, s19, s20
	s_mul_hi_u32 s19, s20, s19
	s_add_i32 s20, s20, s19
	s_mul_hi_u32 s19, s16, s20
	s_mul_i32 s20, s19, s18
	s_sub_i32 s16, s16, s20
	s_add_i32 s21, s19, 1
	s_sub_i32 s20, s16, s18
	s_cmp_ge_u32 s16, s18
	s_cselect_b32 s19, s21, s19
	s_cselect_b32 s16, s20, s16
	s_add_i32 s20, s19, 1
	s_cmp_ge_u32 s16, s18
	s_cselect_b32 s16, s20, s19
	s_xor_b32 s16, s16, s17
	s_sub_i32 s62, s16, s17
	s_mul_i32 s13, s62, s13
	s_sub_i32 s13, s14, s13
	s_mul_i32 s13, s15, s13
	s_add_i32 s4, s4, -1
	s_add_i32 s65, s13, s65
	s_add_u32 s8, s8, -4
	s_addc_u32 s9, s9, -1
	s_cmp_gt_u32 s4, 2
	s_cbranch_scc1 .LBB11_6
.LBB11_7:
	s_load_dword s4, s[0:1], 0x6c
	s_load_dword s14, s[0:1], 0x290
	s_add_u32 s8, s0, 0x1c0
	s_addc_u32 s9, s1, 0
	s_mov_b32 s67, 0
	s_waitcnt lgkmcnt(0)
	s_cmp_lt_i32 s14, 2
	s_cbranch_scc1 .LBB11_10
; %bb.8:
	s_add_i32 s66, s14, -1
	s_add_i32 s13, s14, 1
	s_lshl_b64 s[14:15], s[66:67], 2
	s_add_u32 s8, s8, s14
	s_addc_u32 s9, s9, s15
	s_add_u32 s8, s8, 8
	s_addc_u32 s9, s9, 0
.LBB11_9:                               ; =>This Inner Loop Header: Depth=1
	s_load_dword s14, s[8:9], 0x0
	s_load_dword s16, s[8:9], 0x64
	s_abs_i32 s17, s33
	s_mov_b32 s15, s33
	s_waitcnt lgkmcnt(0)
	s_abs_i32 s19, s14
	v_cvt_f32_u32_e32 v1, s19
	s_sub_i32 s20, 0, s19
	s_xor_b32 s18, s33, s14
	s_ashr_i32 s18, s18, 31
	v_rcp_iflag_f32_e32 v1, v1
	s_nop 0
	v_mul_f32_e32 v1, 0x4f7ffffe, v1
	v_cvt_u32_f32_e32 v1, v1
	s_nop 0
	v_readfirstlane_b32 s21, v1
	s_mul_i32 s20, s20, s21
	s_mul_hi_u32 s20, s21, s20
	s_add_i32 s21, s21, s20
	s_mul_hi_u32 s20, s17, s21
	s_mul_i32 s21, s20, s19
	s_sub_i32 s17, s17, s21
	s_add_i32 s22, s20, 1
	s_sub_i32 s21, s17, s19
	s_cmp_ge_u32 s17, s19
	s_cselect_b32 s20, s22, s20
	s_cselect_b32 s17, s21, s17
	s_add_i32 s21, s20, 1
	s_cmp_ge_u32 s17, s19
	s_cselect_b32 s17, s21, s20
	s_xor_b32 s17, s17, s18
	s_sub_i32 s33, s17, s18
	s_mul_i32 s14, s33, s14
	s_sub_i32 s14, s15, s14
	s_mul_i32 s14, s16, s14
	s_add_i32 s13, s13, -1
	s_add_i32 s67, s14, s67
	s_add_u32 s8, s8, -4
	s_addc_u32 s9, s9, -1
	s_cmp_gt_u32 s13, 2
	s_cbranch_scc1 .LBB11_9
.LBB11_10:
	s_load_dword s6, s[6:7], 0x6c
                                        ; implicit-def: $vgpr50 : SGPR spill to VGPR lane
	v_cmp_eq_u32_e64 s[18:19], 0, v0
	s_waitcnt lgkmcnt(0)
	v_writelane_b32 v50, s6, 0
	s_load_dwordx2 s[6:7], s[0:1], 0x0
	s_load_dwordx2 s[8:9], s[0:1], 0xe8
	s_waitcnt lgkmcnt(0)
	v_writelane_b32 v50, s8, 1
	s_nop 1
	v_writelane_b32 v50, s9, 2
	s_load_dwordx2 s[8:9], s[0:1], 0x1c0
	s_waitcnt lgkmcnt(0)
	v_writelane_b32 v50, s8, 3
	s_nop 1
	v_writelane_b32 v50, s9, 4
	s_and_saveexec_b64 s[8:9], s[18:19]
; %bb.11:
	v_mov_b32_e32 v2, 0
	v_mov_b32_e32 v3, s60
	;; [unrolled: 1-line block ×3, first 2 shown]
	ds_write_b96 v2, v[2:4] offset:4096
; %bb.12:
	s_or_b64 exec, exec, s[8:9]
	s_load_dword s0, s[0:1], 0x22c
	s_waitcnt lgkmcnt(0)
	s_barrier
	v_mbcnt_lo_u32_b32 v1, -1, 0
	v_writelane_b32 v50, s0, 5
	s_mul_i32 s0, s4, s3
	s_load_dword s3, s[10:11], 0xc
	s_add_i32 s0, s0, s5
	s_ashr_i32 s1, s0, 31
	s_add_u32 s72, s6, s0
	s_addc_u32 s73, s7, s1
	s_waitcnt lgkmcnt(0)
	s_and_b32 s64, s3, 0xffff
	v_mbcnt_hi_u32_b32 v20, -1, v1
	v_cmp_gt_u32_e32 vcc, 64, v0
	v_cmp_gt_i32_e64 s[4:5], 4, v20
	s_add_i32 s6, s64, -1
	s_lshl_b32 s66, s64, 2
	s_and_b64 s[76:77], vcc, s[4:5]
	s_add_i32 s9, s6, s60
	v_writelane_b32 v50, s6, 6
	s_cmpk_gt_i32 s60, 0xc00
	v_cmp_gt_u32_e64 s[6:7], s60, v0
	s_cselect_b64 s[78:79], -1, 0
	s_cmp_gt_u32 s64, 63
	v_writelane_b32 v50, s6, 7
	s_cselect_b64 s[80:81], -1, 0
	s_cmp_lt_u32 s2, s12
	v_writelane_b32 v50, s7, 8
	v_cmp_gt_i32_e64 s[6:7], s60, v0
	s_cselect_b32 s2, 12, 18
	v_lshlrev_b64 v[2:3], v20, -1
	v_writelane_b32 v50, s6, 9
	v_not_b32_e32 v12, v2
	v_lshrrev_b32_e32 v2, 2, v0
	v_writelane_b32 v50, s7, 10
	s_add_u32 s6, s10, s2
	s_addc_u32 s7, s11, 0
	v_writelane_b32 v50, s6, 11
	v_and_b32_e32 v2, 0xf0, v2
	v_or_b32_e32 v21, 0xc00, v2
	v_writelane_b32 v50, s7, 12
	s_bfe_u32 s6, s3, 0xa0006
	s_add_i32 s2, s6, -2
	s_lshr_b32 s3, s2, 1
	s_add_i32 s3, s3, 1
	s_cmpk_gt_u32 s64, 0x7f
	v_cvt_f32_u32_e32 v2, s66
	s_cselect_b64 s[10:11], -1, 0
	s_and_b32 s7, s6, 0x3fe
	s_and_b32 s8, s3, 7
	v_writelane_b32 v50, s10, 13
	s_cmp_gt_u32 s2, 13
	v_rcp_iflag_f32_e32 v2, v2
	v_writelane_b32 v50, s11, 14
	s_cselect_b64 s[10:11], -1, 0
	v_writelane_b32 v50, s10, 15
	s_and_b32 s2, s3, -8
	s_cmp_lg_u32 s8, 0
	v_writelane_b32 v50, s11, 16
	v_writelane_b32 v50, s2, 17
	;; [unrolled: 1-line block ×3, first 2 shown]
	s_cselect_b64 s[2:3], -1, 0
	v_writelane_b32 v50, s2, 19
	v_mul_f32_e32 v2, 0x4f7ffffe, v2
	v_cvt_u32_f32_e32 v2, v2
	v_writelane_b32 v50, s3, 20
	v_writelane_b32 v50, s6, 21
	s_cmp_lg_u32 s7, s6
	v_writelane_b32 v50, s7, 22
	s_cselect_b64 s[2:3], -1, 0
	v_writelane_b32 v50, s2, 23
	v_not_b32_e32 v1, v3
	v_cvt_f32_u32_e32 v3, s64
	v_writelane_b32 v50, s3, 24
	s_sub_i32 s2, 0, s66
	v_readfirstlane_b32 s3, v2
	s_mul_i32 s2, s2, s3
	s_mul_hi_u32 s2, s3, s2
	s_add_i32 s6, s3, s2
	s_mul_hi_u32 s2, s60, s6
	s_mul_i32 s2, s2, s66
	s_sub_i32 s2, s60, s2
	s_sub_i32 s3, s2, s66
	s_cmp_ge_u32 s2, s66
	s_cselect_b32 s2, s3, s2
	s_sub_i32 s3, s2, s66
	s_cmp_ge_u32 s2, s66
	s_cselect_b32 s2, s3, s2
	s_sub_i32 s7, s60, s2
	v_rcp_iflag_f32_e32 v5, v3
	v_add_u32_e32 v22, s7, v0
	v_mul_lo_u32 v2, v22, s63
	v_ashrrev_i32_e32 v3, 31, v2
	v_lshl_add_u64 v[14:15], s[72:73], 0, v[2:3]
	v_mul_f32_e32 v2, 0x4f7ffffe, v5
	v_cvt_u32_f32_e32 v2, v2
	s_sub_i32 s16, 0, s64
	s_abs_i32 s8, s9
	s_ashr_i32 s3, s9, 31
	v_readfirstlane_b32 s17, v2
	s_mul_i32 s16, s16, s17
	s_mul_hi_u32 s16, s17, s16
	s_add_i32 s16, s17, s16
	v_writelane_b32 v50, s16, 25
	s_mul_hi_u32 s16, s8, s16
	s_mul_i32 s16, s16, s64
	s_sub_i32 s8, s8, s16
	s_sub_i32 s16, s8, s64
	s_cmp_ge_u32 s8, s64
	s_cselect_b32 s8, s16, s8
	s_sub_i32 s16, s8, s64
	s_cmp_ge_u32 s8, s64
	s_cselect_b32 s8, s16, s8
	v_lshlrev_b32_e32 v13, 2, v0
	s_xor_b32 s8, s8, s3
	s_sub_i32 s3, s3, s8
	v_mul_lo_u32 v2, s63, v13
	s_add_i32 s9, s9, s3
	v_add_u32_e32 v23, s63, v2
	v_or_b32_e32 v2, 2, v13
	v_cmp_gt_i32_e64 s[16:17], s9, v0
	v_mul_lo_u32 v24, s63, v2
	v_or_b32_e32 v2, 3, v13
	s_add_i32 s3, s64, s60
	v_mov_b32_e32 v8, 0
	v_writelane_b32 v50, s16, 26
	v_mul_lo_u32 v25, s63, v2
	v_add_u32_e32 v2, s3, v0
	v_mul_lo_u32 v6, s63, v0
	v_mov_b32_e32 v7, v8
	v_lshlrev_b32_e32 v4, 2, v20
	s_mov_b32 s20, 0
	s_mov_b32 s21, 1
	v_writelane_b32 v50, s17, 27
	s_mul_i32 s74, s63, s64
	v_subrev_u32_e32 v2, s2, v2
	v_cmp_eq_u32_e64 s[0:1], 0, v20
	v_cmp_gt_u32_e64 s[4:5], 2, v0
	v_lshl_add_u64 v[10:11], s[72:73], 0, v[6:7]
	v_and_b32_e32 v7, 0x100, v4
	v_cmp_gt_i32_e64 s[10:11], s7, v13
	v_cmp_gt_u32_e64 s[12:13], s60, v22
	v_cmp_gt_i32_e64 s[14:15], s60, v22
	s_lshl_b32 s84, s74, 2
	v_lshlrev_b32_e32 v26, 2, v6
	v_mul_lo_u32 v28, s63, v2
	v_or_b32_e32 v29, 0xc00, v4
	s_mov_b64 s[92:93], 0
	v_mov_b32_e32 v31, 6
	v_mov_b32_e32 v35, s61
	s_movk_i32 s61, 0x80
	v_mov_b32_e32 v36, s60
	v_mov_b32_e32 v30, 0xc00
	;; [unrolled: 1-line block ×4, first 2 shown]
	v_writelane_b32 v50, s20, 28
	s_mov_b32 s85, s20
	v_mov_b32_e32 v27, 0
	v_mov_b32_e32 v33, 0
                                        ; implicit-def: $sgpr94_sgpr95
                                        ; implicit-def: $sgpr98_sgpr99
                                        ; implicit-def: $sgpr96_sgpr97
                                        ; implicit-def: $sgpr70_sgpr71
                                        ; implicit-def: $sgpr86_sgpr87
                                        ; implicit-def: $sgpr68_sgpr69
	v_writelane_b32 v50, s21, 29
	s_branch .LBB11_16
.LBB11_13:                              ;   in Loop: Header=BB11_16 Depth=1
	s_or_b64 exec, exec, s[30:31]
	s_and_b64 s[30:31], s[28:29], exec
	s_andn2_b64 s[26:27], s[26:27], exec
	s_andn2_b64 s[24:25], s[24:25], exec
	s_orn2_b64 s[20:21], s[20:21], exec
.LBB11_14:                              ;   in Loop: Header=BB11_16 Depth=1
	s_or_b64 exec, exec, s[22:23]
	s_andn2_b64 s[16:17], s[68:69], exec
	s_and_b64 s[22:23], s[30:31], exec
	s_or_b64 s[68:69], s[16:17], s[22:23]
	s_andn2_b64 s[16:17], s[86:87], exec
	s_and_b64 s[22:23], s[26:27], exec
	s_or_b64 s[86:87], s[16:17], s[22:23]
	s_andn2_b64 s[16:17], s[70:71], exec
	s_and_b64 s[22:23], s[24:25], exec
	s_or_b64 s[70:71], s[16:17], s[22:23]
	s_orn2_b64 s[20:21], s[20:21], exec
.LBB11_15:                              ;   in Loop: Header=BB11_16 Depth=1
	s_or_b64 exec, exec, s[2:3]
	s_and_b64 s[2:3], exec, s[20:21]
	s_or_b64 s[92:93], s[2:3], s[92:93]
	s_andn2_b64 s[2:3], s[96:97], exec
	s_and_b64 s[16:17], s[68:69], exec
	s_or_b64 s[96:97], s[2:3], s[16:17]
	s_andn2_b64 s[2:3], s[98:99], exec
	s_and_b64 s[16:17], s[86:87], exec
	;; [unrolled: 3-line block ×3, first 2 shown]
	s_or_b64 s[94:95], s[2:3], s[16:17]
	s_mov_b32 s85, s8
	v_mov_b32_e32 v35, v16
	s_andn2_b64 exec, exec, s[92:93]
	s_cbranch_execz .LBB11_242
.LBB11_16:                              ; =>This Loop Header: Depth=1
                                        ;     Child Loop BB11_21 Depth 2
                                        ;     Child Loop BB11_36 Depth 2
	;; [unrolled: 1-line block ×17, first 2 shown]
	ds_read_b64 v[2:3], v8 offset:4096
	s_waitcnt lgkmcnt(0)
	v_readfirstlane_b32 s82, v2
	s_cmp_gt_i32 s82, 0
	s_cbranch_scc1 .LBB11_43
; %bb.17:                               ;   in Loop: Header=BB11_16 Depth=1
	s_and_b64 vcc, exec, s[78:79]
	s_cbranch_vccz .LBB11_29
; %bb.18:                               ;   in Loop: Header=BB11_16 Depth=1
	s_movk_i32 s2, 0xc01
	v_cmp_gt_i32_e32 vcc, s2, v3
	s_mov_b64 s[20:21], 0
	s_mov_b64 s[2:3], 0
	s_cbranch_vccz .LBB11_30
; %bb.19:                               ;   in Loop: Header=BB11_16 Depth=1
	v_readlane_b32 s2, v50, 11
	v_readlane_b32 s3, v50, 12
	s_nop 4
	global_load_ushort v2, v8, s[2:3]
	global_load_ubyte v5, v[10:11], off
	s_mov_b64 s[22:23], 0
	v_mov_b32_e32 v9, v0
	s_waitcnt vmcnt(1)
	v_add_u32_e32 v4, v0, v2
	v_mul_lo_u32 v3, s63, v2
	v_mul_lo_u32 v4, s63, v4
	s_branch .LBB11_21
.LBB11_20:                              ;   in Loop: Header=BB11_21 Depth=2
	s_or_b64 exec, exec, s[2:3]
	v_cmp_le_i32_e32 vcc, s60, v9
	v_add_u32_e32 v4, v4, v3
	s_or_b64 s[22:23], vcc, s[22:23]
	v_mov_b32_e32 v5, v16
	s_andn2_b64 exec, exec, s[22:23]
	s_cbranch_execz .LBB11_75
.LBB11_21:                              ;   Parent Loop BB11_16 Depth=1
                                        ; =>  This Inner Loop Header: Depth=2
	v_add_u32_e32 v9, v9, v2
	v_cmp_gt_u32_e32 vcc, s60, v9
	s_waitcnt lgkmcnt(0)
	v_mov_b32_e32 v17, 0
	v_mov_b32_e32 v16, 0
	s_and_saveexec_b64 s[2:3], vcc
	s_cbranch_execz .LBB11_23
; %bb.22:                               ;   in Loop: Header=BB11_21 Depth=2
	global_load_ubyte v16, v4, s[72:73]
.LBB11_23:                              ;   in Loop: Header=BB11_21 Depth=2
	s_or_b64 exec, exec, s[2:3]
	s_waitcnt vmcnt(0)
	v_add_u32_sdwa v18, sext(v5), s61 dst_sel:DWORD dst_unused:UNUSED_PAD src0_sel:BYTE_0 src1_sel:DWORD
	v_and_b32_e32 v18, v18, v33
	v_cmp_eq_u32_e32 vcc, v18, v27
	s_cmp_lg_u64 vcc, 0
	s_cselect_b64 s[2:3], -1, 0
	s_and_b64 s[2:3], s[0:1], s[2:3]
	s_and_saveexec_b64 s[24:25], s[2:3]
	s_cbranch_execz .LBB11_27
; %bb.24:                               ;   in Loop: Header=BB11_21 Depth=2
	s_mov_b64 s[28:29], exec
	v_mbcnt_lo_u32_b32 v17, s28, 0
	v_mbcnt_hi_u32_b32 v17, s29, v17
	s_bcnt1_i32_b64 s8, vcc
	v_cmp_eq_u32_e64 s[2:3], 0, v17
                                        ; implicit-def: $vgpr18
	s_and_saveexec_b64 s[26:27], s[2:3]
; %bb.25:                               ;   in Loop: Header=BB11_21 Depth=2
	s_bcnt1_i32_b64 s2, s[28:29]
	s_mul_i32 s2, s8, s2
	v_mov_b32_e32 v18, s2
	ds_add_rtn_u32 v18, v8, v18 offset:4104
; %bb.26:                               ;   in Loop: Header=BB11_21 Depth=2
	s_or_b64 exec, exec, s[26:27]
	s_waitcnt lgkmcnt(0)
	v_readfirstlane_b32 s2, v18
	s_nop 1
	v_mov_b32_e32 v18, s2
	v_mad_u32_u24 v17, s8, v17, v18
.LBB11_27:                              ;   in Loop: Header=BB11_21 Depth=2
	s_or_b64 exec, exec, s[24:25]
	ds_bpermute_b32 v17, v7, v17
	s_and_saveexec_b64 s[2:3], vcc
	s_cbranch_execz .LBB11_20
; %bb.28:                               ;   in Loop: Header=BB11_21 Depth=2
	v_and_b32_e32 v19, vcc_lo, v12
	v_and_b32_e32 v18, vcc_hi, v1
	v_bcnt_u32_b32 v19, v19, 0
	v_bcnt_u32_b32 v18, v18, v19
	s_waitcnt lgkmcnt(0)
	v_add_u32_e32 v17, v17, v18
	ds_write_b8 v17, v5
	s_branch .LBB11_20
.LBB11_29:                              ;   in Loop: Header=BB11_16 Depth=1
	s_mov_b64 s[20:21], -1
	s_mov_b64 s[2:3], 0
.LBB11_30:                              ;   in Loop: Header=BB11_16 Depth=1
	s_and_b64 vcc, exec, s[20:21]
	s_cbranch_vccz .LBB11_41
.LBB11_31:                              ;   in Loop: Header=BB11_16 Depth=1
	v_mov_b32_e32 v2, 0
	s_mov_b64 s[2:3], exec
	v_readlane_b32 s16, v50, 7
	v_readlane_b32 s17, v50, 8
	s_and_b64 s[16:17], s[2:3], s[16:17]
	s_mov_b64 exec, s[16:17]
	s_cbranch_execz .LBB11_33
; %bb.32:                               ;   in Loop: Header=BB11_16 Depth=1
	global_load_ubyte v2, v[10:11], off
.LBB11_33:                              ;   in Loop: Header=BB11_16 Depth=1
	s_or_b64 exec, exec, s[2:3]
	s_mov_b64 s[2:3], exec
	v_readlane_b32 s16, v50, 9
	v_readlane_b32 s17, v50, 10
	s_and_b64 s[16:17], s[2:3], s[16:17]
	s_mov_b64 exec, s[16:17]
	s_cbranch_execz .LBB11_38
; %bb.34:                               ;   in Loop: Header=BB11_16 Depth=1
	v_readlane_b32 s16, v50, 11
	v_readlane_b32 s17, v50, 12
	s_mov_b64 s[20:21], 0
	v_mov_b32_e32 v9, v0
	s_nop 2
	global_load_ushort v3, v8, s[16:17]
	s_waitcnt vmcnt(0)
	v_add_u32_e32 v5, v0, v3
	v_mul_lo_u32 v4, s63, v3
	v_mul_lo_u32 v5, s63, v5
	s_branch .LBB11_36
.LBB11_35:                              ;   in Loop: Header=BB11_36 Depth=2
	s_or_b64 exec, exec, s[22:23]
	v_cmp_le_i32_e32 vcc, s60, v16
	ds_write_b8 v9, v2
	v_add_u32_e32 v5, v5, v4
	s_or_b64 s[20:21], vcc, s[20:21]
	s_waitcnt vmcnt(0)
	v_mov_b32_e32 v2, v17
	v_mov_b32_e32 v9, v16
	s_andn2_b64 exec, exec, s[20:21]
	s_cbranch_execz .LBB11_38
.LBB11_36:                              ;   Parent Loop BB11_16 Depth=1
                                        ; =>  This Inner Loop Header: Depth=2
	v_add_u32_e32 v16, v9, v3
	v_cmp_gt_u32_e32 vcc, s60, v16
	v_mov_b32_e32 v17, 0
	s_and_saveexec_b64 s[22:23], vcc
	s_cbranch_execz .LBB11_35
; %bb.37:                               ;   in Loop: Header=BB11_36 Depth=2
	global_load_ubyte v17, v5, s[72:73]
	s_branch .LBB11_35
.LBB11_38:                              ;   in Loop: Header=BB11_16 Depth=1
	s_or_b64 exec, exec, s[2:3]
	s_waitcnt lgkmcnt(0)
	s_barrier
	s_and_saveexec_b64 s[2:3], s[18:19]
; %bb.39:                               ;   in Loop: Header=BB11_16 Depth=1
	ds_write_b32 v8, v36 offset:4096
; %bb.40:                               ;   in Loop: Header=BB11_16 Depth=1
	s_or_b64 exec, exec, s[2:3]
	s_mov_b64 s[2:3], -1
	s_waitcnt lgkmcnt(0)
	s_barrier
.LBB11_41:                              ;   in Loop: Header=BB11_16 Depth=1
	s_and_b64 vcc, exec, s[2:3]
	s_cbranch_vccz .LBB11_43
; %bb.42:                               ;   in Loop: Header=BB11_16 Depth=1
	s_waitcnt vmcnt(0)
	ds_read_b32 v2, v8 offset:4096
	s_waitcnt lgkmcnt(0)
	v_readfirstlane_b32 s82, v2
.LBB11_43:                              ;   in Loop: Header=BB11_16 Depth=1
	s_cmp_lt_i32 s82, 1
	s_mov_b64 s[2:3], -1
                                        ; implicit-def: $vgpr5
	s_cbranch_scc1 .LBB11_53
; %bb.44:                               ;   in Loop: Header=BB11_16 Depth=1
	s_and_b64 vcc, exec, s[2:3]
	s_cbranch_vccnz .LBB11_66
.LBB11_45:                              ;   in Loop: Header=BB11_16 Depth=1
	s_lshl_b32 s8, s85, 6
	s_and_saveexec_b64 s[2:3], s[0:1]
	s_cbranch_execz .LBB11_47
.LBB11_46:                              ;   in Loop: Header=BB11_16 Depth=1
	v_lshl_add_u32 v9, s8, 2, v21
	s_waitcnt vmcnt(0)
	ds_write_b128 v9, v[2:5]
.LBB11_47:                              ;   in Loop: Header=BB11_16 Depth=1
	s_or_b64 exec, exec, s[2:3]
	s_waitcnt lgkmcnt(0)
	s_barrier
	s_and_saveexec_b64 s[2:3], s[76:77]
	s_cbranch_execz .LBB11_86
; %bb.48:                               ;   in Loop: Header=BB11_16 Depth=1
	v_add_u32_e32 v4, s8, v20
	s_andn2_b64 vcc, exec, s[80:81]
	s_waitcnt vmcnt(0)
	v_mov_b32_e32 v2, 0
	s_cbranch_vccnz .LBB11_85
; %bb.49:                               ;   in Loop: Header=BB11_16 Depth=1
	v_readlane_b32 s16, v50, 13
	v_readlane_b32 s17, v50, 14
	s_andn2_b64 vcc, exec, s[16:17]
	s_cbranch_vccnz .LBB11_78
; %bb.50:                               ;   in Loop: Header=BB11_16 Depth=1
	v_readlane_b32 s16, v50, 15
	v_readlane_b32 s17, v50, 16
	s_andn2_b64 vcc, exec, s[16:17]
	v_lshl_add_u32 v5, v4, 2, v30
	s_cbranch_vccnz .LBB11_79
; %bb.51:                               ;   in Loop: Header=BB11_16 Depth=1
	s_mov_b32 s21, 1
	s_mov_b32 s20, 0
	v_mov_b32_e32 v2, 0
	v_mov_b32_e32 v3, 0
	v_readlane_b32 s16, v50, 17
.LBB11_52:                              ;   Parent Loop BB11_16 Depth=1
                                        ; =>  This Inner Loop Header: Depth=2
	v_lshl_add_u32 v9, s20, 4, v5
	v_lshl_add_u32 v37, s21, 4, v5
	ds_read2_b32 v[16:17], v9 offset1:8
	ds_read2_b32 v[18:19], v37 offset1:8
	ds_read2_b32 v[38:39], v9 offset0:16 offset1:24
	ds_read2_b32 v[40:41], v37 offset0:16 offset1:24
	;; [unrolled: 1-line block ×6, first 2 shown]
	s_waitcnt lgkmcnt(7)
	v_add3_u32 v2, v16, v2, v17
	s_waitcnt lgkmcnt(6)
	v_add3_u32 v3, v18, v3, v19
	s_waitcnt lgkmcnt(4)
	v_add3_u32 v3, v40, v3, v41
	v_add3_u32 v2, v38, v2, v39
	s_add_i32 s21, s21, 16
	s_add_i32 s20, s20, 16
	s_add_i32 s16, s16, -8
	s_waitcnt lgkmcnt(3)
	v_add3_u32 v2, v42, v2, v43
	s_waitcnt lgkmcnt(2)
	v_add3_u32 v3, v44, v3, v45
	s_cmp_lg_u32 s16, 0
	s_waitcnt lgkmcnt(0)
	v_add3_u32 v3, v48, v3, v49
	v_add3_u32 v2, v46, v2, v47
	s_cbranch_scc1 .LBB11_52
	s_branch .LBB11_80
.LBB11_53:                              ;   in Loop: Header=BB11_16 Depth=1
	s_waitcnt vmcnt(0)
	v_mov_b32_e32 v2, 0
	v_mov_b32_e32 v3, 0
	;; [unrolled: 1-line block ×4, first 2 shown]
	s_and_saveexec_b64 s[88:89], s[10:11]
	s_cbranch_execnz .LBB11_56
; %bb.54:                               ;   in Loop: Header=BB11_16 Depth=1
	s_or_b64 exec, exec, s[88:89]
	v_mov_b32_e32 v18, 0
	s_and_saveexec_b64 s[2:3], s[12:13]
	s_cbranch_execnz .LBB11_59
.LBB11_55:                              ;   in Loop: Header=BB11_16 Depth=1
	s_or_b64 exec, exec, s[2:3]
	s_and_saveexec_b64 s[20:21], s[14:15]
	s_cbranch_execnz .LBB11_60
	s_branch .LBB11_65
.LBB11_56:                              ;   in Loop: Header=BB11_16 Depth=1
	s_mov_b32 s83, 0
	s_mov_b64 s[90:91], 0
	s_mov_b32 s16, 0
	s_mov_b32 s17, 0
	;; [unrolled: 1-line block ×4, first 2 shown]
	v_mov_b32_e32 v9, v13
.LBB11_57:                              ;   Parent Loop BB11_16 Depth=1
                                        ; =>  This Inner Loop Header: Depth=2
	v_add_u32_e32 v2, s83, v26
	v_add_u32_e32 v4, s83, v23
	;; [unrolled: 1-line block ×4, first 2 shown]
	v_ashrrev_i32_e32 v3, 31, v2
	v_ashrrev_i32_e32 v5, 31, v4
	;; [unrolled: 1-line block ×4, first 2 shown]
	v_lshl_add_u64 v[2:3], s[72:73], 0, v[2:3]
	v_lshl_add_u64 v[4:5], s[72:73], 0, v[4:5]
	;; [unrolled: 1-line block ×4, first 2 shown]
	global_load_sbyte v2, v[2:3], off
	s_nop 0
	global_load_sbyte v3, v[4:5], off
	s_nop 0
	global_load_sbyte v4, v[16:17], off
	global_load_sbyte v5, v[18:19], off
	v_add_u32_e32 v9, s66, v9
	s_add_i32 s83, s83, s84
	v_cmp_le_i32_e32 vcc, s7, v9
	s_waitcnt vmcnt(3)
	v_add_u32_e32 v2, 0x80, v2
	s_waitcnt vmcnt(2)
	v_add_u32_e32 v3, 0x80, v3
	v_and_b32_e32 v16, v2, v33
	v_bfe_u32 v2, v2, v31, 2
	s_waitcnt vmcnt(1)
	v_add_u32_e32 v4, 0x80, v4
	v_and_b32_e32 v17, v3, v33
	v_bfe_u32 v3, v3, v31, 2
	v_cmp_eq_u32_e64 s[2:3], v16, v27
	v_cmp_eq_u32_e64 s[26:27], 0, v2
	s_waitcnt vmcnt(0)
	v_add_u32_e32 v5, 0x80, v5
	v_and_b32_e32 v18, v4, v33
	v_bfe_u32 v4, v4, v31, 2
	v_cmp_eq_u32_e64 s[20:21], v17, v27
	v_cmp_eq_u32_e64 s[28:29], 0, v3
	s_and_b64 s[26:27], s[2:3], s[26:27]
	v_and_b32_e32 v19, v5, v33
	v_bfe_u32 v5, v5, v31, 2
	v_cmp_eq_u32_e64 s[22:23], v18, v27
	v_cmp_eq_u32_e64 s[30:31], 0, v4
	;; [unrolled: 1-line block ×5, first 2 shown]
	v_cndmask_b32_e64 v2, 0, 1, s[26:27]
	s_and_b64 s[26:27], s[20:21], s[28:29]
	v_cmp_eq_u32_e64 s[24:25], v19, v27
	v_cmp_eq_u32_e64 s[34:35], 0, v5
	;; [unrolled: 1-line block ×5, first 2 shown]
	v_cndmask_b32_e64 v3, 0, 1, s[26:27]
	s_and_b64 s[26:27], s[22:23], s[30:31]
	v_cmp_eq_u32_e64 s[40:41], 1, v4
	v_cmp_eq_u32_e64 s[48:49], 2, v4
	;; [unrolled: 1-line block ×3, first 2 shown]
	v_cndmask_b32_e64 v4, 0, 1, s[26:27]
	s_and_b64 s[26:27], s[24:25], s[34:35]
	v_cmp_eq_u32_e64 s[42:43], 1, v5
	v_cmp_eq_u32_e64 s[50:51], 2, v5
	;; [unrolled: 1-line block ×3, first 2 shown]
	v_cndmask_b32_e64 v5, 0, 1, s[26:27]
	s_and_b64 s[26:27], s[2:3], s[36:37]
	v_cndmask_b32_e64 v16, 0, 1, s[26:27]
	s_and_b64 s[26:27], s[20:21], s[38:39]
	;; [unrolled: 2-line block ×5, first 2 shown]
	s_and_b64 s[2:3], s[2:3], s[52:53]
	v_cndmask_b32_e64 v37, 0, 1, s[26:27]
	s_and_b64 s[26:27], s[20:21], s[46:47]
	v_cndmask_b32_e64 v41, 0, 1, s[2:3]
	;; [unrolled: 2-line block ×7, first 2 shown]
	v_cndmask_b32_e64 v44, 0, 1, s[2:3]
	v_cmp_ne_u32_e64 s[2:3], 0, v2
	v_cmp_ne_u32_e64 s[20:21], 0, v3
	v_cmp_ne_u32_e64 s[22:23], 0, v4
	v_cmp_ne_u32_e64 s[24:25], 0, v5
	v_cmp_ne_u32_e64 s[26:27], 0, v16
	v_cmp_ne_u32_e64 s[30:31], 0, v18
	v_cmp_ne_u32_e64 s[36:37], 0, v37
	v_cmp_ne_u32_e64 s[44:45], 0, v41
	v_cmp_ne_u32_e64 s[28:29], 0, v17
	v_cmp_ne_u32_e64 s[38:39], 0, v38
	v_cmp_ne_u32_e64 s[46:47], 0, v42
	s_bcnt1_i32_b64 s2, s[2:3]
	s_bcnt1_i32_b64 s3, s[20:21]
	;; [unrolled: 1-line block ×8, first 2 shown]
	v_cmp_ne_u32_e64 s[34:35], 0, v19
	v_cmp_ne_u32_e64 s[40:41], 0, v39
	;; [unrolled: 1-line block ×3, first 2 shown]
	s_bcnt1_i32_b64 s23, s[28:29]
	s_bcnt1_i32_b64 s27, s[38:39]
	;; [unrolled: 1-line block ×3, first 2 shown]
	s_add_i32 s2, s8, s2
	s_add_i32 s8, s75, s22
	;; [unrolled: 1-line block ×4, first 2 shown]
	v_cmp_ne_u32_e64 s[42:43], 0, v40
	v_cmp_ne_u32_e64 s[50:51], 0, v44
	s_bcnt1_i32_b64 s25, s[34:35]
	s_bcnt1_i32_b64 s28, s[40:41]
	;; [unrolled: 1-line block ×3, first 2 shown]
	s_add_i32 s2, s2, s3
	s_add_i32 s3, s8, s23
	;; [unrolled: 1-line block ×4, first 2 shown]
	s_bcnt1_i32_b64 s29, s[42:43]
	s_bcnt1_i32_b64 s35, s[50:51]
	s_add_i32 s2, s2, s20
	s_add_i32 s3, s3, s24
	;; [unrolled: 1-line block ×8, first 2 shown]
	s_or_b64 s[90:91], vcc, s[90:91]
	v_mov_b32_e32 v2, s8
	v_mov_b32_e32 v3, s75
	;; [unrolled: 1-line block ×4, first 2 shown]
	s_andn2_b64 exec, exec, s[90:91]
	s_cbranch_execnz .LBB11_57
; %bb.58:                               ;   in Loop: Header=BB11_16 Depth=1
	s_or_b64 exec, exec, s[90:91]
	s_or_b64 exec, exec, s[88:89]
	v_mov_b32_e32 v18, 0
	s_and_saveexec_b64 s[2:3], s[12:13]
	s_cbranch_execz .LBB11_55
.LBB11_59:                              ;   in Loop: Header=BB11_16 Depth=1
	global_load_ubyte v18, v[14:15], off
	s_or_b64 exec, exec, s[2:3]
	s_and_saveexec_b64 s[20:21], s[14:15]
	s_cbranch_execz .LBB11_65
.LBB11_60:                              ;   in Loop: Header=BB11_16 Depth=1
	s_mov_b64 s[22:23], 0
	v_mov_b32_e32 v16, v28
	v_mov_b32_e32 v9, v22
	s_branch .LBB11_62
.LBB11_61:                              ;   in Loop: Header=BB11_62 Depth=2
	s_or_b64 exec, exec, s[2:3]
	s_waitcnt vmcnt(0)
	v_add_u32_sdwa v18, sext(v18), s61 dst_sel:DWORD dst_unused:UNUSED_PAD src0_sel:BYTE_0 src1_sel:DWORD
	v_and_b32_e32 v19, v18, v33
	v_bfe_u32 v18, v18, v31, 2
	v_cmp_eq_u32_e32 vcc, v19, v27
	v_cmp_eq_u32_e64 s[2:3], 0, v18
	s_and_b64 s[2:3], vcc, s[2:3]
	v_add_u32_e32 v16, s74, v16
	v_cndmask_b32_e64 v19, 0, 1, s[2:3]
	v_cmp_ne_u32_e64 s[2:3], 0, v19
	s_bcnt1_i32_b64 s2, s[2:3]
	s_nop 0
	v_add_u32_e32 v2, s2, v2
	v_cmp_eq_u32_e64 s[2:3], 1, v18
	s_and_b64 s[2:3], vcc, s[2:3]
	s_nop 0
	v_cndmask_b32_e64 v19, 0, 1, s[2:3]
	v_cmp_ne_u32_e64 s[2:3], 0, v19
	s_bcnt1_i32_b64 s2, s[2:3]
	s_nop 0
	v_add_u32_e32 v3, s2, v3
	v_cmp_eq_u32_e64 s[2:3], 2, v18
	s_and_b64 s[2:3], vcc, s[2:3]
	s_nop 0
	v_cndmask_b32_e64 v19, 0, 1, s[2:3]
	v_cmp_ne_u32_e64 s[2:3], 0, v19
	s_bcnt1_i32_b64 s2, s[2:3]
	s_nop 0
	v_add_u32_e32 v4, s2, v4
	v_cmp_eq_u32_e64 s[2:3], 3, v18
	s_and_b64 s[2:3], vcc, s[2:3]
	s_nop 0
	v_cndmask_b32_e64 v18, 0, 1, s[2:3]
	v_cmp_ne_u32_e32 vcc, 0, v18
	s_bcnt1_i32_b64 s2, vcc
	v_cmp_le_i32_e32 vcc, s60, v9
	v_add_u32_e32 v5, s2, v5
	s_or_b64 s[22:23], vcc, s[22:23]
	v_mov_b32_e32 v18, v17
	s_andn2_b64 exec, exec, s[22:23]
	s_cbranch_execz .LBB11_64
.LBB11_62:                              ;   Parent Loop BB11_16 Depth=1
                                        ; =>  This Inner Loop Header: Depth=2
	v_add_u32_e32 v9, s64, v9
	v_cmp_gt_u32_e32 vcc, s60, v9
	v_mov_b32_e32 v17, 0
	s_and_saveexec_b64 s[2:3], vcc
	s_cbranch_execz .LBB11_61
; %bb.63:                               ;   in Loop: Header=BB11_62 Depth=2
	v_ashrrev_i32_e32 v17, 31, v16
	v_lshl_add_u64 v[38:39], s[72:73], 0, v[16:17]
	global_load_ubyte v17, v[38:39], off
	s_branch .LBB11_61
.LBB11_64:                              ;   in Loop: Header=BB11_16 Depth=1
	s_or_b64 exec, exec, s[22:23]
.LBB11_65:                              ;   in Loop: Header=BB11_16 Depth=1
	s_or_b64 exec, exec, s[20:21]
	s_branch .LBB11_45
.LBB11_66:                              ;   in Loop: Header=BB11_16 Depth=1
	s_mul_hi_u32 s2, s82, s6
	s_mul_i32 s2, s2, s66
	s_sub_i32 s2, s82, s2
	s_sub_i32 s3, s2, s66
	s_cmp_ge_u32 s2, s66
	s_cselect_b32 s2, s3, s2
	s_sub_i32 s3, s2, s66
	s_cmp_ge_u32 s2, s66
	s_cselect_b32 s2, s3, s2
	s_sub_i32 s83, s82, s2
	v_cmp_gt_u32_e32 vcc, s83, v13
	s_waitcnt vmcnt(0)
	v_mov_b32_e32 v2, 0
	v_mov_b32_e32 v3, 0
	;; [unrolled: 1-line block ×4, first 2 shown]
	s_and_saveexec_b64 s[88:89], vcc
	s_cbranch_execz .LBB11_70
; %bb.67:                               ;   in Loop: Header=BB11_16 Depth=1
	s_mov_b32 s8, 0
	s_mov_b64 s[90:91], 0
	s_mov_b32 s16, 0
	s_mov_b32 s17, 0
	;; [unrolled: 1-line block ×3, first 2 shown]
	v_mov_b32_e32 v9, v13
.LBB11_68:                              ;   Parent Loop BB11_16 Depth=1
                                        ; =>  This Inner Loop Header: Depth=2
	ds_read_b32 v2, v9
	v_add_u32_e32 v9, s66, v9
	v_cmp_le_i32_e32 vcc, s83, v9
	s_waitcnt lgkmcnt(0)
	v_add_u32_sdwa v3, sext(v2), s61 dst_sel:DWORD dst_unused:UNUSED_PAD src0_sel:BYTE_0 src1_sel:DWORD
	v_add_u32_sdwa v4, sext(v2), s61 dst_sel:DWORD dst_unused:UNUSED_PAD src0_sel:BYTE_1 src1_sel:DWORD
	v_and_b32_e32 v16, v3, v33
	v_bfe_u32 v3, v3, v31, 2
	v_add_u32_sdwa v5, sext(v2), s61 dst_sel:DWORD dst_unused:UNUSED_PAD src0_sel:BYTE_2 src1_sel:DWORD
	v_add_u32_sdwa v2, sext(v2), s61 dst_sel:DWORD dst_unused:UNUSED_PAD src0_sel:BYTE_3 src1_sel:DWORD
	v_and_b32_e32 v17, v4, v33
	v_bfe_u32 v4, v4, v31, 2
	v_cmp_eq_u32_e64 s[2:3], v16, v27
	v_cmp_eq_u32_e64 s[26:27], 0, v3
	v_and_b32_e32 v18, v5, v33
	v_and_b32_e32 v19, v2, v33
	v_bfe_u32 v5, v5, v31, 2
	v_bfe_u32 v2, v2, v31, 2
	v_cmp_eq_u32_e64 s[20:21], v17, v27
	v_cmp_eq_u32_e64 s[28:29], 0, v4
	s_and_b64 s[26:27], s[2:3], s[26:27]
	v_cmp_eq_u32_e64 s[22:23], v18, v27
	v_cmp_eq_u32_e64 s[30:31], 0, v5
	v_cmp_eq_u32_e64 s[34:35], 0, v2
	v_cmp_eq_u32_e64 s[42:43], 1, v2
	v_cmp_eq_u32_e64 s[50:51], 2, v2
	v_cmp_eq_u32_e64 s[58:59], 3, v2
	v_cndmask_b32_e64 v2, 0, 1, s[26:27]
	s_and_b64 s[26:27], s[20:21], s[28:29]
	v_cmp_eq_u32_e64 s[24:25], v19, v27
	v_cmp_eq_u32_e64 s[36:37], 1, v3
	;; [unrolled: 1-line block ×4, first 2 shown]
	v_cndmask_b32_e64 v3, 0, 1, s[26:27]
	s_and_b64 s[26:27], s[22:23], s[30:31]
	v_cmp_eq_u32_e64 s[38:39], 1, v4
	v_cmp_eq_u32_e64 s[46:47], 2, v4
	;; [unrolled: 1-line block ×3, first 2 shown]
	v_cndmask_b32_e64 v4, 0, 1, s[26:27]
	s_and_b64 s[26:27], s[24:25], s[34:35]
	v_cmp_eq_u32_e64 s[40:41], 1, v5
	v_cmp_eq_u32_e64 s[48:49], 2, v5
	;; [unrolled: 1-line block ×3, first 2 shown]
	v_cndmask_b32_e64 v5, 0, 1, s[26:27]
	s_and_b64 s[26:27], s[2:3], s[36:37]
	v_cndmask_b32_e64 v16, 0, 1, s[26:27]
	s_and_b64 s[26:27], s[20:21], s[38:39]
	;; [unrolled: 2-line block ×5, first 2 shown]
	s_and_b64 s[2:3], s[2:3], s[52:53]
	v_cndmask_b32_e64 v37, 0, 1, s[26:27]
	s_and_b64 s[26:27], s[20:21], s[46:47]
	v_cndmask_b32_e64 v41, 0, 1, s[2:3]
	;; [unrolled: 2-line block ×7, first 2 shown]
	v_cndmask_b32_e64 v44, 0, 1, s[2:3]
	v_cmp_ne_u32_e64 s[2:3], 0, v2
	v_cmp_ne_u32_e64 s[20:21], 0, v3
	;; [unrolled: 1-line block ×11, first 2 shown]
	s_bcnt1_i32_b64 s2, s[2:3]
	s_bcnt1_i32_b64 s3, s[20:21]
	;; [unrolled: 1-line block ×8, first 2 shown]
	v_cmp_ne_u32_e64 s[34:35], 0, v19
	v_cmp_ne_u32_e64 s[40:41], 0, v39
	;; [unrolled: 1-line block ×3, first 2 shown]
	s_bcnt1_i32_b64 s23, s[28:29]
	s_bcnt1_i32_b64 s27, s[38:39]
	;; [unrolled: 1-line block ×3, first 2 shown]
	s_add_i32 s2, s75, s2
	s_add_i32 s17, s17, s22
	;; [unrolled: 1-line block ×4, first 2 shown]
	v_cmp_ne_u32_e64 s[42:43], 0, v40
	v_cmp_ne_u32_e64 s[50:51], 0, v44
	s_bcnt1_i32_b64 s25, s[34:35]
	s_bcnt1_i32_b64 s28, s[40:41]
	;; [unrolled: 1-line block ×3, first 2 shown]
	s_add_i32 s2, s2, s3
	s_add_i32 s3, s17, s23
	;; [unrolled: 1-line block ×4, first 2 shown]
	s_bcnt1_i32_b64 s29, s[42:43]
	s_bcnt1_i32_b64 s35, s[50:51]
	s_add_i32 s2, s2, s20
	s_add_i32 s3, s3, s24
	;; [unrolled: 1-line block ×8, first 2 shown]
	s_or_b64 s[90:91], vcc, s[90:91]
	v_mov_b32_e32 v2, s75
	v_mov_b32_e32 v3, s17
	;; [unrolled: 1-line block ×4, first 2 shown]
	s_andn2_b64 exec, exec, s[90:91]
	s_cbranch_execnz .LBB11_68
; %bb.69:                               ;   in Loop: Header=BB11_16 Depth=1
	s_or_b64 exec, exec, s[90:91]
.LBB11_70:                              ;   in Loop: Header=BB11_16 Depth=1
	s_or_b64 exec, exec, s[88:89]
	v_add_u32_e32 v9, s83, v0
	v_cmp_gt_i32_e32 vcc, s82, v9
	s_and_saveexec_b64 s[28:29], vcc
	s_cbranch_execz .LBB11_74
; %bb.71:                               ;   in Loop: Header=BB11_16 Depth=1
	s_mov_b64 s[30:31], 0
.LBB11_72:                              ;   Parent Loop BB11_16 Depth=1
                                        ; =>  This Inner Loop Header: Depth=2
	ds_read_i8 v16, v9
	v_add_u32_e32 v9, s64, v9
	v_cmp_le_i32_e32 vcc, s82, v9
	s_waitcnt lgkmcnt(0)
	v_add_u32_e32 v16, 0x80, v16
	v_and_b32_e32 v17, v16, v33
	v_bfe_u32 v16, v16, v31, 2
	v_cmp_eq_u32_e64 s[2:3], v17, v27
	v_cmp_eq_u32_e64 s[20:21], 0, v16
	v_cmp_eq_u32_e64 s[22:23], 1, v16
	s_and_b64 s[16:17], s[2:3], s[20:21]
	v_cmp_eq_u32_e64 s[24:25], 2, v16
	v_cmp_eq_u32_e64 s[26:27], 3, v16
	v_cndmask_b32_e64 v16, 0, 1, s[16:17]
	s_and_b64 s[16:17], s[2:3], s[22:23]
	v_cndmask_b32_e64 v17, 0, 1, s[16:17]
	s_and_b64 s[16:17], s[2:3], s[24:25]
	s_and_b64 s[2:3], s[2:3], s[26:27]
	v_cndmask_b32_e64 v18, 0, 1, s[16:17]
	v_cndmask_b32_e64 v19, 0, 1, s[2:3]
	v_cmp_ne_u32_e64 s[2:3], 0, v16
	v_cmp_ne_u32_e64 s[20:21], 0, v17
	;; [unrolled: 1-line block ×4, first 2 shown]
	s_bcnt1_i32_b64 s2, s[2:3]
	s_bcnt1_i32_b64 s3, s[20:21]
	;; [unrolled: 1-line block ×4, first 2 shown]
	v_add_u32_e32 v2, s2, v2
	v_add_u32_e32 v3, s3, v3
	;; [unrolled: 1-line block ×3, first 2 shown]
	s_or_b64 s[30:31], vcc, s[30:31]
	v_add_u32_e32 v5, s16, v5
	s_andn2_b64 exec, exec, s[30:31]
	s_cbranch_execnz .LBB11_72
; %bb.73:                               ;   in Loop: Header=BB11_16 Depth=1
	s_or_b64 exec, exec, s[30:31]
.LBB11_74:                              ;   in Loop: Header=BB11_16 Depth=1
	s_or_b64 exec, exec, s[28:29]
	s_lshl_b32 s8, s85, 6
	s_and_saveexec_b64 s[2:3], s[0:1]
	s_cbranch_execnz .LBB11_46
	s_branch .LBB11_47
.LBB11_75:                              ;   in Loop: Header=BB11_16 Depth=1
	s_or_b64 exec, exec, s[22:23]
	s_waitcnt lgkmcnt(0)
	s_barrier
	s_and_saveexec_b64 s[2:3], s[18:19]
	s_cbranch_execz .LBB11_77
; %bb.76:                               ;   in Loop: Header=BB11_16 Depth=1
	ds_read_b32 v2, v8 offset:4104
	s_waitcnt lgkmcnt(0)
	ds_write_b32 v8, v2 offset:4096
.LBB11_77:                              ;   in Loop: Header=BB11_16 Depth=1
	s_or_b64 exec, exec, s[2:3]
	s_waitcnt lgkmcnt(0)
	s_barrier
	s_mov_b64 s[2:3], -1
	s_and_b64 vcc, exec, s[20:21]
	s_cbranch_vccnz .LBB11_31
	s_branch .LBB11_41
.LBB11_78:                              ;   in Loop: Header=BB11_16 Depth=1
	v_mov_b32_e32 v2, 0
	s_mov_b32 s16, 0
	s_cbranch_execnz .LBB11_83
	s_branch .LBB11_85
.LBB11_79:                              ;   in Loop: Header=BB11_16 Depth=1
	v_mov_b32_e32 v9, v8
	v_readlane_b32 s20, v50, 28
	v_mov_b64_e32 v[2:3], v[8:9]
	v_readlane_b32 s21, v50, 29
.LBB11_80:                              ;   in Loop: Header=BB11_16 Depth=1
	v_readlane_b32 s16, v50, 19
	v_readlane_b32 s17, v50, 20
	s_andn2_b64 vcc, exec, s[16:17]
	v_readlane_b32 s16, v50, 18
	s_cbranch_vccnz .LBB11_82
.LBB11_81:                              ;   Parent Loop BB11_16 Depth=1
                                        ; =>  This Inner Loop Header: Depth=2
	v_lshl_add_u32 v9, s20, 4, v5
	v_lshl_add_u32 v16, s21, 4, v5
	ds_read_b32 v16, v16
	ds_read_b32 v9, v9
	s_add_i32 s21, s21, 2
	s_add_i32 s20, s20, 2
	s_add_i32 s16, s16, -1
	s_cmp_lg_u32 s16, 0
	s_waitcnt lgkmcnt(1)
	v_add_u32_e32 v3, v16, v3
	s_waitcnt lgkmcnt(0)
	v_add_u32_e32 v2, v9, v2
	s_cbranch_scc1 .LBB11_81
.LBB11_82:                              ;   in Loop: Header=BB11_16 Depth=1
	v_readlane_b32 s20, v50, 23
	v_add_u32_e32 v2, v2, v3
	v_readlane_b32 s16, v50, 22
	v_readlane_b32 s21, v50, 24
	s_and_b64 vcc, exec, s[20:21]
	s_cbranch_vccz .LBB11_85
.LBB11_83:                              ;   in Loop: Header=BB11_16 Depth=1
	s_lshl_b32 s17, s85, 8
	s_lshl_b32 s20, s16, 4
	s_add_i32 s17, s17, s20
	v_add_u32_e32 v3, s17, v29
	v_readlane_b32 s17, v50, 21
	s_sub_i32 s16, s17, s16
.LBB11_84:                              ;   Parent Loop BB11_16 Depth=1
                                        ; =>  This Inner Loop Header: Depth=2
	ds_read_b32 v5, v3
	s_add_i32 s16, s16, -1
	v_add_u32_e32 v3, 16, v3
	s_cmp_eq_u32 s16, 0
	s_waitcnt lgkmcnt(0)
	v_add_u32_e32 v2, v5, v2
	s_cbranch_scc0 .LBB11_84
.LBB11_85:                              ;   in Loop: Header=BB11_16 Depth=1
	v_lshlrev_b32_e32 v3, 2, v4
	ds_write_b32 v3, v2 offset:3072
.LBB11_86:                              ;   in Loop: Header=BB11_16 Depth=1
	s_or_b64 exec, exec, s[2:3]
	s_lshl_b32 s2, s8, 2
	s_waitcnt vmcnt(0)
	v_mov_b32_e32 v2, s2
	s_waitcnt lgkmcnt(0)
	s_barrier
	ds_read_b128 v[2:5], v2 offset:3072
	v_cmp_eq_u32_e32 vcc, 1, v35
	s_mov_b64 s[20:21], -1
	s_mov_b64 s[28:29], -1
                                        ; implicit-def: $sgpr26_sgpr27
                                        ; implicit-def: $sgpr24_sgpr25
	s_waitcnt lgkmcnt(0)
	v_readfirstlane_b32 s42, v2
	s_cmp_eq_u32 s42, 1
	v_readfirstlane_b32 s54, v4
	v_lshlrev_b32_e64 v4, v31, 3
	s_cselect_b64 s[2:3], -1, 0
	v_readfirstlane_b32 s46, v3
	v_readfirstlane_b32 s90, v5
	v_not_b32_e32 v9, v4
	s_and_b64 s[22:23], s[2:3], vcc
	s_and_saveexec_b64 s[2:3], s[22:23]
	s_cbranch_execz .LBB11_112
; %bb.87:                               ;   in Loop: Header=BB11_16 Depth=1
	ds_read_b32 v2, v8 offset:4096
	s_waitcnt lgkmcnt(0)
	s_barrier
	v_readfirstlane_b32 s8, v2
	s_and_saveexec_b64 s[24:25], s[4:5]
; %bb.88:                               ;   in Loop: Header=BB11_16 Depth=1
	ds_write_b8 v0, v8 offset:3072
; %bb.89:                               ;   in Loop: Header=BB11_16 Depth=1
	s_or_b64 exec, exec, s[24:25]
	v_and_b32_e32 v27, v27, v9
	v_or_b32_e32 v33, v33, v4
	s_mov_b64 s[24:25], -1
	s_mov_b64 s[26:27], 0
	s_cmp_lt_i32 s8, 1
	s_mov_b64 s[28:29], 0
	s_mov_b64 s[30:31], -1
	s_waitcnt lgkmcnt(0)
	s_barrier
                                        ; implicit-def: $vgpr34
	s_cbranch_scc0 .LBB11_100
; %bb.90:                               ;   in Loop: Header=BB11_16 Depth=1
	s_mov_b64 s[30:31], 0
                                        ; implicit-def: $vgpr34
	s_mov_b64 s[34:35], exec
	v_readlane_b32 s16, v50, 26
	v_readlane_b32 s17, v50, 27
	s_and_b64 s[16:17], s[34:35], s[16:17]
	s_mov_b64 exec, s[16:17]
	s_cbranch_execz .LBB11_99
; %bb.91:                               ;   in Loop: Header=BB11_16 Depth=1
	v_mov_b32_e32 v2, v6
	v_mov_b32_e32 v5, v0
                                        ; implicit-def: $sgpr36_sgpr37
	s_branch .LBB11_94
.LBB11_92:                              ;   in Loop: Header=BB11_94 Depth=2
	s_or_b64 exec, exec, s[38:39]
	s_waitcnt lgkmcnt(0)
	s_barrier
	ds_read_u16 v3, v8 offset:3072
	s_mov_b64 s[38:39], -1
	s_mov_b64 s[40:41], -1
	s_waitcnt lgkmcnt(0)
	s_barrier
	v_cmp_ne_u32_sdwa s[16:17], v3, v8 src0_sel:BYTE_0 src1_sel:DWORD
	s_and_b64 vcc, exec, s[16:17]
	s_cbranch_vccz .LBB11_97
.LBB11_93:                              ;   in Loop: Header=BB11_94 Depth=2
	s_and_b64 s[16:17], exec, s[38:39]
	s_or_b64 s[28:29], s[16:17], s[28:29]
	s_andn2_b64 s[16:17], s[36:37], exec
	s_and_b64 s[36:37], s[40:41], exec
	s_or_b64 s[36:37], s[16:17], s[36:37]
	s_andn2_b64 exec, exec, s[28:29]
	s_cbranch_execz .LBB11_98
.LBB11_94:                              ;   Parent Loop BB11_16 Depth=1
                                        ; =>  This Inner Loop Header: Depth=2
	v_cmp_gt_i32_e32 vcc, s60, v5
	s_and_saveexec_b64 s[38:39], vcc
	s_cbranch_execz .LBB11_92
; %bb.95:                               ;   in Loop: Header=BB11_94 Depth=2
	v_ashrrev_i32_e32 v3, 31, v2
	v_lshl_add_u64 v[16:17], s[72:73], 0, v[2:3]
	global_load_ubyte v3, v[16:17], off
	s_waitcnt vmcnt(0)
	v_add_u32_sdwa v16, sext(v3), s61 dst_sel:DWORD dst_unused:UNUSED_PAD src0_sel:BYTE_0 src1_sel:DWORD
	v_and_b32_e32 v16, v16, v33
	v_cmp_eq_u32_e32 vcc, v16, v27
	s_and_b64 exec, exec, vcc
	s_cbranch_execz .LBB11_92
; %bb.96:                               ;   in Loop: Header=BB11_94 Depth=2
	v_lshlrev_b16_e32 v3, 8, v3
	v_or_b32_e32 v3, 1, v3
	ds_write_b16 v8, v3 offset:3072
	s_branch .LBB11_92
.LBB11_97:                              ;   in Loop: Header=BB11_94 Depth=2
	v_add_u32_e32 v5, s64, v5
	v_cmp_le_i32_e32 vcc, s9, v5
	v_add_u32_e32 v2, s74, v2
	s_mov_b64 s[40:41], 0
	s_orn2_b64 s[38:39], vcc, exec
	s_branch .LBB11_93
.LBB11_98:                              ;   in Loop: Header=BB11_16 Depth=1
	s_or_b64 exec, exec, s[28:29]
	v_lshrrev_b32_sdwa v34, v32, v3 dst_sel:DWORD dst_unused:UNUSED_PAD src0_sel:DWORD src1_sel:WORD_0
	s_and_b64 s[28:29], s[36:37], exec
.LBB11_99:                              ;   in Loop: Header=BB11_16 Depth=1
	s_or_b64 exec, exec, s[34:35]
.LBB11_100:                             ;   in Loop: Header=BB11_16 Depth=1
	s_and_b64 vcc, exec, s[30:31]
	s_cbranch_vccz .LBB11_111
; %bb.101:                              ;   in Loop: Header=BB11_16 Depth=1
	v_readlane_b32 s16, v50, 6
	s_add_i32 s16, s8, s16
	s_abs_i32 s24, s16
	v_readlane_b32 s25, v50, 25
	s_mul_hi_u32 s25, s24, s25
	s_mul_i32 s25, s25, s64
	s_sub_i32 s24, s24, s25
	s_ashr_i32 s17, s16, 31
	s_sub_i32 s25, s24, s64
	s_cmp_ge_u32 s24, s64
	s_cselect_b32 s24, s25, s24
	s_sub_i32 s25, s24, s64
	s_cmp_ge_u32 s24, s64
	s_cselect_b32 s24, s25, s24
	s_xor_b32 s24, s24, s17
	s_sub_i32 s17, s17, s24
	s_add_i32 s16, s16, s17
	v_cmp_gt_i32_e32 vcc, s16, v0
                                        ; implicit-def: $vgpr34
	s_and_saveexec_b64 s[24:25], vcc
	s_cbranch_execz .LBB11_110
; %bb.102:                              ;   in Loop: Header=BB11_16 Depth=1
	s_mov_b64 s[26:27], 0
	v_mov_b32_e32 v2, v0
                                        ; implicit-def: $sgpr30_sgpr31
	s_branch .LBB11_105
.LBB11_103:                             ;   in Loop: Header=BB11_105 Depth=2
	s_or_b64 exec, exec, s[34:35]
	s_waitcnt lgkmcnt(0)
	s_barrier
	ds_read_u16 v3, v8 offset:3072
	s_mov_b64 s[34:35], -1
	s_waitcnt lgkmcnt(0)
	s_barrier
	v_cmp_ne_u32_sdwa s[36:37], v3, v8 src0_sel:BYTE_0 src1_sel:DWORD
	s_and_b64 vcc, exec, s[36:37]
	s_mov_b64 s[36:37], -1
	s_cbranch_vccz .LBB11_108
.LBB11_104:                             ;   in Loop: Header=BB11_105 Depth=2
	s_and_b64 s[34:35], exec, s[34:35]
	s_or_b64 s[26:27], s[34:35], s[26:27]
	s_andn2_b64 s[30:31], s[30:31], exec
	s_and_b64 s[34:35], s[36:37], exec
	s_or_b64 s[30:31], s[30:31], s[34:35]
	s_andn2_b64 exec, exec, s[26:27]
	s_cbranch_execz .LBB11_109
.LBB11_105:                             ;   Parent Loop BB11_16 Depth=1
                                        ; =>  This Inner Loop Header: Depth=2
	v_cmp_gt_i32_e32 vcc, s8, v2
	s_and_saveexec_b64 s[34:35], vcc
	s_cbranch_execz .LBB11_103
; %bb.106:                              ;   in Loop: Header=BB11_105 Depth=2
	ds_read_u8 v3, v2
	s_waitcnt lgkmcnt(0)
	v_add_u32_sdwa v5, sext(v3), s61 dst_sel:DWORD dst_unused:UNUSED_PAD src0_sel:BYTE_0 src1_sel:DWORD
	v_and_b32_e32 v5, v5, v33
	v_cmp_eq_u32_e32 vcc, v5, v27
	s_and_b64 exec, exec, vcc
	s_cbranch_execz .LBB11_103
; %bb.107:                              ;   in Loop: Header=BB11_105 Depth=2
	v_lshlrev_b16_e32 v3, 8, v3
	v_or_b32_e32 v3, 1, v3
	ds_write_b16 v8, v3 offset:3072
	s_branch .LBB11_103
.LBB11_108:                             ;   in Loop: Header=BB11_105 Depth=2
	v_add_u32_e32 v2, s64, v2
	v_cmp_le_i32_e32 vcc, s16, v2
	s_mov_b64 s[36:37], 0
	s_orn2_b64 s[34:35], vcc, exec
	s_branch .LBB11_104
.LBB11_109:                             ;   in Loop: Header=BB11_16 Depth=1
	s_or_b64 exec, exec, s[26:27]
	s_andn2_b64 s[16:17], s[28:29], exec
	s_and_b64 s[26:27], s[30:31], exec
	v_lshrrev_b32_sdwa v34, v32, v3 dst_sel:DWORD dst_unused:UNUSED_PAD src0_sel:DWORD src1_sel:WORD_0
	s_or_b64 s[28:29], s[16:17], s[26:27]
.LBB11_110:                             ;   in Loop: Header=BB11_16 Depth=1
	s_or_b64 exec, exec, s[24:25]
	s_mov_b64 s[24:25], 0
	s_mov_b64 s[26:27], -1
.LBB11_111:                             ;   in Loop: Header=BB11_16 Depth=1
	s_orn2_b64 s[28:29], s[28:29], exec
.LBB11_112:                             ;   in Loop: Header=BB11_16 Depth=1
	s_or_b64 exec, exec, s[2:3]
	s_andn2_b64 s[2:3], s[86:87], exec
	s_and_b64 s[16:17], s[26:27], exec
	s_or_b64 s[86:87], s[2:3], s[16:17]
	s_andn2_b64 s[2:3], s[70:71], exec
	s_and_b64 s[16:17], s[24:25], exec
	v_readfirstlane_b32 s8, v0
	s_andn2_b64 s[68:69], s[68:69], exec
	s_or_b64 s[70:71], s[2:3], s[16:17]
                                        ; implicit-def: $vgpr16
	s_and_saveexec_b64 s[2:3], s[28:29]
	s_cbranch_execz .LBB11_15
; %bb.113:                              ;   in Loop: Header=BB11_16 Depth=1
	s_xor_b64 s[16:17], s[22:23], -1
	s_mov_b64 s[22:23], 0
	v_mov_b32_e32 v16, 1
	v_mov_b32_e32 v5, 1
	s_and_saveexec_b64 s[20:21], s[16:17]
	s_cbranch_execz .LBB11_122
; %bb.114:                              ;   in Loop: Header=BB11_16 Depth=1
	v_cmp_ge_i32_e32 vcc, s42, v35
	s_and_saveexec_b64 s[16:17], vcc
	s_xor_b64 s[22:23], exec, s[16:17]
	s_cbranch_execz .LBB11_119
; %bb.115:                              ;   in Loop: Header=BB11_16 Depth=1
	ds_read_b32 v2, v8 offset:4096
	v_and_b32_e32 v27, v27, v9
	v_or_b32_e32 v33, v33, v4
	s_waitcnt lgkmcnt(0)
	v_cmp_ne_u32_e32 vcc, 0, v2
	s_cbranch_vccnz .LBB11_119
; %bb.116:                              ;   in Loop: Header=BB11_16 Depth=1
	s_and_saveexec_b64 s[24:25], s[18:19]
; %bb.117:                              ;   in Loop: Header=BB11_16 Depth=1
	v_mov_b32_e32 v2, s42
	ds_write_b32 v8, v2 offset:4100
; %bb.118:                              ;   in Loop: Header=BB11_16 Depth=1
	s_or_b64 exec, exec, s[24:25]
	s_waitcnt lgkmcnt(0)
	s_barrier
.LBB11_119:                             ;   in Loop: Header=BB11_16 Depth=1
	s_or_saveexec_b64 s[22:23], s[22:23]
	s_mov_b64 s[24:25], 0
	v_mov_b32_e32 v5, 8
	s_xor_b64 exec, exec, s[22:23]
; %bb.120:                              ;   in Loop: Header=BB11_16 Depth=1
	s_mov_b64 s[24:25], exec
	v_subrev_u32_e32 v35, s42, v35
	v_mov_b32_e32 v5, 0
; %bb.121:                              ;   in Loop: Header=BB11_16 Depth=1
	s_or_b64 exec, exec, s[22:23]
	s_and_b64 s[22:23], s[24:25], exec
	v_mov_b32_e32 v16, v35
.LBB11_122:                             ;   in Loop: Header=BB11_16 Depth=1
	s_or_b64 exec, exec, s[20:21]
	s_mov_b64 s[20:21], -1
	s_mov_b64 s[28:29], -1
                                        ; implicit-def: $sgpr24_sgpr25
                                        ; implicit-def: $sgpr26_sgpr27
	s_and_saveexec_b64 s[16:17], s[22:23]
	s_xor_b64 s[22:23], exec, s[16:17]
	s_cbranch_execz .LBB11_239
; %bb.123:                              ;   in Loop: Header=BB11_16 Depth=1
	s_cmp_eq_u32 s46, 1
	s_cselect_b64 s[16:17], -1, 0
	v_cmp_eq_u32_e32 vcc, 1, v16
	s_and_b64 s[30:31], s[16:17], vcc
	s_mov_b64 s[34:35], -1
                                        ; implicit-def: $sgpr26_sgpr27
                                        ; implicit-def: $sgpr24_sgpr25
	s_and_saveexec_b64 s[28:29], s[30:31]
	s_cbranch_execz .LBB11_149
; %bb.124:                              ;   in Loop: Header=BB11_16 Depth=1
	ds_read_b32 v2, v8 offset:4096
	s_waitcnt lgkmcnt(0)
	s_barrier
	v_readfirstlane_b32 s8, v2
	s_and_saveexec_b64 s[24:25], s[4:5]
; %bb.125:                              ;   in Loop: Header=BB11_16 Depth=1
	ds_write_b8 v0, v8 offset:3072
; %bb.126:                              ;   in Loop: Header=BB11_16 Depth=1
	s_or_b64 exec, exec, s[24:25]
	v_and_b32_e32 v2, v27, v9
	v_lshl_or_b32 v27, 1, v31, v2
	v_or_b32_e32 v33, v33, v4
	s_mov_b64 s[24:25], -1
	s_mov_b64 s[26:27], 0
	s_cmp_gt_i32 s8, 0
	s_mov_b64 s[34:35], 0
	s_mov_b64 s[36:37], -1
	s_waitcnt lgkmcnt(0)
	s_barrier
                                        ; implicit-def: $vgpr34
	s_cbranch_scc1 .LBB11_137
; %bb.127:                              ;   in Loop: Header=BB11_16 Depth=1
	s_mov_b64 s[36:37], 0
                                        ; implicit-def: $vgpr34
	s_mov_b64 s[38:39], exec
	v_readlane_b32 s16, v50, 26
	v_readlane_b32 s17, v50, 27
	s_and_b64 s[16:17], s[38:39], s[16:17]
	s_mov_b64 exec, s[16:17]
	s_cbranch_execz .LBB11_136
; %bb.128:                              ;   in Loop: Header=BB11_16 Depth=1
	v_mov_b32_e32 v2, v6
	v_mov_b32_e32 v17, v0
                                        ; implicit-def: $sgpr40_sgpr41
	s_branch .LBB11_131
.LBB11_129:                             ;   in Loop: Header=BB11_131 Depth=2
	s_or_b64 exec, exec, s[42:43]
	s_waitcnt lgkmcnt(0)
	s_barrier
	ds_read_u16 v3, v8 offset:3072
	s_mov_b64 s[42:43], -1
	s_mov_b64 s[44:45], -1
	s_waitcnt lgkmcnt(0)
	s_barrier
	v_cmp_ne_u32_sdwa s[16:17], v3, v8 src0_sel:BYTE_0 src1_sel:DWORD
	s_and_b64 vcc, exec, s[16:17]
	s_cbranch_vccz .LBB11_134
.LBB11_130:                             ;   in Loop: Header=BB11_131 Depth=2
	s_and_b64 s[16:17], exec, s[42:43]
	s_or_b64 s[34:35], s[16:17], s[34:35]
	s_andn2_b64 s[16:17], s[40:41], exec
	s_and_b64 s[40:41], s[44:45], exec
	s_or_b64 s[40:41], s[16:17], s[40:41]
	s_andn2_b64 exec, exec, s[34:35]
	s_cbranch_execz .LBB11_135
.LBB11_131:                             ;   Parent Loop BB11_16 Depth=1
                                        ; =>  This Inner Loop Header: Depth=2
	v_cmp_gt_i32_e32 vcc, s60, v17
	s_and_saveexec_b64 s[42:43], vcc
	s_cbranch_execz .LBB11_129
; %bb.132:                              ;   in Loop: Header=BB11_131 Depth=2
	v_ashrrev_i32_e32 v3, 31, v2
	v_lshl_add_u64 v[18:19], s[72:73], 0, v[2:3]
	global_load_ubyte v3, v[18:19], off
	s_waitcnt vmcnt(0)
	v_add_u32_sdwa v18, sext(v3), s61 dst_sel:DWORD dst_unused:UNUSED_PAD src0_sel:BYTE_0 src1_sel:DWORD
	v_and_b32_e32 v18, v18, v33
	v_cmp_eq_u32_e32 vcc, v18, v27
	s_and_b64 exec, exec, vcc
	s_cbranch_execz .LBB11_129
; %bb.133:                              ;   in Loop: Header=BB11_131 Depth=2
	v_lshlrev_b16_e32 v3, 8, v3
	v_or_b32_e32 v3, 1, v3
	ds_write_b16 v8, v3 offset:3072
	s_branch .LBB11_129
.LBB11_134:                             ;   in Loop: Header=BB11_131 Depth=2
	v_add_u32_e32 v17, s64, v17
	v_cmp_le_i32_e32 vcc, s9, v17
	v_add_u32_e32 v2, s74, v2
	s_mov_b64 s[44:45], 0
	s_orn2_b64 s[42:43], vcc, exec
	s_branch .LBB11_130
.LBB11_135:                             ;   in Loop: Header=BB11_16 Depth=1
	s_or_b64 exec, exec, s[34:35]
	v_lshrrev_b32_sdwa v34, v32, v3 dst_sel:DWORD dst_unused:UNUSED_PAD src0_sel:DWORD src1_sel:WORD_0
	s_and_b64 s[34:35], s[40:41], exec
.LBB11_136:                             ;   in Loop: Header=BB11_16 Depth=1
	s_or_b64 exec, exec, s[38:39]
.LBB11_137:                             ;   in Loop: Header=BB11_16 Depth=1
	s_and_b64 vcc, exec, s[36:37]
	s_cbranch_vccz .LBB11_148
; %bb.138:                              ;   in Loop: Header=BB11_16 Depth=1
	v_readlane_b32 s16, v50, 6
	s_add_i32 s16, s8, s16
	s_abs_i32 s24, s16
	v_readlane_b32 s25, v50, 25
	s_mul_hi_u32 s25, s24, s25
	s_mul_i32 s25, s25, s64
	s_sub_i32 s24, s24, s25
	s_ashr_i32 s17, s16, 31
	s_sub_i32 s25, s24, s64
	s_cmp_ge_u32 s24, s64
	s_cselect_b32 s24, s25, s24
	s_sub_i32 s25, s24, s64
	s_cmp_ge_u32 s24, s64
	s_cselect_b32 s24, s25, s24
	s_xor_b32 s24, s24, s17
	s_sub_i32 s17, s17, s24
	s_add_i32 s16, s16, s17
	v_cmp_gt_i32_e32 vcc, s16, v0
                                        ; implicit-def: $vgpr34
	s_and_saveexec_b64 s[24:25], vcc
	s_cbranch_execz .LBB11_147
; %bb.139:                              ;   in Loop: Header=BB11_16 Depth=1
	s_mov_b64 s[26:27], 0
	v_mov_b32_e32 v2, v0
                                        ; implicit-def: $sgpr36_sgpr37
	s_branch .LBB11_142
.LBB11_140:                             ;   in Loop: Header=BB11_142 Depth=2
	s_or_b64 exec, exec, s[38:39]
	s_waitcnt lgkmcnt(0)
	s_barrier
	ds_read_u16 v3, v8 offset:3072
	s_mov_b64 s[38:39], -1
	s_waitcnt lgkmcnt(0)
	s_barrier
	v_cmp_eq_u32_sdwa s[40:41], v3, v8 src0_sel:BYTE_0 src1_sel:DWORD
	s_and_b64 vcc, exec, s[40:41]
	s_mov_b64 s[40:41], -1
	s_cbranch_vccnz .LBB11_145
.LBB11_141:                             ;   in Loop: Header=BB11_142 Depth=2
	s_and_b64 s[38:39], exec, s[38:39]
	s_or_b64 s[26:27], s[38:39], s[26:27]
	s_andn2_b64 s[36:37], s[36:37], exec
	s_and_b64 s[38:39], s[40:41], exec
	s_or_b64 s[36:37], s[36:37], s[38:39]
	s_andn2_b64 exec, exec, s[26:27]
	s_cbranch_execz .LBB11_146
.LBB11_142:                             ;   Parent Loop BB11_16 Depth=1
                                        ; =>  This Inner Loop Header: Depth=2
	v_cmp_gt_i32_e32 vcc, s8, v2
	s_and_saveexec_b64 s[38:39], vcc
	s_cbranch_execz .LBB11_140
; %bb.143:                              ;   in Loop: Header=BB11_142 Depth=2
	ds_read_u8 v3, v2
	s_waitcnt lgkmcnt(0)
	v_add_u32_sdwa v17, sext(v3), s61 dst_sel:DWORD dst_unused:UNUSED_PAD src0_sel:BYTE_0 src1_sel:DWORD
	v_and_b32_e32 v17, v17, v33
	v_cmp_eq_u32_e32 vcc, v17, v27
	s_and_b64 exec, exec, vcc
	s_cbranch_execz .LBB11_140
; %bb.144:                              ;   in Loop: Header=BB11_142 Depth=2
	v_lshlrev_b16_e32 v3, 8, v3
	v_or_b32_e32 v3, 1, v3
	ds_write_b16 v8, v3 offset:3072
	s_branch .LBB11_140
.LBB11_145:                             ;   in Loop: Header=BB11_142 Depth=2
	v_add_u32_e32 v2, s64, v2
	v_cmp_le_i32_e32 vcc, s16, v2
	s_mov_b64 s[40:41], 0
	s_orn2_b64 s[38:39], vcc, exec
	s_branch .LBB11_141
.LBB11_146:                             ;   in Loop: Header=BB11_16 Depth=1
	s_or_b64 exec, exec, s[26:27]
	s_andn2_b64 s[16:17], s[34:35], exec
	s_and_b64 s[26:27], s[36:37], exec
	v_lshrrev_b32_sdwa v34, v32, v3 dst_sel:DWORD dst_unused:UNUSED_PAD src0_sel:DWORD src1_sel:WORD_0
	s_or_b64 s[34:35], s[16:17], s[26:27]
.LBB11_147:                             ;   in Loop: Header=BB11_16 Depth=1
	s_or_b64 exec, exec, s[24:25]
	s_mov_b64 s[24:25], 0
	s_mov_b64 s[26:27], -1
.LBB11_148:                             ;   in Loop: Header=BB11_16 Depth=1
	s_orn2_b64 s[34:35], s[34:35], exec
.LBB11_149:                             ;   in Loop: Header=BB11_16 Depth=1
	s_or_b64 exec, exec, s[28:29]
	s_mov_b64 s[36:37], 0
	s_and_saveexec_b64 s[28:29], s[34:35]
	s_cbranch_execz .LBB11_238
; %bb.150:                              ;   in Loop: Header=BB11_16 Depth=1
	s_xor_b64 s[16:17], s[30:31], -1
	s_mov_b64 s[40:41], 0
	v_mov_b32_e32 v17, 1
	v_mov_b32_e32 v5, 1
	s_and_saveexec_b64 s[30:31], s[16:17]
	s_cbranch_execz .LBB11_159
; %bb.151:                              ;   in Loop: Header=BB11_16 Depth=1
	v_cmp_ge_i32_e32 vcc, s46, v16
	s_and_saveexec_b64 s[16:17], vcc
	s_xor_b64 s[34:35], exec, s[16:17]
	s_cbranch_execz .LBB11_156
; %bb.152:                              ;   in Loop: Header=BB11_16 Depth=1
	ds_read_b32 v2, v8 offset:4096
	v_and_b32_e32 v3, v27, v9
	v_lshl_or_b32 v27, 1, v31, v3
	v_or_b32_e32 v33, v33, v4
	s_waitcnt lgkmcnt(0)
	v_cmp_ne_u32_e32 vcc, 0, v2
	s_cbranch_vccnz .LBB11_156
; %bb.153:                              ;   in Loop: Header=BB11_16 Depth=1
	s_and_saveexec_b64 s[36:37], s[18:19]
; %bb.154:                              ;   in Loop: Header=BB11_16 Depth=1
	v_mov_b32_e32 v2, s46
	ds_write_b32 v8, v2 offset:4100
; %bb.155:                              ;   in Loop: Header=BB11_16 Depth=1
	s_or_b64 exec, exec, s[36:37]
	s_waitcnt lgkmcnt(0)
	s_barrier
.LBB11_156:                             ;   in Loop: Header=BB11_16 Depth=1
	s_or_saveexec_b64 s[34:35], s[34:35]
	s_mov_b64 s[36:37], 0
	v_mov_b32_e32 v5, 8
	s_xor_b64 exec, exec, s[34:35]
; %bb.157:                              ;   in Loop: Header=BB11_16 Depth=1
	s_mov_b64 s[36:37], exec
	v_subrev_u32_e32 v16, s46, v16
	v_mov_b32_e32 v5, 0
; %bb.158:                              ;   in Loop: Header=BB11_16 Depth=1
	s_or_b64 exec, exec, s[34:35]
	s_and_b64 s[40:41], s[36:37], exec
	v_mov_b32_e32 v17, v16
.LBB11_159:                             ;   in Loop: Header=BB11_16 Depth=1
	s_or_b64 exec, exec, s[30:31]
	s_mov_b64 s[38:39], -1
                                        ; implicit-def: $sgpr34_sgpr35
                                        ; implicit-def: $sgpr36_sgpr37
	s_and_saveexec_b64 s[30:31], s[40:41]
	s_cbranch_execz .LBB11_237
; %bb.160:                              ;   in Loop: Header=BB11_16 Depth=1
	s_cmp_eq_u32 s54, 1
	s_cselect_b64 s[16:17], -1, 0
	v_cmp_eq_u32_e32 vcc, 1, v17
	s_and_b64 s[40:41], s[16:17], vcc
	s_mov_b64 s[42:43], -1
                                        ; implicit-def: $sgpr36_sgpr37
                                        ; implicit-def: $sgpr34_sgpr35
	s_and_saveexec_b64 s[38:39], s[40:41]
	s_cbranch_execz .LBB11_186
; %bb.161:                              ;   in Loop: Header=BB11_16 Depth=1
	ds_read_b32 v2, v8 offset:4096
	s_waitcnt lgkmcnt(0)
	s_barrier
	v_readfirstlane_b32 s8, v2
	s_and_saveexec_b64 s[34:35], s[4:5]
; %bb.162:                              ;   in Loop: Header=BB11_16 Depth=1
	ds_write_b8 v0, v8 offset:3072
; %bb.163:                              ;   in Loop: Header=BB11_16 Depth=1
	s_or_b64 exec, exec, s[34:35]
	v_and_b32_e32 v2, v27, v9
	v_lshl_or_b32 v27, 2, v31, v2
	v_or_b32_e32 v33, v33, v4
	s_mov_b64 s[34:35], -1
	s_mov_b64 s[36:37], 0
	s_cmp_gt_i32 s8, 0
	s_mov_b64 s[42:43], 0
	s_mov_b64 s[44:45], -1
	s_waitcnt lgkmcnt(0)
	s_barrier
                                        ; implicit-def: $vgpr34
	s_cbranch_scc1 .LBB11_174
; %bb.164:                              ;   in Loop: Header=BB11_16 Depth=1
	s_mov_b64 s[44:45], 0
                                        ; implicit-def: $vgpr34
	s_mov_b64 s[46:47], exec
	v_readlane_b32 s16, v50, 26
	v_readlane_b32 s17, v50, 27
	s_and_b64 s[16:17], s[46:47], s[16:17]
	s_mov_b64 exec, s[16:17]
	s_cbranch_execz .LBB11_173
; %bb.165:                              ;   in Loop: Header=BB11_16 Depth=1
	v_mov_b32_e32 v2, v6
	v_mov_b32_e32 v16, v0
                                        ; implicit-def: $sgpr48_sgpr49
	s_branch .LBB11_168
.LBB11_166:                             ;   in Loop: Header=BB11_168 Depth=2
	s_or_b64 exec, exec, s[50:51]
	s_waitcnt lgkmcnt(0)
	s_barrier
	ds_read_u16 v3, v8 offset:3072
	s_mov_b64 s[50:51], -1
	s_mov_b64 s[52:53], -1
	s_waitcnt lgkmcnt(0)
	s_barrier
	v_cmp_ne_u32_sdwa s[16:17], v3, v8 src0_sel:BYTE_0 src1_sel:DWORD
	s_and_b64 vcc, exec, s[16:17]
	s_cbranch_vccz .LBB11_171
.LBB11_167:                             ;   in Loop: Header=BB11_168 Depth=2
	s_and_b64 s[16:17], exec, s[50:51]
	s_or_b64 s[42:43], s[16:17], s[42:43]
	s_andn2_b64 s[16:17], s[48:49], exec
	s_and_b64 s[48:49], s[52:53], exec
	s_or_b64 s[48:49], s[16:17], s[48:49]
	s_andn2_b64 exec, exec, s[42:43]
	s_cbranch_execz .LBB11_172
.LBB11_168:                             ;   Parent Loop BB11_16 Depth=1
                                        ; =>  This Inner Loop Header: Depth=2
	v_cmp_gt_i32_e32 vcc, s60, v16
	s_and_saveexec_b64 s[50:51], vcc
	s_cbranch_execz .LBB11_166
; %bb.169:                              ;   in Loop: Header=BB11_168 Depth=2
	v_ashrrev_i32_e32 v3, 31, v2
	v_lshl_add_u64 v[18:19], s[72:73], 0, v[2:3]
	global_load_ubyte v3, v[18:19], off
	s_waitcnt vmcnt(0)
	v_add_u32_sdwa v18, sext(v3), s61 dst_sel:DWORD dst_unused:UNUSED_PAD src0_sel:BYTE_0 src1_sel:DWORD
	v_and_b32_e32 v18, v18, v33
	v_cmp_eq_u32_e32 vcc, v18, v27
	s_and_b64 exec, exec, vcc
	s_cbranch_execz .LBB11_166
; %bb.170:                              ;   in Loop: Header=BB11_168 Depth=2
	v_lshlrev_b16_e32 v3, 8, v3
	v_or_b32_e32 v3, 1, v3
	ds_write_b16 v8, v3 offset:3072
	s_branch .LBB11_166
.LBB11_171:                             ;   in Loop: Header=BB11_168 Depth=2
	v_add_u32_e32 v16, s64, v16
	v_cmp_le_i32_e32 vcc, s9, v16
	v_add_u32_e32 v2, s74, v2
	s_mov_b64 s[52:53], 0
	s_orn2_b64 s[50:51], vcc, exec
	s_branch .LBB11_167
.LBB11_172:                             ;   in Loop: Header=BB11_16 Depth=1
	s_or_b64 exec, exec, s[42:43]
	v_lshrrev_b32_sdwa v34, v32, v3 dst_sel:DWORD dst_unused:UNUSED_PAD src0_sel:DWORD src1_sel:WORD_0
	s_and_b64 s[42:43], s[48:49], exec
.LBB11_173:                             ;   in Loop: Header=BB11_16 Depth=1
	s_or_b64 exec, exec, s[46:47]
.LBB11_174:                             ;   in Loop: Header=BB11_16 Depth=1
	s_and_b64 vcc, exec, s[44:45]
	s_cbranch_vccz .LBB11_185
; %bb.175:                              ;   in Loop: Header=BB11_16 Depth=1
	v_readlane_b32 s16, v50, 6
	s_add_i32 s16, s8, s16
	s_abs_i32 s34, s16
	v_readlane_b32 s35, v50, 25
	s_mul_hi_u32 s35, s34, s35
	s_mul_i32 s35, s35, s64
	s_sub_i32 s34, s34, s35
	s_ashr_i32 s17, s16, 31
	s_sub_i32 s35, s34, s64
	s_cmp_ge_u32 s34, s64
	s_cselect_b32 s34, s35, s34
	s_sub_i32 s35, s34, s64
	s_cmp_ge_u32 s34, s64
	s_cselect_b32 s34, s35, s34
	s_xor_b32 s34, s34, s17
	s_sub_i32 s17, s17, s34
	s_add_i32 s16, s16, s17
	v_cmp_gt_i32_e32 vcc, s16, v0
                                        ; implicit-def: $vgpr34
	s_and_saveexec_b64 s[34:35], vcc
	s_cbranch_execz .LBB11_184
; %bb.176:                              ;   in Loop: Header=BB11_16 Depth=1
	s_mov_b64 s[36:37], 0
	v_mov_b32_e32 v2, v0
                                        ; implicit-def: $sgpr44_sgpr45
	s_branch .LBB11_179
.LBB11_177:                             ;   in Loop: Header=BB11_179 Depth=2
	s_or_b64 exec, exec, s[46:47]
	s_waitcnt lgkmcnt(0)
	s_barrier
	ds_read_u16 v3, v8 offset:3072
	s_mov_b64 s[46:47], -1
	s_waitcnt lgkmcnt(0)
	s_barrier
	v_cmp_eq_u32_sdwa s[48:49], v3, v8 src0_sel:BYTE_0 src1_sel:DWORD
	s_and_b64 vcc, exec, s[48:49]
	s_mov_b64 s[48:49], -1
	s_cbranch_vccnz .LBB11_182
.LBB11_178:                             ;   in Loop: Header=BB11_179 Depth=2
	s_and_b64 s[46:47], exec, s[46:47]
	s_or_b64 s[36:37], s[46:47], s[36:37]
	s_andn2_b64 s[44:45], s[44:45], exec
	s_and_b64 s[46:47], s[48:49], exec
	s_or_b64 s[44:45], s[44:45], s[46:47]
	s_andn2_b64 exec, exec, s[36:37]
	s_cbranch_execz .LBB11_183
.LBB11_179:                             ;   Parent Loop BB11_16 Depth=1
                                        ; =>  This Inner Loop Header: Depth=2
	v_cmp_gt_i32_e32 vcc, s8, v2
	s_and_saveexec_b64 s[46:47], vcc
	s_cbranch_execz .LBB11_177
; %bb.180:                              ;   in Loop: Header=BB11_179 Depth=2
	ds_read_u8 v3, v2
	s_waitcnt lgkmcnt(0)
	v_add_u32_sdwa v16, sext(v3), s61 dst_sel:DWORD dst_unused:UNUSED_PAD src0_sel:BYTE_0 src1_sel:DWORD
	v_and_b32_e32 v16, v16, v33
	v_cmp_eq_u32_e32 vcc, v16, v27
	s_and_b64 exec, exec, vcc
	s_cbranch_execz .LBB11_177
; %bb.181:                              ;   in Loop: Header=BB11_179 Depth=2
	v_lshlrev_b16_e32 v3, 8, v3
	v_or_b32_e32 v3, 1, v3
	ds_write_b16 v8, v3 offset:3072
	s_branch .LBB11_177
.LBB11_182:                             ;   in Loop: Header=BB11_179 Depth=2
	v_add_u32_e32 v2, s64, v2
	v_cmp_le_i32_e32 vcc, s16, v2
	s_mov_b64 s[48:49], 0
	s_orn2_b64 s[46:47], vcc, exec
	s_branch .LBB11_178
.LBB11_183:                             ;   in Loop: Header=BB11_16 Depth=1
	s_or_b64 exec, exec, s[36:37]
	s_andn2_b64 s[16:17], s[42:43], exec
	s_and_b64 s[36:37], s[44:45], exec
	v_lshrrev_b32_sdwa v34, v32, v3 dst_sel:DWORD dst_unused:UNUSED_PAD src0_sel:DWORD src1_sel:WORD_0
	s_or_b64 s[42:43], s[16:17], s[36:37]
.LBB11_184:                             ;   in Loop: Header=BB11_16 Depth=1
	s_or_b64 exec, exec, s[34:35]
	s_mov_b64 s[34:35], 0
	s_mov_b64 s[36:37], -1
.LBB11_185:                             ;   in Loop: Header=BB11_16 Depth=1
	s_orn2_b64 s[42:43], s[42:43], exec
.LBB11_186:                             ;   in Loop: Header=BB11_16 Depth=1
	s_or_b64 exec, exec, s[38:39]
	s_mov_b64 s[44:45], 0
	s_and_saveexec_b64 s[38:39], s[42:43]
	s_cbranch_execz .LBB11_236
; %bb.187:                              ;   in Loop: Header=BB11_16 Depth=1
	s_xor_b64 s[16:17], s[40:41], -1
	s_mov_b64 s[48:49], 0
	v_mov_b32_e32 v16, 1
	v_mov_b32_e32 v5, 1
	s_and_saveexec_b64 s[40:41], s[16:17]
	s_cbranch_execz .LBB11_196
; %bb.188:                              ;   in Loop: Header=BB11_16 Depth=1
	v_cmp_ge_i32_e32 vcc, s54, v17
	s_and_saveexec_b64 s[16:17], vcc
	s_xor_b64 s[42:43], exec, s[16:17]
	s_cbranch_execz .LBB11_193
; %bb.189:                              ;   in Loop: Header=BB11_16 Depth=1
	ds_read_b32 v2, v8 offset:4096
	v_and_b32_e32 v3, v27, v9
	v_lshl_or_b32 v27, 2, v31, v3
	v_or_b32_e32 v33, v33, v4
	s_waitcnt lgkmcnt(0)
	v_cmp_ne_u32_e32 vcc, 0, v2
	s_cbranch_vccnz .LBB11_193
; %bb.190:                              ;   in Loop: Header=BB11_16 Depth=1
	s_and_saveexec_b64 s[44:45], s[18:19]
; %bb.191:                              ;   in Loop: Header=BB11_16 Depth=1
	v_mov_b32_e32 v2, s54
	ds_write_b32 v8, v2 offset:4100
; %bb.192:                              ;   in Loop: Header=BB11_16 Depth=1
	s_or_b64 exec, exec, s[44:45]
	s_waitcnt lgkmcnt(0)
	s_barrier
.LBB11_193:                             ;   in Loop: Header=BB11_16 Depth=1
	s_or_saveexec_b64 s[42:43], s[42:43]
	s_mov_b64 s[44:45], 0
	v_mov_b32_e32 v5, 8
	s_xor_b64 exec, exec, s[42:43]
; %bb.194:                              ;   in Loop: Header=BB11_16 Depth=1
	s_mov_b64 s[44:45], exec
	v_subrev_u32_e32 v17, s54, v17
	v_mov_b32_e32 v5, 0
; %bb.195:                              ;   in Loop: Header=BB11_16 Depth=1
	s_or_b64 exec, exec, s[42:43]
	s_and_b64 s[48:49], s[44:45], exec
	v_mov_b32_e32 v16, v17
.LBB11_196:                             ;   in Loop: Header=BB11_16 Depth=1
	s_or_b64 exec, exec, s[40:41]
	s_mov_b64 s[46:47], -1
                                        ; implicit-def: $sgpr44_sgpr45
                                        ; implicit-def: $sgpr42_sgpr43
	s_and_saveexec_b64 s[40:41], s[48:49]
	s_cbranch_execz .LBB11_235
; %bb.197:                              ;   in Loop: Header=BB11_16 Depth=1
	s_cmp_eq_u32 s90, 1
	s_cselect_b64 s[16:17], -1, 0
	v_cmp_eq_u32_e32 vcc, 1, v16
	s_and_b64 s[46:47], s[16:17], vcc
	s_mov_b64 s[50:51], -1
                                        ; implicit-def: $sgpr44_sgpr45
                                        ; implicit-def: $sgpr42_sgpr43
	s_and_saveexec_b64 s[48:49], s[46:47]
	s_cbranch_execz .LBB11_223
; %bb.198:                              ;   in Loop: Header=BB11_16 Depth=1
	ds_read_b32 v2, v8 offset:4096
	s_waitcnt lgkmcnt(0)
	s_barrier
	v_readfirstlane_b32 s8, v2
	s_and_saveexec_b64 s[42:43], s[4:5]
; %bb.199:                              ;   in Loop: Header=BB11_16 Depth=1
	ds_write_b8 v0, v8 offset:3072
; %bb.200:                              ;   in Loop: Header=BB11_16 Depth=1
	s_or_b64 exec, exec, s[42:43]
	v_or_b32_e32 v27, v27, v4
	v_or_b32_e32 v33, v33, v4
	s_mov_b64 s[42:43], -1
	s_mov_b64 s[44:45], 0
	s_cmp_gt_i32 s8, 0
	s_mov_b64 s[50:51], 0
	s_mov_b64 s[52:53], -1
	s_waitcnt lgkmcnt(0)
	s_barrier
                                        ; implicit-def: $vgpr34
	s_cbranch_scc1 .LBB11_211
; %bb.201:                              ;   in Loop: Header=BB11_16 Depth=1
	s_mov_b64 s[52:53], 0
                                        ; implicit-def: $vgpr34
	s_mov_b64 s[54:55], exec
	v_readlane_b32 s16, v50, 26
	v_readlane_b32 s17, v50, 27
	s_and_b64 s[16:17], s[54:55], s[16:17]
	s_mov_b64 exec, s[16:17]
	s_cbranch_execz .LBB11_210
; %bb.202:                              ;   in Loop: Header=BB11_16 Depth=1
	v_mov_b32_e32 v2, v6
	v_mov_b32_e32 v9, v0
                                        ; implicit-def: $sgpr56_sgpr57
	s_branch .LBB11_205
.LBB11_203:                             ;   in Loop: Header=BB11_205 Depth=2
	s_or_b64 exec, exec, s[58:59]
	s_waitcnt lgkmcnt(0)
	s_barrier
	ds_read_u16 v3, v8 offset:3072
	s_mov_b64 s[58:59], -1
	s_mov_b64 s[88:89], -1
	s_waitcnt lgkmcnt(0)
	s_barrier
	v_cmp_ne_u32_sdwa s[16:17], v3, v8 src0_sel:BYTE_0 src1_sel:DWORD
	s_and_b64 vcc, exec, s[16:17]
	s_cbranch_vccz .LBB11_208
.LBB11_204:                             ;   in Loop: Header=BB11_205 Depth=2
	s_and_b64 s[16:17], exec, s[58:59]
	s_or_b64 s[50:51], s[16:17], s[50:51]
	s_andn2_b64 s[16:17], s[56:57], exec
	s_and_b64 s[56:57], s[88:89], exec
	s_or_b64 s[56:57], s[16:17], s[56:57]
	s_andn2_b64 exec, exec, s[50:51]
	s_cbranch_execz .LBB11_209
.LBB11_205:                             ;   Parent Loop BB11_16 Depth=1
                                        ; =>  This Inner Loop Header: Depth=2
	v_cmp_gt_i32_e32 vcc, s60, v9
	s_and_saveexec_b64 s[58:59], vcc
	s_cbranch_execz .LBB11_203
; %bb.206:                              ;   in Loop: Header=BB11_205 Depth=2
	v_ashrrev_i32_e32 v3, 31, v2
	v_lshl_add_u64 v[18:19], s[72:73], 0, v[2:3]
	global_load_ubyte v3, v[18:19], off
	s_waitcnt vmcnt(0)
	v_add_u32_sdwa v17, sext(v3), s61 dst_sel:DWORD dst_unused:UNUSED_PAD src0_sel:BYTE_0 src1_sel:DWORD
	v_and_b32_e32 v17, v17, v33
	v_cmp_eq_u32_e32 vcc, v17, v27
	s_and_b64 exec, exec, vcc
	s_cbranch_execz .LBB11_203
; %bb.207:                              ;   in Loop: Header=BB11_205 Depth=2
	v_lshlrev_b16_e32 v3, 8, v3
	v_or_b32_e32 v3, 1, v3
	ds_write_b16 v8, v3 offset:3072
	s_branch .LBB11_203
.LBB11_208:                             ;   in Loop: Header=BB11_205 Depth=2
	v_add_u32_e32 v9, s64, v9
	v_cmp_le_i32_e32 vcc, s9, v9
	v_add_u32_e32 v2, s74, v2
	s_mov_b64 s[88:89], 0
	s_orn2_b64 s[58:59], vcc, exec
	s_branch .LBB11_204
.LBB11_209:                             ;   in Loop: Header=BB11_16 Depth=1
	s_or_b64 exec, exec, s[50:51]
	v_lshrrev_b32_sdwa v34, v32, v3 dst_sel:DWORD dst_unused:UNUSED_PAD src0_sel:DWORD src1_sel:WORD_0
	s_and_b64 s[50:51], s[56:57], exec
.LBB11_210:                             ;   in Loop: Header=BB11_16 Depth=1
	s_or_b64 exec, exec, s[54:55]
.LBB11_211:                             ;   in Loop: Header=BB11_16 Depth=1
	s_and_b64 vcc, exec, s[52:53]
	s_cbranch_vccz .LBB11_222
; %bb.212:                              ;   in Loop: Header=BB11_16 Depth=1
	v_readlane_b32 s16, v50, 6
	s_add_i32 s16, s8, s16
	s_abs_i32 s42, s16
	v_readlane_b32 s43, v50, 25
	s_mul_hi_u32 s43, s42, s43
	s_mul_i32 s43, s43, s64
	s_sub_i32 s42, s42, s43
	s_ashr_i32 s17, s16, 31
	s_sub_i32 s43, s42, s64
	s_cmp_ge_u32 s42, s64
	s_cselect_b32 s42, s43, s42
	s_sub_i32 s43, s42, s64
	s_cmp_ge_u32 s42, s64
	s_cselect_b32 s42, s43, s42
	s_xor_b32 s42, s42, s17
	s_sub_i32 s17, s17, s42
	s_add_i32 s16, s16, s17
	v_cmp_gt_i32_e32 vcc, s16, v0
                                        ; implicit-def: $vgpr34
	s_and_saveexec_b64 s[42:43], vcc
	s_cbranch_execz .LBB11_221
; %bb.213:                              ;   in Loop: Header=BB11_16 Depth=1
	s_mov_b64 s[44:45], 0
	v_mov_b32_e32 v2, v0
                                        ; implicit-def: $sgpr52_sgpr53
	s_branch .LBB11_216
.LBB11_214:                             ;   in Loop: Header=BB11_216 Depth=2
	s_or_b64 exec, exec, s[54:55]
	s_waitcnt lgkmcnt(0)
	s_barrier
	ds_read_u16 v3, v8 offset:3072
	s_mov_b64 s[54:55], -1
	s_waitcnt lgkmcnt(0)
	s_barrier
	v_cmp_eq_u32_sdwa s[56:57], v3, v8 src0_sel:BYTE_0 src1_sel:DWORD
	s_and_b64 vcc, exec, s[56:57]
	s_mov_b64 s[56:57], -1
	s_cbranch_vccnz .LBB11_219
.LBB11_215:                             ;   in Loop: Header=BB11_216 Depth=2
	s_and_b64 s[54:55], exec, s[54:55]
	s_or_b64 s[44:45], s[54:55], s[44:45]
	s_andn2_b64 s[52:53], s[52:53], exec
	s_and_b64 s[54:55], s[56:57], exec
	s_or_b64 s[52:53], s[52:53], s[54:55]
	s_andn2_b64 exec, exec, s[44:45]
	s_cbranch_execz .LBB11_220
.LBB11_216:                             ;   Parent Loop BB11_16 Depth=1
                                        ; =>  This Inner Loop Header: Depth=2
	v_cmp_gt_i32_e32 vcc, s8, v2
	s_and_saveexec_b64 s[54:55], vcc
	s_cbranch_execz .LBB11_214
; %bb.217:                              ;   in Loop: Header=BB11_216 Depth=2
	ds_read_u8 v3, v2
	s_waitcnt lgkmcnt(0)
	v_add_u32_sdwa v9, sext(v3), s61 dst_sel:DWORD dst_unused:UNUSED_PAD src0_sel:BYTE_0 src1_sel:DWORD
	v_and_b32_e32 v9, v9, v33
	v_cmp_eq_u32_e32 vcc, v9, v27
	s_and_b64 exec, exec, vcc
	s_cbranch_execz .LBB11_214
; %bb.218:                              ;   in Loop: Header=BB11_216 Depth=2
	v_lshlrev_b16_e32 v3, 8, v3
	v_or_b32_e32 v3, 1, v3
	ds_write_b16 v8, v3 offset:3072
	s_branch .LBB11_214
.LBB11_219:                             ;   in Loop: Header=BB11_216 Depth=2
	v_add_u32_e32 v2, s64, v2
	v_cmp_le_i32_e32 vcc, s16, v2
	s_mov_b64 s[56:57], 0
	s_orn2_b64 s[54:55], vcc, exec
	s_branch .LBB11_215
.LBB11_220:                             ;   in Loop: Header=BB11_16 Depth=1
	s_or_b64 exec, exec, s[44:45]
	s_andn2_b64 s[16:17], s[50:51], exec
	s_and_b64 s[44:45], s[52:53], exec
	v_lshrrev_b32_sdwa v34, v32, v3 dst_sel:DWORD dst_unused:UNUSED_PAD src0_sel:DWORD src1_sel:WORD_0
	s_or_b64 s[50:51], s[16:17], s[44:45]
.LBB11_221:                             ;   in Loop: Header=BB11_16 Depth=1
	s_or_b64 exec, exec, s[42:43]
	s_mov_b64 s[42:43], 0
	s_mov_b64 s[44:45], -1
.LBB11_222:                             ;   in Loop: Header=BB11_16 Depth=1
	s_orn2_b64 s[50:51], s[50:51], exec
.LBB11_223:                             ;   in Loop: Header=BB11_16 Depth=1
	s_or_b64 exec, exec, s[48:49]
	s_mov_b64 s[52:53], 0
	s_and_saveexec_b64 s[48:49], s[50:51]
	s_cbranch_execz .LBB11_234
; %bb.224:                              ;   in Loop: Header=BB11_16 Depth=1
	s_xor_b64 s[16:17], s[46:47], -1
	v_mov_b32_e32 v5, 1
	v_mov_b32_e32 v2, 1
	s_and_saveexec_b64 s[46:47], s[16:17]
	s_cbranch_execz .LBB11_233
; %bb.225:                              ;   in Loop: Header=BB11_16 Depth=1
	v_cmp_ge_i32_e32 vcc, s90, v16
	s_and_saveexec_b64 s[16:17], vcc
	s_xor_b64 s[50:51], exec, s[16:17]
	s_cbranch_execz .LBB11_230
; %bb.226:                              ;   in Loop: Header=BB11_16 Depth=1
	ds_read_b32 v2, v8 offset:4096
	v_or_b32_e32 v27, v27, v4
	v_or_b32_e32 v33, v33, v4
	s_waitcnt lgkmcnt(0)
	v_cmp_ne_u32_e32 vcc, 0, v2
	s_cbranch_vccnz .LBB11_230
; %bb.227:                              ;   in Loop: Header=BB11_16 Depth=1
	s_and_saveexec_b64 s[52:53], s[18:19]
; %bb.228:                              ;   in Loop: Header=BB11_16 Depth=1
	v_mov_b32_e32 v2, s90
	ds_write_b32 v8, v2 offset:4100
; %bb.229:                              ;   in Loop: Header=BB11_16 Depth=1
	s_or_b64 exec, exec, s[52:53]
	s_waitcnt lgkmcnt(0)
	s_barrier
.LBB11_230:                             ;   in Loop: Header=BB11_16 Depth=1
	s_andn2_saveexec_b64 s[50:51], s[50:51]
; %bb.231:                              ;   in Loop: Header=BB11_16 Depth=1
	v_subrev_u32_e32 v16, s90, v16
; %bb.232:                              ;   in Loop: Header=BB11_16 Depth=1
	s_or_b64 exec, exec, s[50:51]
	v_mov_b32_e32 v5, 8
	v_mov_b32_e32 v2, v16
.LBB11_233:                             ;   in Loop: Header=BB11_16 Depth=1
	s_or_b64 exec, exec, s[46:47]
	s_mov_b64 s[52:53], exec
	v_mov_b32_e32 v16, v2
.LBB11_234:                             ;   in Loop: Header=BB11_16 Depth=1
	s_or_b64 exec, exec, s[48:49]
	s_orn2_b64 s[46:47], s[52:53], exec
.LBB11_235:                             ;   in Loop: Header=BB11_16 Depth=1
	s_or_b64 exec, exec, s[40:41]
	s_andn2_b64 s[16:17], s[36:37], exec
	s_and_b64 s[36:37], s[44:45], exec
	s_or_b64 s[36:37], s[16:17], s[36:37]
	s_andn2_b64 s[16:17], s[34:35], exec
	s_and_b64 s[34:35], s[42:43], exec
	s_or_b64 s[34:35], s[16:17], s[34:35]
	s_and_b64 s[44:45], s[46:47], exec
	v_mov_b32_e32 v17, v16
.LBB11_236:                             ;   in Loop: Header=BB11_16 Depth=1
	s_or_b64 exec, exec, s[38:39]
	s_orn2_b64 s[38:39], s[44:45], exec
.LBB11_237:                             ;   in Loop: Header=BB11_16 Depth=1
	s_or_b64 exec, exec, s[30:31]
	s_andn2_b64 s[16:17], s[26:27], exec
	s_and_b64 s[26:27], s[36:37], exec
	s_or_b64 s[26:27], s[16:17], s[26:27]
	s_andn2_b64 s[16:17], s[24:25], exec
	s_and_b64 s[24:25], s[34:35], exec
	s_or_b64 s[24:25], s[16:17], s[24:25]
	s_and_b64 s[36:37], s[38:39], exec
	v_mov_b32_e32 v16, v17
.LBB11_238:                             ;   in Loop: Header=BB11_16 Depth=1
	s_or_b64 exec, exec, s[28:29]
	s_orn2_b64 s[28:29], s[36:37], exec
.LBB11_239:                             ;   in Loop: Header=BB11_16 Depth=1
	s_or_b64 exec, exec, s[22:23]
	s_mov_b64 s[30:31], 0
                                        ; implicit-def: $sgpr8
	s_and_saveexec_b64 s[16:17], s[28:29]
	s_xor_b64 s[22:23], exec, s[16:17]
	s_cbranch_execz .LBB11_14
; %bb.240:                              ;   in Loop: Header=BB11_16 Depth=1
	v_and_b32_e32 v2, 7, v5
	v_cmp_eq_u32_e32 vcc, 0, v2
	s_mov_b64 s[20:21], -1
	s_mov_b64 s[28:29], -1
                                        ; implicit-def: $sgpr8
	s_and_saveexec_b64 s[30:31], vcc
	s_cbranch_execz .LBB11_13
; %bb.241:                              ;   in Loop: Header=BB11_16 Depth=1
	v_add_u32_e32 v2, -2, v31
	v_cmp_eq_u32_e32 vcc, 0, v31
	s_xor_b32 s8, s85, 1
	s_xor_b64 s[28:29], exec, -1
	s_orn2_b64 s[20:21], vcc, exec
	v_mov_b32_e32 v31, v2
	s_branch .LBB11_13
.LBB11_242:
	s_or_b64 exec, exec, s[92:93]
	s_xor_b64 s[6:7], s[98:99], -1
	s_xor_b64 s[0:1], s[94:95], -1
	;; [unrolled: 1-line block ×3, first 2 shown]
	s_mov_b64 s[2:3], 0
	s_and_saveexec_b64 s[8:9], s[0:1]
	s_xor_b64 s[0:1], exec, s[8:9]
	s_cbranch_execnz .LBB11_247
; %bb.243:
	s_andn2_saveexec_b64 s[0:1], s[0:1]
	s_cbranch_execnz .LBB11_267
.LBB11_244:
	s_or_b64 exec, exec, s[0:1]
	s_and_saveexec_b64 s[0:1], s[2:3]
.LBB11_245:
	; divergent unreachable
.LBB11_246:
	s_endpgm
.LBB11_247:
	s_and_saveexec_b64 s[2:3], s[6:7]
	s_xor_b64 s[2:3], exec, s[2:3]
	s_cbranch_execz .LBB11_265
; %bb.248:
	s_and_saveexec_b64 s[6:7], s[4:5]
	s_xor_b64 s[4:5], exec, s[6:7]
; %bb.249:
	v_xor_b32_e32 v34, 0xffffff80, v27
; %bb.250:
	s_or_b64 exec, exec, s[4:5]
	s_and_saveexec_b64 s[4:5], s[18:19]
; %bb.251:
	v_mov_b32_e32 v1, 0
	v_mov_b32_e32 v2, s60
	ds_write_b32 v1, v2 offset:4108
; %bb.252:
	s_or_b64 exec, exec, s[4:5]
	v_mov_b32_e32 v1, 0
	s_waitcnt lgkmcnt(0)
	s_barrier
	ds_read_b32 v1, v1 offset:4108
	s_waitcnt lgkmcnt(0)
	v_min_i32_e32 v2, s60, v1
	v_cmp_lt_i32_e32 vcc, v0, v2
	s_and_saveexec_b64 s[4:5], vcc
	s_cbranch_execz .LBB11_262
; %bb.253:
	s_mov_b64 s[6:7], 0
                                        ; implicit-def: $sgpr8_sgpr9
                                        ; implicit-def: $sgpr12_sgpr13
                                        ; implicit-def: $sgpr10_sgpr11
	s_branch .LBB11_255
.LBB11_254:                             ;   in Loop: Header=BB11_255 Depth=1
	s_or_b64 exec, exec, s[14:15]
	s_and_b64 s[14:15], exec, s[12:13]
	s_or_b64 s[6:7], s[14:15], s[6:7]
	s_andn2_b64 s[8:9], s[8:9], exec
	s_and_b64 s[14:15], s[10:11], exec
	s_or_b64 s[8:9], s[8:9], s[14:15]
	s_andn2_b64 exec, exec, s[6:7]
	s_cbranch_execz .LBB11_257
.LBB11_255:                             ; =>This Inner Loop Header: Depth=1
	v_ashrrev_i32_e32 v7, 31, v6
	v_lshl_add_u64 v[4:5], s[72:73], 0, v[6:7]
	global_load_ubyte v3, v[4:5], off
	v_mov_b32_e32 v1, v0
	s_or_b64 s[10:11], s[10:11], exec
	s_or_b64 s[12:13], s[12:13], exec
                                        ; implicit-def: $vgpr0
	s_waitcnt vmcnt(0)
	v_cmp_ne_u16_sdwa s[16:17], v3, v34 src0_sel:DWORD src1_sel:BYTE_0
	s_and_saveexec_b64 s[14:15], s[16:17]
	s_cbranch_execz .LBB11_254
; %bb.256:                              ;   in Loop: Header=BB11_255 Depth=1
	v_add_u32_e32 v0, s64, v1
	v_cmp_ge_i32_e32 vcc, v0, v2
	s_andn2_b64 s[12:13], s[12:13], exec
	s_and_b64 s[16:17], vcc, exec
	v_add_u32_e32 v6, s74, v6
	s_andn2_b64 s[10:11], s[10:11], exec
	s_or_b64 s[12:13], s[12:13], s[16:17]
	s_branch .LBB11_254
.LBB11_257:
	s_or_b64 exec, exec, s[6:7]
	s_and_saveexec_b64 s[6:7], s[8:9]
	s_xor_b64 s[6:7], exec, s[6:7]
	s_cbranch_execz .LBB11_262
; %bb.258:
	s_mov_b64 s[6:7], exec
	s_brev_b32 s8, -2
.LBB11_259:                             ; =>This Inner Loop Header: Depth=1
	s_ff1_i32_b64 s9, s[6:7]
	v_readlane_b32 s12, v1, s9
	s_lshl_b64 s[10:11], 1, s9
	s_min_i32 s8, s8, s12
	s_andn2_b64 s[6:7], s[6:7], s[10:11]
	s_cmp_lg_u64 s[6:7], 0
	s_cbranch_scc1 .LBB11_259
; %bb.260:
	v_mbcnt_lo_u32_b32 v0, exec_lo, 0
	v_mbcnt_hi_u32_b32 v0, exec_hi, v0
	v_cmp_eq_u32_e32 vcc, 0, v0
	s_and_saveexec_b64 s[6:7], vcc
	s_xor_b64 s[6:7], exec, s[6:7]
; %bb.261:
	v_mov_b32_e32 v0, 0
	v_mov_b32_e32 v1, s8
	ds_min_i32 v0, v1 offset:4108
.LBB11_262:
	s_or_b64 exec, exec, s[4:5]
	s_waitcnt lgkmcnt(0)
	s_barrier
	s_and_saveexec_b64 s[4:5], s[18:19]
	s_cbranch_execz .LBB11_264
; %bb.263:
	v_readlane_b32 s6, v50, 0
	s_mul_i32 s6, s6, s62
	s_add_i32 s7, s6, s65
	v_readlane_b32 s6, v50, 5
	s_mul_i32 s6, s6, s33
	v_mov_b32_e32 v2, 0
	s_add_i32 s6, s6, s67
	s_ashr_i32 s9, s7, 31
	v_readlane_b32 s10, v50, 1
	ds_read_b32 v0, v2 offset:4108
	v_readlane_b32 s11, v50, 2
	s_add_u32 s8, s10, s7
	s_addc_u32 s9, s11, s9
	s_ashr_i32 s7, s6, 31
	s_lshl_b64 s[6:7], s[6:7], 3
	v_readlane_b32 s10, v50, 3
	v_readlane_b32 s11, v50, 4
	s_add_u32 s6, s10, s6
	s_addc_u32 s7, s11, s7
	s_waitcnt lgkmcnt(0)
	v_ashrrev_i32_e32 v1, 31, v0
	global_store_dwordx2 v2, v[0:1], s[6:7]
	global_store_byte v2, v34, s[8:9]
.LBB11_264:
	s_or_b64 exec, exec, s[4:5]
.LBB11_265:
	s_or_saveexec_b64 s[2:3], s[2:3]
	s_mov_b64 s[4:5], 0
	s_xor_b64 exec, exec, s[2:3]
	s_cbranch_execnz .LBB11_268
.LBB11_266:
	s_or_b64 exec, exec, s[2:3]
	s_and_b64 s[2:3], s[4:5], exec
	s_andn2_saveexec_b64 s[0:1], s[0:1]
	s_cbranch_execz .LBB11_244
.LBB11_267:
	s_or_b64 s[2:3], s[2:3], exec
	s_trap 2
	s_or_b64 exec, exec, s[0:1]
	s_and_saveexec_b64 s[0:1], s[2:3]
	s_cbranch_execnz .LBB11_245
	s_branch .LBB11_246
.LBB11_268:
	s_mov_b64 s[4:5], exec
	s_trap 2
	s_branch .LBB11_266
	.section	.rodata,"a",@progbits
	.p2align	6, 0x0
	.amdhsa_kernel _ZN2at6native12_GLOBAL__N_114gatherKthValueIaiLin1EEEvNS_4cuda6detail10TensorInfoIKT_T0_EES8_S8_S8_S8_NS5_IS6_S8_EENS5_IlS8_EE
		.amdhsa_group_segment_fixed_size 4112
		.amdhsa_private_segment_fixed_size 0
		.amdhsa_kernarg_size 920
		.amdhsa_user_sgpr_count 2
		.amdhsa_user_sgpr_dispatch_ptr 0
		.amdhsa_user_sgpr_queue_ptr 0
		.amdhsa_user_sgpr_kernarg_segment_ptr 1
		.amdhsa_user_sgpr_dispatch_id 0
		.amdhsa_user_sgpr_kernarg_preload_length 0
		.amdhsa_user_sgpr_kernarg_preload_offset 0
		.amdhsa_user_sgpr_private_segment_size 0
		.amdhsa_uses_dynamic_stack 0
		.amdhsa_enable_private_segment 0
		.amdhsa_system_sgpr_workgroup_id_x 1
		.amdhsa_system_sgpr_workgroup_id_y 1
		.amdhsa_system_sgpr_workgroup_id_z 1
		.amdhsa_system_sgpr_workgroup_info 0
		.amdhsa_system_vgpr_workitem_id 0
		.amdhsa_next_free_vgpr 51
		.amdhsa_next_free_sgpr 100
		.amdhsa_accum_offset 52
		.amdhsa_reserve_vcc 1
		.amdhsa_float_round_mode_32 0
		.amdhsa_float_round_mode_16_64 0
		.amdhsa_float_denorm_mode_32 3
		.amdhsa_float_denorm_mode_16_64 3
		.amdhsa_dx10_clamp 1
		.amdhsa_ieee_mode 1
		.amdhsa_fp16_overflow 0
		.amdhsa_tg_split 0
		.amdhsa_exception_fp_ieee_invalid_op 0
		.amdhsa_exception_fp_denorm_src 0
		.amdhsa_exception_fp_ieee_div_zero 0
		.amdhsa_exception_fp_ieee_overflow 0
		.amdhsa_exception_fp_ieee_underflow 0
		.amdhsa_exception_fp_ieee_inexact 0
		.amdhsa_exception_int_div_zero 0
	.end_amdhsa_kernel
	.section	.text._ZN2at6native12_GLOBAL__N_114gatherKthValueIaiLin1EEEvNS_4cuda6detail10TensorInfoIKT_T0_EES8_S8_S8_S8_NS5_IS6_S8_EENS5_IlS8_EE,"axG",@progbits,_ZN2at6native12_GLOBAL__N_114gatherKthValueIaiLin1EEEvNS_4cuda6detail10TensorInfoIKT_T0_EES8_S8_S8_S8_NS5_IS6_S8_EENS5_IlS8_EE,comdat
.Lfunc_end11:
	.size	_ZN2at6native12_GLOBAL__N_114gatherKthValueIaiLin1EEEvNS_4cuda6detail10TensorInfoIKT_T0_EES8_S8_S8_S8_NS5_IS6_S8_EENS5_IlS8_EE, .Lfunc_end11-_ZN2at6native12_GLOBAL__N_114gatherKthValueIaiLin1EEEvNS_4cuda6detail10TensorInfoIKT_T0_EES8_S8_S8_S8_NS5_IS6_S8_EENS5_IlS8_EE
                                        ; -- End function
	.set _ZN2at6native12_GLOBAL__N_114gatherKthValueIaiLin1EEEvNS_4cuda6detail10TensorInfoIKT_T0_EES8_S8_S8_S8_NS5_IS6_S8_EENS5_IlS8_EE.num_vgpr, 51
	.set _ZN2at6native12_GLOBAL__N_114gatherKthValueIaiLin1EEEvNS_4cuda6detail10TensorInfoIKT_T0_EES8_S8_S8_S8_NS5_IS6_S8_EENS5_IlS8_EE.num_agpr, 0
	.set _ZN2at6native12_GLOBAL__N_114gatherKthValueIaiLin1EEEvNS_4cuda6detail10TensorInfoIKT_T0_EES8_S8_S8_S8_NS5_IS6_S8_EENS5_IlS8_EE.numbered_sgpr, 100
	.set _ZN2at6native12_GLOBAL__N_114gatherKthValueIaiLin1EEEvNS_4cuda6detail10TensorInfoIKT_T0_EES8_S8_S8_S8_NS5_IS6_S8_EENS5_IlS8_EE.num_named_barrier, 0
	.set _ZN2at6native12_GLOBAL__N_114gatherKthValueIaiLin1EEEvNS_4cuda6detail10TensorInfoIKT_T0_EES8_S8_S8_S8_NS5_IS6_S8_EENS5_IlS8_EE.private_seg_size, 0
	.set _ZN2at6native12_GLOBAL__N_114gatherKthValueIaiLin1EEEvNS_4cuda6detail10TensorInfoIKT_T0_EES8_S8_S8_S8_NS5_IS6_S8_EENS5_IlS8_EE.uses_vcc, 1
	.set _ZN2at6native12_GLOBAL__N_114gatherKthValueIaiLin1EEEvNS_4cuda6detail10TensorInfoIKT_T0_EES8_S8_S8_S8_NS5_IS6_S8_EENS5_IlS8_EE.uses_flat_scratch, 0
	.set _ZN2at6native12_GLOBAL__N_114gatherKthValueIaiLin1EEEvNS_4cuda6detail10TensorInfoIKT_T0_EES8_S8_S8_S8_NS5_IS6_S8_EENS5_IlS8_EE.has_dyn_sized_stack, 0
	.set _ZN2at6native12_GLOBAL__N_114gatherKthValueIaiLin1EEEvNS_4cuda6detail10TensorInfoIKT_T0_EES8_S8_S8_S8_NS5_IS6_S8_EENS5_IlS8_EE.has_recursion, 0
	.set _ZN2at6native12_GLOBAL__N_114gatherKthValueIaiLin1EEEvNS_4cuda6detail10TensorInfoIKT_T0_EES8_S8_S8_S8_NS5_IS6_S8_EENS5_IlS8_EE.has_indirect_call, 0
	.section	.AMDGPU.csdata,"",@progbits
; Kernel info:
; codeLenInByte = 9868
; TotalNumSgprs: 106
; NumVgprs: 51
; NumAgprs: 0
; TotalNumVgprs: 51
; ScratchSize: 0
; MemoryBound: 0
; FloatMode: 240
; IeeeMode: 1
; LDSByteSize: 4112 bytes/workgroup (compile time only)
; SGPRBlocks: 13
; VGPRBlocks: 6
; NumSGPRsForWavesPerEU: 106
; NumVGPRsForWavesPerEU: 51
; AccumOffset: 52
; Occupancy: 7
; WaveLimiterHint : 1
; COMPUTE_PGM_RSRC2:SCRATCH_EN: 0
; COMPUTE_PGM_RSRC2:USER_SGPR: 2
; COMPUTE_PGM_RSRC2:TRAP_HANDLER: 0
; COMPUTE_PGM_RSRC2:TGID_X_EN: 1
; COMPUTE_PGM_RSRC2:TGID_Y_EN: 1
; COMPUTE_PGM_RSRC2:TGID_Z_EN: 1
; COMPUTE_PGM_RSRC2:TIDIG_COMP_CNT: 0
; COMPUTE_PGM_RSRC3_GFX90A:ACCUM_OFFSET: 12
; COMPUTE_PGM_RSRC3_GFX90A:TG_SPLIT: 0
	.section	.text._ZN2at6native12_GLOBAL__N_114gatherKthValueIalLi1EEEvNS_4cuda6detail10TensorInfoIKT_T0_EES8_S8_S8_S8_NS5_IS6_S8_EENS5_IlS8_EE,"axG",@progbits,_ZN2at6native12_GLOBAL__N_114gatherKthValueIalLi1EEEvNS_4cuda6detail10TensorInfoIKT_T0_EES8_S8_S8_S8_NS5_IS6_S8_EENS5_IlS8_EE,comdat
	.globl	_ZN2at6native12_GLOBAL__N_114gatherKthValueIalLi1EEEvNS_4cuda6detail10TensorInfoIKT_T0_EES8_S8_S8_S8_NS5_IS6_S8_EENS5_IlS8_EE ; -- Begin function _ZN2at6native12_GLOBAL__N_114gatherKthValueIalLi1EEEvNS_4cuda6detail10TensorInfoIKT_T0_EES8_S8_S8_S8_NS5_IS6_S8_EENS5_IlS8_EE
	.p2align	8
	.type	_ZN2at6native12_GLOBAL__N_114gatherKthValueIalLi1EEEvNS_4cuda6detail10TensorInfoIKT_T0_EES8_S8_S8_S8_NS5_IS6_S8_EENS5_IlS8_EE,@function
_ZN2at6native12_GLOBAL__N_114gatherKthValueIalLi1EEEvNS_4cuda6detail10TensorInfoIKT_T0_EES8_S8_S8_S8_NS5_IS6_S8_EENS5_IlS8_EE: ; @_ZN2at6native12_GLOBAL__N_114gatherKthValueIalLi1EEEvNS_4cuda6detail10TensorInfoIKT_T0_EES8_S8_S8_S8_NS5_IS6_S8_EENS5_IlS8_EE
; %bb.0:
	s_load_dwordx2 s[10:11], s[0:1], 0x500
	s_load_dwordx8 s[56:63], s[0:1], 0x1a0
	s_add_u32 s8, s0, 0x500
	s_addc_u32 s9, s1, 0
	s_mov_b32 s15, 0
	s_waitcnt lgkmcnt(0)
	s_mul_i32 s4, s11, s4
	s_add_i32 s3, s4, s3
	s_mul_i32 s3, s3, s10
	s_add_i32 s14, s3, s2
	v_mov_b64_e32 v[2:3], s[14:15]
	v_cmp_le_i64_e32 vcc, s[60:61], v[2:3]
	s_cbranch_vccnz .LBB12_274
; %bb.1:
	s_load_dwordx2 s[4:5], s[0:1], 0x430
                                        ; implicit-def: $vgpr64 : SGPR spill to VGPR lane
	v_cmp_eq_u32_e64 s[12:13], 0, v0
	s_waitcnt lgkmcnt(0)
	v_writelane_b32 v64, s4, 0
	s_nop 1
	v_writelane_b32 v64, s5, 1
	s_load_dwordx2 s[4:5], s[0:1], 0x360
	s_waitcnt lgkmcnt(0)
	v_writelane_b32 v64, s4, 2
	s_nop 1
	v_writelane_b32 v64, s5, 3
	s_load_dwordx2 s[4:5], s[0:1], 0x290
	;; [unrolled: 5-line block ×4, first 2 shown]
	s_load_dwordx2 s[4:5], s[0:1], 0x0
	s_mov_b64 s[0:1], exec
	v_writelane_b32 v64, s12, 8
	s_nop 1
	v_writelane_b32 v64, s13, 9
	s_and_b64 s[12:13], s[0:1], s[12:13]
	s_mov_b64 exec, s[12:13]
	s_cbranch_execz .LBB12_3
; %bb.2:
	v_mov_b32_e32 v2, 0
	v_mov_b32_e32 v4, s56
	;; [unrolled: 1-line block ×4, first 2 shown]
	ds_write_b32 v2, v2 offset:5136
	ds_write_b128 v2, v[2:5] offset:5120
.LBB12_3:
	s_or_b64 exec, exec, s[0:1]
	s_waitcnt lgkmcnt(0)
	s_mul_i32 s0, s7, s14
	s_mul_hi_u32 s1, s6, s14
	s_add_i32 s1, s1, s0
	s_mov_b32 s0, s14
	v_writelane_b32 v64, s0, 10
	v_mbcnt_lo_u32_b32 v1, -1, 0
	v_mbcnt_hi_u32_b32 v38, -1, v1
	v_writelane_b32 v64, s1, 11
	s_mul_i32 s0, s6, s14
	s_add_u32 s80, s4, s0
	v_cmp_gt_u32_e32 vcc, 64, v0
	v_cmp_gt_i32_e64 s[6:7], 4, v38
	s_addc_u32 s81, s5, s1
	s_and_b64 s[0:1], vcc, s[6:7]
	v_writelane_b32 v64, s0, 12
	v_mov_b64_e32 v[4:5], 0xc00
	v_mov_b32_e32 v3, 0
	v_writelane_b32 v64, s1, 13
	v_cmp_gt_u32_e64 s[0:1], 2, v0
	v_mov_b64_e32 v[6:7], s[80:81]
	v_mov_b32_e32 v1, v3
	v_writelane_b32 v64, s0, 14
	s_barrier
	s_nop 0
	v_writelane_b32 v64, s1, 15
	v_cmp_gt_i64_e64 s[0:1], s[56:57], v[4:5]
	v_mul_lo_u32 v2, s63, v0
	s_nop 0
	v_writelane_b32 v64, s0, 16
	v_mov_b32_e32 v9, -1
	v_not_b32_e32 v8, v0
	v_writelane_b32 v64, s1, 17
	v_mad_u64_u32 v[4:5], s[0:1], s62, v0, 0
	v_mad_u64_u32 v[12:13], s[0:1], s62, v0, v[6:7]
	v_cmp_gt_i64_e64 s[0:1], s[56:57], v[0:1]
	v_add_u32_e32 v5, v5, v2
	v_add_u32_e32 v13, v2, v13
	v_writelane_b32 v64, s0, 18
	v_lshlrev_b32_e32 v2, 2, v38
	v_and_b32_e32 v39, 0x100, v2
	v_writelane_b32 v64, s1, 19
	s_load_dword s0, s[8:9], 0xc
	v_lshrrev_b32_e32 v2, 1, v0
	v_and_b32_e32 v2, 0x1e0, v2
	v_lshlrev_b64 v[6:7], v38, -1
	v_or_b32_e32 v40, 0xc00, v2
	s_waitcnt lgkmcnt(0)
	s_and_b32 s72, s0, 0xffff
	s_bfe_u32 s0, s0, 0xa0006
	s_cmp_gt_u32 s72, 63
	s_cselect_b64 s[6:7], -1, 0
	v_add_u32_e32 v2, 2, v0
	v_not_b32_e32 v16, v6
	v_writelane_b32 v64, s6, 20
	s_add_u32 s1, s72, -1
	v_mov_b32_e32 v6, s57
	v_cmp_gt_i64_e32 vcc, s[56:57], v[2:3]
	v_not_b32_e32 v17, v7
	v_writelane_b32 v64, s7, 21
	s_addc_u32 s3, 0, -1
	v_cndmask_b32_e32 v7, 0, v6, vcc
	v_mov_b32_e32 v6, s56
	v_writelane_b32 v64, s1, 22
	s_add_u32 s1, s1, s56
	v_cndmask_b32_e32 v6, v2, v6, vcc
	v_writelane_b32 v64, s1, 23
	s_addc_u32 s55, s3, s57
	v_lshl_add_u64 v[6:7], v[6:7], 0, v[8:9]
	v_writelane_b32 v64, s3, 24
	s_cmp_lt_u32 s2, s10
	v_cmp_lt_u64_e64 s[2:3], 3, v[6:7]
	s_cselect_b32 s1, 12, 18
	v_and_b32_e32 v18, -4, v6
	v_writelane_b32 v64, s2, 25
	v_mov_b32_e32 v19, v7
	s_add_u32 s76, s8, s1
	v_writelane_b32 v64, s3, 26
	v_cmp_ne_u64_e64 s[2:3], v[6:7], v[18:19]
	s_addc_u32 s77, s9, 0
	s_add_i32 s1, s0, -1
	v_writelane_b32 v64, s2, 27
	s_and_b32 s1, s1, 0xffff
	v_lshlrev_b32_e32 v14, 2, v0
	v_writelane_b32 v64, s3, 28
	s_bfe_u32 s2, s72, 0x30006
	s_cmp_gt_u32 s1, 6
	s_cselect_b64 s[6:7], -1, 0
	v_writelane_b32 v64, s6, 29
	s_and_b32 s87, s0, 0x3f8
	s_cmp_lg_u32 s2, 0
	v_writelane_b32 v64, s7, 30
	v_writelane_b32 v64, s2, 31
	s_cselect_b64 s[0:1], -1, 0
	v_writelane_b32 v64, s0, 32
	v_or_b32_e32 v6, 3, v14
	s_mul_i32 s74, s62, s72
	v_writelane_b32 v64, s1, 33
	v_mad_u64_u32 v[22:23], s[0:1], s62, v6, 0
	v_mov_b32_e32 v2, v23
	v_mad_u64_u32 v[6:7], s[0:1], s63, v6, v[2:3]
	v_mov_b32_e32 v23, v6
	v_or_b32_e32 v6, 2, v14
	v_mad_u64_u32 v[24:25], s[0:1], s62, v6, 0
	v_mov_b32_e32 v2, v25
	v_mad_u64_u32 v[6:7], s[0:1], s63, v6, v[2:3]
	v_mov_b32_e32 v25, v6
	v_mov_b64_e32 v[6:7], s[62:63]
	v_mad_u64_u32 v[26:27], s[0:1], s62, v14, v[6:7]
	v_mov_b32_e32 v2, v27
	v_mad_u64_u32 v[6:7], s[0:1], s63, v14, v[2:3]
	s_mul_i32 s0, s63, s72
	s_mul_hi_u32 s1, s62, s72
	s_add_i32 s75, s1, s0
	v_writelane_b32 v64, s74, 34
	s_mov_b32 s82, s62
	s_mov_b32 s83, s63
	v_writelane_b32 v64, s75, 35
	v_writelane_b32 v64, s76, 36
	s_mov_b32 s33, s62
	s_mov_b32 s86, s63
	v_writelane_b32 v64, s77, 37
	v_writelane_b32 v64, s82, 38
	;; [unrolled: 1-line block ×4, first 2 shown]
	s_mov_b32 s79, 0
	s_mov_b32 s49, s62
	v_mov_b32_e32 v2, 0xc00
	v_writelane_b32 v64, s86, 41
	v_cmp_eq_u32_e64 s[4:5], 0, v38
	v_mov_b32_e32 v15, v3
	s_mov_b32 s73, s79
	v_lshl_add_u64 v[20:21], v[18:19], 0, v[0:1]
	s_mov_b32 s88, s63
	s_mov_b32 s89, s62
	;; [unrolled: 1-line block ×4, first 2 shown]
	s_lshl_b64 s[92:93], s[62:63], 2
	v_mov_b32_e32 v27, v6
	v_lshlrev_b64 v[28:29], 2, v[4:5]
	v_lshl_add_u64 v[30:31], s[56:57], 0, v[0:1]
	v_lshl_or_b32 v41, v38, 3, v2
	s_mov_b64 s[94:95], 0
	v_mov_b64_e32 v[32:33], s[58:59]
	s_movk_i32 s85, 0x80
	s_mov_b32 s51, 0xc0c0004
	v_mov_b64_e32 v[48:49], s[56:57]
	v_mov_b32_e32 v43, 8
	v_mov_b32_e32 v45, 0
	s_mov_b32 s65, 0
	v_mov_b32_e32 v42, 0
	v_mov_b32_e32 v44, 0
	v_writelane_b32 v64, s49, 42
                                        ; implicit-def: $sgpr58_sgpr59
                                        ; implicit-def: $sgpr98_sgpr99
                                        ; implicit-def: $sgpr96_sgpr97
                                        ; implicit-def: $sgpr60_sgpr61
                                        ; implicit-def: $sgpr66_sgpr67
                                        ; implicit-def: $sgpr68_sgpr69
	v_writelane_b32 v64, s50, 43
	s_branch .LBB12_7
.LBB12_4:                               ;   in Loop: Header=BB12_7 Depth=1
	s_or_b64 exec, exec, s[10:11]
	s_and_b64 s[6:7], s[6:7], exec
	s_andn2_b64 s[24:25], s[24:25], exec
	s_andn2_b64 s[2:3], s[2:3], exec
	s_orn2_b64 s[18:19], s[8:9], exec
.LBB12_5:                               ;   in Loop: Header=BB12_7 Depth=1
	s_or_b64 exec, exec, s[0:1]
	s_andn2_b64 s[0:1], s[68:69], exec
	s_and_b64 s[6:7], s[6:7], exec
	s_or_b64 s[68:69], s[0:1], s[6:7]
	s_andn2_b64 s[0:1], s[66:67], exec
	s_and_b64 s[6:7], s[24:25], exec
	s_or_b64 s[66:67], s[0:1], s[6:7]
	;; [unrolled: 3-line block ×3, first 2 shown]
	s_orn2_b64 s[2:3], s[18:19], exec
.LBB12_6:                               ;   in Loop: Header=BB12_7 Depth=1
	s_or_b64 exec, exec, s[16:17]
	s_and_b64 s[0:1], exec, s[2:3]
	s_or_b64 s[94:95], s[0:1], s[94:95]
	s_andn2_b64 s[0:1], s[96:97], exec
	s_and_b64 s[2:3], s[68:69], exec
	s_or_b64 s[96:97], s[0:1], s[2:3]
	s_andn2_b64 s[0:1], s[98:99], exec
	s_and_b64 s[2:3], s[66:67], exec
	;; [unrolled: 3-line block ×3, first 2 shown]
	s_or_b64 s[58:59], s[0:1], s[2:3]
	v_mov_b64_e32 v[32:33], v[8:9]
	s_andn2_b64 exec, exec, s[94:95]
	s_cbranch_execz .LBB12_270
.LBB12_7:                               ; =>This Loop Header: Depth=1
                                        ;     Child Loop BB12_12 Depth 2
                                        ;     Child Loop BB12_26 Depth 2
                                        ;     Child Loop BB12_30 Depth 2
                                        ;     Child Loop BB12_65 Depth 2
                                        ;     Child Loop BB12_69 Depth 2
                                        ;     Child Loop BB12_54 Depth 2
                                        ;     Child Loop BB12_59 Depth 2
                                        ;     Child Loop BB12_47 Depth 2
                                        ;     Child Loop BB12_79 Depth 2
                                        ;     Child Loop BB12_92 Depth 2
                                        ;     Child Loop BB12_106 Depth 2
                                        ;     Child Loop BB12_135 Depth 2
                                        ;     Child Loop BB12_151 Depth 2
                                        ;     Child Loop BB12_181 Depth 2
                                        ;     Child Loop BB12_197 Depth 2
                                        ;     Child Loop BB12_226 Depth 2
                                        ;     Child Loop BB12_242 Depth 2
	ds_read_b128 v[4:7], v3 offset:5120
	s_waitcnt lgkmcnt(0)
	v_readfirstlane_b32 s71, v5
	v_readfirstlane_b32 s70, v4
	s_nop 1
	v_cmp_gt_i64_e64 s[0:1], s[70:71], 0
	s_and_b64 vcc, exec, s[0:1]
	s_cbranch_vccnz .LBB12_39
; %bb.8:                                ;   in Loop: Header=BB12_7 Depth=1
	v_readlane_b32 s0, v64, 16
	v_readlane_b32 s1, v64, 17
	s_and_b64 vcc, exec, s[0:1]
	s_cbranch_vccz .LBB12_20
; %bb.9:                                ;   in Loop: Header=BB12_7 Depth=1
	s_mov_b64 s[0:1], 0xc01
	v_cmp_gt_i64_e32 vcc, s[0:1], v[6:7]
	s_mov_b64 s[0:1], 0
	s_mov_b64 s[2:3], 0
	s_cbranch_vccz .LBB12_21
; %bb.10:                               ;   in Loop: Header=BB12_7 Depth=1
	global_load_ushort v6, v3, s[76:77]
	global_load_ubyte v8, v[12:13], off
	v_mov_b64_e32 v[4:5], s[80:81]
	s_mov_b64 s[6:7], 0
	s_waitcnt vmcnt(1)
	v_and_b32_e32 v2, 0xffff, v6
	v_readfirstlane_b32 s2, v6
	v_lshl_add_u64 v[6:7], v[0:1], 0, v[2:3]
	s_and_b32 s8, 0xffff, s2
	v_mad_u64_u32 v[4:5], s[2:3], s62, v6, v[4:5]
	v_mul_lo_u32 v7, s62, v7
	v_mul_lo_u32 v9, s63, v6
	s_mul_i32 s2, s63, s8
	s_mul_hi_u32 s3, s62, s8
	s_mul_i32 s8, s62, s8
	v_add3_u32 v5, v9, v5, v7
	s_add_i32 s9, s3, s2
	v_mov_b64_e32 v[6:7], v[0:1]
	s_branch .LBB12_12
.LBB12_11:                              ;   in Loop: Header=BB12_12 Depth=2
	s_or_b64 exec, exec, s[2:3]
	v_lshl_add_u64 v[4:5], v[4:5], 0, s[8:9]
	v_mov_b32_e32 v8, v9
	s_andn2_b64 exec, exec, s[6:7]
	s_cbranch_execz .LBB12_73
.LBB12_12:                              ;   Parent Loop BB12_7 Depth=1
                                        ; =>  This Inner Loop Header: Depth=2
	v_lshl_add_u64 v[6:7], v[6:7], 0, v[2:3]
	v_cmp_gt_i64_e64 s[2:3], s[56:57], v[6:7]
	v_cmp_le_i64_e32 vcc, s[56:57], v[6:7]
	s_waitcnt lgkmcnt(0)
	v_mov_b32_e32 v10, 0
	v_mov_b32_e32 v9, 0
	s_and_saveexec_b64 s[10:11], s[2:3]
	s_cbranch_execz .LBB12_14
; %bb.13:                               ;   in Loop: Header=BB12_12 Depth=2
	global_load_ubyte v9, v[4:5], off
.LBB12_14:                              ;   in Loop: Header=BB12_12 Depth=2
	s_or_b64 exec, exec, s[10:11]
	s_waitcnt vmcnt(0)
	v_add_u32_sdwa v11, sext(v8), s85 dst_sel:DWORD dst_unused:UNUSED_PAD src0_sel:BYTE_0 src1_sel:DWORD
	v_and_b32_e32 v11, v11, v44
	v_cmp_eq_u32_e64 s[14:15], v11, v42
	s_cmp_lg_u64 s[14:15], 0
	s_cselect_b64 s[2:3], -1, 0
	s_and_b64 s[2:3], s[4:5], s[2:3]
	s_and_saveexec_b64 s[10:11], s[2:3]
	s_cbranch_execz .LBB12_18
; %bb.15:                               ;   in Loop: Header=BB12_12 Depth=2
	s_mov_b64 s[16:17], exec
	v_mbcnt_lo_u32_b32 v10, s16, 0
	v_mbcnt_hi_u32_b32 v10, s17, v10
	s_bcnt1_i32_b64 s18, s[14:15]
	v_cmp_eq_u32_e64 s[2:3], 0, v10
                                        ; implicit-def: $vgpr11
	s_and_saveexec_b64 s[12:13], s[2:3]
; %bb.16:                               ;   in Loop: Header=BB12_12 Depth=2
	s_bcnt1_i32_b64 s2, s[16:17]
	s_mul_i32 s2, s18, s2
	v_mov_b32_e32 v11, s2
	ds_add_rtn_u32 v11, v3, v11 offset:5136
; %bb.17:                               ;   in Loop: Header=BB12_12 Depth=2
	s_or_b64 exec, exec, s[12:13]
	s_waitcnt lgkmcnt(0)
	v_readfirstlane_b32 s2, v11
	s_nop 1
	v_mov_b32_e32 v11, s2
	v_mad_u32_u24 v10, s18, v10, v11
.LBB12_18:                              ;   in Loop: Header=BB12_12 Depth=2
	s_or_b64 exec, exec, s[10:11]
	ds_bpermute_b32 v10, v39, v10
	s_and_b64 s[2:3], exec, vcc
	s_or_b64 s[6:7], s[2:3], s[6:7]
	s_and_saveexec_b64 s[2:3], s[14:15]
	s_cbranch_execz .LBB12_11
; %bb.19:                               ;   in Loop: Header=BB12_12 Depth=2
	v_and_b32_e32 v34, s14, v16
	v_and_b32_e32 v11, s15, v17
	v_bcnt_u32_b32 v34, v34, 0
	v_bcnt_u32_b32 v11, v11, v34
	s_waitcnt lgkmcnt(0)
	v_add_u32_e32 v10, v10, v11
	ds_write_b8 v10, v8
	s_branch .LBB12_11
.LBB12_20:                              ;   in Loop: Header=BB12_7 Depth=1
	s_mov_b64 s[0:1], -1
	s_mov_b64 s[2:3], 0
.LBB12_21:                              ;   in Loop: Header=BB12_7 Depth=1
	s_and_b64 vcc, exec, s[0:1]
	s_cbranch_vccz .LBB12_37
.LBB12_22:                              ;   in Loop: Header=BB12_7 Depth=1
	s_mov_b64 s[0:1], exec
	v_readlane_b32 s2, v64, 18
	v_readlane_b32 s3, v64, 19
	s_and_b64 s[2:3], s[0:1], s[2:3]
	s_mov_b64 exec, s[2:3]
	s_cbranch_execz .LBB12_34
; %bb.23:                               ;   in Loop: Header=BB12_7 Depth=1
	global_load_ushort v2, v3, s[76:77]
	global_load_ubyte v36, v[12:13], off
	v_mov_b32_e32 v8, v0
	s_waitcnt vmcnt(1)
	v_readfirstlane_b32 s6, v2
	v_add_u32_sdwa v2, v2, v0 dst_sel:DWORD dst_unused:UNUSED_PAD src0_sel:WORD_0 src1_sel:DWORD
	v_cmp_gt_i64_e32 vcc, s[56:57], v[2:3]
	s_and_saveexec_b64 s[2:3], vcc
	s_cbranch_execz .LBB12_33
; %bb.24:                               ;   in Loop: Header=BB12_7 Depth=1
	s_and_b32 s78, s6, 0xffff
	s_cmp_eq_u32 s78, 1
	v_readlane_b32 s8, v64, 25
	s_cselect_b64 s[6:7], -1, 0
	v_readlane_b32 s9, v64, 26
	s_and_b64 s[10:11], s[8:9], s[6:7]
	s_mov_b64 s[8:9], -1
	v_mov_b64_e32 v[6:7], v[0:1]
	v_mov_b64_e32 v[4:5], v[2:3]
                                        ; implicit-def: $vgpr8_vgpr9
	s_and_saveexec_b64 s[6:7], s[10:11]
	s_cbranch_execz .LBB12_28
; %bb.25:                               ;   in Loop: Header=BB12_7 Depth=1
	v_lshl_add_u64 v[8:9], v[2:3], 0, 3
	v_lshl_add_u64 v[6:7], v[2:3], 0, 2
	;; [unrolled: 1-line block ×3, first 2 shown]
	v_mov_b64_e32 v[10:11], v[8:9]
	s_waitcnt vmcnt(0)
	v_lshlrev_b32_e32 v46, 24, v36
	s_mov_b64 s[8:9], 0
	v_mov_b64_e32 v[34:35], v[18:19]
	v_mov_b32_e32 v37, v0
	v_mov_b64_e32 v[8:9], v[6:7]
	v_mov_b64_e32 v[6:7], v[4:5]
	;; [unrolled: 1-line block ×3, first 2 shown]
	s_mov_b64 s[12:13], s[80:81]
.LBB12_26:                              ;   Parent Loop BB12_7 Depth=1
                                        ; =>  This Inner Loop Header: Depth=2
	v_mov_b64_e32 v[50:51], s[12:13]
	v_mul_lo_u32 v62, v10, s50
	v_mul_lo_u32 v63, v11, s49
	v_mad_u64_u32 v[52:53], s[10:11], v4, s82, v[50:51]
	v_mad_u64_u32 v[54:55], s[10:11], v6, s33, v[50:51]
	;; [unrolled: 1-line block ×4, first 2 shown]
	v_mul_lo_u32 v36, v4, s83
	v_mul_lo_u32 v47, v5, s82
	;; [unrolled: 1-line block ×6, first 2 shown]
	v_add3_u32 v51, v63, v51, v62
	v_add3_u32 v53, v47, v53, v36
	;; [unrolled: 1-line block ×4, first 2 shown]
	global_load_ubyte v36, v[50:51], off
	global_load_ubyte v47, v[54:55], off
	s_nop 0
	global_load_ubyte v50, v[52:53], off
	global_load_ubyte v51, v[56:57], off
	s_mov_b32 s10, 0xc0c0007
	v_lshl_add_u64 v[34:35], v[34:35], 0, -4
	v_cmp_eq_u64_e32 vcc, 0, v[34:35]
	v_lshl_add_u64 v[10:11], v[10:11], 0, 4
	v_lshl_add_u64 v[8:9], v[8:9], 0, 4
	;; [unrolled: 1-line block ×4, first 2 shown]
	s_or_b64 s[8:9], vcc, s[8:9]
	s_waitcnt vmcnt(1)
	v_perm_b32 v52, v50, v47, s51
	s_waitcnt vmcnt(0)
	v_perm_b32 v53, v51, v36, s51
	v_perm_b32 v47, v47, v51, s51
	v_perm_b32 v46, v46, v50, s10
	v_lshl_or_b32 v50, v53, 16, v52
	v_lshl_or_b32 v46, v47, 16, v46
	ds_write_b32 v37, v46
	v_add_u32_e32 v37, 4, v37
	v_mov_b32_e32 v46, v50
	s_andn2_b64 exec, exec, s[8:9]
	s_cbranch_execnz .LBB12_26
; %bb.27:                               ;   in Loop: Header=BB12_7 Depth=1
	s_or_b64 exec, exec, s[8:9]
	v_readlane_b32 s8, v64, 27
	v_lshl_add_u64 v[4:5], v[2:3], 0, v[18:19]
	v_readlane_b32 s9, v64, 28
	v_lshl_add_u64 v[8:9], v[4:5], 0, -1
	s_orn2_b64 s[8:9], s[8:9], exec
	v_mov_b64_e32 v[6:7], v[20:21]
.LBB12_28:                              ;   in Loop: Header=BB12_7 Depth=1
	s_or_b64 exec, exec, s[6:7]
	s_and_saveexec_b64 s[6:7], s[8:9]
	s_cbranch_execz .LBB12_32
; %bb.29:                               ;   in Loop: Header=BB12_7 Depth=1
	v_mov_b64_e32 v[8:9], s[80:81]
	v_mad_u64_u32 v[8:9], s[12:13], s62, v4, v[8:9]
	s_sub_u32 s8, 0, s78
	v_mul_lo_u32 v2, s62, v5
	v_mul_lo_u32 v7, s63, v4
	s_mul_i32 s12, s63, s78
	s_mul_hi_u32 s13, s62, s78
	s_mov_b64 s[10:11], 0
	s_subb_u32 s9, 0, 0
	v_add3_u32 v9, v7, v9, v2
	s_add_i32 s13, s13, s12
	s_mul_i32 s12, s62, s78
.LBB12_30:                              ;   Parent Loop BB12_7 Depth=1
                                        ; =>  This Inner Loop Header: Depth=2
	global_load_ubyte v2, v[8:9], off
	v_mov_b64_e32 v[10:11], v[4:5]
	v_lshl_add_u64 v[4:5], v[10:11], 0, s[78:79]
	v_cmp_le_i64_e32 vcc, s[56:57], v[4:5]
	s_waitcnt vmcnt(1)
	ds_write_b8 v6, v36
	v_lshl_add_u64 v[8:9], v[8:9], 0, s[12:13]
	v_mov_b64_e32 v[6:7], v[10:11]
	s_or_b64 s[10:11], vcc, s[10:11]
	s_waitcnt vmcnt(0)
	v_mov_b32_e32 v36, v2
	s_andn2_b64 exec, exec, s[10:11]
	s_cbranch_execnz .LBB12_30
; %bb.31:                               ;   in Loop: Header=BB12_7 Depth=1
	s_or_b64 exec, exec, s[10:11]
	v_lshl_add_u64 v[8:9], s[8:9], 0, v[4:5]
	v_mov_b32_e32 v36, v2
.LBB12_32:                              ;   in Loop: Header=BB12_7 Depth=1
	s_or_b64 exec, exec, s[6:7]
.LBB12_33:                              ;   in Loop: Header=BB12_7 Depth=1
	s_or_b64 exec, exec, s[2:3]
	s_waitcnt vmcnt(0)
	ds_write_b8 v8, v36
.LBB12_34:                              ;   in Loop: Header=BB12_7 Depth=1
	s_or_b64 exec, exec, s[0:1]
	s_waitcnt lgkmcnt(0)
	s_barrier
	s_mov_b64 s[0:1], exec
	v_readlane_b32 s2, v64, 8
	v_readlane_b32 s3, v64, 9
	s_and_b64 s[2:3], s[0:1], s[2:3]
	s_mov_b64 exec, s[2:3]
; %bb.35:                               ;   in Loop: Header=BB12_7 Depth=1
	ds_write_b64 v3, v[48:49] offset:5120
; %bb.36:                               ;   in Loop: Header=BB12_7 Depth=1
	s_or_b64 exec, exec, s[0:1]
	s_mov_b64 s[2:3], -1
	s_waitcnt lgkmcnt(0)
	s_barrier
.LBB12_37:                              ;   in Loop: Header=BB12_7 Depth=1
	s_and_b64 vcc, exec, s[2:3]
	s_cbranch_vccz .LBB12_39
; %bb.38:                               ;   in Loop: Header=BB12_7 Depth=1
	ds_read_b64 v[4:5], v3 offset:5120
	s_waitcnt lgkmcnt(0)
	v_readfirstlane_b32 s70, v4
.LBB12_39:                              ;   in Loop: Header=BB12_7 Depth=1
	s_cmp_lt_i32 s70, 1
	s_mov_b64 s[0:1], -1
                                        ; implicit-def: $vgpr10_vgpr11
                                        ; implicit-def: $vgpr6_vgpr7
	s_cbranch_scc1 .LBB12_49
; %bb.40:                               ;   in Loop: Header=BB12_7 Depth=1
	s_and_b64 vcc, exec, s[0:1]
	s_cbranch_vccnz .LBB12_63
.LBB12_41:                              ;   in Loop: Header=BB12_7 Depth=1
	s_lshl_b32 s2, s65, 6
	s_and_saveexec_b64 s[0:1], s[4:5]
	s_cbranch_execz .LBB12_43
.LBB12_42:                              ;   in Loop: Header=BB12_7 Depth=1
	v_lshl_add_u32 v2, s2, 3, v40
	ds_write_b128 v2, v[4:7]
	ds_write_b128 v2, v[8:11] offset:16
.LBB12_43:                              ;   in Loop: Header=BB12_7 Depth=1
	s_or_b64 exec, exec, s[0:1]
	s_waitcnt lgkmcnt(0)
	s_barrier
	s_mov_b64 s[0:1], exec
	v_readlane_b32 s6, v64, 12
	v_readlane_b32 s7, v64, 13
	s_and_b64 s[6:7], s[0:1], s[6:7]
	s_mov_b64 exec, s[6:7]
	s_cbranch_execz .LBB12_81
; %bb.44:                               ;   in Loop: Header=BB12_7 Depth=1
	v_readlane_b32 s6, v64, 20
	v_readlane_b32 s7, v64, 21
	s_andn2_b64 vcc, exec, s[6:7]
	v_mov_b64_e32 v[4:5], 0
	s_cbranch_vccnz .LBB12_80
; %bb.45:                               ;   in Loop: Header=BB12_7 Depth=1
	v_readlane_b32 s6, v64, 29
	v_readlane_b32 s7, v64, 30
	s_andn2_b64 vcc, exec, s[6:7]
	s_cbranch_vccnz .LBB12_76
; %bb.46:                               ;   in Loop: Header=BB12_7 Depth=1
	v_lshl_add_u32 v2, s65, 9, v41
	v_mov_b64_e32 v[4:5], 0
	s_mov_b32 s3, 0
.LBB12_47:                              ;   Parent Loop BB12_7 Depth=1
                                        ; =>  This Inner Loop Header: Depth=2
	ds_read2_b64 v[6:9], v2 offset1:4
	ds_read2_b64 v[34:37], v2 offset0:8 offset1:12
	ds_read2_b64 v[50:53], v2 offset0:16 offset1:20
	;; [unrolled: 1-line block ×3, first 2 shown]
	s_add_i32 s3, s3, 8
	s_waitcnt lgkmcnt(3)
	v_lshl_add_u64 v[4:5], v[6:7], 0, v[4:5]
	v_lshl_add_u64 v[4:5], v[8:9], 0, v[4:5]
	s_waitcnt lgkmcnt(2)
	v_lshl_add_u64 v[4:5], v[34:35], 0, v[4:5]
	v_lshl_add_u64 v[4:5], v[36:37], 0, v[4:5]
	;; [unrolled: 3-line block ×3, first 2 shown]
	s_waitcnt lgkmcnt(0)
	v_lshl_add_u64 v[4:5], v[54:55], 0, v[4:5]
	v_add_u32_e32 v2, 0x100, v2
	s_cmp_eq_u32 s87, s3
	v_lshl_add_u64 v[4:5], v[56:57], 0, v[4:5]
	s_cbranch_scc0 .LBB12_47
; %bb.48:                               ;   in Loop: Header=BB12_7 Depth=1
	s_mov_b32 s3, s87
	s_branch .LBB12_77
.LBB12_49:                              ;   in Loop: Header=BB12_7 Depth=1
	global_load_ushort v2, v3, s[76:77]
	s_mov_b32 s0, s79
	s_waitcnt vmcnt(0)
	v_readfirstlane_b32 s1, v2
	s_and_b32 s12, s1, 0xffff
	s_lshl_b32 s78, s12, 2
	s_mov_b32 s1, s57
	s_cmp_lg_u64 s[0:1], 0
	s_cbranch_scc0 .LBB12_72
; %bb.50:                               ;   in Loop: Header=BB12_7 Depth=1
	s_add_u32 s0, s78, 0
	s_addc_u32 s1, 0, 0
	s_xor_b64 s[0:1], s[0:1], 0
	v_cvt_f32_u32_e32 v2, s0
	v_cvt_f32_u32_e32 v4, s1
	s_sub_u32 s6, 0, s0
	s_subb_u32 s7, 0, s1
	v_fmac_f32_e32 v2, 0x4f800000, v4
	v_rcp_f32_e32 v2, v2
	s_nop 0
	v_mul_f32_e32 v2, 0x5f7ffffc, v2
	v_mul_f32_e32 v4, 0x2f800000, v2
	v_trunc_f32_e32 v4, v4
	v_fmac_f32_e32 v2, 0xcf800000, v4
	v_cvt_u32_f32_e32 v4, v4
	v_cvt_u32_f32_e32 v2, v2
	v_readfirstlane_b32 s8, v4
	v_readfirstlane_b32 s2, v2
	s_mul_i32 s3, s6, s8
	s_mul_hi_u32 s10, s6, s2
	s_mul_i32 s9, s7, s2
	s_add_i32 s3, s10, s3
	s_mul_i32 s11, s6, s2
	s_add_i32 s3, s3, s9
	s_mul_i32 s10, s2, s3
	s_mul_hi_u32 s13, s2, s11
	s_mul_hi_u32 s9, s2, s3
	s_add_u32 s10, s13, s10
	s_addc_u32 s9, 0, s9
	s_mul_hi_u32 s14, s8, s11
	s_mul_i32 s11, s8, s11
	s_add_u32 s10, s10, s11
	s_mul_hi_u32 s13, s8, s3
	s_addc_u32 s9, s9, s14
	s_addc_u32 s10, s13, 0
	s_mul_i32 s3, s8, s3
	s_add_u32 s3, s9, s3
	s_addc_u32 s9, 0, s10
	s_add_u32 s10, s2, s3
	s_cselect_b64 s[2:3], -1, 0
	s_cmp_lg_u64 s[2:3], 0
	s_addc_u32 s8, s8, s9
	s_mul_i32 s2, s6, s8
	s_mul_hi_u32 s3, s6, s10
	s_add_i32 s2, s3, s2
	s_mul_i32 s7, s7, s10
	s_add_i32 s2, s2, s7
	s_mul_i32 s6, s6, s10
	s_mul_hi_u32 s7, s8, s6
	s_mul_i32 s9, s8, s6
	s_mul_i32 s13, s10, s2
	s_mul_hi_u32 s6, s10, s6
	s_mul_hi_u32 s11, s10, s2
	s_add_u32 s6, s6, s13
	s_addc_u32 s11, 0, s11
	s_add_u32 s6, s6, s9
	s_mul_hi_u32 s3, s8, s2
	s_addc_u32 s6, s11, s7
	s_addc_u32 s3, s3, 0
	s_mul_i32 s2, s8, s2
	s_add_u32 s2, s6, s2
	s_addc_u32 s6, 0, s3
	s_add_u32 s9, s10, s2
	s_cselect_b64 s[2:3], -1, 0
	s_cmp_lg_u64 s[2:3], 0
	s_addc_u32 s8, s8, s6
	s_ashr_i32 s2, s57, 31
	s_add_u32 s6, s56, s2
	s_mov_b32 s3, s2
	s_addc_u32 s7, s57, s2
	s_xor_b64 s[6:7], s[6:7], s[2:3]
	s_mul_i32 s11, s6, s8
	s_mul_hi_u32 s13, s6, s9
	s_mul_hi_u32 s10, s6, s8
	s_add_u32 s11, s13, s11
	s_addc_u32 s10, 0, s10
	s_mul_hi_u32 s14, s7, s9
	s_mul_i32 s9, s7, s9
	s_add_u32 s9, s11, s9
	s_mul_hi_u32 s13, s7, s8
	s_addc_u32 s9, s10, s14
	s_addc_u32 s10, s13, 0
	s_mul_i32 s8, s7, s8
	s_add_u32 s8, s9, s8
	s_addc_u32 s9, 0, s10
	s_mul_i32 s9, s0, s9
	s_mul_hi_u32 s10, s0, s8
	s_add_i32 s9, s10, s9
	s_mul_i32 s10, s1, s8
	s_add_i32 s13, s9, s10
	s_sub_i32 s10, s7, s13
	s_mul_i32 s8, s0, s8
	s_sub_u32 s6, s6, s8
	s_cselect_b64 s[8:9], -1, 0
	s_cmp_lg_u64 s[8:9], 0
	s_subb_u32 s14, s10, s1
	s_sub_u32 s15, s6, s0
	s_cselect_b64 s[10:11], -1, 0
	s_cmp_lg_u64 s[10:11], 0
	s_subb_u32 s16, s14, 0
	s_cmp_ge_u32 s16, s1
	s_cselect_b32 s17, -1, 0
	s_cmp_ge_u32 s15, s0
	s_cselect_b32 s18, -1, 0
	s_cmp_eq_u32 s16, s1
	s_cselect_b32 s17, s18, s17
	s_cmp_lg_u64 s[10:11], 0
	s_subb_u32 s14, s14, s1
	s_sub_u32 s18, s15, s0
	s_cselect_b64 s[10:11], -1, 0
	s_cmp_lg_u64 s[10:11], 0
	s_subb_u32 s10, s14, 0
	s_cmp_lg_u32 s17, 0
	s_cselect_b32 s11, s18, s15
	s_cselect_b32 s10, s10, s16
	s_cmp_lg_u64 s[8:9], 0
	s_subb_u32 s7, s7, s13
	s_cmp_ge_u32 s7, s1
	s_cselect_b32 s8, -1, 0
	s_cmp_ge_u32 s6, s0
	s_cselect_b32 s0, -1, 0
	s_cmp_eq_u32 s7, s1
	s_cselect_b32 s0, s0, s8
	s_cmp_lg_u32 s0, 0
	s_cselect_b32 s1, s10, s7
	s_cselect_b32 s0, s11, s6
	s_xor_b64 s[0:1], s[0:1], s[2:3]
	s_sub_u32 s10, s0, s2
	s_subb_u32 s11, s1, s2
	s_mov_b32 s86, s89
	s_mov_b32 s33, s88
	s_cbranch_execnz .LBB12_52
.LBB12_51:                              ;   in Loop: Header=BB12_7 Depth=1
	v_cvt_f32_u32_e32 v2, s78
	s_sub_i32 s0, 0, s78
	s_mov_b32 s11, s79
	v_rcp_iflag_f32_e32 v2, v2
	s_nop 0
	v_mul_f32_e32 v2, 0x4f7ffffe, v2
	v_cvt_u32_f32_e32 v2, v2
	s_nop 0
	v_readfirstlane_b32 s1, v2
	s_mul_i32 s0, s0, s1
	s_mul_hi_u32 s0, s1, s0
	s_add_i32 s1, s1, s0
	s_mul_hi_u32 s0, s56, s1
	s_mul_i32 s0, s0, s78
	s_sub_i32 s0, s56, s0
	s_sub_i32 s1, s0, s78
	s_cmp_ge_u32 s0, s78
	s_cselect_b32 s0, s1, s0
	s_sub_i32 s1, s0, s78
	s_cmp_ge_u32 s0, s78
	s_cselect_b32 s10, s1, s0
.LBB12_52:                              ;   in Loop: Header=BB12_7 Depth=1
	s_sub_u32 s88, s56, s10
	s_subb_u32 s89, s57, s11
	s_mov_b32 s13, s79
	v_cmp_gt_i64_e32 vcc, s[88:89], v[14:15]
	v_mov_b64_e32 v[4:5], 0
	v_mov_b64_e32 v[6:7], 0
	;; [unrolled: 1-line block ×4, first 2 shown]
	s_and_saveexec_b64 s[90:91], vcc
	s_cbranch_execz .LBB12_56
; %bb.53:                               ;   in Loop: Header=BB12_7 Depth=1
	s_mul_i32 s0, s93, s12
	s_mul_hi_u32 s1, s92, s12
	s_mov_b32 s75, s55
	s_add_i32 s71, s1, s0
	s_mov_b64 s[30:31], 0
	s_mov_b64 s[76:77], s[80:81]
	;; [unrolled: 1-line block ×6, first 2 shown]
	v_mov_b64_e32 v[34:35], v[14:15]
.LBB12_54:                              ;   Parent Loop BB12_7 Depth=1
                                        ; =>  This Inner Loop Header: Depth=2
	v_lshl_add_u64 v[4:5], s[76:77], 0, v[28:29]
	v_lshl_add_u64 v[6:7], s[76:77], 0, v[26:27]
	;; [unrolled: 1-line block ×4, first 2 shown]
	global_load_sbyte v2, v[4:5], off
	s_nop 0
	global_load_sbyte v4, v[6:7], off
	global_load_sbyte v5, v[8:9], off
	s_nop 0
	global_load_sbyte v6, v[10:11], off
	s_mul_i32 s64, s92, s12
	v_lshl_add_u64 v[34:35], v[34:35], 0, s[78:79]
	v_cmp_le_i64_e32 vcc, s[88:89], v[34:35]
	s_waitcnt vmcnt(3)
	v_add_u32_e32 v2, 0x80, v2
	s_waitcnt vmcnt(2)
	v_add_u32_e32 v4, 0x80, v4
	v_and_b32_e32 v7, v2, v44
	v_bfe_u32 v2, v2, s84, 2
	s_waitcnt vmcnt(1)
	v_add_u32_e32 v5, 0x80, v5
	v_and_b32_e32 v8, v4, v44
	v_bfe_u32 v4, v4, s84, 2
	v_cmp_eq_u32_e64 s[2:3], v7, v42
	v_cmp_eq_u32_e64 s[20:21], 0, v2
	s_waitcnt vmcnt(0)
	v_add_u32_e32 v6, 0x80, v6
	v_and_b32_e32 v9, v5, v44
	v_bfe_u32 v5, v5, s84, 2
	v_cmp_eq_u32_e64 s[14:15], v8, v42
	v_cmp_eq_u32_e64 s[22:23], 0, v4
	s_and_b64 s[20:21], s[2:3], s[20:21]
	v_and_b32_e32 v10, v6, v44
	v_bfe_u32 v6, v6, s84, 2
	v_cmp_eq_u32_e64 s[16:17], v9, v42
	v_cmp_eq_u32_e64 s[24:25], 0, v5
	;; [unrolled: 1-line block ×5, first 2 shown]
	v_cndmask_b32_e64 v2, 0, 1, s[20:21]
	s_and_b64 s[20:21], s[14:15], s[22:23]
	v_cmp_eq_u32_e64 s[18:19], v10, v42
	v_cmp_eq_u32_e64 s[26:27], 0, v6
	;; [unrolled: 1-line block ×5, first 2 shown]
	v_cndmask_b32_e64 v4, 0, 1, s[20:21]
	s_and_b64 s[20:21], s[16:17], s[24:25]
	v_cmp_eq_u32_e64 s[36:37], 1, v5
	v_cmp_eq_u32_e64 s[44:45], 2, v5
	;; [unrolled: 1-line block ×3, first 2 shown]
	v_cndmask_b32_e64 v5, 0, 1, s[20:21]
	s_and_b64 s[20:21], s[18:19], s[26:27]
	v_cmp_eq_u32_e64 s[38:39], 1, v6
	v_cmp_eq_u32_e64 s[46:47], 2, v6
	;; [unrolled: 1-line block ×3, first 2 shown]
	v_cndmask_b32_e64 v6, 0, 1, s[20:21]
	v_cmp_ne_u32_e64 s[20:21], 0, v2
	v_cmp_ne_u32_e64 s[22:23], 0, v4
	v_cmp_ne_u32_e64 s[24:25], 0, v5
	v_cmp_ne_u32_e64 s[26:27], 0, v6
	s_bcnt1_i32_b64 s20, s[20:21]
	s_bcnt1_i32_b64 s21, s[22:23]
	s_bcnt1_i32_b64 s22, s[24:25]
	s_bcnt1_i32_b64 s23, s[26:27]
	s_add_u32 s6, s20, s6
	s_addc_u32 s7, 0, s7
	s_add_u32 s6, s6, s21
	s_addc_u32 s7, s7, 0
	s_add_u32 s6, s6, s22
	s_addc_u32 s7, s7, 0
	s_add_u32 s6, s6, s23
	s_addc_u32 s7, s7, 0
	s_and_b64 s[20:21], s[2:3], s[28:29]
	v_cndmask_b32_e64 v2, 0, 1, s[20:21]
	s_and_b64 s[20:21], s[14:15], s[34:35]
	v_cndmask_b32_e64 v6, 0, 1, s[20:21]
	s_and_b64 s[20:21], s[16:17], s[36:37]
	v_cndmask_b32_e64 v7, 0, 1, s[20:21]
	s_and_b64 s[20:21], s[18:19], s[38:39]
	v_cndmask_b32_e64 v8, 0, 1, s[20:21]
	v_cmp_ne_u32_e64 s[20:21], 0, v2
	v_cmp_ne_u32_e64 s[22:23], 0, v6
	v_cmp_ne_u32_e64 s[24:25], 0, v7
	v_cmp_ne_u32_e64 s[26:27], 0, v8
	s_bcnt1_i32_b64 s20, s[20:21]
	s_bcnt1_i32_b64 s21, s[22:23]
	s_bcnt1_i32_b64 s22, s[24:25]
	s_bcnt1_i32_b64 s23, s[26:27]
	s_add_u32 s20, s20, s82
	s_addc_u32 s24, 0, s83
	s_add_u32 s20, s20, s21
	s_addc_u32 s21, s24, 0
	s_add_u32 s20, s20, s22
	s_addc_u32 s21, s21, 0
	s_add_u32 s82, s20, s23
	s_addc_u32 s83, s21, 0
	s_and_b64 s[20:21], s[2:3], s[40:41]
	v_cndmask_b32_e64 v2, 0, 1, s[20:21]
	s_and_b64 s[20:21], s[14:15], s[42:43]
	v_cndmask_b32_e64 v8, 0, 1, s[20:21]
	s_and_b64 s[20:21], s[16:17], s[44:45]
	v_cndmask_b32_e64 v9, 0, 1, s[20:21]
	s_and_b64 s[20:21], s[18:19], s[46:47]
	;; [unrolled: 24-line block ×3, first 2 shown]
	v_cndmask_b32_e64 v36, 0, 1, s[2:3]
	v_cmp_ne_u32_e64 s[2:3], 0, v2
	v_cmp_ne_u32_e64 s[14:15], 0, v10
	;; [unrolled: 1-line block ×4, first 2 shown]
	s_bcnt1_i32_b64 s2, s[2:3]
	s_bcnt1_i32_b64 s3, s[14:15]
	;; [unrolled: 1-line block ×4, first 2 shown]
	s_add_u32 s0, s2, s0
	s_addc_u32 s1, 0, s1
	s_add_u32 s0, s0, s3
	s_addc_u32 s1, s1, 0
	s_add_u32 s0, s0, s14
	s_addc_u32 s1, s1, 0
	s_add_u32 s0, s0, s15
	s_addc_u32 s1, s1, 0
	s_add_u32 s76, s76, s64
	s_addc_u32 s77, s77, s71
	v_mov_b64_e32 v[4:5], s[6:7]
	v_mov_b64_e32 v[6:7], s[82:83]
	;; [unrolled: 1-line block ×3, first 2 shown]
	s_or_b64 s[30:31], vcc, s[30:31]
	v_mov_b64_e32 v[10:11], s[0:1]
	s_andn2_b64 exec, exec, s[30:31]
	s_cbranch_execnz .LBB12_54
; %bb.55:                               ;   in Loop: Header=BB12_7 Depth=1
	s_or_b64 exec, exec, s[30:31]
	s_mov_b32 s55, s75
	v_readlane_b32 s74, v64, 34
	v_readlane_b32 s76, v64, 36
	;; [unrolled: 1-line block ×8, first 2 shown]
	s_mov_b32 s51, 0xc0c0004
.LBB12_56:                              ;   in Loop: Header=BB12_7 Depth=1
	s_or_b64 exec, exec, s[90:91]
	v_lshl_add_u64 v[34:35], s[88:89], 0, v[0:1]
	v_cmp_gt_i64_e32 vcc, s[56:57], v[34:35]
	s_and_saveexec_b64 s[0:1], vcc
	s_mov_b32 s88, s33
	v_readlane_b32 s33, v64, 40
	s_mov_b32 s89, s86
	v_readlane_b32 s86, v64, 41
	s_cbranch_execz .LBB12_62
; %bb.57:                               ;   in Loop: Header=BB12_7 Depth=1
	v_mov_b64_e32 v[36:37], s[80:81]
	v_mad_u64_u32 v[46:47], s[2:3], v34, s62, v[36:37]
	v_mul_lo_u32 v2, v34, s63
	v_mul_lo_u32 v50, v35, s62
	v_add3_u32 v47, v50, v47, v2
	global_load_ubyte v2, v[46:47], off
	v_lshl_add_u64 v[46:47], v[30:31], 0, s[12:13]
	v_mov_b32_e32 v50, s11
	v_subrev_co_u32_e32 v46, vcc, s10, v46
	v_mad_u64_u32 v[36:37], s[2:3], s62, v46, v[36:37]
	s_nop 0
	v_subb_co_u32_e32 v47, vcc, v47, v50, vcc
	v_mul_lo_u32 v47, s62, v47
	v_mul_lo_u32 v50, s63, v46
	s_mul_i32 s2, s63, s12
	s_mul_hi_u32 s3, s62, s12
	v_add3_u32 v37, v50, v37, v47
	s_add_i32 s7, s3, s2
	s_mul_i32 s6, s62, s12
	s_mov_b64 s[8:9], 0
	s_branch .LBB12_59
.LBB12_58:                              ;   in Loop: Header=BB12_59 Depth=2
	s_or_b64 exec, exec, s[10:11]
	s_waitcnt vmcnt(0)
	v_add_u32_sdwa v2, sext(v2), s85 dst_sel:DWORD dst_unused:UNUSED_PAD src0_sel:BYTE_0 src1_sel:DWORD
	s_and_b64 s[2:3], exec, vcc
	v_and_b32_e32 v47, v2, v44
	v_bfe_u32 v2, v2, s84, 2
	s_or_b64 s[8:9], s[2:3], s[8:9]
	v_cmp_eq_u32_e32 vcc, v47, v42
	v_cmp_eq_u32_e64 s[2:3], 0, v2
	s_and_b64 s[2:3], vcc, s[2:3]
	v_lshl_add_u64 v[36:37], v[36:37], 0, s[6:7]
	v_cndmask_b32_e64 v47, 0, 1, s[2:3]
	v_cmp_ne_u32_e64 s[2:3], 0, v47
	s_bcnt1_i32_b64 s78, s[2:3]
	v_cmp_eq_u32_e64 s[2:3], 1, v2
	s_and_b64 s[2:3], vcc, s[2:3]
	v_lshl_add_u64 v[4:5], s[78:79], 0, v[4:5]
	v_cndmask_b32_e64 v47, 0, 1, s[2:3]
	v_cmp_ne_u32_e64 s[2:3], 0, v47
	s_bcnt1_i32_b64 s78, s[2:3]
	v_cmp_eq_u32_e64 s[2:3], 2, v2
	s_and_b64 s[2:3], vcc, s[2:3]
	v_lshl_add_u64 v[6:7], s[78:79], 0, v[6:7]
	v_cndmask_b32_e64 v47, 0, 1, s[2:3]
	v_cmp_ne_u32_e64 s[2:3], 0, v47
	s_bcnt1_i32_b64 s78, s[2:3]
	v_cmp_eq_u32_e64 s[2:3], 3, v2
	s_and_b64 s[2:3], vcc, s[2:3]
	v_lshl_add_u64 v[8:9], s[78:79], 0, v[8:9]
	v_cndmask_b32_e64 v2, 0, 1, s[2:3]
	v_cmp_ne_u32_e32 vcc, 0, v2
	s_bcnt1_i32_b64 s78, vcc
	v_lshl_add_u64 v[10:11], s[78:79], 0, v[10:11]
	v_mov_b32_e32 v2, v46
	s_andn2_b64 exec, exec, s[8:9]
	s_cbranch_execz .LBB12_61
.LBB12_59:                              ;   Parent Loop BB12_7 Depth=1
                                        ; =>  This Inner Loop Header: Depth=2
	v_lshl_add_u64 v[34:35], v[34:35], 0, s[12:13]
	v_cmp_gt_i64_e64 s[2:3], s[56:57], v[34:35]
	v_cmp_le_i64_e32 vcc, s[56:57], v[34:35]
	v_mov_b32_e32 v46, 0
	s_and_saveexec_b64 s[10:11], s[2:3]
	s_cbranch_execz .LBB12_58
; %bb.60:                               ;   in Loop: Header=BB12_59 Depth=2
	global_load_ubyte v46, v[36:37], off
	s_branch .LBB12_58
.LBB12_61:                              ;   in Loop: Header=BB12_7 Depth=1
	s_or_b64 exec, exec, s[8:9]
.LBB12_62:                              ;   in Loop: Header=BB12_7 Depth=1
	s_or_b64 exec, exec, s[0:1]
	s_branch .LBB12_41
.LBB12_63:                              ;   in Loop: Header=BB12_7 Depth=1
	global_load_ushort v2, v3, s[76:77]
	v_mov_b64_e32 v[8:9], 0
	s_waitcnt vmcnt(0)
	v_readfirstlane_b32 s0, v2
	s_and_b32 s71, 0xffff, s0
	s_lshl_b32 s78, s71, 2
	v_cvt_f32_u32_e32 v4, s78
	s_sub_i32 s0, 0, s78
	v_rcp_iflag_f32_e32 v6, v4
	v_mov_b64_e32 v[4:5], 0
	v_mul_f32_e32 v6, 0x4f7ffffe, v6
	v_cvt_u32_f32_e32 v10, v6
	v_mov_b64_e32 v[6:7], 0
	v_readfirstlane_b32 s1, v10
	s_mul_i32 s0, s0, s1
	s_mul_hi_u32 s0, s1, s0
	s_add_i32 s1, s1, s0
	s_mul_hi_u32 s0, s70, s1
	s_mul_i32 s1, s0, s78
	s_sub_i32 s1, s70, s1
	s_add_i32 s2, s0, 1
	s_sub_i32 s3, s1, s78
	s_cmp_ge_u32 s1, s78
	s_cselect_b32 s0, s2, s0
	s_cselect_b32 s1, s3, s1
	s_add_i32 s2, s0, 1
	s_cmp_ge_u32 s1, s78
	s_cselect_b32 s0, s2, s0
	s_mul_hi_u32 s1, s71, s0
	s_mul_i32 s0, s71, s0
	s_lshl_b64 s[6:7], s[0:1], 2
	v_cmp_gt_u64_e32 vcc, s[6:7], v[14:15]
	v_mov_b64_e32 v[10:11], 0
	s_and_saveexec_b64 s[8:9], vcc
	s_cbranch_execz .LBB12_67
; %bb.64:                               ;   in Loop: Header=BB12_7 Depth=1
	s_mov_b32 s75, s55
	s_mov_b64 s[10:11], 0
	v_mov_b32_e32 v36, v14
	s_mov_b64 s[12:13], 0
	s_mov_b64 s[30:31], 0
	;; [unrolled: 1-line block ×4, first 2 shown]
	v_mov_b64_e32 v[34:35], v[14:15]
.LBB12_65:                              ;   Parent Loop BB12_7 Depth=1
                                        ; =>  This Inner Loop Header: Depth=2
	ds_read_b32 v4, v36
	v_lshl_add_u64 v[34:35], v[34:35], 0, s[78:79]
	v_cmp_le_u64_e32 vcc, s[6:7], v[34:35]
	v_add_u32_e32 v36, s78, v36
	s_waitcnt lgkmcnt(0)
	v_add_u32_sdwa v5, sext(v4), s85 dst_sel:DWORD dst_unused:UNUSED_PAD src0_sel:BYTE_0 src1_sel:DWORD
	v_add_u32_sdwa v6, sext(v4), s85 dst_sel:DWORD dst_unused:UNUSED_PAD src0_sel:BYTE_1 src1_sel:DWORD
	v_and_b32_e32 v8, v5, v44
	v_bfe_u32 v5, v5, s84, 2
	v_add_u32_sdwa v7, sext(v4), s85 dst_sel:DWORD dst_unused:UNUSED_PAD src0_sel:BYTE_2 src1_sel:DWORD
	v_add_u32_sdwa v4, sext(v4), s85 dst_sel:DWORD dst_unused:UNUSED_PAD src0_sel:BYTE_3 src1_sel:DWORD
	v_and_b32_e32 v9, v6, v44
	v_bfe_u32 v6, v6, s84, 2
	v_cmp_eq_u32_e64 s[20:21], v8, v42
	v_cmp_eq_u32_e64 s[2:3], 0, v5
	v_and_b32_e32 v10, v7, v44
	v_and_b32_e32 v11, v4, v44
	v_bfe_u32 v7, v7, s84, 2
	v_bfe_u32 v4, v4, s84, 2
	v_cmp_eq_u32_e64 s[18:19], v9, v42
	v_cmp_eq_u32_e64 s[34:35], 0, v6
	s_and_b64 s[2:3], s[20:21], s[2:3]
	v_cmp_eq_u32_e64 s[16:17], v10, v42
	v_cmp_eq_u32_e64 s[36:37], 0, v7
	;; [unrolled: 1-line block ×6, first 2 shown]
	v_cndmask_b32_e64 v4, 0, 1, s[2:3]
	s_and_b64 s[2:3], s[18:19], s[34:35]
	v_cmp_eq_u32_e64 s[14:15], v11, v42
	v_cmp_eq_u32_e64 s[40:41], 1, v5
	;; [unrolled: 1-line block ×4, first 2 shown]
	v_cndmask_b32_e64 v5, 0, 1, s[2:3]
	s_and_b64 s[2:3], s[16:17], s[36:37]
	v_cmp_eq_u32_e64 s[42:43], 1, v6
	v_cmp_eq_u32_e64 s[50:51], 2, v6
	;; [unrolled: 1-line block ×3, first 2 shown]
	v_cndmask_b32_e64 v6, 0, 1, s[2:3]
	s_and_b64 s[2:3], s[14:15], s[38:39]
	v_cmp_eq_u32_e64 s[44:45], 1, v7
	v_cmp_eq_u32_e64 s[52:53], 2, v7
	;; [unrolled: 1-line block ×3, first 2 shown]
	v_cndmask_b32_e64 v7, 0, 1, s[2:3]
	v_cmp_ne_u32_e64 s[2:3], 0, v4
	v_cmp_ne_u32_e64 s[34:35], 0, v5
	v_cmp_ne_u32_e64 s[36:37], 0, v6
	v_cmp_ne_u32_e64 s[38:39], 0, v7
	s_bcnt1_i32_b64 s1, s[2:3]
	s_bcnt1_i32_b64 s2, s[34:35]
	s_bcnt1_i32_b64 s3, s[36:37]
	s_bcnt1_i32_b64 s34, s[38:39]
	s_add_u32 s1, s1, s82
	s_addc_u32 s35, 0, s83
	s_add_u32 s1, s1, s2
	s_addc_u32 s2, s35, 0
	s_add_u32 s1, s1, s3
	s_addc_u32 s2, s2, 0
	s_add_u32 s82, s1, s34
	s_addc_u32 s83, s2, 0
	s_and_b64 s[2:3], s[20:21], s[40:41]
	v_cndmask_b32_e64 v6, 0, 1, s[2:3]
	s_and_b64 s[2:3], s[18:19], s[42:43]
	v_cndmask_b32_e64 v7, 0, 1, s[2:3]
	s_and_b64 s[2:3], s[16:17], s[44:45]
	v_cndmask_b32_e64 v8, 0, 1, s[2:3]
	s_and_b64 s[2:3], s[14:15], s[46:47]
	v_cndmask_b32_e64 v9, 0, 1, s[2:3]
	v_cmp_ne_u32_e64 s[2:3], 0, v6
	v_cmp_ne_u32_e64 s[34:35], 0, v7
	v_cmp_ne_u32_e64 s[36:37], 0, v8
	v_cmp_ne_u32_e64 s[38:39], 0, v9
	s_bcnt1_i32_b64 s1, s[2:3]
	s_bcnt1_i32_b64 s2, s[34:35]
	s_bcnt1_i32_b64 s3, s[36:37]
	s_bcnt1_i32_b64 s34, s[38:39]
	s_add_u32 s1, s1, s76
	s_addc_u32 s35, 0, s77
	s_add_u32 s1, s1, s2
	s_addc_u32 s2, s35, 0
	s_add_u32 s1, s1, s3
	s_addc_u32 s2, s2, 0
	s_add_u32 s76, s1, s34
	s_addc_u32 s77, s2, 0
	s_and_b64 s[2:3], s[20:21], s[48:49]
	v_cndmask_b32_e64 v8, 0, 1, s[2:3]
	s_and_b64 s[2:3], s[18:19], s[50:51]
	v_cndmask_b32_e64 v9, 0, 1, s[2:3]
	s_and_b64 s[2:3], s[16:17], s[52:53]
	v_cndmask_b32_e64 v10, 0, 1, s[2:3]
	s_and_b64 s[2:3], s[14:15], s[54:55]
	;; [unrolled: 24-line block ×3, first 2 shown]
	v_cndmask_b32_e64 v46, 0, 1, s[2:3]
	v_cmp_ne_u32_e64 s[2:3], 0, v10
	v_cmp_ne_u32_e64 s[14:15], 0, v11
	;; [unrolled: 1-line block ×4, first 2 shown]
	s_bcnt1_i32_b64 s1, s[2:3]
	s_bcnt1_i32_b64 s2, s[14:15]
	;; [unrolled: 1-line block ×4, first 2 shown]
	s_add_u32 s1, s1, s12
	s_addc_u32 s12, 0, s13
	s_add_u32 s1, s1, s2
	s_addc_u32 s2, s12, 0
	s_add_u32 s1, s1, s3
	s_addc_u32 s2, s2, 0
	s_add_u32 s12, s1, s14
	s_addc_u32 s13, s2, 0
	v_mov_b64_e32 v[4:5], s[82:83]
	v_mov_b64_e32 v[6:7], s[76:77]
	;; [unrolled: 1-line block ×3, first 2 shown]
	s_or_b64 s[10:11], vcc, s[10:11]
	v_mov_b64_e32 v[10:11], s[12:13]
	s_andn2_b64 exec, exec, s[10:11]
	s_cbranch_execnz .LBB12_65
; %bb.66:                               ;   in Loop: Header=BB12_7 Depth=1
	s_or_b64 exec, exec, s[10:11]
	s_mov_b32 s55, s75
	v_readlane_b32 s74, v64, 34
	v_readlane_b32 s76, v64, 36
	;; [unrolled: 1-line block ×8, first 2 shown]
	s_mov_b32 s51, 0xc0c0004
.LBB12_67:                              ;   in Loop: Header=BB12_7 Depth=1
	s_or_b64 exec, exec, s[8:9]
	s_and_b32 s8, s70, 0x7fffffff
	s_mov_b32 s9, s79
	v_lshl_add_u64 v[34:35], s[6:7], 0, v[0:1]
	v_and_b32_e32 v2, 0xffff, v2
	v_cmp_gt_u64_e32 vcc, s[8:9], v[34:35]
	s_and_saveexec_b64 s[6:7], vcc
	s_cbranch_execz .LBB12_71
; %bb.68:                               ;   in Loop: Header=BB12_7 Depth=1
	v_lshl_add_u32 v36, s0, 2, v0
	s_mov_b64 s[0:1], 0
.LBB12_69:                              ;   Parent Loop BB12_7 Depth=1
                                        ; =>  This Inner Loop Header: Depth=2
	ds_read_i8 v37, v36
	v_lshl_add_u64 v[34:35], v[34:35], 0, v[2:3]
	v_cmp_le_u64_e32 vcc, s[8:9], v[34:35]
	v_add_u32_e32 v36, s71, v36
	s_waitcnt lgkmcnt(0)
	v_add_u32_e32 v37, 0x80, v37
	v_and_b32_e32 v46, v37, v44
	v_bfe_u32 v37, v37, s84, 2
	v_cmp_eq_u32_e64 s[2:3], v46, v42
	v_cmp_eq_u32_e64 s[14:15], 0, v37
	;; [unrolled: 1-line block ×3, first 2 shown]
	s_and_b64 s[10:11], s[2:3], s[14:15]
	v_cmp_eq_u32_e64 s[18:19], 2, v37
	v_cmp_eq_u32_e64 s[20:21], 3, v37
	v_cndmask_b32_e64 v37, 0, 1, s[10:11]
	s_and_b64 s[10:11], s[2:3], s[16:17]
	v_cndmask_b32_e64 v46, 0, 1, s[10:11]
	s_and_b64 s[10:11], s[2:3], s[18:19]
	s_and_b64 s[2:3], s[2:3], s[20:21]
	v_cndmask_b32_e64 v50, 0, 1, s[2:3]
	v_cmp_ne_u32_e64 s[2:3], 0, v37
	v_cndmask_b32_e64 v47, 0, 1, s[10:11]
	v_cmp_ne_u32_e64 s[14:15], 0, v46
	s_bcnt1_i32_b64 s78, s[2:3]
	v_cmp_ne_u32_e64 s[16:17], 0, v47
	v_lshl_add_u64 v[4:5], s[78:79], 0, v[4:5]
	s_bcnt1_i32_b64 s78, s[14:15]
	v_cmp_ne_u32_e64 s[18:19], 0, v50
	v_lshl_add_u64 v[6:7], s[78:79], 0, v[6:7]
	s_bcnt1_i32_b64 s78, s[16:17]
	v_lshl_add_u64 v[8:9], s[78:79], 0, v[8:9]
	s_bcnt1_i32_b64 s78, s[18:19]
	s_or_b64 s[0:1], vcc, s[0:1]
	v_lshl_add_u64 v[10:11], s[78:79], 0, v[10:11]
	s_andn2_b64 exec, exec, s[0:1]
	s_cbranch_execnz .LBB12_69
; %bb.70:                               ;   in Loop: Header=BB12_7 Depth=1
	s_or_b64 exec, exec, s[0:1]
.LBB12_71:                              ;   in Loop: Header=BB12_7 Depth=1
	s_or_b64 exec, exec, s[6:7]
	s_lshl_b32 s2, s65, 6
	s_and_saveexec_b64 s[0:1], s[4:5]
	s_cbranch_execnz .LBB12_42
	s_branch .LBB12_43
.LBB12_72:                              ;   in Loop: Header=BB12_7 Depth=1
                                        ; implicit-def: $sgpr10_sgpr11
	s_mov_b32 s86, s89
	s_mov_b32 s33, s88
	s_branch .LBB12_51
.LBB12_73:                              ;   in Loop: Header=BB12_7 Depth=1
	s_or_b64 exec, exec, s[6:7]
	s_waitcnt lgkmcnt(0)
	s_barrier
	s_mov_b64 s[2:3], exec
	v_readlane_b32 s6, v64, 8
	v_readlane_b32 s7, v64, 9
	s_and_b64 s[6:7], s[2:3], s[6:7]
	s_mov_b64 exec, s[6:7]
	s_cbranch_execz .LBB12_75
; %bb.74:                               ;   in Loop: Header=BB12_7 Depth=1
	ds_read_b32 v4, v3 offset:5136
	s_waitcnt lgkmcnt(0)
	v_ashrrev_i32_e32 v5, 31, v4
	ds_write_b64 v3, v[4:5] offset:5120
.LBB12_75:                              ;   in Loop: Header=BB12_7 Depth=1
	s_or_b64 exec, exec, s[2:3]
	s_waitcnt lgkmcnt(0)
	s_barrier
	s_mov_b64 s[2:3], -1
	s_and_b64 vcc, exec, s[0:1]
	s_cbranch_vccnz .LBB12_22
	s_branch .LBB12_37
.LBB12_76:                              ;   in Loop: Header=BB12_7 Depth=1
	s_mov_b32 s3, 0
	v_mov_b64_e32 v[4:5], 0
.LBB12_77:                              ;   in Loop: Header=BB12_7 Depth=1
	v_readlane_b32 s6, v64, 32
	v_readlane_b32 s7, v64, 33
	s_andn2_b64 vcc, exec, s[6:7]
	s_cbranch_vccnz .LBB12_80
; %bb.78:                               ;   in Loop: Header=BB12_7 Depth=1
	s_lshl_b32 s6, s65, 9
	s_lshl_b32 s3, s3, 5
	s_add_i32 s6, s6, s3
	v_add_u32_e32 v2, s6, v41
	v_readlane_b32 s3, v64, 31
.LBB12_79:                              ;   Parent Loop BB12_7 Depth=1
                                        ; =>  This Inner Loop Header: Depth=2
	ds_read_b64 v[6:7], v2
	s_add_i32 s3, s3, -1
	v_add_u32_e32 v2, 32, v2
	s_cmp_lg_u32 s3, 0
	s_waitcnt lgkmcnt(0)
	v_lshl_add_u64 v[4:5], v[6:7], 0, v[4:5]
	s_cbranch_scc1 .LBB12_79
.LBB12_80:                              ;   in Loop: Header=BB12_7 Depth=1
	v_add_lshl_u32 v2, s2, v38, 3
	ds_write_b64 v2, v[4:5] offset:3072
.LBB12_81:                              ;   in Loop: Header=BB12_7 Depth=1
	s_or_b64 exec, exec, s[0:1]
	s_lshl_b32 s0, s2, 3
	v_mov_b32_e32 v2, s0
	s_waitcnt lgkmcnt(0)
	s_barrier
	ds_read_b128 v[8:11], v2 offset:3088
	ds_read_b128 v[4:7], v2 offset:3072
	s_lshl_b32 s52, 3, s84
	v_cmp_eq_u64_e64 s[2:3], 1, v[32:33]
	s_not_b32 s46, s52
	s_waitcnt lgkmcnt(1)
	v_readfirstlane_b32 s22, v8
	s_waitcnt lgkmcnt(0)
	v_cmp_eq_u64_e32 vcc, 1, v[4:5]
	v_readfirstlane_b32 s23, v9
	v_readfirstlane_b32 s14, v10
	;; [unrolled: 1-line block ×3, first 2 shown]
	s_and_b64 s[12:13], vcc, s[2:3]
	s_mov_b64 s[2:3], -1
	s_mov_b64 s[8:9], -1
                                        ; implicit-def: $sgpr6_sgpr7
                                        ; implicit-def: $sgpr0_sgpr1
	s_and_saveexec_b64 s[16:17], s[12:13]
	s_cbranch_execz .LBB12_113
; %bb.82:                               ;   in Loop: Header=BB12_7 Depth=1
	ds_read_b64 v[8:9], v3 offset:5120
	s_waitcnt lgkmcnt(0)
	s_barrier
	v_readfirstlane_b32 s18, v8
	v_readfirstlane_b32 s19, v9
	s_mov_b64 s[0:1], exec
	v_readlane_b32 s6, v64, 14
	v_readlane_b32 s7, v64, 15
	s_and_b64 s[6:7], s[0:1], s[6:7]
	s_mov_b64 exec, s[6:7]
; %bb.83:                               ;   in Loop: Header=BB12_7 Depth=1
	ds_write_b8 v0, v3 offset:3072
; %bb.84:                               ;   in Loop: Header=BB12_7 Depth=1
	s_or_b64 exec, exec, s[0:1]
	v_cmp_lt_i64_e64 s[8:9], s[18:19], 1
	v_and_b32_e32 v42, s46, v42
	v_or_b32_e32 v44, s52, v44
	s_mov_b64 s[0:1], -1
	s_mov_b64 s[6:7], 0
	s_and_b64 vcc, exec, s[8:9]
	s_mov_b64 s[8:9], 0
	s_mov_b64 s[10:11], -1
	s_waitcnt lgkmcnt(0)
	s_barrier
                                        ; implicit-def: $vgpr45
	s_cbranch_vccz .LBB12_98
; %bb.85:                               ;   in Loop: Header=BB12_7 Depth=1
	s_mov_b32 s54, s79
	s_cmp_lg_u64 s[54:55], 0
	s_cbranch_scc0 .LBB12_139
; %bb.86:                               ;   in Loop: Header=BB12_7 Depth=1
	s_add_u32 s8, s72, 0
	s_addc_u32 s9, 0, 0
	s_xor_b64 s[8:9], s[8:9], 0
	v_cvt_f32_u32_e32 v2, s8
	v_cvt_f32_u32_e32 v8, s9
	s_sub_u32 s20, 0, s8
	s_subb_u32 s21, 0, s9
	v_fmac_f32_e32 v2, 0x4f800000, v8
	v_rcp_f32_e32 v2, v2
	s_nop 0
	v_mul_f32_e32 v2, 0x5f7ffffc, v2
	v_mul_f32_e32 v8, 0x2f800000, v2
	v_trunc_f32_e32 v8, v8
	v_fmac_f32_e32 v2, 0xcf800000, v8
	v_cvt_u32_f32_e32 v8, v8
	v_cvt_u32_f32_e32 v2, v2
	v_readfirstlane_b32 s24, v8
	v_readfirstlane_b32 s10, v2
	s_mul_i32 s11, s20, s24
	s_mul_hi_u32 s26, s20, s10
	s_mul_i32 s25, s21, s10
	s_add_i32 s11, s26, s11
	s_mul_i32 s27, s20, s10
	s_add_i32 s11, s11, s25
	s_mul_i32 s26, s10, s11
	s_mul_hi_u32 s28, s10, s27
	s_mul_hi_u32 s25, s10, s11
	s_add_u32 s26, s28, s26
	s_addc_u32 s25, 0, s25
	s_mul_hi_u32 s29, s24, s27
	s_mul_i32 s27, s24, s27
	s_add_u32 s26, s26, s27
	s_mul_hi_u32 s28, s24, s11
	s_addc_u32 s25, s25, s29
	s_addc_u32 s26, s28, 0
	s_mul_i32 s11, s24, s11
	s_add_u32 s11, s25, s11
	s_addc_u32 s25, 0, s26
	s_add_u32 s26, s10, s11
	s_cselect_b64 s[10:11], -1, 0
	s_cmp_lg_u64 s[10:11], 0
	s_addc_u32 s24, s24, s25
	s_mul_i32 s10, s20, s24
	s_mul_hi_u32 s11, s20, s26
	s_add_i32 s10, s11, s10
	s_mul_i32 s21, s21, s26
	s_add_i32 s10, s10, s21
	s_mul_i32 s20, s20, s26
	s_mul_hi_u32 s21, s24, s20
	s_mul_i32 s25, s24, s20
	s_mul_i32 s28, s26, s10
	s_mul_hi_u32 s20, s26, s20
	s_mul_hi_u32 s27, s26, s10
	s_add_u32 s20, s20, s28
	s_addc_u32 s27, 0, s27
	s_add_u32 s20, s20, s25
	s_mul_hi_u32 s11, s24, s10
	s_addc_u32 s20, s27, s21
	s_addc_u32 s11, s11, 0
	s_mul_i32 s10, s24, s10
	s_add_u32 s10, s20, s10
	s_addc_u32 s20, 0, s11
	s_add_u32 s25, s26, s10
	s_cselect_b64 s[10:11], -1, 0
	s_cmp_lg_u64 s[10:11], 0
	s_addc_u32 s24, s24, s20
	s_ashr_i32 s10, s55, 31
	v_readlane_b32 s20, v64, 23
	s_add_u32 s20, s20, s10
	s_mov_b32 s11, s10
	s_addc_u32 s21, s55, s10
	s_xor_b64 s[20:21], s[20:21], s[10:11]
	s_mul_i32 s27, s20, s24
	s_mul_hi_u32 s28, s20, s25
	s_mul_hi_u32 s26, s20, s24
	s_add_u32 s27, s28, s27
	s_addc_u32 s26, 0, s26
	s_mul_hi_u32 s29, s21, s25
	s_mul_i32 s25, s21, s25
	s_add_u32 s25, s27, s25
	s_mul_hi_u32 s28, s21, s24
	s_addc_u32 s25, s26, s29
	s_addc_u32 s26, s28, 0
	s_mul_i32 s24, s21, s24
	s_add_u32 s24, s25, s24
	s_addc_u32 s25, 0, s26
	s_mul_i32 s25, s8, s25
	s_mul_hi_u32 s26, s8, s24
	s_add_i32 s25, s26, s25
	s_mul_i32 s26, s9, s24
	s_add_i32 s28, s25, s26
	s_sub_i32 s26, s21, s28
	s_mul_i32 s24, s8, s24
	s_sub_u32 s20, s20, s24
	s_cselect_b64 s[24:25], -1, 0
	s_cmp_lg_u64 s[24:25], 0
	s_subb_u32 s29, s26, s9
	s_sub_u32 s30, s20, s8
	s_cselect_b64 s[26:27], -1, 0
	s_cmp_lg_u64 s[26:27], 0
	s_subb_u32 s31, s29, 0
	s_cmp_ge_u32 s31, s9
	s_cselect_b32 s34, -1, 0
	s_cmp_ge_u32 s30, s8
	s_cselect_b32 s35, -1, 0
	s_cmp_eq_u32 s31, s9
	s_cselect_b32 s34, s35, s34
	s_cmp_lg_u64 s[26:27], 0
	s_subb_u32 s29, s29, s9
	s_sub_u32 s35, s30, s8
	s_cselect_b64 s[26:27], -1, 0
	s_cmp_lg_u64 s[26:27], 0
	s_subb_u32 s26, s29, 0
	s_cmp_lg_u32 s34, 0
	s_cselect_b32 s27, s35, s30
	s_cselect_b32 s26, s26, s31
	s_cmp_lg_u64 s[24:25], 0
	s_subb_u32 s21, s21, s28
	s_cmp_ge_u32 s21, s9
	s_cselect_b32 s24, -1, 0
	s_cmp_ge_u32 s20, s8
	s_cselect_b32 s8, -1, 0
	s_cmp_eq_u32 s21, s9
	s_cselect_b32 s8, s8, s24
	s_cmp_lg_u32 s8, 0
	s_cselect_b32 s9, s26, s21
	s_cselect_b32 s8, s27, s20
	s_xor_b64 s[8:9], s[8:9], s[10:11]
	s_sub_u32 s8, s8, s10
	s_subb_u32 s9, s9, s10
	s_cbranch_execnz .LBB12_88
.LBB12_87:                              ;   in Loop: Header=BB12_7 Depth=1
	v_cvt_f32_u32_e32 v2, s72
	s_sub_i32 s8, 0, s72
	v_readlane_b32 s10, v64, 23
	v_rcp_iflag_f32_e32 v2, v2
	s_nop 0
	v_mul_f32_e32 v2, 0x4f7ffffe, v2
	v_cvt_u32_f32_e32 v2, v2
	s_nop 0
	v_readfirstlane_b32 s9, v2
	s_mul_i32 s8, s8, s9
	s_mul_hi_u32 s8, s9, s8
	s_add_i32 s9, s9, s8
	s_mul_hi_u32 s8, s10, s9
	s_mul_i32 s8, s8, s72
	s_sub_i32 s8, s10, s8
	s_sub_i32 s9, s8, s72
	s_cmp_ge_u32 s8, s72
	s_cselect_b32 s8, s9, s8
	s_sub_i32 s9, s8, s72
	s_cmp_ge_u32 s8, s72
	s_cselect_b32 s78, s9, s8
	s_mov_b64 s[8:9], s[78:79]
.LBB12_88:                              ;   in Loop: Header=BB12_7 Depth=1
	v_readlane_b32 s10, v64, 23
	s_sub_u32 s24, s10, s8
	s_subb_u32 s25, s55, s9
	v_cmp_gt_i64_e32 vcc, s[24:25], v[0:1]
	s_mov_b64 s[10:11], 0
	s_mov_b64 s[8:9], 0
                                        ; implicit-def: $vgpr45
	s_and_saveexec_b64 s[20:21], vcc
	s_cbranch_execz .LBB12_97
; %bb.89:                               ;   in Loop: Header=BB12_7 Depth=1
	v_mov_b64_e32 v[8:9], v[12:13]
	v_mov_b64_e32 v[10:11], v[0:1]
                                        ; implicit-def: $sgpr26_sgpr27
	s_branch .LBB12_92
.LBB12_90:                              ;   in Loop: Header=BB12_92 Depth=2
	s_or_b64 exec, exec, s[28:29]
	s_waitcnt lgkmcnt(0)
	s_barrier
	ds_read_u16 v2, v3 offset:3072
	s_mov_b64 s[28:29], -1
	s_waitcnt lgkmcnt(0)
	s_barrier
	v_cmp_ne_u32_sdwa s[30:31], v2, v3 src0_sel:BYTE_0 src1_sel:DWORD
	s_and_b64 vcc, exec, s[30:31]
	s_mov_b64 s[30:31], -1
	s_cbranch_vccz .LBB12_95
.LBB12_91:                              ;   in Loop: Header=BB12_92 Depth=2
	s_and_b64 s[28:29], exec, s[28:29]
	s_or_b64 s[8:9], s[28:29], s[8:9]
	s_andn2_b64 s[26:27], s[26:27], exec
	s_and_b64 s[28:29], s[30:31], exec
	s_or_b64 s[26:27], s[26:27], s[28:29]
	s_andn2_b64 exec, exec, s[8:9]
	s_cbranch_execz .LBB12_96
.LBB12_92:                              ;   Parent Loop BB12_7 Depth=1
                                        ; =>  This Inner Loop Header: Depth=2
	v_cmp_gt_i64_e32 vcc, s[56:57], v[10:11]
	s_and_saveexec_b64 s[28:29], vcc
	s_cbranch_execz .LBB12_90
; %bb.93:                               ;   in Loop: Header=BB12_92 Depth=2
	global_load_ubyte v2, v[8:9], off
	s_waitcnt vmcnt(0)
	v_add_u32_sdwa v34, sext(v2), s85 dst_sel:DWORD dst_unused:UNUSED_PAD src0_sel:BYTE_0 src1_sel:DWORD
	v_and_b32_e32 v34, v34, v44
	v_cmp_eq_u32_e32 vcc, v34, v42
	s_and_b64 exec, exec, vcc
	s_cbranch_execz .LBB12_90
; %bb.94:                               ;   in Loop: Header=BB12_92 Depth=2
	v_lshlrev_b16_e32 v2, 8, v2
	v_or_b32_e32 v2, 1, v2
	ds_write_b16 v3, v2 offset:3072
	s_branch .LBB12_90
.LBB12_95:                              ;   in Loop: Header=BB12_92 Depth=2
	v_lshl_add_u64 v[10:11], v[10:11], 0, s[72:73]
	v_cmp_le_i64_e32 vcc, s[24:25], v[10:11]
	v_lshl_add_u64 v[8:9], v[8:9], 0, s[74:75]
	s_mov_b64 s[30:31], 0
	s_orn2_b64 s[28:29], vcc, exec
	s_branch .LBB12_91
.LBB12_96:                              ;   in Loop: Header=BB12_7 Depth=1
	s_or_b64 exec, exec, s[8:9]
	v_lshrrev_b32_sdwa v45, v43, v2 dst_sel:DWORD dst_unused:UNUSED_PAD src0_sel:DWORD src1_sel:WORD_0
	s_and_b64 s[8:9], s[26:27], exec
.LBB12_97:                              ;   in Loop: Header=BB12_7 Depth=1
	s_or_b64 exec, exec, s[20:21]
.LBB12_98:                              ;   in Loop: Header=BB12_7 Depth=1
	s_and_b64 vcc, exec, s[10:11]
	s_cbranch_vccz .LBB12_112
; %bb.99:                               ;   in Loop: Header=BB12_7 Depth=1
	v_readlane_b32 s0, v64, 22
	s_add_u32 s20, s18, s0
	v_readlane_b32 s0, v64, 24
	s_addc_u32 s1, s19, s0
	s_mov_b32 s0, s79
	s_cmp_lg_u64 s[0:1], 0
	s_cbranch_scc0 .LBB12_140
; %bb.100:                              ;   in Loop: Header=BB12_7 Depth=1
	s_add_u32 s6, s72, 0
	s_addc_u32 s7, 0, 0
	s_xor_b64 s[6:7], s[6:7], 0
	v_cvt_f32_u32_e32 v2, s6
	v_cvt_f32_u32_e32 v8, s7
	s_sub_u32 s0, 0, s6
	s_subb_u32 s21, 0, s7
	v_fmac_f32_e32 v2, 0x4f800000, v8
	v_rcp_f32_e32 v2, v2
	s_nop 0
	v_mul_f32_e32 v2, 0x5f7ffffc, v2
	v_mul_f32_e32 v8, 0x2f800000, v2
	v_trunc_f32_e32 v8, v8
	v_fmac_f32_e32 v2, 0xcf800000, v8
	v_cvt_u32_f32_e32 v8, v8
	v_cvt_u32_f32_e32 v2, v2
	v_readfirstlane_b32 s24, v8
	v_readfirstlane_b32 s10, v2
	s_mul_i32 s11, s0, s24
	s_mul_hi_u32 s26, s0, s10
	s_mul_i32 s25, s21, s10
	s_add_i32 s11, s26, s11
	s_mul_i32 s27, s0, s10
	s_add_i32 s11, s11, s25
	s_mul_i32 s26, s10, s11
	s_mul_hi_u32 s28, s10, s27
	s_mul_hi_u32 s25, s10, s11
	s_add_u32 s26, s28, s26
	s_addc_u32 s25, 0, s25
	s_mul_hi_u32 s29, s24, s27
	s_mul_i32 s27, s24, s27
	s_add_u32 s26, s26, s27
	s_mul_hi_u32 s28, s24, s11
	s_addc_u32 s25, s25, s29
	s_addc_u32 s26, s28, 0
	s_mul_i32 s11, s24, s11
	s_add_u32 s11, s25, s11
	s_addc_u32 s25, 0, s26
	s_add_u32 s26, s10, s11
	s_cselect_b64 s[10:11], -1, 0
	s_cmp_lg_u64 s[10:11], 0
	s_addc_u32 s24, s24, s25
	s_mul_i32 s10, s0, s24
	s_mul_hi_u32 s11, s0, s26
	s_add_i32 s10, s11, s10
	s_mul_i32 s21, s21, s26
	s_add_i32 s10, s10, s21
	s_mul_i32 s0, s0, s26
	s_mul_hi_u32 s21, s24, s0
	s_mul_i32 s25, s24, s0
	s_mul_i32 s28, s26, s10
	s_mul_hi_u32 s0, s26, s0
	s_mul_hi_u32 s27, s26, s10
	s_add_u32 s0, s0, s28
	s_addc_u32 s27, 0, s27
	s_add_u32 s0, s0, s25
	s_mul_hi_u32 s11, s24, s10
	s_addc_u32 s0, s27, s21
	s_addc_u32 s11, s11, 0
	s_mul_i32 s10, s24, s10
	s_add_u32 s0, s0, s10
	s_addc_u32 s21, 0, s11
	s_add_u32 s0, s26, s0
	s_cselect_b64 s[10:11], -1, 0
	s_cmp_lg_u64 s[10:11], 0
	s_addc_u32 s21, s24, s21
	s_ashr_i32 s10, s1, 31
	s_add_u32 s24, s20, s10
	s_mov_b32 s11, s10
	s_addc_u32 s25, s1, s10
	s_xor_b64 s[24:25], s[24:25], s[10:11]
	s_mul_i32 s27, s24, s21
	s_mul_hi_u32 s28, s24, s0
	s_mul_hi_u32 s26, s24, s21
	s_add_u32 s27, s28, s27
	s_addc_u32 s26, 0, s26
	s_mul_hi_u32 s29, s25, s0
	s_mul_i32 s0, s25, s0
	s_add_u32 s0, s27, s0
	s_mul_hi_u32 s28, s25, s21
	s_addc_u32 s0, s26, s29
	s_addc_u32 s26, s28, 0
	s_mul_i32 s21, s25, s21
	s_add_u32 s0, s0, s21
	s_addc_u32 s21, 0, s26
	s_mul_i32 s21, s6, s21
	s_mul_hi_u32 s26, s6, s0
	s_add_i32 s21, s26, s21
	s_mul_i32 s26, s7, s0
	s_add_i32 s21, s21, s26
	s_sub_i32 s28, s25, s21
	s_mul_i32 s0, s6, s0
	s_sub_u32 s0, s24, s0
	s_cselect_b64 s[26:27], -1, 0
	s_cmp_lg_u64 s[26:27], 0
	s_subb_u32 s24, s28, s7
	s_sub_u32 s30, s0, s6
	s_cselect_b64 s[28:29], -1, 0
	s_cmp_lg_u64 s[28:29], 0
	s_subb_u32 s31, s24, 0
	s_cmp_ge_u32 s31, s7
	s_cselect_b32 s34, -1, 0
	s_cmp_ge_u32 s30, s6
	s_cselect_b32 s35, -1, 0
	s_cmp_eq_u32 s31, s7
	s_cselect_b32 s34, s35, s34
	s_cmp_lg_u64 s[28:29], 0
	s_subb_u32 s24, s24, s7
	s_sub_u32 s35, s30, s6
	s_cselect_b64 s[28:29], -1, 0
	s_cmp_lg_u64 s[28:29], 0
	s_subb_u32 s24, s24, 0
	s_cmp_lg_u32 s34, 0
	s_cselect_b32 s28, s35, s30
	s_cselect_b32 s24, s24, s31
	s_cmp_lg_u64 s[26:27], 0
	s_subb_u32 s21, s25, s21
	s_cmp_ge_u32 s21, s7
	s_cselect_b32 s25, -1, 0
	s_cmp_ge_u32 s0, s6
	s_cselect_b32 s6, -1, 0
	s_cmp_eq_u32 s21, s7
	s_cselect_b32 s6, s6, s25
	s_cmp_lg_u32 s6, 0
	s_cselect_b32 s7, s24, s21
	s_cselect_b32 s6, s28, s0
	s_xor_b64 s[6:7], s[6:7], s[10:11]
	s_sub_u32 s6, s6, s10
	s_subb_u32 s7, s7, s10
	s_cbranch_execnz .LBB12_102
.LBB12_101:                             ;   in Loop: Header=BB12_7 Depth=1
	v_cvt_f32_u32_e32 v2, s72
	s_sub_i32 s0, 0, s72
	v_rcp_iflag_f32_e32 v2, v2
	s_nop 0
	v_mul_f32_e32 v2, 0x4f7ffffe, v2
	v_cvt_u32_f32_e32 v2, v2
	s_nop 0
	v_readfirstlane_b32 s6, v2
	s_mul_i32 s0, s0, s6
	s_mul_hi_u32 s0, s6, s0
	s_add_i32 s6, s6, s0
	s_mul_hi_u32 s0, s20, s6
	s_mul_i32 s0, s0, s72
	s_sub_i32 s0, s20, s0
	s_sub_i32 s6, s0, s72
	s_cmp_ge_u32 s0, s72
	s_cselect_b32 s0, s6, s0
	s_sub_i32 s6, s0, s72
	s_cmp_ge_u32 s0, s72
	s_cselect_b32 s78, s6, s0
	s_mov_b64 s[6:7], s[78:79]
.LBB12_102:                             ;   in Loop: Header=BB12_7 Depth=1
	s_sub_u32 s6, s20, s6
	s_subb_u32 s7, s1, s7
	v_cmp_gt_i64_e32 vcc, s[6:7], v[0:1]
                                        ; implicit-def: $vgpr45
	s_and_saveexec_b64 s[0:1], vcc
	s_cbranch_execz .LBB12_111
; %bb.103:                              ;   in Loop: Header=BB12_7 Depth=1
	s_mov_b64 s[10:11], 0
	v_mov_b32_e32 v2, v0
	v_mov_b64_e32 v[8:9], v[0:1]
                                        ; implicit-def: $sgpr20_sgpr21
	s_branch .LBB12_106
.LBB12_104:                             ;   in Loop: Header=BB12_106 Depth=2
	s_or_b64 exec, exec, s[24:25]
	s_waitcnt lgkmcnt(0)
	s_barrier
	ds_read_u16 v10, v3 offset:3072
	s_mov_b64 s[24:25], -1
	s_waitcnt lgkmcnt(0)
	s_barrier
	v_cmp_ne_u32_sdwa s[26:27], v10, v3 src0_sel:BYTE_0 src1_sel:DWORD
	s_and_b64 vcc, exec, s[26:27]
	s_mov_b64 s[26:27], -1
	s_cbranch_vccz .LBB12_109
.LBB12_105:                             ;   in Loop: Header=BB12_106 Depth=2
	s_and_b64 s[24:25], exec, s[24:25]
	s_or_b64 s[10:11], s[24:25], s[10:11]
	s_andn2_b64 s[20:21], s[20:21], exec
	s_and_b64 s[24:25], s[26:27], exec
	s_or_b64 s[20:21], s[20:21], s[24:25]
	s_andn2_b64 exec, exec, s[10:11]
	s_cbranch_execz .LBB12_110
.LBB12_106:                             ;   Parent Loop BB12_7 Depth=1
                                        ; =>  This Inner Loop Header: Depth=2
	v_cmp_gt_u64_e32 vcc, s[18:19], v[8:9]
	s_and_saveexec_b64 s[24:25], vcc
	s_cbranch_execz .LBB12_104
; %bb.107:                              ;   in Loop: Header=BB12_106 Depth=2
	ds_read_u8 v10, v2
	s_waitcnt lgkmcnt(0)
	v_add_u32_sdwa v11, sext(v10), s85 dst_sel:DWORD dst_unused:UNUSED_PAD src0_sel:BYTE_0 src1_sel:DWORD
	v_and_b32_e32 v11, v11, v44
	v_cmp_eq_u32_e32 vcc, v11, v42
	s_and_b64 exec, exec, vcc
	s_cbranch_execz .LBB12_104
; %bb.108:                              ;   in Loop: Header=BB12_106 Depth=2
	v_lshlrev_b16_e32 v10, 8, v10
	v_or_b32_e32 v10, 1, v10
	ds_write_b16 v3, v10 offset:3072
	s_branch .LBB12_104
.LBB12_109:                             ;   in Loop: Header=BB12_106 Depth=2
	v_lshl_add_u64 v[8:9], v[8:9], 0, s[72:73]
	v_cmp_le_i64_e32 vcc, s[6:7], v[8:9]
	v_add_u32_e32 v2, s72, v2
	s_mov_b64 s[26:27], 0
	s_orn2_b64 s[24:25], vcc, exec
	s_branch .LBB12_105
.LBB12_110:                             ;   in Loop: Header=BB12_7 Depth=1
	s_or_b64 exec, exec, s[10:11]
	s_andn2_b64 s[6:7], s[8:9], exec
	s_and_b64 s[8:9], s[20:21], exec
	v_lshrrev_b32_sdwa v45, v43, v10 dst_sel:DWORD dst_unused:UNUSED_PAD src0_sel:DWORD src1_sel:WORD_0
	s_or_b64 s[8:9], s[6:7], s[8:9]
.LBB12_111:                             ;   in Loop: Header=BB12_7 Depth=1
	s_or_b64 exec, exec, s[0:1]
	s_mov_b64 s[0:1], 0
	s_mov_b64 s[6:7], -1
.LBB12_112:                             ;   in Loop: Header=BB12_7 Depth=1
	s_orn2_b64 s[8:9], s[8:9], exec
.LBB12_113:                             ;   in Loop: Header=BB12_7 Depth=1
	s_or_b64 exec, exec, s[16:17]
	s_andn2_b64 s[10:11], s[66:67], exec
	s_and_b64 s[6:7], s[6:7], exec
	s_or_b64 s[66:67], s[10:11], s[6:7]
	s_andn2_b64 s[6:7], s[60:61], exec
	s_and_b64 s[0:1], s[0:1], exec
	s_andn2_b64 s[68:69], s[68:69], exec
	s_or_b64 s[60:61], s[6:7], s[0:1]
                                        ; implicit-def: $vgpr8_vgpr9
	s_and_saveexec_b64 s[16:17], s[8:9]
	s_cbranch_execz .LBB12_6
; %bb.114:                              ;   in Loop: Header=BB12_7 Depth=1
	s_xor_b64 s[2:3], s[12:13], -1
	v_mov_b32_e32 v2, 1
	s_mov_b64 s[6:7], 0
	v_mov_b64_e32 v[8:9], 1
	s_and_saveexec_b64 s[0:1], s[2:3]
	s_cbranch_execz .LBB12_123
; %bb.115:                              ;   in Loop: Header=BB12_7 Depth=1
	v_cmp_le_i64_e32 vcc, v[32:33], v[4:5]
	s_and_saveexec_b64 s[2:3], vcc
	s_xor_b64 s[2:3], exec, s[2:3]
	s_cbranch_execz .LBB12_120
; %bb.116:                              ;   in Loop: Header=BB12_7 Depth=1
	ds_read_b64 v[8:9], v3 offset:5120
	v_and_b32_e32 v42, s46, v42
	v_or_b32_e32 v44, s52, v44
	s_waitcnt lgkmcnt(0)
	v_cmp_ne_u64_e32 vcc, 0, v[8:9]
	s_cbranch_vccnz .LBB12_120
; %bb.117:                              ;   in Loop: Header=BB12_7 Depth=1
	s_mov_b64 s[6:7], exec
	v_readlane_b32 s8, v64, 8
	v_readlane_b32 s9, v64, 9
	s_and_b64 s[8:9], s[6:7], s[8:9]
	s_mov_b64 exec, s[8:9]
; %bb.118:                              ;   in Loop: Header=BB12_7 Depth=1
	ds_write_b64 v3, v[4:5] offset:5128
; %bb.119:                              ;   in Loop: Header=BB12_7 Depth=1
	s_or_b64 exec, exec, s[6:7]
	s_waitcnt lgkmcnt(0)
	s_barrier
.LBB12_120:                             ;   in Loop: Header=BB12_7 Depth=1
	s_or_saveexec_b64 s[2:3], s[2:3]
	s_mov_b64 s[6:7], 0
	v_mov_b32_e32 v2, 8
	s_xor_b64 exec, exec, s[2:3]
; %bb.121:                              ;   in Loop: Header=BB12_7 Depth=1
	v_sub_co_u32_e32 v32, vcc, v32, v4
	s_mov_b64 s[6:7], exec
	s_nop 0
	v_subb_co_u32_e32 v33, vcc, v33, v5, vcc
	v_mov_b32_e32 v2, 0
; %bb.122:                              ;   in Loop: Header=BB12_7 Depth=1
	s_or_b64 exec, exec, s[2:3]
	s_and_b64 s[6:7], s[6:7], exec
	v_mov_b64_e32 v[8:9], v[32:33]
.LBB12_123:                             ;   in Loop: Header=BB12_7 Depth=1
	s_or_b64 exec, exec, s[0:1]
	s_mov_b64 s[18:19], -1
	s_mov_b64 s[0:1], -1
                                        ; implicit-def: $sgpr2_sgpr3
                                        ; implicit-def: $sgpr24_sgpr25
	s_and_saveexec_b64 s[8:9], s[6:7]
	s_xor_b64 s[20:21], exec, s[8:9]
	s_cbranch_execz .LBB12_265
; %bb.124:                              ;   in Loop: Header=BB12_7 Depth=1
	v_cmp_eq_u64_e32 vcc, 1, v[6:7]
	v_cmp_eq_u64_e64 s[2:3], 1, v[8:9]
	s_and_b64 s[12:13], vcc, s[2:3]
                                        ; implicit-def: $sgpr24_sgpr25
                                        ; implicit-def: $sgpr2_sgpr3
	s_and_saveexec_b64 s[26:27], s[12:13]
	s_cbranch_execz .LBB12_158
; %bb.125:                              ;   in Loop: Header=BB12_7 Depth=1
	ds_read_b64 v[4:5], v3 offset:5120
	s_waitcnt lgkmcnt(0)
	s_barrier
	v_readfirstlane_b32 s28, v4
	v_readfirstlane_b32 s29, v5
	s_mov_b64 s[0:1], exec
	v_readlane_b32 s2, v64, 14
	v_readlane_b32 s3, v64, 15
	s_and_b64 s[2:3], s[0:1], s[2:3]
	s_mov_b64 exec, s[2:3]
; %bb.126:                              ;   in Loop: Header=BB12_7 Depth=1
	ds_write_b8 v0, v3 offset:3072
; %bb.127:                              ;   in Loop: Header=BB12_7 Depth=1
	s_or_b64 exec, exec, s[0:1]
	v_and_b32_e32 v4, s46, v42
	v_cmp_gt_i64_e64 s[0:1], s[28:29], 0
	v_lshl_or_b32 v42, 1, s84, v4
	v_or_b32_e32 v44, s52, v44
	s_mov_b64 s[2:3], -1
	s_mov_b64 s[24:25], 0
	s_and_b64 vcc, exec, s[0:1]
	s_mov_b64 s[0:1], 0
	s_mov_b64 s[6:7], -1
	s_waitcnt lgkmcnt(0)
	s_barrier
                                        ; implicit-def: $vgpr45
	s_cbranch_vccnz .LBB12_143
; %bb.128:                              ;   in Loop: Header=BB12_7 Depth=1
	s_mov_b32 s54, s79
	s_cmp_lg_u64 s[54:55], 0
	s_cbranch_scc0 .LBB12_185
; %bb.129:                              ;   in Loop: Header=BB12_7 Depth=1
	s_add_u32 s0, s72, 0
	s_addc_u32 s1, 0, 0
	s_xor_b64 s[0:1], s[0:1], 0
	v_cvt_f32_u32_e32 v4, s0
	v_cvt_f32_u32_e32 v5, s1
	s_sub_u32 s8, 0, s0
	s_subb_u32 s9, 0, s1
	v_fmac_f32_e32 v4, 0x4f800000, v5
	v_rcp_f32_e32 v4, v4
	s_nop 0
	v_mul_f32_e32 v4, 0x5f7ffffc, v4
	v_mul_f32_e32 v5, 0x2f800000, v4
	v_trunc_f32_e32 v5, v5
	v_fmac_f32_e32 v4, 0xcf800000, v5
	v_cvt_u32_f32_e32 v5, v5
	v_cvt_u32_f32_e32 v4, v4
	v_readfirstlane_b32 s10, v5
	v_readfirstlane_b32 s6, v4
	s_mul_i32 s7, s8, s10
	s_mul_hi_u32 s30, s8, s6
	s_mul_i32 s11, s9, s6
	s_add_i32 s7, s30, s7
	s_mul_i32 s31, s8, s6
	s_add_i32 s7, s7, s11
	s_mul_i32 s30, s6, s7
	s_mul_hi_u32 s34, s6, s31
	s_mul_hi_u32 s11, s6, s7
	s_add_u32 s30, s34, s30
	s_addc_u32 s11, 0, s11
	s_mul_hi_u32 s35, s10, s31
	s_mul_i32 s31, s10, s31
	s_add_u32 s30, s30, s31
	s_mul_hi_u32 s34, s10, s7
	s_addc_u32 s11, s11, s35
	s_addc_u32 s30, s34, 0
	s_mul_i32 s7, s10, s7
	s_add_u32 s7, s11, s7
	s_addc_u32 s11, 0, s30
	s_add_u32 s30, s6, s7
	s_cselect_b64 s[6:7], -1, 0
	s_cmp_lg_u64 s[6:7], 0
	s_addc_u32 s10, s10, s11
	s_mul_i32 s6, s8, s10
	s_mul_hi_u32 s7, s8, s30
	s_add_i32 s6, s7, s6
	s_mul_i32 s9, s9, s30
	s_add_i32 s6, s6, s9
	s_mul_i32 s8, s8, s30
	s_mul_hi_u32 s9, s10, s8
	s_mul_i32 s11, s10, s8
	s_mul_i32 s34, s30, s6
	s_mul_hi_u32 s8, s30, s8
	s_mul_hi_u32 s31, s30, s6
	s_add_u32 s8, s8, s34
	s_addc_u32 s31, 0, s31
	s_add_u32 s8, s8, s11
	s_mul_hi_u32 s7, s10, s6
	s_addc_u32 s8, s31, s9
	s_addc_u32 s7, s7, 0
	s_mul_i32 s6, s10, s6
	s_add_u32 s6, s8, s6
	s_addc_u32 s8, 0, s7
	s_add_u32 s11, s30, s6
	s_cselect_b64 s[6:7], -1, 0
	s_cmp_lg_u64 s[6:7], 0
	s_addc_u32 s10, s10, s8
	s_ashr_i32 s6, s55, 31
	v_readlane_b32 s8, v64, 23
	s_add_u32 s8, s8, s6
	s_mov_b32 s7, s6
	s_addc_u32 s9, s55, s6
	s_xor_b64 s[8:9], s[8:9], s[6:7]
	s_mul_i32 s31, s8, s10
	s_mul_hi_u32 s34, s8, s11
	s_mul_hi_u32 s30, s8, s10
	s_add_u32 s31, s34, s31
	s_addc_u32 s30, 0, s30
	s_mul_hi_u32 s35, s9, s11
	s_mul_i32 s11, s9, s11
	s_add_u32 s11, s31, s11
	s_mul_hi_u32 s34, s9, s10
	s_addc_u32 s11, s30, s35
	s_addc_u32 s30, s34, 0
	s_mul_i32 s10, s9, s10
	s_add_u32 s10, s11, s10
	s_addc_u32 s11, 0, s30
	s_mul_i32 s11, s0, s11
	s_mul_hi_u32 s30, s0, s10
	s_add_i32 s11, s30, s11
	s_mul_i32 s30, s1, s10
	s_add_i32 s34, s11, s30
	s_sub_i32 s30, s9, s34
	s_mul_i32 s10, s0, s10
	s_sub_u32 s8, s8, s10
	s_cselect_b64 s[10:11], -1, 0
	s_cmp_lg_u64 s[10:11], 0
	s_subb_u32 s35, s30, s1
	s_sub_u32 s36, s8, s0
	s_cselect_b64 s[30:31], -1, 0
	s_cmp_lg_u64 s[30:31], 0
	s_subb_u32 s37, s35, 0
	s_cmp_ge_u32 s37, s1
	s_cselect_b32 s38, -1, 0
	s_cmp_ge_u32 s36, s0
	s_cselect_b32 s39, -1, 0
	s_cmp_eq_u32 s37, s1
	s_cselect_b32 s38, s39, s38
	s_cmp_lg_u64 s[30:31], 0
	s_subb_u32 s35, s35, s1
	s_sub_u32 s39, s36, s0
	s_cselect_b64 s[30:31], -1, 0
	s_cmp_lg_u64 s[30:31], 0
	s_subb_u32 s30, s35, 0
	s_cmp_lg_u32 s38, 0
	s_cselect_b32 s31, s39, s36
	s_cselect_b32 s30, s30, s37
	s_cmp_lg_u64 s[10:11], 0
	s_subb_u32 s9, s9, s34
	s_cmp_ge_u32 s9, s1
	s_cselect_b32 s10, -1, 0
	s_cmp_ge_u32 s8, s0
	s_cselect_b32 s0, -1, 0
	s_cmp_eq_u32 s9, s1
	s_cselect_b32 s0, s0, s10
	s_cmp_lg_u32 s0, 0
	s_cselect_b32 s1, s30, s9
	s_cselect_b32 s0, s31, s8
	s_xor_b64 s[0:1], s[0:1], s[6:7]
	s_sub_u32 s0, s0, s6
	s_subb_u32 s1, s1, s6
	s_cbranch_execnz .LBB12_131
.LBB12_130:                             ;   in Loop: Header=BB12_7 Depth=1
	v_cvt_f32_u32_e32 v4, s72
	s_sub_i32 s0, 0, s72
	v_readlane_b32 s6, v64, 23
	v_rcp_iflag_f32_e32 v4, v4
	s_nop 0
	v_mul_f32_e32 v4, 0x4f7ffffe, v4
	v_cvt_u32_f32_e32 v4, v4
	s_nop 0
	v_readfirstlane_b32 s1, v4
	s_mul_i32 s0, s0, s1
	s_mul_hi_u32 s0, s1, s0
	s_add_i32 s1, s1, s0
	s_mul_hi_u32 s0, s6, s1
	s_mul_i32 s0, s0, s72
	s_sub_i32 s0, s6, s0
	s_sub_i32 s1, s0, s72
	s_cmp_ge_u32 s0, s72
	s_cselect_b32 s0, s1, s0
	s_sub_i32 s1, s0, s72
	s_cmp_ge_u32 s0, s72
	s_cselect_b32 s78, s1, s0
	s_mov_b64 s[0:1], s[78:79]
.LBB12_131:                             ;   in Loop: Header=BB12_7 Depth=1
	v_readlane_b32 s6, v64, 23
	s_sub_u32 s10, s6, s0
	s_subb_u32 s11, s55, s1
	v_cmp_gt_i64_e32 vcc, s[10:11], v[0:1]
	s_mov_b64 s[6:7], 0
	s_mov_b64 s[0:1], 0
                                        ; implicit-def: $vgpr45
	s_and_saveexec_b64 s[8:9], vcc
	s_cbranch_execz .LBB12_142
; %bb.132:                              ;   in Loop: Header=BB12_7 Depth=1
	v_mov_b64_e32 v[4:5], v[12:13]
	v_mov_b64_e32 v[10:11], v[0:1]
                                        ; implicit-def: $sgpr30_sgpr31
	s_branch .LBB12_135
.LBB12_133:                             ;   in Loop: Header=BB12_135 Depth=2
	s_or_b64 exec, exec, s[34:35]
	s_waitcnt lgkmcnt(0)
	s_barrier
	ds_read_u16 v32, v3 offset:3072
	s_mov_b64 s[34:35], -1
	s_waitcnt lgkmcnt(0)
	s_barrier
	v_cmp_ne_u32_sdwa s[36:37], v32, v3 src0_sel:BYTE_0 src1_sel:DWORD
	s_and_b64 vcc, exec, s[36:37]
	s_mov_b64 s[36:37], -1
	s_cbranch_vccz .LBB12_138
.LBB12_134:                             ;   in Loop: Header=BB12_135 Depth=2
	s_and_b64 s[34:35], exec, s[34:35]
	s_or_b64 s[0:1], s[34:35], s[0:1]
	s_andn2_b64 s[30:31], s[30:31], exec
	s_and_b64 s[34:35], s[36:37], exec
	s_or_b64 s[30:31], s[30:31], s[34:35]
	s_andn2_b64 exec, exec, s[0:1]
	s_cbranch_execz .LBB12_141
.LBB12_135:                             ;   Parent Loop BB12_7 Depth=1
                                        ; =>  This Inner Loop Header: Depth=2
	v_cmp_gt_i64_e32 vcc, s[56:57], v[10:11]
	s_and_saveexec_b64 s[34:35], vcc
	s_cbranch_execz .LBB12_133
; %bb.136:                              ;   in Loop: Header=BB12_135 Depth=2
	global_load_ubyte v32, v[4:5], off
	s_waitcnt vmcnt(0)
	v_add_u32_sdwa v33, sext(v32), s85 dst_sel:DWORD dst_unused:UNUSED_PAD src0_sel:BYTE_0 src1_sel:DWORD
	v_and_b32_e32 v33, v33, v44
	v_cmp_eq_u32_e32 vcc, v33, v42
	s_and_b64 exec, exec, vcc
	s_cbranch_execz .LBB12_133
; %bb.137:                              ;   in Loop: Header=BB12_135 Depth=2
	v_lshlrev_b16_e32 v32, 8, v32
	v_or_b32_e32 v32, 1, v32
	ds_write_b16 v3, v32 offset:3072
	s_branch .LBB12_133
.LBB12_138:                             ;   in Loop: Header=BB12_135 Depth=2
	v_lshl_add_u64 v[10:11], v[10:11], 0, s[72:73]
	v_cmp_le_i64_e32 vcc, s[10:11], v[10:11]
	v_lshl_add_u64 v[4:5], v[4:5], 0, s[74:75]
	s_mov_b64 s[36:37], 0
	s_orn2_b64 s[34:35], vcc, exec
	s_branch .LBB12_134
.LBB12_139:                             ;   in Loop: Header=BB12_7 Depth=1
                                        ; implicit-def: $sgpr8_sgpr9
	s_andn2_b64 vcc, exec, s[10:11]
	s_cbranch_vccz .LBB12_87
	s_branch .LBB12_88
.LBB12_140:                             ;   in Loop: Header=BB12_7 Depth=1
                                        ; implicit-def: $sgpr6_sgpr7
	s_branch .LBB12_101
.LBB12_141:                             ;   in Loop: Header=BB12_7 Depth=1
	s_or_b64 exec, exec, s[0:1]
	v_lshrrev_b32_sdwa v45, v43, v32 dst_sel:DWORD dst_unused:UNUSED_PAD src0_sel:DWORD src1_sel:WORD_0
	s_and_b64 s[0:1], s[30:31], exec
.LBB12_142:                             ;   in Loop: Header=BB12_7 Depth=1
	s_or_b64 exec, exec, s[8:9]
.LBB12_143:                             ;   in Loop: Header=BB12_7 Depth=1
	s_and_b64 vcc, exec, s[6:7]
	s_cbranch_vccz .LBB12_157
; %bb.144:                              ;   in Loop: Header=BB12_7 Depth=1
	v_readlane_b32 s2, v64, 22
	s_add_u32 s10, s28, s2
	v_readlane_b32 s2, v64, 24
	s_addc_u32 s3, s29, s2
	s_mov_b32 s2, s79
	s_cmp_lg_u64 s[2:3], 0
	s_cbranch_scc0 .LBB12_186
; %bb.145:                              ;   in Loop: Header=BB12_7 Depth=1
	s_add_u32 s6, s72, 0
	s_addc_u32 s7, 0, 0
	s_xor_b64 s[6:7], s[6:7], 0
	v_cvt_f32_u32_e32 v4, s6
	v_cvt_f32_u32_e32 v5, s7
	s_sub_u32 s2, 0, s6
	s_subb_u32 s11, 0, s7
	v_fmac_f32_e32 v4, 0x4f800000, v5
	v_rcp_f32_e32 v4, v4
	s_nop 0
	v_mul_f32_e32 v4, 0x5f7ffffc, v4
	v_mul_f32_e32 v5, 0x2f800000, v4
	v_trunc_f32_e32 v5, v5
	v_fmac_f32_e32 v4, 0xcf800000, v5
	v_cvt_u32_f32_e32 v5, v5
	v_cvt_u32_f32_e32 v4, v4
	v_readfirstlane_b32 s24, v5
	v_readfirstlane_b32 s8, v4
	s_mul_i32 s9, s2, s24
	s_mul_hi_u32 s30, s2, s8
	s_mul_i32 s25, s11, s8
	s_add_i32 s9, s30, s9
	s_mul_i32 s31, s2, s8
	s_add_i32 s9, s9, s25
	s_mul_i32 s30, s8, s9
	s_mul_hi_u32 s34, s8, s31
	s_mul_hi_u32 s25, s8, s9
	s_add_u32 s30, s34, s30
	s_addc_u32 s25, 0, s25
	s_mul_hi_u32 s35, s24, s31
	s_mul_i32 s31, s24, s31
	s_add_u32 s30, s30, s31
	s_mul_hi_u32 s34, s24, s9
	s_addc_u32 s25, s25, s35
	s_addc_u32 s30, s34, 0
	s_mul_i32 s9, s24, s9
	s_add_u32 s9, s25, s9
	s_addc_u32 s25, 0, s30
	s_add_u32 s30, s8, s9
	s_cselect_b64 s[8:9], -1, 0
	s_cmp_lg_u64 s[8:9], 0
	s_addc_u32 s24, s24, s25
	s_mul_i32 s8, s2, s24
	s_mul_hi_u32 s9, s2, s30
	s_add_i32 s8, s9, s8
	s_mul_i32 s11, s11, s30
	s_add_i32 s8, s8, s11
	s_mul_i32 s2, s2, s30
	s_mul_hi_u32 s11, s24, s2
	s_mul_i32 s25, s24, s2
	s_mul_i32 s34, s30, s8
	s_mul_hi_u32 s2, s30, s2
	s_mul_hi_u32 s31, s30, s8
	s_add_u32 s2, s2, s34
	s_addc_u32 s31, 0, s31
	s_add_u32 s2, s2, s25
	s_mul_hi_u32 s9, s24, s8
	s_addc_u32 s2, s31, s11
	s_addc_u32 s9, s9, 0
	s_mul_i32 s8, s24, s8
	s_add_u32 s2, s2, s8
	s_addc_u32 s11, 0, s9
	s_add_u32 s2, s30, s2
	s_cselect_b64 s[8:9], -1, 0
	s_cmp_lg_u64 s[8:9], 0
	s_addc_u32 s11, s24, s11
	s_ashr_i32 s8, s3, 31
	s_add_u32 s24, s10, s8
	s_mov_b32 s9, s8
	s_addc_u32 s25, s3, s8
	s_xor_b64 s[24:25], s[24:25], s[8:9]
	s_mul_i32 s31, s24, s11
	s_mul_hi_u32 s34, s24, s2
	s_mul_hi_u32 s30, s24, s11
	s_add_u32 s31, s34, s31
	s_addc_u32 s30, 0, s30
	s_mul_hi_u32 s35, s25, s2
	s_mul_i32 s2, s25, s2
	s_add_u32 s2, s31, s2
	s_mul_hi_u32 s34, s25, s11
	s_addc_u32 s2, s30, s35
	s_addc_u32 s30, s34, 0
	s_mul_i32 s11, s25, s11
	s_add_u32 s2, s2, s11
	s_addc_u32 s11, 0, s30
	s_mul_i32 s11, s6, s11
	s_mul_hi_u32 s30, s6, s2
	s_add_i32 s11, s30, s11
	s_mul_i32 s30, s7, s2
	s_add_i32 s11, s11, s30
	s_sub_i32 s34, s25, s11
	s_mul_i32 s2, s6, s2
	s_sub_u32 s2, s24, s2
	s_cselect_b64 s[30:31], -1, 0
	s_cmp_lg_u64 s[30:31], 0
	s_subb_u32 s24, s34, s7
	s_sub_u32 s36, s2, s6
	s_cselect_b64 s[34:35], -1, 0
	s_cmp_lg_u64 s[34:35], 0
	s_subb_u32 s37, s24, 0
	s_cmp_ge_u32 s37, s7
	s_cselect_b32 s38, -1, 0
	s_cmp_ge_u32 s36, s6
	s_cselect_b32 s39, -1, 0
	s_cmp_eq_u32 s37, s7
	s_cselect_b32 s38, s39, s38
	s_cmp_lg_u64 s[34:35], 0
	s_subb_u32 s24, s24, s7
	s_sub_u32 s39, s36, s6
	s_cselect_b64 s[34:35], -1, 0
	s_cmp_lg_u64 s[34:35], 0
	s_subb_u32 s24, s24, 0
	s_cmp_lg_u32 s38, 0
	s_cselect_b32 s34, s39, s36
	s_cselect_b32 s24, s24, s37
	s_cmp_lg_u64 s[30:31], 0
	s_subb_u32 s11, s25, s11
	s_cmp_ge_u32 s11, s7
	s_cselect_b32 s25, -1, 0
	s_cmp_ge_u32 s2, s6
	s_cselect_b32 s6, -1, 0
	s_cmp_eq_u32 s11, s7
	s_cselect_b32 s6, s6, s25
	s_cmp_lg_u32 s6, 0
	s_cselect_b32 s7, s24, s11
	s_cselect_b32 s6, s34, s2
	s_xor_b64 s[6:7], s[6:7], s[8:9]
	s_sub_u32 s6, s6, s8
	s_subb_u32 s7, s7, s8
	s_cbranch_execnz .LBB12_147
.LBB12_146:                             ;   in Loop: Header=BB12_7 Depth=1
	v_cvt_f32_u32_e32 v4, s72
	s_sub_i32 s2, 0, s72
	v_rcp_iflag_f32_e32 v4, v4
	s_nop 0
	v_mul_f32_e32 v4, 0x4f7ffffe, v4
	v_cvt_u32_f32_e32 v4, v4
	s_nop 0
	v_readfirstlane_b32 s6, v4
	s_mul_i32 s2, s2, s6
	s_mul_hi_u32 s2, s6, s2
	s_add_i32 s6, s6, s2
	s_mul_hi_u32 s2, s10, s6
	s_mul_i32 s2, s2, s72
	s_sub_i32 s2, s10, s2
	s_sub_i32 s6, s2, s72
	s_cmp_ge_u32 s2, s72
	s_cselect_b32 s2, s6, s2
	s_sub_i32 s6, s2, s72
	s_cmp_ge_u32 s2, s72
	s_cselect_b32 s78, s6, s2
	s_mov_b64 s[6:7], s[78:79]
.LBB12_147:                             ;   in Loop: Header=BB12_7 Depth=1
	s_sub_u32 s6, s10, s6
	s_subb_u32 s7, s3, s7
	v_cmp_gt_i64_e32 vcc, s[6:7], v[0:1]
                                        ; implicit-def: $vgpr45
	s_and_saveexec_b64 s[2:3], vcc
	s_cbranch_execz .LBB12_156
; %bb.148:                              ;   in Loop: Header=BB12_7 Depth=1
	s_mov_b64 s[8:9], 0
	v_mov_b32_e32 v10, v0
	v_mov_b64_e32 v[4:5], v[0:1]
                                        ; implicit-def: $sgpr10_sgpr11
	s_branch .LBB12_151
.LBB12_149:                             ;   in Loop: Header=BB12_151 Depth=2
	s_or_b64 exec, exec, s[24:25]
	s_waitcnt lgkmcnt(0)
	s_barrier
	ds_read_u16 v11, v3 offset:3072
	s_mov_b64 s[24:25], -1
	s_waitcnt lgkmcnt(0)
	s_barrier
	v_cmp_eq_u32_sdwa s[30:31], v11, v3 src0_sel:BYTE_0 src1_sel:DWORD
	s_and_b64 vcc, exec, s[30:31]
	s_mov_b64 s[30:31], -1
	s_cbranch_vccnz .LBB12_154
.LBB12_150:                             ;   in Loop: Header=BB12_151 Depth=2
	s_and_b64 s[24:25], exec, s[24:25]
	s_or_b64 s[8:9], s[24:25], s[8:9]
	s_andn2_b64 s[10:11], s[10:11], exec
	s_and_b64 s[24:25], s[30:31], exec
	s_or_b64 s[10:11], s[10:11], s[24:25]
	s_andn2_b64 exec, exec, s[8:9]
	s_cbranch_execz .LBB12_155
.LBB12_151:                             ;   Parent Loop BB12_7 Depth=1
                                        ; =>  This Inner Loop Header: Depth=2
	v_cmp_gt_u64_e32 vcc, s[28:29], v[4:5]
	s_and_saveexec_b64 s[24:25], vcc
	s_cbranch_execz .LBB12_149
; %bb.152:                              ;   in Loop: Header=BB12_151 Depth=2
	ds_read_u8 v11, v10
	s_waitcnt lgkmcnt(0)
	v_add_u32_sdwa v32, sext(v11), s85 dst_sel:DWORD dst_unused:UNUSED_PAD src0_sel:BYTE_0 src1_sel:DWORD
	v_and_b32_e32 v32, v32, v44
	v_cmp_eq_u32_e32 vcc, v32, v42
	s_and_b64 exec, exec, vcc
	s_cbranch_execz .LBB12_149
; %bb.153:                              ;   in Loop: Header=BB12_151 Depth=2
	v_lshlrev_b16_e32 v11, 8, v11
	v_or_b32_e32 v11, 1, v11
	ds_write_b16 v3, v11 offset:3072
	s_branch .LBB12_149
.LBB12_154:                             ;   in Loop: Header=BB12_151 Depth=2
	v_lshl_add_u64 v[4:5], v[4:5], 0, s[72:73]
	v_cmp_le_i64_e32 vcc, s[6:7], v[4:5]
	v_add_u32_e32 v10, s72, v10
	s_mov_b64 s[30:31], 0
	s_orn2_b64 s[24:25], vcc, exec
	s_branch .LBB12_150
.LBB12_155:                             ;   in Loop: Header=BB12_7 Depth=1
	s_or_b64 exec, exec, s[8:9]
	s_andn2_b64 s[0:1], s[0:1], exec
	s_and_b64 s[6:7], s[10:11], exec
	v_lshrrev_b32_sdwa v45, v43, v11 dst_sel:DWORD dst_unused:UNUSED_PAD src0_sel:DWORD src1_sel:WORD_0
	s_or_b64 s[0:1], s[0:1], s[6:7]
.LBB12_156:                             ;   in Loop: Header=BB12_7 Depth=1
	s_or_b64 exec, exec, s[2:3]
	s_mov_b64 s[2:3], 0
	s_mov_b64 s[24:25], -1
.LBB12_157:                             ;   in Loop: Header=BB12_7 Depth=1
	s_orn2_b64 s[0:1], s[0:1], exec
.LBB12_158:                             ;   in Loop: Header=BB12_7 Depth=1
	s_or_b64 exec, exec, s[26:27]
	s_mov_b64 s[6:7], 0
	s_and_saveexec_b64 s[26:27], s[0:1]
	s_cbranch_execz .LBB12_264
; %bb.159:                              ;   in Loop: Header=BB12_7 Depth=1
	s_xor_b64 s[8:9], s[12:13], -1
	v_mov_b32_e32 v2, 1
	v_mov_b64_e32 v[4:5], 1
	s_and_saveexec_b64 s[0:1], s[8:9]
	s_cbranch_execz .LBB12_169
; %bb.160:                              ;   in Loop: Header=BB12_7 Depth=1
	v_cmp_le_i64_e32 vcc, v[8:9], v[6:7]
	s_and_saveexec_b64 s[6:7], vcc
	s_xor_b64 s[6:7], exec, s[6:7]
	s_cbranch_execz .LBB12_166
; %bb.161:                              ;   in Loop: Header=BB12_7 Depth=1
	ds_read_b64 v[4:5], v3 offset:5120
	v_and_b32_e32 v2, s46, v42
	v_lshl_or_b32 v42, 1, s84, v2
	v_or_b32_e32 v44, s52, v44
	s_waitcnt lgkmcnt(0)
	v_cmp_ne_u64_e32 vcc, 0, v[4:5]
	s_cbranch_vccnz .LBB12_165
; %bb.162:                              ;   in Loop: Header=BB12_7 Depth=1
	s_mov_b64 s[8:9], exec
	v_readlane_b32 s10, v64, 8
	v_readlane_b32 s11, v64, 9
	s_and_b64 s[10:11], s[8:9], s[10:11]
	s_mov_b64 exec, s[10:11]
; %bb.163:                              ;   in Loop: Header=BB12_7 Depth=1
	ds_write_b64 v3, v[6:7] offset:5128
; %bb.164:                              ;   in Loop: Header=BB12_7 Depth=1
	s_or_b64 exec, exec, s[8:9]
	s_waitcnt lgkmcnt(0)
	s_barrier
.LBB12_165:                             ;   in Loop: Header=BB12_7 Depth=1
                                        ; implicit-def: $vgpr4_vgpr5_vgpr6_vgpr7
.LBB12_166:                             ;   in Loop: Header=BB12_7 Depth=1
	s_or_saveexec_b64 s[6:7], s[6:7]
	s_mov_b64 s[8:9], 0
	v_mov_b32_e32 v2, 8
	s_xor_b64 exec, exec, s[6:7]
; %bb.167:                              ;   in Loop: Header=BB12_7 Depth=1
	v_sub_co_u32_e32 v8, vcc, v8, v6
	s_mov_b64 s[8:9], exec
	s_nop 0
	v_subb_co_u32_e32 v9, vcc, v9, v7, vcc
	v_mov_b32_e32 v2, 0
; %bb.168:                              ;   in Loop: Header=BB12_7 Depth=1
	s_or_b64 exec, exec, s[6:7]
	s_and_b64 s[6:7], s[8:9], exec
	v_mov_b64_e32 v[4:5], v[8:9]
.LBB12_169:                             ;   in Loop: Header=BB12_7 Depth=1
	s_or_b64 exec, exec, s[0:1]
	s_mov_b64 s[0:1], -1
                                        ; implicit-def: $sgpr34_sgpr35
                                        ; implicit-def: $sgpr36_sgpr37
	s_and_saveexec_b64 s[28:29], s[6:7]
	s_cbranch_execz .LBB12_263
; %bb.170:                              ;   in Loop: Header=BB12_7 Depth=1
	s_cmp_eq_u64 s[22:23], 1
	s_cselect_b64 s[0:1], -1, 0
	v_cmp_eq_u64_e32 vcc, 1, v[4:5]
	s_and_b64 s[12:13], s[0:1], vcc
	s_mov_b64 s[0:1], -1
                                        ; implicit-def: $sgpr36_sgpr37
                                        ; implicit-def: $sgpr34_sgpr35
	s_and_saveexec_b64 s[38:39], s[12:13]
	s_cbranch_execz .LBB12_204
; %bb.171:                              ;   in Loop: Header=BB12_7 Depth=1
	ds_read_b64 v[6:7], v3 offset:5120
	s_waitcnt lgkmcnt(0)
	s_barrier
	v_readfirstlane_b32 s40, v6
	v_readfirstlane_b32 s41, v7
	s_mov_b64 s[0:1], exec
	v_readlane_b32 s6, v64, 14
	v_readlane_b32 s7, v64, 15
	s_and_b64 s[6:7], s[0:1], s[6:7]
	s_mov_b64 exec, s[6:7]
; %bb.172:                              ;   in Loop: Header=BB12_7 Depth=1
	ds_write_b8 v0, v3 offset:3072
; %bb.173:                              ;   in Loop: Header=BB12_7 Depth=1
	s_or_b64 exec, exec, s[0:1]
	v_and_b32_e32 v6, s46, v42
	v_cmp_gt_i64_e64 s[0:1], s[40:41], 0
	v_lshl_or_b32 v42, 2, s84, v6
	v_or_b32_e32 v44, s52, v44
	s_mov_b64 s[34:35], -1
	s_mov_b64 s[36:37], 0
	s_and_b64 vcc, exec, s[0:1]
	s_mov_b64 s[0:1], 0
	s_mov_b64 s[6:7], -1
	s_waitcnt lgkmcnt(0)
	s_barrier
                                        ; implicit-def: $vgpr45
	s_cbranch_vccnz .LBB12_189
; %bb.174:                              ;   in Loop: Header=BB12_7 Depth=1
	s_mov_b32 s54, s79
	s_cmp_lg_u64 s[54:55], 0
	s_cbranch_scc0 .LBB12_230
; %bb.175:                              ;   in Loop: Header=BB12_7 Depth=1
	s_add_u32 s0, s72, 0
	s_addc_u32 s1, 0, 0
	s_xor_b64 s[0:1], s[0:1], 0
	v_cvt_f32_u32_e32 v6, s0
	v_cvt_f32_u32_e32 v7, s1
	s_sub_u32 s8, 0, s0
	s_subb_u32 s9, 0, s1
	v_fmac_f32_e32 v6, 0x4f800000, v7
	v_rcp_f32_e32 v6, v6
	s_nop 0
	v_mul_f32_e32 v6, 0x5f7ffffc, v6
	v_mul_f32_e32 v7, 0x2f800000, v6
	v_trunc_f32_e32 v7, v7
	v_fmac_f32_e32 v6, 0xcf800000, v7
	v_cvt_u32_f32_e32 v7, v7
	v_cvt_u32_f32_e32 v6, v6
	v_readfirstlane_b32 s10, v7
	v_readfirstlane_b32 s6, v6
	s_mul_i32 s7, s8, s10
	s_mul_hi_u32 s30, s8, s6
	s_mul_i32 s11, s9, s6
	s_add_i32 s7, s30, s7
	s_mul_i32 s31, s8, s6
	s_add_i32 s7, s7, s11
	s_mul_i32 s30, s6, s7
	s_mul_hi_u32 s42, s6, s31
	s_mul_hi_u32 s11, s6, s7
	s_add_u32 s30, s42, s30
	s_addc_u32 s11, 0, s11
	s_mul_hi_u32 s43, s10, s31
	s_mul_i32 s31, s10, s31
	s_add_u32 s30, s30, s31
	s_mul_hi_u32 s42, s10, s7
	s_addc_u32 s11, s11, s43
	s_addc_u32 s30, s42, 0
	s_mul_i32 s7, s10, s7
	s_add_u32 s7, s11, s7
	s_addc_u32 s11, 0, s30
	s_add_u32 s30, s6, s7
	s_cselect_b64 s[6:7], -1, 0
	s_cmp_lg_u64 s[6:7], 0
	s_addc_u32 s10, s10, s11
	s_mul_i32 s6, s8, s10
	s_mul_hi_u32 s7, s8, s30
	s_add_i32 s6, s7, s6
	s_mul_i32 s9, s9, s30
	s_add_i32 s6, s6, s9
	s_mul_i32 s8, s8, s30
	s_mul_hi_u32 s9, s10, s8
	s_mul_i32 s11, s10, s8
	s_mul_i32 s42, s30, s6
	s_mul_hi_u32 s8, s30, s8
	s_mul_hi_u32 s31, s30, s6
	s_add_u32 s8, s8, s42
	s_addc_u32 s31, 0, s31
	s_add_u32 s8, s8, s11
	s_mul_hi_u32 s7, s10, s6
	s_addc_u32 s8, s31, s9
	s_addc_u32 s7, s7, 0
	s_mul_i32 s6, s10, s6
	s_add_u32 s6, s8, s6
	s_addc_u32 s8, 0, s7
	s_add_u32 s11, s30, s6
	s_cselect_b64 s[6:7], -1, 0
	s_cmp_lg_u64 s[6:7], 0
	s_addc_u32 s10, s10, s8
	s_ashr_i32 s6, s55, 31
	v_readlane_b32 s8, v64, 23
	s_add_u32 s8, s8, s6
	s_mov_b32 s7, s6
	s_addc_u32 s9, s55, s6
	s_xor_b64 s[8:9], s[8:9], s[6:7]
	s_mul_i32 s31, s8, s10
	s_mul_hi_u32 s42, s8, s11
	s_mul_hi_u32 s30, s8, s10
	s_add_u32 s31, s42, s31
	s_addc_u32 s30, 0, s30
	s_mul_hi_u32 s43, s9, s11
	s_mul_i32 s11, s9, s11
	s_add_u32 s11, s31, s11
	s_mul_hi_u32 s42, s9, s10
	s_addc_u32 s11, s30, s43
	s_addc_u32 s30, s42, 0
	s_mul_i32 s10, s9, s10
	s_add_u32 s10, s11, s10
	s_addc_u32 s11, 0, s30
	s_mul_i32 s11, s0, s11
	s_mul_hi_u32 s30, s0, s10
	s_add_i32 s11, s30, s11
	s_mul_i32 s30, s1, s10
	s_add_i32 s42, s11, s30
	s_sub_i32 s30, s9, s42
	s_mul_i32 s10, s0, s10
	s_sub_u32 s8, s8, s10
	s_cselect_b64 s[10:11], -1, 0
	s_cmp_lg_u64 s[10:11], 0
	s_subb_u32 s43, s30, s1
	s_sub_u32 s44, s8, s0
	s_cselect_b64 s[30:31], -1, 0
	s_cmp_lg_u64 s[30:31], 0
	s_subb_u32 s45, s43, 0
	s_cmp_ge_u32 s45, s1
	s_cselect_b32 s47, -1, 0
	s_cmp_ge_u32 s44, s0
	s_cselect_b32 s48, -1, 0
	s_cmp_eq_u32 s45, s1
	s_cselect_b32 s47, s48, s47
	s_cmp_lg_u64 s[30:31], 0
	s_subb_u32 s43, s43, s1
	s_sub_u32 s48, s44, s0
	s_cselect_b64 s[30:31], -1, 0
	s_cmp_lg_u64 s[30:31], 0
	s_subb_u32 s30, s43, 0
	s_cmp_lg_u32 s47, 0
	s_cselect_b32 s31, s48, s44
	s_cselect_b32 s30, s30, s45
	s_cmp_lg_u64 s[10:11], 0
	s_subb_u32 s9, s9, s42
	s_cmp_ge_u32 s9, s1
	s_cselect_b32 s10, -1, 0
	s_cmp_ge_u32 s8, s0
	s_cselect_b32 s0, -1, 0
	s_cmp_eq_u32 s9, s1
	s_cselect_b32 s0, s0, s10
	s_cmp_lg_u32 s0, 0
	s_cselect_b32 s1, s30, s9
	s_cselect_b32 s0, s31, s8
	s_xor_b64 s[0:1], s[0:1], s[6:7]
	s_sub_u32 s0, s0, s6
	s_subb_u32 s1, s1, s6
	s_cbranch_execnz .LBB12_177
.LBB12_176:                             ;   in Loop: Header=BB12_7 Depth=1
	v_cvt_f32_u32_e32 v6, s72
	s_sub_i32 s0, 0, s72
	v_readlane_b32 s6, v64, 23
	v_rcp_iflag_f32_e32 v6, v6
	s_nop 0
	v_mul_f32_e32 v6, 0x4f7ffffe, v6
	v_cvt_u32_f32_e32 v6, v6
	s_nop 0
	v_readfirstlane_b32 s1, v6
	s_mul_i32 s0, s0, s1
	s_mul_hi_u32 s0, s1, s0
	s_add_i32 s1, s1, s0
	s_mul_hi_u32 s0, s6, s1
	s_mul_i32 s0, s0, s72
	s_sub_i32 s0, s6, s0
	s_sub_i32 s1, s0, s72
	s_cmp_ge_u32 s0, s72
	s_cselect_b32 s0, s1, s0
	s_sub_i32 s1, s0, s72
	s_cmp_ge_u32 s0, s72
	s_cselect_b32 s78, s1, s0
	s_mov_b64 s[0:1], s[78:79]
.LBB12_177:                             ;   in Loop: Header=BB12_7 Depth=1
	v_readlane_b32 s6, v64, 23
	s_sub_u32 s10, s6, s0
	s_subb_u32 s11, s55, s1
	v_cmp_gt_i64_e32 vcc, s[10:11], v[0:1]
	s_mov_b64 s[6:7], 0
	s_mov_b64 s[0:1], 0
                                        ; implicit-def: $vgpr45
	s_and_saveexec_b64 s[8:9], vcc
	s_cbranch_execz .LBB12_188
; %bb.178:                              ;   in Loop: Header=BB12_7 Depth=1
	v_mov_b64_e32 v[6:7], v[12:13]
	v_mov_b64_e32 v[8:9], v[0:1]
                                        ; implicit-def: $sgpr30_sgpr31
	s_branch .LBB12_181
.LBB12_179:                             ;   in Loop: Header=BB12_181 Depth=2
	s_or_b64 exec, exec, s[42:43]
	s_waitcnt lgkmcnt(0)
	s_barrier
	ds_read_u16 v10, v3 offset:3072
	s_mov_b64 s[42:43], -1
	s_waitcnt lgkmcnt(0)
	s_barrier
	v_cmp_ne_u32_sdwa s[44:45], v10, v3 src0_sel:BYTE_0 src1_sel:DWORD
	s_and_b64 vcc, exec, s[44:45]
	s_mov_b64 s[44:45], -1
	s_cbranch_vccz .LBB12_184
.LBB12_180:                             ;   in Loop: Header=BB12_181 Depth=2
	s_and_b64 s[42:43], exec, s[42:43]
	s_or_b64 s[0:1], s[42:43], s[0:1]
	s_andn2_b64 s[30:31], s[30:31], exec
	s_and_b64 s[42:43], s[44:45], exec
	s_or_b64 s[30:31], s[30:31], s[42:43]
	s_andn2_b64 exec, exec, s[0:1]
	s_cbranch_execz .LBB12_187
.LBB12_181:                             ;   Parent Loop BB12_7 Depth=1
                                        ; =>  This Inner Loop Header: Depth=2
	v_cmp_gt_i64_e32 vcc, s[56:57], v[8:9]
	s_and_saveexec_b64 s[42:43], vcc
	s_cbranch_execz .LBB12_179
; %bb.182:                              ;   in Loop: Header=BB12_181 Depth=2
	global_load_ubyte v10, v[6:7], off
	s_waitcnt vmcnt(0)
	v_add_u32_sdwa v11, sext(v10), s85 dst_sel:DWORD dst_unused:UNUSED_PAD src0_sel:BYTE_0 src1_sel:DWORD
	v_and_b32_e32 v11, v11, v44
	v_cmp_eq_u32_e32 vcc, v11, v42
	s_and_b64 exec, exec, vcc
	s_cbranch_execz .LBB12_179
; %bb.183:                              ;   in Loop: Header=BB12_181 Depth=2
	v_lshlrev_b16_e32 v10, 8, v10
	v_or_b32_e32 v10, 1, v10
	ds_write_b16 v3, v10 offset:3072
	s_branch .LBB12_179
.LBB12_184:                             ;   in Loop: Header=BB12_181 Depth=2
	v_lshl_add_u64 v[8:9], v[8:9], 0, s[72:73]
	v_cmp_le_i64_e32 vcc, s[10:11], v[8:9]
	v_lshl_add_u64 v[6:7], v[6:7], 0, s[74:75]
	s_mov_b64 s[44:45], 0
	s_orn2_b64 s[42:43], vcc, exec
	s_branch .LBB12_180
.LBB12_185:                             ;   in Loop: Header=BB12_7 Depth=1
                                        ; implicit-def: $sgpr0_sgpr1
	s_andn2_b64 vcc, exec, s[6:7]
	s_cbranch_vccz .LBB12_130
	s_branch .LBB12_131
.LBB12_186:                             ;   in Loop: Header=BB12_7 Depth=1
                                        ; implicit-def: $sgpr6_sgpr7
	s_branch .LBB12_146
.LBB12_187:                             ;   in Loop: Header=BB12_7 Depth=1
	s_or_b64 exec, exec, s[0:1]
	v_lshrrev_b32_sdwa v45, v43, v10 dst_sel:DWORD dst_unused:UNUSED_PAD src0_sel:DWORD src1_sel:WORD_0
	s_and_b64 s[0:1], s[30:31], exec
.LBB12_188:                             ;   in Loop: Header=BB12_7 Depth=1
	s_or_b64 exec, exec, s[8:9]
.LBB12_189:                             ;   in Loop: Header=BB12_7 Depth=1
	s_and_b64 vcc, exec, s[6:7]
	s_cbranch_vccz .LBB12_203
; %bb.190:                              ;   in Loop: Header=BB12_7 Depth=1
	v_readlane_b32 s6, v64, 22
	s_add_u32 s30, s40, s6
	v_readlane_b32 s6, v64, 24
	s_addc_u32 s7, s41, s6
	s_mov_b32 s6, s79
	s_cmp_lg_u64 s[6:7], 0
	s_cbranch_scc0 .LBB12_231
; %bb.191:                              ;   in Loop: Header=BB12_7 Depth=1
	s_add_u32 s8, s72, 0
	s_addc_u32 s9, 0, 0
	s_xor_b64 s[8:9], s[8:9], 0
	v_cvt_f32_u32_e32 v6, s8
	v_cvt_f32_u32_e32 v7, s9
	s_sub_u32 s6, 0, s8
	s_subb_u32 s31, 0, s9
	v_fmac_f32_e32 v6, 0x4f800000, v7
	v_rcp_f32_e32 v6, v6
	s_nop 0
	v_mul_f32_e32 v6, 0x5f7ffffc, v6
	v_mul_f32_e32 v7, 0x2f800000, v6
	v_trunc_f32_e32 v7, v7
	v_fmac_f32_e32 v6, 0xcf800000, v7
	v_cvt_u32_f32_e32 v7, v7
	v_cvt_u32_f32_e32 v6, v6
	v_readfirstlane_b32 s34, v7
	v_readfirstlane_b32 s10, v6
	s_mul_i32 s11, s6, s34
	s_mul_hi_u32 s36, s6, s10
	s_mul_i32 s35, s31, s10
	s_add_i32 s11, s36, s11
	s_mul_i32 s37, s6, s10
	s_add_i32 s11, s11, s35
	s_mul_i32 s36, s10, s11
	s_mul_hi_u32 s42, s10, s37
	s_mul_hi_u32 s35, s10, s11
	s_add_u32 s36, s42, s36
	s_addc_u32 s35, 0, s35
	s_mul_hi_u32 s43, s34, s37
	s_mul_i32 s37, s34, s37
	s_add_u32 s36, s36, s37
	s_mul_hi_u32 s42, s34, s11
	s_addc_u32 s35, s35, s43
	s_addc_u32 s36, s42, 0
	s_mul_i32 s11, s34, s11
	s_add_u32 s11, s35, s11
	s_addc_u32 s35, 0, s36
	s_add_u32 s36, s10, s11
	s_cselect_b64 s[10:11], -1, 0
	s_cmp_lg_u64 s[10:11], 0
	s_addc_u32 s34, s34, s35
	s_mul_i32 s10, s6, s34
	s_mul_hi_u32 s11, s6, s36
	s_add_i32 s10, s11, s10
	s_mul_i32 s31, s31, s36
	s_add_i32 s10, s10, s31
	s_mul_i32 s6, s6, s36
	s_mul_hi_u32 s31, s34, s6
	s_mul_i32 s35, s34, s6
	s_mul_i32 s42, s36, s10
	s_mul_hi_u32 s6, s36, s6
	s_mul_hi_u32 s37, s36, s10
	s_add_u32 s6, s6, s42
	s_addc_u32 s37, 0, s37
	s_add_u32 s6, s6, s35
	s_mul_hi_u32 s11, s34, s10
	s_addc_u32 s6, s37, s31
	s_addc_u32 s11, s11, 0
	s_mul_i32 s10, s34, s10
	s_add_u32 s6, s6, s10
	s_addc_u32 s31, 0, s11
	s_add_u32 s6, s36, s6
	s_cselect_b64 s[10:11], -1, 0
	s_cmp_lg_u64 s[10:11], 0
	s_addc_u32 s31, s34, s31
	s_ashr_i32 s10, s7, 31
	s_add_u32 s34, s30, s10
	s_mov_b32 s11, s10
	s_addc_u32 s35, s7, s10
	s_xor_b64 s[34:35], s[34:35], s[10:11]
	s_mul_i32 s37, s34, s31
	s_mul_hi_u32 s42, s34, s6
	s_mul_hi_u32 s36, s34, s31
	s_add_u32 s37, s42, s37
	s_addc_u32 s36, 0, s36
	s_mul_hi_u32 s43, s35, s6
	s_mul_i32 s6, s35, s6
	s_add_u32 s6, s37, s6
	s_mul_hi_u32 s42, s35, s31
	s_addc_u32 s6, s36, s43
	s_addc_u32 s36, s42, 0
	s_mul_i32 s31, s35, s31
	s_add_u32 s6, s6, s31
	s_addc_u32 s31, 0, s36
	s_mul_i32 s31, s8, s31
	s_mul_hi_u32 s36, s8, s6
	s_add_i32 s31, s36, s31
	s_mul_i32 s36, s9, s6
	s_add_i32 s31, s31, s36
	s_sub_i32 s42, s35, s31
	s_mul_i32 s6, s8, s6
	s_sub_u32 s6, s34, s6
	s_cselect_b64 s[36:37], -1, 0
	s_cmp_lg_u64 s[36:37], 0
	s_subb_u32 s34, s42, s9
	s_sub_u32 s44, s6, s8
	s_cselect_b64 s[42:43], -1, 0
	s_cmp_lg_u64 s[42:43], 0
	s_subb_u32 s45, s34, 0
	s_cmp_ge_u32 s45, s9
	s_cselect_b32 s47, -1, 0
	s_cmp_ge_u32 s44, s8
	s_cselect_b32 s48, -1, 0
	s_cmp_eq_u32 s45, s9
	s_cselect_b32 s47, s48, s47
	s_cmp_lg_u64 s[42:43], 0
	s_subb_u32 s34, s34, s9
	s_sub_u32 s48, s44, s8
	s_cselect_b64 s[42:43], -1, 0
	s_cmp_lg_u64 s[42:43], 0
	s_subb_u32 s34, s34, 0
	s_cmp_lg_u32 s47, 0
	s_cselect_b32 s42, s48, s44
	s_cselect_b32 s34, s34, s45
	s_cmp_lg_u64 s[36:37], 0
	s_subb_u32 s31, s35, s31
	s_cmp_ge_u32 s31, s9
	s_cselect_b32 s35, -1, 0
	s_cmp_ge_u32 s6, s8
	s_cselect_b32 s8, -1, 0
	s_cmp_eq_u32 s31, s9
	s_cselect_b32 s8, s8, s35
	s_cmp_lg_u32 s8, 0
	s_cselect_b32 s9, s34, s31
	s_cselect_b32 s8, s42, s6
	s_xor_b64 s[8:9], s[8:9], s[10:11]
	s_sub_u32 s8, s8, s10
	s_subb_u32 s9, s9, s10
	s_cbranch_execnz .LBB12_193
.LBB12_192:                             ;   in Loop: Header=BB12_7 Depth=1
	v_cvt_f32_u32_e32 v6, s72
	s_sub_i32 s6, 0, s72
	v_rcp_iflag_f32_e32 v6, v6
	s_nop 0
	v_mul_f32_e32 v6, 0x4f7ffffe, v6
	v_cvt_u32_f32_e32 v6, v6
	s_nop 0
	v_readfirstlane_b32 s8, v6
	s_mul_i32 s6, s6, s8
	s_mul_hi_u32 s6, s8, s6
	s_add_i32 s8, s8, s6
	s_mul_hi_u32 s6, s30, s8
	s_mul_i32 s6, s6, s72
	s_sub_i32 s6, s30, s6
	s_sub_i32 s8, s6, s72
	s_cmp_ge_u32 s6, s72
	s_cselect_b32 s6, s8, s6
	s_sub_i32 s8, s6, s72
	s_cmp_ge_u32 s6, s72
	s_cselect_b32 s78, s8, s6
	s_mov_b64 s[8:9], s[78:79]
.LBB12_193:                             ;   in Loop: Header=BB12_7 Depth=1
	s_sub_u32 s8, s30, s8
	s_subb_u32 s9, s7, s9
	v_cmp_gt_i64_e32 vcc, s[8:9], v[0:1]
                                        ; implicit-def: $vgpr45
	s_and_saveexec_b64 s[6:7], vcc
	s_cbranch_execz .LBB12_202
; %bb.194:                              ;   in Loop: Header=BB12_7 Depth=1
	s_mov_b64 s[10:11], 0
	v_mov_b32_e32 v8, v0
	v_mov_b64_e32 v[6:7], v[0:1]
                                        ; implicit-def: $sgpr30_sgpr31
	s_branch .LBB12_197
.LBB12_195:                             ;   in Loop: Header=BB12_197 Depth=2
	s_or_b64 exec, exec, s[34:35]
	s_waitcnt lgkmcnt(0)
	s_barrier
	ds_read_u16 v9, v3 offset:3072
	s_mov_b64 s[34:35], -1
	s_waitcnt lgkmcnt(0)
	s_barrier
	v_cmp_eq_u32_sdwa s[36:37], v9, v3 src0_sel:BYTE_0 src1_sel:DWORD
	s_and_b64 vcc, exec, s[36:37]
	s_mov_b64 s[36:37], -1
	s_cbranch_vccnz .LBB12_200
.LBB12_196:                             ;   in Loop: Header=BB12_197 Depth=2
	s_and_b64 s[34:35], exec, s[34:35]
	s_or_b64 s[10:11], s[34:35], s[10:11]
	s_andn2_b64 s[30:31], s[30:31], exec
	s_and_b64 s[34:35], s[36:37], exec
	s_or_b64 s[30:31], s[30:31], s[34:35]
	s_andn2_b64 exec, exec, s[10:11]
	s_cbranch_execz .LBB12_201
.LBB12_197:                             ;   Parent Loop BB12_7 Depth=1
                                        ; =>  This Inner Loop Header: Depth=2
	v_cmp_gt_u64_e32 vcc, s[40:41], v[6:7]
	s_and_saveexec_b64 s[34:35], vcc
	s_cbranch_execz .LBB12_195
; %bb.198:                              ;   in Loop: Header=BB12_197 Depth=2
	ds_read_u8 v9, v8
	s_waitcnt lgkmcnt(0)
	v_add_u32_sdwa v10, sext(v9), s85 dst_sel:DWORD dst_unused:UNUSED_PAD src0_sel:BYTE_0 src1_sel:DWORD
	v_and_b32_e32 v10, v10, v44
	v_cmp_eq_u32_e32 vcc, v10, v42
	s_and_b64 exec, exec, vcc
	s_cbranch_execz .LBB12_195
; %bb.199:                              ;   in Loop: Header=BB12_197 Depth=2
	v_lshlrev_b16_e32 v9, 8, v9
	v_or_b32_e32 v9, 1, v9
	ds_write_b16 v3, v9 offset:3072
	s_branch .LBB12_195
.LBB12_200:                             ;   in Loop: Header=BB12_197 Depth=2
	v_lshl_add_u64 v[6:7], v[6:7], 0, s[72:73]
	v_cmp_le_i64_e32 vcc, s[8:9], v[6:7]
	v_add_u32_e32 v8, s72, v8
	s_mov_b64 s[36:37], 0
	s_orn2_b64 s[34:35], vcc, exec
	s_branch .LBB12_196
.LBB12_201:                             ;   in Loop: Header=BB12_7 Depth=1
	s_or_b64 exec, exec, s[10:11]
	s_andn2_b64 s[0:1], s[0:1], exec
	s_and_b64 s[8:9], s[30:31], exec
	v_lshrrev_b32_sdwa v45, v43, v9 dst_sel:DWORD dst_unused:UNUSED_PAD src0_sel:DWORD src1_sel:WORD_0
	s_or_b64 s[0:1], s[0:1], s[8:9]
.LBB12_202:                             ;   in Loop: Header=BB12_7 Depth=1
	s_or_b64 exec, exec, s[6:7]
	s_mov_b64 s[34:35], 0
	s_mov_b64 s[36:37], -1
.LBB12_203:                             ;   in Loop: Header=BB12_7 Depth=1
	s_orn2_b64 s[0:1], s[0:1], exec
.LBB12_204:                             ;   in Loop: Header=BB12_7 Depth=1
	s_or_b64 exec, exec, s[38:39]
	s_mov_b64 s[6:7], 0
	s_and_saveexec_b64 s[38:39], s[0:1]
	s_cbranch_execz .LBB12_262
; %bb.205:                              ;   in Loop: Header=BB12_7 Depth=1
	s_xor_b64 s[8:9], s[12:13], -1
	v_mov_b32_e32 v2, 1
	v_mov_b64_e32 v[6:7], 1
	s_and_saveexec_b64 s[0:1], s[8:9]
	s_cbranch_execz .LBB12_214
; %bb.206:                              ;   in Loop: Header=BB12_7 Depth=1
	v_cmp_ge_i64_e32 vcc, s[22:23], v[4:5]
	s_and_saveexec_b64 s[6:7], vcc
	s_xor_b64 s[6:7], exec, s[6:7]
	s_cbranch_execz .LBB12_211
; %bb.207:                              ;   in Loop: Header=BB12_7 Depth=1
	ds_read_b64 v[6:7], v3 offset:5120
	v_and_b32_e32 v2, s46, v42
	v_lshl_or_b32 v42, 2, s84, v2
	v_or_b32_e32 v44, s52, v44
	s_waitcnt lgkmcnt(0)
	v_cmp_ne_u64_e32 vcc, 0, v[6:7]
	s_cbranch_vccnz .LBB12_211
; %bb.208:                              ;   in Loop: Header=BB12_7 Depth=1
	s_mov_b64 s[8:9], exec
	v_readlane_b32 s10, v64, 8
	v_readlane_b32 s11, v64, 9
	s_and_b64 s[10:11], s[8:9], s[10:11]
	s_mov_b64 exec, s[10:11]
; %bb.209:                              ;   in Loop: Header=BB12_7 Depth=1
	v_mov_b64_e32 v[6:7], s[22:23]
	ds_write_b64 v3, v[6:7] offset:5128
; %bb.210:                              ;   in Loop: Header=BB12_7 Depth=1
	s_or_b64 exec, exec, s[8:9]
	s_waitcnt lgkmcnt(0)
	s_barrier
.LBB12_211:                             ;   in Loop: Header=BB12_7 Depth=1
	s_or_saveexec_b64 s[6:7], s[6:7]
	s_mov_b64 s[8:9], 0
	v_mov_b32_e32 v2, 8
	s_xor_b64 exec, exec, s[6:7]
; %bb.212:                              ;   in Loop: Header=BB12_7 Depth=1
	v_mov_b32_e32 v2, s23
	v_subrev_co_u32_e32 v4, vcc, s22, v4
	s_mov_b64 s[8:9], exec
	s_nop 0
	v_subb_co_u32_e32 v5, vcc, v5, v2, vcc
	v_mov_b32_e32 v2, 0
; %bb.213:                              ;   in Loop: Header=BB12_7 Depth=1
	s_or_b64 exec, exec, s[6:7]
	s_and_b64 s[6:7], s[8:9], exec
	v_mov_b64_e32 v[6:7], v[4:5]
.LBB12_214:                             ;   in Loop: Header=BB12_7 Depth=1
	s_or_b64 exec, exec, s[0:1]
	s_mov_b64 s[0:1], -1
                                        ; implicit-def: $sgpr44_sgpr45
                                        ; implicit-def: $sgpr10_sgpr11
	s_and_saveexec_b64 s[12:13], s[6:7]
	s_cbranch_execz .LBB12_261
; %bb.215:                              ;   in Loop: Header=BB12_7 Depth=1
	s_cmp_eq_u64 s[14:15], 1
	s_cselect_b64 s[0:1], -1, 0
	v_cmp_eq_u64_e32 vcc, 1, v[6:7]
	s_and_b64 s[22:23], s[0:1], vcc
	s_mov_b64 s[6:7], -1
                                        ; implicit-def: $sgpr44_sgpr45
                                        ; implicit-def: $sgpr10_sgpr11
	s_and_saveexec_b64 s[40:41], s[22:23]
	s_cbranch_execz .LBB12_249
; %bb.216:                              ;   in Loop: Header=BB12_7 Depth=1
	ds_read_b64 v[4:5], v3 offset:5120
	s_waitcnt lgkmcnt(0)
	s_barrier
	v_readfirstlane_b32 s42, v4
	v_readfirstlane_b32 s43, v5
	s_mov_b64 s[0:1], exec
	v_readlane_b32 s6, v64, 14
	v_readlane_b32 s7, v64, 15
	s_and_b64 s[6:7], s[0:1], s[6:7]
	s_mov_b64 exec, s[6:7]
; %bb.217:                              ;   in Loop: Header=BB12_7 Depth=1
	ds_write_b8 v0, v3 offset:3072
; %bb.218:                              ;   in Loop: Header=BB12_7 Depth=1
	s_or_b64 exec, exec, s[0:1]
	v_cmp_gt_i64_e64 s[0:1], s[42:43], 0
	v_or_b32_e32 v42, s52, v42
	v_or_b32_e32 v44, s52, v44
	s_mov_b64 s[10:11], -1
	s_mov_b64 s[44:45], 0
	s_and_b64 vcc, exec, s[0:1]
	s_mov_b64 s[0:1], 0
	s_mov_b64 s[6:7], -1
	s_waitcnt lgkmcnt(0)
	s_barrier
                                        ; implicit-def: $vgpr45
	s_cbranch_vccnz .LBB12_234
; %bb.219:                              ;   in Loop: Header=BB12_7 Depth=1
	s_mov_b32 s54, s79
	s_cmp_lg_u64 s[54:55], 0
	s_cbranch_scc0 .LBB12_268
; %bb.220:                              ;   in Loop: Header=BB12_7 Depth=1
	s_add_u32 s0, s72, 0
	s_addc_u32 s1, 0, 0
	s_xor_b64 s[0:1], s[0:1], 0
	v_cvt_f32_u32_e32 v4, s0
	v_cvt_f32_u32_e32 v5, s1
	s_sub_u32 s8, 0, s0
	s_subb_u32 s9, 0, s1
	v_fmac_f32_e32 v4, 0x4f800000, v5
	v_rcp_f32_e32 v4, v4
	s_nop 0
	v_mul_f32_e32 v4, 0x5f7ffffc, v4
	v_mul_f32_e32 v5, 0x2f800000, v4
	v_trunc_f32_e32 v5, v5
	v_fmac_f32_e32 v4, 0xcf800000, v5
	v_cvt_u32_f32_e32 v5, v5
	v_cvt_u32_f32_e32 v4, v4
	v_readfirstlane_b32 s30, v5
	v_readfirstlane_b32 s6, v4
	s_mul_i32 s7, s8, s30
	s_mul_hi_u32 s46, s8, s6
	s_mul_i32 s31, s9, s6
	s_add_i32 s7, s46, s7
	s_mul_i32 s47, s8, s6
	s_add_i32 s7, s7, s31
	s_mul_i32 s46, s6, s7
	s_mul_hi_u32 s48, s6, s47
	s_mul_hi_u32 s31, s6, s7
	s_add_u32 s46, s48, s46
	s_addc_u32 s31, 0, s31
	s_mul_hi_u32 s49, s30, s47
	s_mul_i32 s47, s30, s47
	s_add_u32 s46, s46, s47
	s_mul_hi_u32 s48, s30, s7
	s_addc_u32 s31, s31, s49
	s_addc_u32 s46, s48, 0
	s_mul_i32 s7, s30, s7
	s_add_u32 s7, s31, s7
	s_addc_u32 s31, 0, s46
	s_add_u32 s46, s6, s7
	s_cselect_b64 s[6:7], -1, 0
	s_cmp_lg_u64 s[6:7], 0
	s_addc_u32 s30, s30, s31
	s_mul_i32 s6, s8, s30
	s_mul_hi_u32 s7, s8, s46
	s_add_i32 s6, s7, s6
	s_mul_i32 s9, s9, s46
	s_add_i32 s6, s6, s9
	s_mul_i32 s8, s8, s46
	s_mul_hi_u32 s9, s30, s8
	s_mul_i32 s31, s30, s8
	s_mul_i32 s48, s46, s6
	s_mul_hi_u32 s8, s46, s8
	s_mul_hi_u32 s47, s46, s6
	s_add_u32 s8, s8, s48
	s_addc_u32 s47, 0, s47
	s_add_u32 s8, s8, s31
	s_mul_hi_u32 s7, s30, s6
	s_addc_u32 s8, s47, s9
	s_addc_u32 s7, s7, 0
	s_mul_i32 s6, s30, s6
	s_add_u32 s6, s8, s6
	s_addc_u32 s8, 0, s7
	s_add_u32 s31, s46, s6
	s_cselect_b64 s[6:7], -1, 0
	s_cmp_lg_u64 s[6:7], 0
	s_addc_u32 s30, s30, s8
	s_ashr_i32 s6, s55, 31
	v_readlane_b32 s8, v64, 23
	s_add_u32 s8, s8, s6
	s_mov_b32 s7, s6
	s_addc_u32 s9, s55, s6
	s_xor_b64 s[8:9], s[8:9], s[6:7]
	s_mul_i32 s47, s8, s30
	s_mul_hi_u32 s48, s8, s31
	s_mul_hi_u32 s46, s8, s30
	s_add_u32 s47, s48, s47
	s_addc_u32 s46, 0, s46
	s_mul_hi_u32 s49, s9, s31
	s_mul_i32 s31, s9, s31
	s_add_u32 s31, s47, s31
	s_mul_hi_u32 s48, s9, s30
	s_addc_u32 s31, s46, s49
	s_addc_u32 s46, s48, 0
	s_mul_i32 s30, s9, s30
	s_add_u32 s30, s31, s30
	s_addc_u32 s31, 0, s46
	s_mul_i32 s31, s0, s31
	s_mul_hi_u32 s46, s0, s30
	s_add_i32 s31, s46, s31
	s_mul_i32 s46, s1, s30
	s_add_i32 s48, s31, s46
	s_sub_i32 s46, s9, s48
	s_mul_i32 s30, s0, s30
	s_sub_u32 s8, s8, s30
	s_cselect_b64 s[30:31], -1, 0
	s_cmp_lg_u64 s[30:31], 0
	s_subb_u32 s49, s46, s1
	s_sub_u32 s50, s8, s0
	s_cselect_b64 s[46:47], -1, 0
	s_cmp_lg_u64 s[46:47], 0
	s_subb_u32 s51, s49, 0
	s_cmp_ge_u32 s51, s1
	s_cselect_b32 s53, -1, 0
	s_cmp_ge_u32 s50, s0
	s_cselect_b32 s54, -1, 0
	s_cmp_eq_u32 s51, s1
	s_cselect_b32 s53, s54, s53
	s_cmp_lg_u64 s[46:47], 0
	s_subb_u32 s49, s49, s1
	s_sub_u32 s54, s50, s0
	s_cselect_b64 s[46:47], -1, 0
	s_cmp_lg_u64 s[46:47], 0
	s_subb_u32 s46, s49, 0
	s_cmp_lg_u32 s53, 0
	s_cselect_b32 s47, s54, s50
	s_cselect_b32 s46, s46, s51
	s_cmp_lg_u64 s[30:31], 0
	s_subb_u32 s9, s9, s48
	s_cmp_ge_u32 s9, s1
	s_cselect_b32 s30, -1, 0
	s_cmp_ge_u32 s8, s0
	s_cselect_b32 s0, -1, 0
	s_cmp_eq_u32 s9, s1
	s_cselect_b32 s0, s0, s30
	s_cmp_lg_u32 s0, 0
	s_cselect_b32 s1, s46, s9
	s_cselect_b32 s0, s47, s8
	s_xor_b64 s[0:1], s[0:1], s[6:7]
	s_sub_u32 s0, s0, s6
	s_subb_u32 s1, s1, s6
	s_cbranch_execnz .LBB12_222
.LBB12_221:                             ;   in Loop: Header=BB12_7 Depth=1
	v_cvt_f32_u32_e32 v4, s72
	s_sub_i32 s0, 0, s72
	v_readlane_b32 s6, v64, 23
	v_rcp_iflag_f32_e32 v4, v4
	s_nop 0
	v_mul_f32_e32 v4, 0x4f7ffffe, v4
	v_cvt_u32_f32_e32 v4, v4
	s_nop 0
	v_readfirstlane_b32 s1, v4
	s_mul_i32 s0, s0, s1
	s_mul_hi_u32 s0, s1, s0
	s_add_i32 s1, s1, s0
	s_mul_hi_u32 s0, s6, s1
	s_mul_i32 s0, s0, s72
	s_sub_i32 s0, s6, s0
	s_sub_i32 s1, s0, s72
	s_cmp_ge_u32 s0, s72
	s_cselect_b32 s0, s1, s0
	s_sub_i32 s1, s0, s72
	s_cmp_ge_u32 s0, s72
	s_cselect_b32 s78, s1, s0
	s_mov_b64 s[0:1], s[78:79]
.LBB12_222:                             ;   in Loop: Header=BB12_7 Depth=1
	v_readlane_b32 s6, v64, 23
	s_sub_u32 s30, s6, s0
	s_subb_u32 s31, s55, s1
	v_cmp_gt_i64_e32 vcc, s[30:31], v[0:1]
	s_mov_b64 s[6:7], 0
	s_mov_b64 s[0:1], 0
                                        ; implicit-def: $vgpr45
	s_and_saveexec_b64 s[8:9], vcc
	s_cbranch_execz .LBB12_233
; %bb.223:                              ;   in Loop: Header=BB12_7 Depth=1
	v_mov_b64_e32 v[4:5], v[12:13]
	v_mov_b64_e32 v[8:9], v[0:1]
                                        ; implicit-def: $sgpr46_sgpr47
	s_branch .LBB12_226
.LBB12_224:                             ;   in Loop: Header=BB12_226 Depth=2
	s_or_b64 exec, exec, s[48:49]
	s_waitcnt lgkmcnt(0)
	s_barrier
	ds_read_u16 v10, v3 offset:3072
	s_mov_b64 s[48:49], -1
	s_waitcnt lgkmcnt(0)
	s_barrier
	v_cmp_ne_u32_sdwa s[50:51], v10, v3 src0_sel:BYTE_0 src1_sel:DWORD
	s_and_b64 vcc, exec, s[50:51]
	s_mov_b64 s[50:51], -1
	s_cbranch_vccz .LBB12_229
.LBB12_225:                             ;   in Loop: Header=BB12_226 Depth=2
	s_and_b64 s[48:49], exec, s[48:49]
	s_or_b64 s[0:1], s[48:49], s[0:1]
	s_andn2_b64 s[46:47], s[46:47], exec
	s_and_b64 s[48:49], s[50:51], exec
	s_or_b64 s[46:47], s[46:47], s[48:49]
	s_andn2_b64 exec, exec, s[0:1]
	s_cbranch_execz .LBB12_232
.LBB12_226:                             ;   Parent Loop BB12_7 Depth=1
                                        ; =>  This Inner Loop Header: Depth=2
	v_cmp_gt_i64_e32 vcc, s[56:57], v[8:9]
	s_and_saveexec_b64 s[48:49], vcc
	s_cbranch_execz .LBB12_224
; %bb.227:                              ;   in Loop: Header=BB12_226 Depth=2
	global_load_ubyte v10, v[4:5], off
	s_waitcnt vmcnt(0)
	v_add_u32_sdwa v11, sext(v10), s85 dst_sel:DWORD dst_unused:UNUSED_PAD src0_sel:BYTE_0 src1_sel:DWORD
	v_and_b32_e32 v11, v11, v44
	v_cmp_eq_u32_e32 vcc, v11, v42
	s_and_b64 exec, exec, vcc
	s_cbranch_execz .LBB12_224
; %bb.228:                              ;   in Loop: Header=BB12_226 Depth=2
	v_lshlrev_b16_e32 v10, 8, v10
	v_or_b32_e32 v10, 1, v10
	ds_write_b16 v3, v10 offset:3072
	s_branch .LBB12_224
.LBB12_229:                             ;   in Loop: Header=BB12_226 Depth=2
	v_lshl_add_u64 v[8:9], v[8:9], 0, s[72:73]
	v_cmp_le_i64_e32 vcc, s[30:31], v[8:9]
	v_lshl_add_u64 v[4:5], v[4:5], 0, s[74:75]
	s_mov_b64 s[50:51], 0
	s_orn2_b64 s[48:49], vcc, exec
	s_branch .LBB12_225
.LBB12_230:                             ;   in Loop: Header=BB12_7 Depth=1
                                        ; implicit-def: $sgpr0_sgpr1
	s_andn2_b64 vcc, exec, s[6:7]
	s_cbranch_vccz .LBB12_176
	s_branch .LBB12_177
.LBB12_231:                             ;   in Loop: Header=BB12_7 Depth=1
                                        ; implicit-def: $sgpr8_sgpr9
	s_branch .LBB12_192
.LBB12_232:                             ;   in Loop: Header=BB12_7 Depth=1
	s_or_b64 exec, exec, s[0:1]
	v_lshrrev_b32_sdwa v45, v43, v10 dst_sel:DWORD dst_unused:UNUSED_PAD src0_sel:DWORD src1_sel:WORD_0
	s_and_b64 s[0:1], s[46:47], exec
.LBB12_233:                             ;   in Loop: Header=BB12_7 Depth=1
	s_or_b64 exec, exec, s[8:9]
	v_readlane_b32 s49, v64, 42
	v_readlane_b32 s50, v64, 43
	s_mov_b32 s51, 0xc0c0004
.LBB12_234:                             ;   in Loop: Header=BB12_7 Depth=1
	s_and_b64 vcc, exec, s[6:7]
	s_cbranch_vccz .LBB12_248
; %bb.235:                              ;   in Loop: Header=BB12_7 Depth=1
	v_readlane_b32 s6, v64, 22
	s_add_u32 s30, s42, s6
	v_readlane_b32 s6, v64, 24
	s_addc_u32 s7, s43, s6
	s_mov_b32 s6, s79
	s_cmp_lg_u64 s[6:7], 0
	s_cbranch_scc0 .LBB12_269
; %bb.236:                              ;   in Loop: Header=BB12_7 Depth=1
	s_add_u32 s8, s72, 0
	s_addc_u32 s9, 0, 0
	s_xor_b64 s[8:9], s[8:9], 0
	v_cvt_f32_u32_e32 v4, s8
	v_cvt_f32_u32_e32 v5, s9
	s_sub_u32 s6, 0, s8
	s_subb_u32 s31, 0, s9
	v_fmac_f32_e32 v4, 0x4f800000, v5
	v_rcp_f32_e32 v4, v4
	s_nop 0
	v_mul_f32_e32 v4, 0x5f7ffffc, v4
	v_mul_f32_e32 v5, 0x2f800000, v4
	v_trunc_f32_e32 v5, v5
	v_fmac_f32_e32 v4, 0xcf800000, v5
	v_cvt_u32_f32_e32 v5, v5
	v_cvt_u32_f32_e32 v4, v4
	v_readfirstlane_b32 s44, v5
	v_readfirstlane_b32 s10, v4
	s_mul_i32 s11, s6, s44
	s_mul_hi_u32 s46, s6, s10
	s_mul_i32 s45, s31, s10
	s_add_i32 s11, s46, s11
	s_mul_i32 s47, s6, s10
	s_add_i32 s11, s11, s45
	s_mul_i32 s46, s10, s11
	s_mul_hi_u32 s48, s10, s47
	s_mul_hi_u32 s45, s10, s11
	s_add_u32 s46, s48, s46
	s_addc_u32 s45, 0, s45
	s_mul_hi_u32 s49, s44, s47
	s_mul_i32 s47, s44, s47
	s_add_u32 s46, s46, s47
	s_mul_hi_u32 s48, s44, s11
	s_addc_u32 s45, s45, s49
	s_addc_u32 s46, s48, 0
	s_mul_i32 s11, s44, s11
	s_add_u32 s11, s45, s11
	s_addc_u32 s45, 0, s46
	s_add_u32 s46, s10, s11
	s_cselect_b64 s[10:11], -1, 0
	s_cmp_lg_u64 s[10:11], 0
	s_addc_u32 s44, s44, s45
	s_mul_i32 s10, s6, s44
	s_mul_hi_u32 s11, s6, s46
	s_add_i32 s10, s11, s10
	s_mul_i32 s31, s31, s46
	s_add_i32 s10, s10, s31
	s_mul_i32 s6, s6, s46
	s_mul_hi_u32 s31, s44, s6
	s_mul_i32 s45, s44, s6
	s_mul_i32 s48, s46, s10
	s_mul_hi_u32 s6, s46, s6
	s_mul_hi_u32 s47, s46, s10
	s_add_u32 s6, s6, s48
	s_addc_u32 s47, 0, s47
	s_add_u32 s6, s6, s45
	s_mul_hi_u32 s11, s44, s10
	s_addc_u32 s6, s47, s31
	s_addc_u32 s11, s11, 0
	s_mul_i32 s10, s44, s10
	s_add_u32 s6, s6, s10
	s_addc_u32 s31, 0, s11
	s_add_u32 s6, s46, s6
	s_cselect_b64 s[10:11], -1, 0
	s_cmp_lg_u64 s[10:11], 0
	s_addc_u32 s31, s44, s31
	s_ashr_i32 s10, s7, 31
	s_add_u32 s44, s30, s10
	s_mov_b32 s11, s10
	s_addc_u32 s45, s7, s10
	s_xor_b64 s[44:45], s[44:45], s[10:11]
	s_mul_i32 s47, s44, s31
	s_mul_hi_u32 s48, s44, s6
	s_mul_hi_u32 s46, s44, s31
	s_add_u32 s47, s48, s47
	s_addc_u32 s46, 0, s46
	s_mul_hi_u32 s49, s45, s6
	s_mul_i32 s6, s45, s6
	s_add_u32 s6, s47, s6
	s_mul_hi_u32 s48, s45, s31
	s_addc_u32 s6, s46, s49
	s_addc_u32 s46, s48, 0
	s_mul_i32 s31, s45, s31
	s_add_u32 s6, s6, s31
	s_addc_u32 s31, 0, s46
	s_mul_i32 s31, s8, s31
	s_mul_hi_u32 s46, s8, s6
	s_add_i32 s31, s46, s31
	s_mul_i32 s46, s9, s6
	s_add_i32 s31, s31, s46
	s_sub_i32 s48, s45, s31
	s_mul_i32 s6, s8, s6
	s_sub_u32 s6, s44, s6
	s_cselect_b64 s[46:47], -1, 0
	s_cmp_lg_u64 s[46:47], 0
	s_subb_u32 s44, s48, s9
	s_sub_u32 s50, s6, s8
	s_cselect_b64 s[48:49], -1, 0
	s_cmp_lg_u64 s[48:49], 0
	s_subb_u32 s51, s44, 0
	s_cmp_ge_u32 s51, s9
	s_cselect_b32 s53, -1, 0
	s_cmp_ge_u32 s50, s8
	s_cselect_b32 s54, -1, 0
	s_cmp_eq_u32 s51, s9
	s_cselect_b32 s53, s54, s53
	s_cmp_lg_u64 s[48:49], 0
	s_subb_u32 s44, s44, s9
	s_sub_u32 s54, s50, s8
	s_cselect_b64 s[48:49], -1, 0
	s_cmp_lg_u64 s[48:49], 0
	s_subb_u32 s44, s44, 0
	s_cmp_lg_u32 s53, 0
	s_cselect_b32 s48, s54, s50
	s_cselect_b32 s44, s44, s51
	s_cmp_lg_u64 s[46:47], 0
	s_subb_u32 s31, s45, s31
	s_cmp_ge_u32 s31, s9
	s_cselect_b32 s45, -1, 0
	s_cmp_ge_u32 s6, s8
	s_cselect_b32 s8, -1, 0
	s_cmp_eq_u32 s31, s9
	s_cselect_b32 s8, s8, s45
	s_cmp_lg_u32 s8, 0
	s_cselect_b32 s9, s44, s31
	s_cselect_b32 s8, s48, s6
	s_xor_b64 s[8:9], s[8:9], s[10:11]
	s_sub_u32 s8, s8, s10
	v_readlane_b32 s49, v64, 42
	v_readlane_b32 s50, v64, 43
	s_mov_b32 s51, 0xc0c0004
	s_subb_u32 s9, s9, s10
	s_cbranch_execnz .LBB12_238
.LBB12_237:                             ;   in Loop: Header=BB12_7 Depth=1
	v_cvt_f32_u32_e32 v4, s72
	s_sub_i32 s6, 0, s72
	v_rcp_iflag_f32_e32 v4, v4
	s_nop 0
	v_mul_f32_e32 v4, 0x4f7ffffe, v4
	v_cvt_u32_f32_e32 v4, v4
	s_nop 0
	v_readfirstlane_b32 s8, v4
	s_mul_i32 s6, s6, s8
	s_mul_hi_u32 s6, s8, s6
	s_add_i32 s8, s8, s6
	s_mul_hi_u32 s6, s30, s8
	s_mul_i32 s6, s6, s72
	s_sub_i32 s6, s30, s6
	s_sub_i32 s8, s6, s72
	s_cmp_ge_u32 s6, s72
	s_cselect_b32 s6, s8, s6
	s_sub_i32 s8, s6, s72
	s_cmp_ge_u32 s6, s72
	s_cselect_b32 s78, s8, s6
	s_mov_b64 s[8:9], s[78:79]
.LBB12_238:                             ;   in Loop: Header=BB12_7 Depth=1
	s_sub_u32 s8, s30, s8
	s_subb_u32 s9, s7, s9
	v_cmp_gt_i64_e32 vcc, s[8:9], v[0:1]
                                        ; implicit-def: $vgpr45
	s_and_saveexec_b64 s[6:7], vcc
	s_cbranch_execz .LBB12_247
; %bb.239:                              ;   in Loop: Header=BB12_7 Depth=1
	s_mov_b64 s[10:11], 0
	v_mov_b32_e32 v8, v0
	v_mov_b64_e32 v[4:5], v[0:1]
                                        ; implicit-def: $sgpr30_sgpr31
	s_branch .LBB12_242
.LBB12_240:                             ;   in Loop: Header=BB12_242 Depth=2
	s_or_b64 exec, exec, s[44:45]
	s_waitcnt lgkmcnt(0)
	s_barrier
	ds_read_u16 v9, v3 offset:3072
	s_mov_b64 s[44:45], -1
	s_waitcnt lgkmcnt(0)
	s_barrier
	v_cmp_eq_u32_sdwa s[46:47], v9, v3 src0_sel:BYTE_0 src1_sel:DWORD
	s_and_b64 vcc, exec, s[46:47]
	s_mov_b64 s[46:47], -1
	s_cbranch_vccnz .LBB12_245
.LBB12_241:                             ;   in Loop: Header=BB12_242 Depth=2
	s_and_b64 s[44:45], exec, s[44:45]
	s_or_b64 s[10:11], s[44:45], s[10:11]
	s_andn2_b64 s[30:31], s[30:31], exec
	s_and_b64 s[44:45], s[46:47], exec
	s_or_b64 s[30:31], s[30:31], s[44:45]
	s_andn2_b64 exec, exec, s[10:11]
	s_cbranch_execz .LBB12_246
.LBB12_242:                             ;   Parent Loop BB12_7 Depth=1
                                        ; =>  This Inner Loop Header: Depth=2
	v_cmp_gt_u64_e32 vcc, s[42:43], v[4:5]
	s_and_saveexec_b64 s[44:45], vcc
	s_cbranch_execz .LBB12_240
; %bb.243:                              ;   in Loop: Header=BB12_242 Depth=2
	ds_read_u8 v9, v8
	s_waitcnt lgkmcnt(0)
	v_add_u32_sdwa v10, sext(v9), s85 dst_sel:DWORD dst_unused:UNUSED_PAD src0_sel:BYTE_0 src1_sel:DWORD
	v_and_b32_e32 v10, v10, v44
	v_cmp_eq_u32_e32 vcc, v10, v42
	s_and_b64 exec, exec, vcc
	s_cbranch_execz .LBB12_240
; %bb.244:                              ;   in Loop: Header=BB12_242 Depth=2
	v_lshlrev_b16_e32 v9, 8, v9
	v_or_b32_e32 v9, 1, v9
	ds_write_b16 v3, v9 offset:3072
	s_branch .LBB12_240
.LBB12_245:                             ;   in Loop: Header=BB12_242 Depth=2
	v_lshl_add_u64 v[4:5], v[4:5], 0, s[72:73]
	v_cmp_le_i64_e32 vcc, s[8:9], v[4:5]
	v_add_u32_e32 v8, s72, v8
	s_mov_b64 s[46:47], 0
	s_orn2_b64 s[44:45], vcc, exec
	s_branch .LBB12_241
.LBB12_246:                             ;   in Loop: Header=BB12_7 Depth=1
	s_or_b64 exec, exec, s[10:11]
	s_andn2_b64 s[0:1], s[0:1], exec
	s_and_b64 s[8:9], s[30:31], exec
	v_lshrrev_b32_sdwa v45, v43, v9 dst_sel:DWORD dst_unused:UNUSED_PAD src0_sel:DWORD src1_sel:WORD_0
	s_or_b64 s[0:1], s[0:1], s[8:9]
.LBB12_247:                             ;   in Loop: Header=BB12_7 Depth=1
	s_or_b64 exec, exec, s[6:7]
	s_mov_b64 s[10:11], 0
	s_mov_b64 s[44:45], -1
.LBB12_248:                             ;   in Loop: Header=BB12_7 Depth=1
	s_orn2_b64 s[6:7], s[0:1], exec
.LBB12_249:                             ;   in Loop: Header=BB12_7 Depth=1
	s_or_b64 exec, exec, s[40:41]
	s_mov_b64 s[8:9], 0
	s_and_saveexec_b64 s[0:1], s[6:7]
	s_cbranch_execz .LBB12_260
; %bb.250:                              ;   in Loop: Header=BB12_7 Depth=1
	s_xor_b64 s[8:9], s[22:23], -1
	v_mov_b64_e32 v[4:5], 1
	v_mov_b32_e32 v2, 1
	s_and_saveexec_b64 s[6:7], s[8:9]
	s_cbranch_execz .LBB12_259
; %bb.251:                              ;   in Loop: Header=BB12_7 Depth=1
	v_cmp_ge_i64_e32 vcc, s[14:15], v[6:7]
	s_and_saveexec_b64 s[8:9], vcc
	s_xor_b64 s[8:9], exec, s[8:9]
	s_cbranch_execz .LBB12_256
; %bb.252:                              ;   in Loop: Header=BB12_7 Depth=1
	ds_read_b64 v[4:5], v3 offset:5120
	v_or_b32_e32 v42, s52, v42
	v_or_b32_e32 v44, s52, v44
	s_waitcnt lgkmcnt(0)
	v_cmp_ne_u64_e32 vcc, 0, v[4:5]
	s_cbranch_vccnz .LBB12_256
; %bb.253:                              ;   in Loop: Header=BB12_7 Depth=1
	s_mov_b64 s[22:23], exec
	v_readlane_b32 s30, v64, 8
	v_readlane_b32 s31, v64, 9
	s_and_b64 s[30:31], s[22:23], s[30:31]
	s_mov_b64 exec, s[30:31]
; %bb.254:                              ;   in Loop: Header=BB12_7 Depth=1
	v_mov_b64_e32 v[4:5], s[14:15]
	ds_write_b64 v3, v[4:5] offset:5128
; %bb.255:                              ;   in Loop: Header=BB12_7 Depth=1
	s_or_b64 exec, exec, s[22:23]
	s_waitcnt lgkmcnt(0)
	s_barrier
.LBB12_256:                             ;   in Loop: Header=BB12_7 Depth=1
	s_andn2_saveexec_b64 s[8:9], s[8:9]
; %bb.257:                              ;   in Loop: Header=BB12_7 Depth=1
	v_mov_b32_e32 v2, s15
	v_subrev_co_u32_e32 v6, vcc, s14, v6
	s_nop 1
	v_subb_co_u32_e32 v7, vcc, v7, v2, vcc
; %bb.258:                              ;   in Loop: Header=BB12_7 Depth=1
	s_or_b64 exec, exec, s[8:9]
	v_mov_b32_e32 v2, 8
	v_mov_b64_e32 v[4:5], v[6:7]
.LBB12_259:                             ;   in Loop: Header=BB12_7 Depth=1
	s_or_b64 exec, exec, s[6:7]
	s_mov_b64 s[8:9], exec
	v_mov_b64_e32 v[6:7], v[4:5]
.LBB12_260:                             ;   in Loop: Header=BB12_7 Depth=1
	s_or_b64 exec, exec, s[0:1]
	s_orn2_b64 s[0:1], s[8:9], exec
.LBB12_261:                             ;   in Loop: Header=BB12_7 Depth=1
	s_or_b64 exec, exec, s[12:13]
	s_andn2_b64 s[6:7], s[36:37], exec
	s_and_b64 s[8:9], s[44:45], exec
	s_or_b64 s[36:37], s[6:7], s[8:9]
	s_andn2_b64 s[6:7], s[34:35], exec
	s_and_b64 s[8:9], s[10:11], exec
	s_or_b64 s[34:35], s[6:7], s[8:9]
	s_and_b64 s[6:7], s[0:1], exec
	v_mov_b64_e32 v[4:5], v[6:7]
.LBB12_262:                             ;   in Loop: Header=BB12_7 Depth=1
	s_or_b64 exec, exec, s[38:39]
	s_orn2_b64 s[0:1], s[6:7], exec
.LBB12_263:                             ;   in Loop: Header=BB12_7 Depth=1
	s_or_b64 exec, exec, s[28:29]
	s_andn2_b64 s[6:7], s[24:25], exec
	s_and_b64 s[8:9], s[36:37], exec
	s_or_b64 s[24:25], s[6:7], s[8:9]
	s_andn2_b64 s[2:3], s[2:3], exec
	s_and_b64 s[6:7], s[34:35], exec
	s_or_b64 s[2:3], s[2:3], s[6:7]
	s_and_b64 s[6:7], s[0:1], exec
	v_mov_b64_e32 v[8:9], v[4:5]
.LBB12_264:                             ;   in Loop: Header=BB12_7 Depth=1
	s_or_b64 exec, exec, s[26:27]
	s_orn2_b64 s[0:1], s[6:7], exec
.LBB12_265:                             ;   in Loop: Header=BB12_7 Depth=1
	s_or_b64 exec, exec, s[20:21]
	s_mov_b64 s[6:7], 0
	s_and_saveexec_b64 s[8:9], s[0:1]
	s_xor_b64 s[0:1], exec, s[8:9]
	s_cbranch_execz .LBB12_5
; %bb.266:                              ;   in Loop: Header=BB12_7 Depth=1
	v_and_b32_e32 v2, 7, v2
	v_cmp_eq_u32_e32 vcc, 0, v2
	s_mov_b64 s[8:9], -1
	s_mov_b64 s[6:7], -1
	s_and_saveexec_b64 s[10:11], vcc
	s_cbranch_execz .LBB12_4
; %bb.267:                              ;   in Loop: Header=BB12_7 Depth=1
	s_xor_b32 s65, s65, 1
	s_add_i32 s12, s84, -2
	s_cmp_eq_u32 s84, 0
	s_cselect_b64 s[8:9], -1, 0
	s_xor_b64 s[6:7], exec, -1
	s_orn2_b64 s[8:9], s[8:9], exec
	s_mov_b32 s84, s12
	s_branch .LBB12_4
.LBB12_268:                             ;   in Loop: Header=BB12_7 Depth=1
                                        ; implicit-def: $sgpr0_sgpr1
	s_andn2_b64 vcc, exec, s[6:7]
	s_cbranch_vccz .LBB12_221
	s_branch .LBB12_222
.LBB12_269:                             ;   in Loop: Header=BB12_7 Depth=1
                                        ; implicit-def: $sgpr8_sgpr9
	s_branch .LBB12_237
.LBB12_270:
	s_or_b64 exec, exec, s[94:95]
	s_xor_b64 s[6:7], s[98:99], -1
	s_xor_b64 s[0:1], s[58:59], -1
	;; [unrolled: 1-line block ×3, first 2 shown]
	s_mov_b64 s[2:3], 0
	s_and_saveexec_b64 s[8:9], s[0:1]
	s_xor_b64 s[0:1], exec, s[8:9]
	s_cbranch_execnz .LBB12_275
; %bb.271:
	s_andn2_saveexec_b64 s[0:1], s[0:1]
	s_cbranch_execnz .LBB12_297
.LBB12_272:
	s_or_b64 exec, exec, s[0:1]
	s_and_saveexec_b64 s[0:1], s[2:3]
.LBB12_273:
	; divergent unreachable
.LBB12_274:
	s_endpgm
.LBB12_275:
	s_and_saveexec_b64 s[2:3], s[6:7]
	s_xor_b64 s[2:3], exec, s[2:3]
	s_cbranch_execz .LBB12_295
; %bb.276:
	s_and_saveexec_b64 s[6:7], s[4:5]
	s_xor_b64 s[4:5], exec, s[6:7]
; %bb.277:
	v_xor_b32_e32 v45, 0xffffff80, v42
; %bb.278:
	s_or_b64 exec, exec, s[4:5]
	s_mov_b64 s[4:5], exec
	v_readlane_b32 s6, v64, 8
	v_readlane_b32 s7, v64, 9
	s_and_b64 s[6:7], s[4:5], s[6:7]
	v_readlane_b32 s24, v64, 10
	v_readlane_b32 s25, v64, 11
	s_mov_b64 exec, s[6:7]
; %bb.279:
	v_mov_b32_e32 v2, 0
	v_mov_b32_e32 v3, s56
	ds_write_b32 v2, v3 offset:5140
; %bb.280:
	s_or_b64 exec, exec, s[4:5]
	s_waitcnt lgkmcnt(0)
	s_barrier
	s_mov_b64 s[4:5], exec
	v_readlane_b32 s6, v64, 18
	v_readlane_b32 s7, v64, 19
	s_and_b64 s[6:7], s[4:5], s[6:7]
	s_mov_b64 exec, s[6:7]
	s_cbranch_execz .LBB12_292
; %bb.281:
	v_mov_b32_e32 v2, 0
	ds_read_b32 v4, v2 offset:5140
	s_mov_b64 s[6:7], 0
                                        ; implicit-def: $sgpr8_sgpr9
                                        ; implicit-def: $sgpr10_sgpr11
                                        ; implicit-def: $sgpr12_sgpr13
	s_waitcnt lgkmcnt(0)
	v_ashrrev_i32_e32 v5, 31, v4
	s_branch .LBB12_284
.LBB12_282:                             ;   in Loop: Header=BB12_284 Depth=1
	s_or_b64 exec, exec, s[20:21]
	s_andn2_b64 s[12:13], s[12:13], exec
	s_and_b64 s[18:19], s[18:19], exec
	s_andn2_b64 s[10:11], s[10:11], exec
	s_and_b64 s[16:17], s[16:17], exec
	s_or_b64 s[12:13], s[12:13], s[18:19]
	s_or_b64 s[10:11], s[10:11], s[16:17]
.LBB12_283:                             ;   in Loop: Header=BB12_284 Depth=1
	s_or_b64 exec, exec, s[14:15]
	s_and_b64 s[14:15], exec, s[10:11]
	s_or_b64 s[6:7], s[14:15], s[6:7]
	s_andn2_b64 s[8:9], s[8:9], exec
	s_and_b64 s[14:15], s[12:13], exec
	s_or_b64 s[8:9], s[8:9], s[14:15]
	s_andn2_b64 exec, exec, s[6:7]
	s_cbranch_execz .LBB12_287
.LBB12_284:                             ; =>This Inner Loop Header: Depth=1
	v_mov_b64_e32 v[2:3], v[0:1]
	v_cmp_lt_i64_e32 vcc, v[2:3], v[4:5]
	s_or_b64 s[12:13], s[12:13], exec
	s_or_b64 s[10:11], s[10:11], exec
                                        ; implicit-def: $vgpr0_vgpr1
	s_and_saveexec_b64 s[14:15], vcc
	s_cbranch_execz .LBB12_283
; %bb.285:                              ;   in Loop: Header=BB12_284 Depth=1
	global_load_ubyte v0, v[12:13], off
	s_mov_b64 s[16:17], -1
	s_mov_b64 s[18:19], 0
	s_waitcnt vmcnt(0)
	v_cmp_ne_u16_sdwa s[22:23], v0, v45 src0_sel:DWORD src1_sel:BYTE_0
                                        ; implicit-def: $vgpr0_vgpr1
	s_and_saveexec_b64 s[20:21], s[22:23]
	s_cbranch_execz .LBB12_282
; %bb.286:                              ;   in Loop: Header=BB12_284 Depth=1
	v_lshl_add_u64 v[0:1], v[2:3], 0, s[72:73]
	v_cmp_le_i64_e32 vcc, s[56:57], v[0:1]
	s_mov_b64 s[18:19], exec
	v_lshl_add_u64 v[12:13], v[12:13], 0, s[74:75]
	s_orn2_b64 s[16:17], vcc, exec
	s_branch .LBB12_282
.LBB12_287:
	s_or_b64 exec, exec, s[6:7]
	s_xor_b64 s[6:7], s[8:9], -1
	s_and_saveexec_b64 s[8:9], s[6:7]
	s_xor_b64 s[8:9], exec, s[8:9]
	s_cbranch_execz .LBB12_292
; %bb.288:
	s_mov_b64 s[6:7], exec
	s_brev_b32 s8, -2
.LBB12_289:                             ; =>This Inner Loop Header: Depth=1
	s_ff1_i32_b64 s9, s[6:7]
	v_readlane_b32 s12, v2, s9
	s_lshl_b64 s[10:11], 1, s9
	s_min_i32 s8, s8, s12
	s_andn2_b64 s[6:7], s[6:7], s[10:11]
	s_cmp_lg_u64 s[6:7], 0
	s_cbranch_scc1 .LBB12_289
; %bb.290:
	v_mbcnt_lo_u32_b32 v0, exec_lo, 0
	v_mbcnt_hi_u32_b32 v0, exec_hi, v0
	v_cmp_eq_u32_e32 vcc, 0, v0
	s_and_saveexec_b64 s[6:7], vcc
	s_xor_b64 s[6:7], exec, s[6:7]
; %bb.291:
	v_mov_b32_e32 v0, 0
	v_mov_b32_e32 v1, s8
	ds_min_i32 v0, v1 offset:5140
.LBB12_292:
	s_or_b64 exec, exec, s[4:5]
	s_waitcnt lgkmcnt(0)
	s_barrier
	s_mov_b64 s[4:5], exec
	v_readlane_b32 s6, v64, 8
	v_readlane_b32 s7, v64, 9
	s_and_b64 s[6:7], s[4:5], s[6:7]
	s_mov_b64 exec, s[6:7]
	s_cbranch_execz .LBB12_294
; %bb.293:
	v_readlane_b32 s8, v64, 4
	v_readlane_b32 s9, v64, 5
	;; [unrolled: 1-line block ×3, first 2 shown]
	s_mul_i32 s6, s9, s24
	s_mul_hi_u32 s7, s8, s24
	v_readlane_b32 s11, v64, 1
	v_mov_b32_e32 v2, 0
	s_add_i32 s9, s7, s6
	s_mul_i32 s6, s11, s24
	s_mul_hi_u32 s7, s10, s24
	ds_read_b32 v0, v2 offset:5140
	s_mul_i32 s8, s8, s24
	s_add_i32 s7, s7, s6
	s_mul_i32 s6, s10, s24
	v_readlane_b32 s10, v64, 6
	v_readlane_b32 s11, v64, 7
	s_add_u32 s8, s10, s8
	s_addc_u32 s9, s11, s9
	s_lshl_b64 s[6:7], s[6:7], 3
	v_readlane_b32 s10, v64, 2
	v_readlane_b32 s11, v64, 3
	s_add_u32 s6, s10, s6
	s_addc_u32 s7, s11, s7
	s_waitcnt lgkmcnt(0)
	v_ashrrev_i32_e32 v1, 31, v0
	global_store_dwordx2 v2, v[0:1], s[6:7]
	global_store_byte v2, v45, s[8:9]
.LBB12_294:
	s_or_b64 exec, exec, s[4:5]
.LBB12_295:
	s_or_saveexec_b64 s[2:3], s[2:3]
	s_mov_b64 s[4:5], 0
	s_xor_b64 exec, exec, s[2:3]
	s_cbranch_execnz .LBB12_298
.LBB12_296:
	s_or_b64 exec, exec, s[2:3]
	s_and_b64 s[2:3], s[4:5], exec
	s_andn2_saveexec_b64 s[0:1], s[0:1]
	s_cbranch_execz .LBB12_272
.LBB12_297:
	s_or_b64 s[2:3], s[2:3], exec
	s_trap 2
	s_or_b64 exec, exec, s[0:1]
	s_and_saveexec_b64 s[0:1], s[2:3]
	s_cbranch_execnz .LBB12_273
	s_branch .LBB12_274
.LBB12_298:
	s_mov_b64 s[4:5], exec
	s_trap 2
	s_branch .LBB12_296
	.section	.rodata,"a",@progbits
	.p2align	6, 0x0
	.amdhsa_kernel _ZN2at6native12_GLOBAL__N_114gatherKthValueIalLi1EEEvNS_4cuda6detail10TensorInfoIKT_T0_EES8_S8_S8_S8_NS5_IS6_S8_EENS5_IlS8_EE
		.amdhsa_group_segment_fixed_size 5144
		.amdhsa_private_segment_fixed_size 0
		.amdhsa_kernarg_size 1536
		.amdhsa_user_sgpr_count 2
		.amdhsa_user_sgpr_dispatch_ptr 0
		.amdhsa_user_sgpr_queue_ptr 0
		.amdhsa_user_sgpr_kernarg_segment_ptr 1
		.amdhsa_user_sgpr_dispatch_id 0
		.amdhsa_user_sgpr_kernarg_preload_length 0
		.amdhsa_user_sgpr_kernarg_preload_offset 0
		.amdhsa_user_sgpr_private_segment_size 0
		.amdhsa_uses_dynamic_stack 0
		.amdhsa_enable_private_segment 0
		.amdhsa_system_sgpr_workgroup_id_x 1
		.amdhsa_system_sgpr_workgroup_id_y 1
		.amdhsa_system_sgpr_workgroup_id_z 1
		.amdhsa_system_sgpr_workgroup_info 0
		.amdhsa_system_vgpr_workitem_id 0
		.amdhsa_next_free_vgpr 65
		.amdhsa_next_free_sgpr 100
		.amdhsa_accum_offset 68
		.amdhsa_reserve_vcc 1
		.amdhsa_float_round_mode_32 0
		.amdhsa_float_round_mode_16_64 0
		.amdhsa_float_denorm_mode_32 3
		.amdhsa_float_denorm_mode_16_64 3
		.amdhsa_dx10_clamp 1
		.amdhsa_ieee_mode 1
		.amdhsa_fp16_overflow 0
		.amdhsa_tg_split 0
		.amdhsa_exception_fp_ieee_invalid_op 0
		.amdhsa_exception_fp_denorm_src 0
		.amdhsa_exception_fp_ieee_div_zero 0
		.amdhsa_exception_fp_ieee_overflow 0
		.amdhsa_exception_fp_ieee_underflow 0
		.amdhsa_exception_fp_ieee_inexact 0
		.amdhsa_exception_int_div_zero 0
	.end_amdhsa_kernel
	.section	.text._ZN2at6native12_GLOBAL__N_114gatherKthValueIalLi1EEEvNS_4cuda6detail10TensorInfoIKT_T0_EES8_S8_S8_S8_NS5_IS6_S8_EENS5_IlS8_EE,"axG",@progbits,_ZN2at6native12_GLOBAL__N_114gatherKthValueIalLi1EEEvNS_4cuda6detail10TensorInfoIKT_T0_EES8_S8_S8_S8_NS5_IS6_S8_EENS5_IlS8_EE,comdat
.Lfunc_end12:
	.size	_ZN2at6native12_GLOBAL__N_114gatherKthValueIalLi1EEEvNS_4cuda6detail10TensorInfoIKT_T0_EES8_S8_S8_S8_NS5_IS6_S8_EENS5_IlS8_EE, .Lfunc_end12-_ZN2at6native12_GLOBAL__N_114gatherKthValueIalLi1EEEvNS_4cuda6detail10TensorInfoIKT_T0_EES8_S8_S8_S8_NS5_IS6_S8_EENS5_IlS8_EE
                                        ; -- End function
	.set _ZN2at6native12_GLOBAL__N_114gatherKthValueIalLi1EEEvNS_4cuda6detail10TensorInfoIKT_T0_EES8_S8_S8_S8_NS5_IS6_S8_EENS5_IlS8_EE.num_vgpr, 65
	.set _ZN2at6native12_GLOBAL__N_114gatherKthValueIalLi1EEEvNS_4cuda6detail10TensorInfoIKT_T0_EES8_S8_S8_S8_NS5_IS6_S8_EENS5_IlS8_EE.num_agpr, 0
	.set _ZN2at6native12_GLOBAL__N_114gatherKthValueIalLi1EEEvNS_4cuda6detail10TensorInfoIKT_T0_EES8_S8_S8_S8_NS5_IS6_S8_EENS5_IlS8_EE.numbered_sgpr, 100
	.set _ZN2at6native12_GLOBAL__N_114gatherKthValueIalLi1EEEvNS_4cuda6detail10TensorInfoIKT_T0_EES8_S8_S8_S8_NS5_IS6_S8_EENS5_IlS8_EE.num_named_barrier, 0
	.set _ZN2at6native12_GLOBAL__N_114gatherKthValueIalLi1EEEvNS_4cuda6detail10TensorInfoIKT_T0_EES8_S8_S8_S8_NS5_IS6_S8_EENS5_IlS8_EE.private_seg_size, 0
	.set _ZN2at6native12_GLOBAL__N_114gatherKthValueIalLi1EEEvNS_4cuda6detail10TensorInfoIKT_T0_EES8_S8_S8_S8_NS5_IS6_S8_EENS5_IlS8_EE.uses_vcc, 1
	.set _ZN2at6native12_GLOBAL__N_114gatherKthValueIalLi1EEEvNS_4cuda6detail10TensorInfoIKT_T0_EES8_S8_S8_S8_NS5_IS6_S8_EENS5_IlS8_EE.uses_flat_scratch, 0
	.set _ZN2at6native12_GLOBAL__N_114gatherKthValueIalLi1EEEvNS_4cuda6detail10TensorInfoIKT_T0_EES8_S8_S8_S8_NS5_IS6_S8_EENS5_IlS8_EE.has_dyn_sized_stack, 0
	.set _ZN2at6native12_GLOBAL__N_114gatherKthValueIalLi1EEEvNS_4cuda6detail10TensorInfoIKT_T0_EES8_S8_S8_S8_NS5_IS6_S8_EENS5_IlS8_EE.has_recursion, 0
	.set _ZN2at6native12_GLOBAL__N_114gatherKthValueIalLi1EEEvNS_4cuda6detail10TensorInfoIKT_T0_EES8_S8_S8_S8_NS5_IS6_S8_EENS5_IlS8_EE.has_indirect_call, 0
	.section	.AMDGPU.csdata,"",@progbits
; Kernel info:
; codeLenInByte = 16460
; TotalNumSgprs: 106
; NumVgprs: 65
; NumAgprs: 0
; TotalNumVgprs: 65
; ScratchSize: 0
; MemoryBound: 0
; FloatMode: 240
; IeeeMode: 1
; LDSByteSize: 5144 bytes/workgroup (compile time only)
; SGPRBlocks: 13
; VGPRBlocks: 8
; NumSGPRsForWavesPerEU: 106
; NumVGPRsForWavesPerEU: 65
; AccumOffset: 68
; Occupancy: 7
; WaveLimiterHint : 1
; COMPUTE_PGM_RSRC2:SCRATCH_EN: 0
; COMPUTE_PGM_RSRC2:USER_SGPR: 2
; COMPUTE_PGM_RSRC2:TRAP_HANDLER: 0
; COMPUTE_PGM_RSRC2:TGID_X_EN: 1
; COMPUTE_PGM_RSRC2:TGID_Y_EN: 1
; COMPUTE_PGM_RSRC2:TGID_Z_EN: 1
; COMPUTE_PGM_RSRC2:TIDIG_COMP_CNT: 0
; COMPUTE_PGM_RSRC3_GFX90A:ACCUM_OFFSET: 16
; COMPUTE_PGM_RSRC3_GFX90A:TG_SPLIT: 0
	.section	.text._ZN2at6native12_GLOBAL__N_114gatherKthValueIalLi2EEEvNS_4cuda6detail10TensorInfoIKT_T0_EES8_S8_S8_S8_NS5_IS6_S8_EENS5_IlS8_EE,"axG",@progbits,_ZN2at6native12_GLOBAL__N_114gatherKthValueIalLi2EEEvNS_4cuda6detail10TensorInfoIKT_T0_EES8_S8_S8_S8_NS5_IS6_S8_EENS5_IlS8_EE,comdat
	.globl	_ZN2at6native12_GLOBAL__N_114gatherKthValueIalLi2EEEvNS_4cuda6detail10TensorInfoIKT_T0_EES8_S8_S8_S8_NS5_IS6_S8_EENS5_IlS8_EE ; -- Begin function _ZN2at6native12_GLOBAL__N_114gatherKthValueIalLi2EEEvNS_4cuda6detail10TensorInfoIKT_T0_EES8_S8_S8_S8_NS5_IS6_S8_EENS5_IlS8_EE
	.p2align	8
	.type	_ZN2at6native12_GLOBAL__N_114gatherKthValueIalLi2EEEvNS_4cuda6detail10TensorInfoIKT_T0_EES8_S8_S8_S8_NS5_IS6_S8_EENS5_IlS8_EE,@function
_ZN2at6native12_GLOBAL__N_114gatherKthValueIalLi2EEEvNS_4cuda6detail10TensorInfoIKT_T0_EES8_S8_S8_S8_NS5_IS6_S8_EENS5_IlS8_EE: ; @_ZN2at6native12_GLOBAL__N_114gatherKthValueIalLi2EEEvNS_4cuda6detail10TensorInfoIKT_T0_EES8_S8_S8_S8_NS5_IS6_S8_EENS5_IlS8_EE
; %bb.0:
	s_load_dwordx2 s[12:13], s[0:1], 0x500
	s_load_dwordx8 s[56:63], s[0:1], 0x1a0
	s_add_u32 s10, s0, 0x500
	s_addc_u32 s11, s1, 0
	s_mov_b32 s29, 0
	s_waitcnt lgkmcnt(0)
	s_mul_i32 s4, s13, s4
	s_add_i32 s3, s4, s3
	s_mul_i32 s3, s3, s12
	s_add_i32 s28, s3, s2
	v_mov_b64_e32 v[2:3], s[28:29]
	v_cmp_le_i64_e32 vcc, s[60:61], v[2:3]
	s_cbranch_vccnz .LBB13_283
; %bb.1:
	s_load_dwordx2 s[8:9], s[0:1], 0x10
	s_load_dwordx2 s[24:25], s[0:1], 0x1d0
	s_mov_b32 s4, s29
                                        ; implicit-def: $vgpr66 : SGPR spill to VGPR lane
	s_waitcnt lgkmcnt(0)
	s_mov_b32 s5, s9
	s_cmp_lg_u64 s[4:5], 0
	v_writelane_b32 v66, s24, 0
	s_nop 1
	v_writelane_b32 v66, s25, 1
	s_cbranch_scc0 .LBB13_296
; %bb.2:
	s_ashr_i32 s4, s9, 31
	s_add_u32 s6, s8, s4
	s_mov_b32 s5, s4
	s_addc_u32 s7, s9, s4
	s_xor_b64 s[14:15], s[6:7], s[4:5]
	v_cvt_f32_u32_e32 v1, s14
	v_cvt_f32_u32_e32 v2, s15
	s_sub_u32 s3, 0, s14
	s_subb_u32 s13, 0, s15
	v_fmamk_f32 v1, v2, 0x4f800000, v1
	v_rcp_f32_e32 v1, v1
	s_nop 0
	v_mul_f32_e32 v1, 0x5f7ffffc, v1
	v_mul_f32_e32 v2, 0x2f800000, v1
	v_trunc_f32_e32 v2, v2
	v_fmamk_f32 v1, v2, 0xcf800000, v1
	v_cvt_u32_f32_e32 v2, v2
	v_cvt_u32_f32_e32 v1, v1
	v_readfirstlane_b32 s18, v2
	v_readfirstlane_b32 s16, v1
	s_mul_i32 s17, s3, s18
	s_mul_hi_u32 s20, s3, s16
	s_mul_i32 s19, s13, s16
	s_add_i32 s17, s20, s17
	s_add_i32 s17, s17, s19
	s_mul_i32 s21, s3, s16
	s_mul_i32 s20, s16, s17
	s_mul_hi_u32 s22, s16, s21
	s_mul_hi_u32 s19, s16, s17
	s_add_u32 s20, s22, s20
	s_addc_u32 s19, 0, s19
	s_mul_hi_u32 s23, s18, s21
	s_mul_i32 s21, s18, s21
	s_add_u32 s20, s20, s21
	s_mul_hi_u32 s22, s18, s17
	s_addc_u32 s19, s19, s23
	s_addc_u32 s20, s22, 0
	s_mul_i32 s17, s18, s17
	s_add_u32 s17, s19, s17
	s_addc_u32 s19, 0, s20
	s_add_u32 s20, s16, s17
	s_cselect_b64 s[16:17], -1, 0
	s_cmp_lg_u64 s[16:17], 0
	s_addc_u32 s18, s18, s19
	s_mul_i32 s16, s3, s18
	s_mul_hi_u32 s17, s3, s20
	s_add_i32 s16, s17, s16
	s_mul_i32 s13, s13, s20
	s_add_i32 s16, s16, s13
	s_mul_i32 s3, s3, s20
	s_mul_hi_u32 s17, s18, s3
	s_mul_i32 s19, s18, s3
	s_mul_i32 s22, s20, s16
	s_mul_hi_u32 s3, s20, s3
	s_mul_hi_u32 s21, s20, s16
	s_add_u32 s3, s3, s22
	s_addc_u32 s21, 0, s21
	s_add_u32 s3, s3, s19
	s_mul_hi_u32 s13, s18, s16
	s_addc_u32 s3, s21, s17
	s_addc_u32 s13, s13, 0
	s_mul_i32 s16, s18, s16
	s_add_u32 s3, s3, s16
	s_addc_u32 s13, 0, s13
	s_add_u32 s3, s20, s3
	s_cselect_b64 s[16:17], -1, 0
	s_cmp_lg_u64 s[16:17], 0
	s_addc_u32 s13, s18, s13
	s_add_u32 s16, s28, 0
	s_addc_u32 s17, 0, 0
	s_xor_b64 s[16:17], s[16:17], 0
	s_mul_i32 s19, s16, s13
	s_mul_hi_u32 s20, s16, s3
	s_mul_hi_u32 s18, s16, s13
	s_add_u32 s19, s20, s19
	s_addc_u32 s18, 0, s18
	s_mul_hi_u32 s21, s17, s3
	s_mul_i32 s3, s17, s3
	s_add_u32 s3, s19, s3
	s_mul_hi_u32 s20, s17, s13
	s_addc_u32 s3, s18, s21
	s_addc_u32 s18, s20, 0
	s_mul_i32 s13, s17, s13
	s_add_u32 s3, s3, s13
	s_addc_u32 s13, 0, s18
	s_mul_i32 s18, s14, s13
	s_mul_hi_u32 s19, s14, s3
	s_add_i32 s18, s19, s18
	s_mul_i32 s19, s15, s3
	s_add_i32 s22, s18, s19
	s_sub_i32 s20, s17, s22
	s_mul_i32 s18, s14, s3
	s_sub_u32 s16, s16, s18
	s_cselect_b64 s[18:19], -1, 0
	s_cmp_lg_u64 s[18:19], 0
	s_subb_u32 s23, s20, s15
	s_sub_u32 s24, s16, s14
	s_cselect_b64 s[20:21], -1, 0
	s_cmp_lg_u64 s[20:21], 0
	s_subb_u32 s20, s23, 0
	s_cmp_ge_u32 s20, s15
	s_cselect_b32 s21, -1, 0
	s_cmp_ge_u32 s24, s14
	s_cselect_b32 s23, -1, 0
	s_cmp_eq_u32 s20, s15
	s_cselect_b32 s20, s23, s21
	s_add_u32 s21, s3, 1
	s_addc_u32 s23, s13, 0
	s_add_u32 s24, s3, 2
	s_addc_u32 s25, s13, 0
	s_cmp_lg_u32 s20, 0
	s_cselect_b32 s20, s24, s21
	s_cselect_b32 s21, s25, s23
	s_cmp_lg_u64 s[18:19], 0
	s_subb_u32 s17, s17, s22
	s_cmp_ge_u32 s17, s15
	s_cselect_b32 s18, -1, 0
	s_cmp_ge_u32 s16, s14
	s_cselect_b32 s14, -1, 0
	s_cmp_eq_u32 s17, s15
	s_cselect_b32 s14, s14, s18
	s_load_dwordx2 s[24:25], s[0:1], 0x1d0
	s_cmp_lg_u32 s14, 0
	s_cselect_b32 s15, s21, s13
	s_cselect_b32 s14, s20, s3
	s_xor_b64 s[4:5], 0, s[4:5]
	s_xor_b64 s[14:15], s[14:15], s[4:5]
	s_sub_u32 s16, s14, s4
	s_subb_u32 s17, s15, s5
	s_cbranch_execnz .LBB13_4
.LBB13_3:
	v_cvt_f32_u32_e32 v1, s8
	s_sub_i32 s3, 0, s8
	s_mov_b32 s17, 0
	v_rcp_iflag_f32_e32 v1, v1
	s_nop 0
	v_mul_f32_e32 v1, 0x4f7ffffe, v1
	v_cvt_u32_f32_e32 v1, v1
	s_nop 0
	v_readfirstlane_b32 s4, v1
	s_mul_i32 s3, s3, s4
	s_mul_hi_u32 s3, s4, s3
	s_add_i32 s4, s4, s3
	s_mul_hi_u32 s3, s28, s4
	s_mul_i32 s5, s3, s8
	s_sub_i32 s5, s28, s5
	s_add_i32 s4, s3, 1
	s_sub_i32 s6, s5, s8
	s_cmp_ge_u32 s5, s8
	s_cselect_b32 s3, s4, s3
	s_cselect_b32 s5, s6, s5
	s_add_i32 s4, s3, 1
	s_cmp_ge_u32 s5, s8
	s_cselect_b32 s16, s4, s3
.LBB13_4:
	s_load_dwordx2 s[30:31], s[0:1], 0x370
	s_mov_b32 s4, 0
	s_waitcnt lgkmcnt(0)
	s_mov_b32 s5, s25
	s_cmp_lg_u64 s[4:5], 0
	s_cbranch_scc0 .LBB13_297
; %bb.5:
	s_ashr_i32 s4, s25, 31
	s_add_u32 s6, s24, s4
	s_mov_b32 s5, s4
	s_addc_u32 s7, s25, s4
	s_xor_b64 s[14:15], s[6:7], s[4:5]
	v_cvt_f32_u32_e32 v1, s14
	v_cvt_f32_u32_e32 v2, s15
	s_sub_u32 s3, 0, s14
	s_subb_u32 s13, 0, s15
	v_fmamk_f32 v1, v2, 0x4f800000, v1
	v_rcp_f32_e32 v1, v1
	s_nop 0
	v_mul_f32_e32 v1, 0x5f7ffffc, v1
	v_mul_f32_e32 v2, 0x2f800000, v1
	v_trunc_f32_e32 v2, v2
	v_fmamk_f32 v1, v2, 0xcf800000, v1
	v_cvt_u32_f32_e32 v2, v2
	v_cvt_u32_f32_e32 v1, v1
	v_readfirstlane_b32 s20, v2
	v_readfirstlane_b32 s18, v1
	s_mul_i32 s19, s3, s20
	s_mul_hi_u32 s22, s3, s18
	s_mul_i32 s21, s13, s18
	s_add_i32 s19, s22, s19
	s_add_i32 s19, s19, s21
	s_mul_i32 s23, s3, s18
	s_mul_i32 s22, s18, s19
	s_mul_hi_u32 s24, s18, s23
	s_mul_hi_u32 s21, s18, s19
	s_add_u32 s22, s24, s22
	s_addc_u32 s21, 0, s21
	s_mul_hi_u32 s25, s20, s23
	s_mul_i32 s23, s20, s23
	s_add_u32 s22, s22, s23
	s_mul_hi_u32 s24, s20, s19
	s_addc_u32 s21, s21, s25
	s_addc_u32 s22, s24, 0
	s_mul_i32 s19, s20, s19
	s_add_u32 s19, s21, s19
	s_addc_u32 s21, 0, s22
	s_add_u32 s22, s18, s19
	s_cselect_b64 s[18:19], -1, 0
	s_cmp_lg_u64 s[18:19], 0
	s_addc_u32 s20, s20, s21
	s_mul_i32 s18, s3, s20
	s_mul_hi_u32 s19, s3, s22
	s_add_i32 s18, s19, s18
	s_mul_i32 s13, s13, s22
	s_add_i32 s18, s18, s13
	s_mul_i32 s3, s3, s22
	s_mul_hi_u32 s19, s20, s3
	s_mul_i32 s21, s20, s3
	s_mul_i32 s24, s22, s18
	s_mul_hi_u32 s3, s22, s3
	s_mul_hi_u32 s23, s22, s18
	s_add_u32 s3, s3, s24
	s_addc_u32 s23, 0, s23
	s_add_u32 s3, s3, s21
	s_mul_hi_u32 s13, s20, s18
	s_addc_u32 s3, s23, s19
	s_addc_u32 s13, s13, 0
	s_mul_i32 s18, s20, s18
	s_add_u32 s3, s3, s18
	s_addc_u32 s13, 0, s13
	s_add_u32 s3, s22, s3
	s_cselect_b64 s[18:19], -1, 0
	s_cmp_lg_u64 s[18:19], 0
	s_addc_u32 s13, s20, s13
	s_add_u32 s18, s28, 0
	s_addc_u32 s19, 0, 0
	s_xor_b64 s[18:19], s[18:19], 0
	s_mul_i32 s21, s18, s13
	s_mul_hi_u32 s22, s18, s3
	s_mul_hi_u32 s20, s18, s13
	s_add_u32 s21, s22, s21
	s_addc_u32 s20, 0, s20
	s_mul_hi_u32 s23, s19, s3
	s_mul_i32 s3, s19, s3
	s_add_u32 s3, s21, s3
	s_mul_hi_u32 s22, s19, s13
	s_addc_u32 s3, s20, s23
	s_addc_u32 s20, s22, 0
	s_mul_i32 s13, s19, s13
	s_add_u32 s3, s3, s13
	s_addc_u32 s13, 0, s20
	s_mul_i32 s20, s14, s13
	s_mul_hi_u32 s21, s14, s3
	s_add_i32 s20, s21, s20
	s_mul_i32 s21, s15, s3
	s_add_i32 s24, s20, s21
	s_sub_i32 s22, s19, s24
	s_mul_i32 s20, s14, s3
	s_sub_u32 s18, s18, s20
	s_cselect_b64 s[20:21], -1, 0
	s_cmp_lg_u64 s[20:21], 0
	s_subb_u32 s25, s22, s15
	s_sub_u32 s26, s18, s14
	s_cselect_b64 s[22:23], -1, 0
	s_cmp_lg_u64 s[22:23], 0
	s_subb_u32 s22, s25, 0
	s_cmp_ge_u32 s22, s15
	s_cselect_b32 s23, -1, 0
	s_cmp_ge_u32 s26, s14
	s_cselect_b32 s25, -1, 0
	s_cmp_eq_u32 s22, s15
	s_cselect_b32 s22, s25, s23
	s_add_u32 s23, s3, 1
	s_addc_u32 s25, s13, 0
	s_add_u32 s26, s3, 2
	s_addc_u32 s27, s13, 0
	s_cmp_lg_u32 s22, 0
	s_cselect_b32 s22, s26, s23
	s_cselect_b32 s23, s27, s25
	s_cmp_lg_u64 s[20:21], 0
	s_subb_u32 s19, s19, s24
	s_cmp_ge_u32 s19, s15
	s_cselect_b32 s20, -1, 0
	s_cmp_ge_u32 s18, s14
	s_cselect_b32 s14, -1, 0
	s_cmp_eq_u32 s19, s15
	s_cselect_b32 s14, s14, s20
	s_load_dwordx2 s[24:25], s[0:1], 0x1d0
	s_cmp_lg_u32 s14, 0
	s_cselect_b32 s15, s23, s13
	s_cselect_b32 s14, s22, s3
	s_xor_b64 s[4:5], 0, s[4:5]
	s_xor_b64 s[14:15], s[14:15], s[4:5]
	s_sub_u32 s14, s14, s4
	s_subb_u32 s15, s15, s5
	s_cbranch_execnz .LBB13_7
.LBB13_6:
	s_waitcnt lgkmcnt(0)
	v_cvt_f32_u32_e32 v1, s24
	s_sub_i32 s3, 0, s24
	s_mov_b32 s15, 0
	v_rcp_iflag_f32_e32 v1, v1
	s_nop 0
	v_mul_f32_e32 v1, 0x4f7ffffe, v1
	v_cvt_u32_f32_e32 v1, v1
	s_nop 0
	v_readfirstlane_b32 s4, v1
	s_mul_i32 s3, s3, s4
	s_mul_hi_u32 s3, s4, s3
	s_add_i32 s4, s4, s3
	s_mul_hi_u32 s3, s28, s4
	s_mul_i32 s5, s3, s24
	s_sub_i32 s5, s28, s5
	s_add_i32 s4, s3, 1
	s_sub_i32 s6, s5, s24
	s_cmp_ge_u32 s5, s24
	s_cselect_b32 s3, s4, s3
	s_cselect_b32 s5, s6, s5
	s_add_i32 s4, s3, 1
	s_cmp_ge_u32 s5, s24
	s_cselect_b32 s14, s4, s3
.LBB13_7:
	s_mov_b32 s4, 0
	s_mov_b32 s5, s31
	v_writelane_b32 v66, s14, 2
	s_cmp_lg_u64 s[4:5], 0
	s_nop 0
	v_writelane_b32 v66, s15, 3
	s_cbranch_scc0 .LBB13_298
; %bb.8:
	s_ashr_i32 s6, s31, 31
	s_add_u32 s4, s30, s6
	s_mov_b32 s7, s6
	s_addc_u32 s5, s31, s6
	s_xor_b64 s[14:15], s[4:5], s[6:7]
	v_cvt_f32_u32_e32 v1, s14
	v_cvt_f32_u32_e32 v2, s15
	s_sub_u32 s3, 0, s14
	s_subb_u32 s13, 0, s15
	v_fmamk_f32 v1, v2, 0x4f800000, v1
	v_rcp_f32_e32 v1, v1
	s_nop 0
	v_mul_f32_e32 v1, 0x5f7ffffc, v1
	v_mul_f32_e32 v2, 0x2f800000, v1
	v_trunc_f32_e32 v2, v2
	v_fmamk_f32 v1, v2, 0xcf800000, v1
	v_cvt_u32_f32_e32 v2, v2
	v_cvt_u32_f32_e32 v1, v1
	v_readfirstlane_b32 s20, v2
	v_readfirstlane_b32 s18, v1
	s_mul_i32 s19, s3, s20
	s_mul_hi_u32 s22, s3, s18
	s_mul_i32 s21, s13, s18
	s_add_i32 s19, s22, s19
	s_add_i32 s19, s19, s21
	s_mul_i32 s23, s3, s18
	s_mul_i32 s22, s18, s19
	s_waitcnt lgkmcnt(0)
	s_mul_hi_u32 s24, s18, s23
	s_mul_hi_u32 s21, s18, s19
	s_add_u32 s22, s24, s22
	s_addc_u32 s21, 0, s21
	s_mul_hi_u32 s25, s20, s23
	s_mul_i32 s23, s20, s23
	s_add_u32 s22, s22, s23
	s_mul_hi_u32 s24, s20, s19
	s_addc_u32 s21, s21, s25
	s_addc_u32 s22, s24, 0
	s_mul_i32 s19, s20, s19
	s_add_u32 s19, s21, s19
	s_addc_u32 s21, 0, s22
	s_add_u32 s22, s18, s19
	s_cselect_b64 s[18:19], -1, 0
	s_cmp_lg_u64 s[18:19], 0
	s_addc_u32 s20, s20, s21
	s_mul_i32 s18, s3, s20
	s_mul_hi_u32 s19, s3, s22
	s_add_i32 s18, s19, s18
	s_mul_i32 s13, s13, s22
	s_add_i32 s18, s18, s13
	s_mul_i32 s3, s3, s22
	s_mul_hi_u32 s19, s20, s3
	s_mul_i32 s21, s20, s3
	s_mul_i32 s24, s22, s18
	s_mul_hi_u32 s3, s22, s3
	s_mul_hi_u32 s23, s22, s18
	s_add_u32 s3, s3, s24
	s_addc_u32 s23, 0, s23
	s_add_u32 s3, s3, s21
	s_mul_hi_u32 s13, s20, s18
	s_addc_u32 s3, s23, s19
	s_addc_u32 s13, s13, 0
	s_mul_i32 s18, s20, s18
	s_add_u32 s3, s3, s18
	s_addc_u32 s13, 0, s13
	s_add_u32 s3, s22, s3
	s_cselect_b64 s[18:19], -1, 0
	s_cmp_lg_u64 s[18:19], 0
	s_addc_u32 s13, s20, s13
	s_add_u32 s18, s28, 0
	s_addc_u32 s19, 0, 0
	s_xor_b64 s[18:19], s[18:19], 0
	s_mul_i32 s21, s18, s13
	s_mul_hi_u32 s22, s18, s3
	s_mul_hi_u32 s20, s18, s13
	s_add_u32 s21, s22, s21
	s_addc_u32 s20, 0, s20
	s_mul_hi_u32 s23, s19, s3
	s_mul_i32 s3, s19, s3
	s_add_u32 s3, s21, s3
	s_mul_hi_u32 s22, s19, s13
	s_addc_u32 s3, s20, s23
	s_addc_u32 s20, s22, 0
	s_mul_i32 s13, s19, s13
	s_add_u32 s3, s3, s13
	s_addc_u32 s13, 0, s20
	s_mul_i32 s20, s14, s13
	s_mul_hi_u32 s21, s14, s3
	s_add_i32 s20, s21, s20
	s_mul_i32 s21, s15, s3
	s_add_i32 s24, s20, s21
	s_sub_i32 s22, s19, s24
	s_mul_i32 s20, s14, s3
	s_sub_u32 s18, s18, s20
	s_cselect_b64 s[20:21], -1, 0
	s_cmp_lg_u64 s[20:21], 0
	s_subb_u32 s25, s22, s15
	s_sub_u32 s26, s18, s14
	s_cselect_b64 s[22:23], -1, 0
	s_cmp_lg_u64 s[22:23], 0
	s_subb_u32 s22, s25, 0
	s_cmp_ge_u32 s22, s15
	s_cselect_b32 s23, -1, 0
	s_cmp_ge_u32 s26, s14
	s_cselect_b32 s25, -1, 0
	s_cmp_eq_u32 s22, s15
	s_cselect_b32 s22, s25, s23
	s_add_u32 s23, s3, 1
	s_addc_u32 s25, s13, 0
	s_add_u32 s26, s3, 2
	s_addc_u32 s27, s13, 0
	s_cmp_lg_u32 s22, 0
	s_cselect_b32 s22, s26, s23
	s_cselect_b32 s23, s27, s25
	s_cmp_lg_u64 s[20:21], 0
	s_subb_u32 s19, s19, s24
	s_cmp_ge_u32 s19, s15
	s_cselect_b32 s20, -1, 0
	s_cmp_ge_u32 s18, s14
	s_cselect_b32 s14, -1, 0
	s_cmp_eq_u32 s19, s15
	s_cselect_b32 s14, s14, s20
	s_cmp_lg_u32 s14, 0
	s_cselect_b32 s15, s23, s13
	s_cselect_b32 s14, s22, s3
	s_xor_b64 s[6:7], 0, s[6:7]
	s_xor_b64 s[14:15], s[14:15], s[6:7]
	s_sub_u32 s6, s14, s6
	s_subb_u32 s7, s15, s7
	v_writelane_b32 v66, s6, 4
	s_nop 1
	v_writelane_b32 v66, s7, 5
	s_load_dwordx2 s[18:19], s[0:1], 0x0
	s_cbranch_execnz .LBB13_10
.LBB13_9:
	v_cvt_f32_u32_e32 v1, s30
	s_sub_i32 s3, 0, s30
	s_mov_b32 s7, 0
	v_rcp_iflag_f32_e32 v1, v1
	s_nop 0
	v_mul_f32_e32 v1, 0x4f7ffffe, v1
	v_cvt_u32_f32_e32 v1, v1
	s_nop 0
	v_readfirstlane_b32 s4, v1
	s_mul_i32 s3, s3, s4
	s_mul_hi_u32 s3, s4, s3
	s_add_i32 s4, s4, s3
	s_mul_hi_u32 s3, s28, s4
	s_mul_i32 s5, s3, s30
	s_sub_i32 s5, s28, s5
	s_add_i32 s4, s3, 1
	s_sub_i32 s6, s5, s30
	s_cmp_ge_u32 s5, s30
	s_cselect_b32 s3, s4, s3
	s_cselect_b32 s5, s6, s5
	s_add_i32 s4, s3, 1
	s_cmp_ge_u32 s5, s30
	s_cselect_b32 s6, s4, s3
	v_writelane_b32 v66, s6, 4
	s_nop 1
	v_writelane_b32 v66, s7, 5
.LBB13_10:
	s_load_dwordx2 s[4:5], s[0:1], 0x360
	v_writelane_b32 v66, s30, 6
	s_mov_b32 s87, 0
	v_cmp_eq_u32_e64 s[20:21], 0, v0
	v_writelane_b32 v66, s31, 7
	s_waitcnt lgkmcnt(0)
	v_writelane_b32 v66, s4, 8
	s_nop 1
	v_writelane_b32 v66, s5, 9
	s_load_dwordx2 s[4:5], s[0:1], 0x1c0
	s_waitcnt lgkmcnt(0)
	v_writelane_b32 v66, s4, 10
	s_nop 1
	v_writelane_b32 v66, s5, 11
	s_load_dwordx4 s[4:7], s[0:1], 0xd0
	s_mov_b64 s[14:15], exec
	v_writelane_b32 v66, s20, 12
	s_nop 1
	v_writelane_b32 v66, s21, 13
	s_and_b64 s[20:21], s[14:15], s[20:21]
	s_mov_b64 exec, s[20:21]
	s_cbranch_execz .LBB13_12
; %bb.11:
	v_mov_b32_e32 v2, 0
	v_mov_b32_e32 v4, s56
	;; [unrolled: 1-line block ×4, first 2 shown]
	ds_write_b32 v2, v2 offset:5136
	ds_write_b128 v2, v[2:5] offset:5120
.LBB13_12:
	s_or_b64 exec, exec, s[14:15]
	s_load_dwordx4 s[20:23], s[0:1], 0x430
                                        ; kill: killed $sgpr0 killed $sgpr1
	v_mbcnt_lo_u32_b32 v1, -1, 0
	v_mbcnt_hi_u32_b32 v40, -1, v1
	v_cmp_gt_u32_e32 vcc, 64, v0
	v_mov_b64_e32 v[4:5], 0xc00
	s_waitcnt lgkmcnt(0)
	v_writelane_b32 v66, s20, 14
	v_mov_b32_e32 v3, 0
	v_mov_b32_e32 v1, v3
	v_writelane_b32 v66, s21, 15
	v_writelane_b32 v66, s22, 16
	;; [unrolled: 1-line block ×3, first 2 shown]
	s_load_dwordx4 s[20:23], s[0:1], 0x290
	s_mul_i32 s0, s16, s9
	s_mul_hi_u32 s1, s16, s8
	s_add_i32 s0, s1, s0
	s_mul_i32 s1, s17, s8
	s_add_i32 s0, s0, s1
	s_mul_i32 s1, s16, s8
	s_waitcnt lgkmcnt(0)
	v_writelane_b32 v66, s20, 18
	s_sub_u32 s1, s28, s1
	s_subb_u32 s0, 0, s0
	v_writelane_b32 v66, s21, 19
	s_mul_i32 s3, s1, s7
	s_mul_hi_u32 s7, s1, s6
	v_writelane_b32 v66, s22, 20
	s_add_i32 s3, s7, s3
	s_mul_i32 s0, s0, s6
	v_writelane_b32 v66, s23, 21
	s_mov_b32 s8, s28
	s_add_i32 s3, s3, s0
	s_mul_i32 s6, s1, s6
	s_mul_i32 s0, s16, s5
	s_mul_hi_u32 s1, s16, s4
	v_writelane_b32 v66, s8, 22
	s_add_i32 s0, s1, s0
	s_mul_i32 s1, s17, s4
	v_writelane_b32 v66, s9, 23
	s_add_i32 s7, s0, s1
	s_mul_i32 s8, s16, s4
	s_add_u32 s0, s18, s8
	s_addc_u32 s1, s19, s7
	s_add_u32 s88, s0, s6
	s_addc_u32 s89, s1, s3
	v_cmp_gt_i32_e64 s[0:1], 4, v40
	s_and_b64 s[0:1], vcc, s[0:1]
	v_mov_b64_e32 v[6:7], s[88:89]
	v_writelane_b32 v66, s0, 24
	s_barrier
	s_nop 0
	v_writelane_b32 v66, s1, 25
	v_cmp_gt_u32_e64 s[0:1], 2, v0
	v_lshlrev_b32_e32 v2, 2, v40
	s_nop 0
	v_writelane_b32 v66, s0, 26
	v_and_b32_e32 v41, 0x100, v2
	v_lshrrev_b32_e32 v2, 1, v0
	v_writelane_b32 v66, s1, 27
	v_cmp_gt_i64_e64 s[0:1], s[56:57], v[4:5]
	v_and_b32_e32 v2, 0x1e0, v2
	v_or_b32_e32 v42, 0xc00, v2
	v_writelane_b32 v66, s0, 28
	v_add_u32_e32 v2, 2, v0
	v_cmp_gt_i64_e32 vcc, s[56:57], v[2:3]
	v_writelane_b32 v66, s1, 29
	v_mad_u64_u32 v[4:5], s[0:1], s62, v0, 0
	v_mad_u64_u32 v[14:15], s[0:1], s62, v0, v[6:7]
	v_cmp_gt_i64_e64 s[0:1], s[56:57], v[0:1]
	v_lshlrev_b64 v[6:7], v40, -1
	v_not_b32_e32 v18, v6
	v_writelane_b32 v66, s0, 30
	v_mov_b32_e32 v6, s57
	v_not_b32_e32 v19, v7
	v_writelane_b32 v66, s1, 31
	s_load_dword s0, s[10:11], 0xc
	v_cndmask_b32_e32 v7, 0, v6, vcc
	v_mov_b32_e32 v6, s56
	v_cndmask_b32_e32 v6, v2, v6, vcc
	v_mov_b32_e32 v9, -1
	s_waitcnt lgkmcnt(0)
	s_and_b32 s84, s0, 0xffff
	s_bfe_u32 s0, s0, 0xa0006
	s_cmp_gt_u32 s84, 63
	s_cselect_b64 s[14:15], -1, 0
	s_add_u32 s1, s84, -1
	s_addc_u32 s9, 0, -1
	s_add_u32 s95, s1, s56
	v_writelane_b32 v66, s14, 32
	s_addc_u32 s55, s9, s57
	s_cmp_lt_u32 s2, s12
	v_writelane_b32 v66, s15, 33
	v_writelane_b32 v66, s1, 34
	s_cselect_b32 s1, 12, 18
	v_not_b32_e32 v8, v0
	s_add_u32 s50, s10, s1
	v_lshl_add_u64 v[6:7], v[6:7], 0, v[8:9]
	v_writelane_b32 v66, s9, 35
	s_addc_u32 s51, s11, 0
	v_cmp_lt_u64_e64 s[10:11], 3, v[6:7]
	s_mov_b32 s1, s62
	v_and_b32_e32 v20, -4, v6
	v_writelane_b32 v66, s10, 36
	v_mov_b32_e32 v21, v7
	v_cmp_ne_u64_e64 s[12:13], v[6:7], v[20:21]
	v_writelane_b32 v66, s11, 37
	v_writelane_b32 v66, s1, 38
	s_add_i32 s1, s0, -1
	s_bfe_u32 s2, s84, 0x30006
	s_and_b32 s1, s1, 0xffff
	v_writelane_b32 v66, s12, 39
	s_cmp_gt_u32 s1, 6
	v_lshlrev_b32_e32 v16, 2, v0
	v_writelane_b32 v66, s13, 40
	s_cselect_b64 s[12:13], -1, 0
	v_writelane_b32 v66, s12, 41
	s_and_b32 s82, s0, 0x3f8
	s_cmp_lg_u32 s2, 0
	v_writelane_b32 v66, s13, 42
	v_writelane_b32 v66, s2, 43
	s_cselect_b64 s[0:1], -1, 0
	v_writelane_b32 v66, s0, 44
	v_or_b32_e32 v6, 3, v16
	s_mov_b32 s73, s63
	v_writelane_b32 v66, s1, 45
	s_add_u32 s0, s8, s6
	s_addc_u32 s1, s7, s3
	s_add_u32 s2, s18, s0
	s_addc_u32 s3, s19, s1
	v_mad_u64_u32 v[24:25], s[0:1], s62, v6, 0
	v_mov_b32_e32 v2, v25
	v_writelane_b32 v66, s2, 46
	v_mad_u64_u32 v[6:7], s[0:1], s63, v6, v[2:3]
	s_nop 0
	v_writelane_b32 v66, s3, 47
	v_mov_b32_e32 v25, v6
	v_or_b32_e32 v6, 2, v16
	v_writelane_b32 v66, s50, 48
	v_mad_u64_u32 v[26:27], s[0:1], s62, v6, 0
	s_nop 0
	v_writelane_b32 v66, s51, 49
	v_cmp_eq_u32_e64 s[4:5], 0, v40
	v_mov_b32_e32 v2, v27
	v_writelane_b32 v66, s73, 50
	v_mad_u64_u32 v[6:7], s[0:1], s63, v6, v[2:3]
	v_writelane_b32 v66, s4, 51
	v_mul_lo_u32 v10, s63, v0
	v_mov_b32_e32 v27, v6
	v_mov_b64_e32 v[6:7], s[62:63]
	v_writelane_b32 v66, s5, 52
	v_add_u32_e32 v5, v5, v10
	s_mov_b32 s96, s62
	v_mad_u64_u32 v[28:29], s[0:1], s62, v16, v[6:7]
	v_writelane_b32 v66, s82, 53
	s_mov_b32 s94, s63
	v_mov_b32_e32 v2, v29
	v_lshlrev_b64 v[30:31], 2, v[4:5]
	v_mov_b64_e32 v[4:5], s[2:3]
	v_writelane_b32 v66, s96, 54
	s_mov_b32 s92, s62
	v_mad_u64_u32 v[6:7], s[0:1], s63, v16, v[2:3]
	v_mad_u64_u32 v[12:13], s[0:1], s62, v0, v[4:5]
	v_writelane_b32 v66, s94, 55
	s_mov_b32 s97, s63
	v_mov_b32_e32 v2, 0xc00
	s_mul_i32 s0, s63, s84
	s_mul_hi_u32 s1, s62, s84
	v_writelane_b32 v66, s92, 56
	v_add_u32_e32 v15, v10, v15
	v_mov_b32_e32 v17, v3
	s_mov_b32 s85, s87
	v_lshl_add_u64 v[22:23], v[20:21], 0, v[0:1]
	s_mov_b32 s10, s63
	s_mov_b32 s33, s62
	;; [unrolled: 1-line block ×3, first 2 shown]
	s_lshl_b64 s[66:67], s[62:63], 2
	v_mov_b32_e32 v29, v6
	v_lshl_add_u64 v[32:33], s[56:57], 0, v[0:1]
	v_lshl_or_b32 v43, v40, 3, v2
	v_add_u32_e32 v13, v10, v13
	s_add_i32 s91, s1, s0
	s_mul_i32 s90, s62, s84
	s_mov_b64 s[68:69], 0
	v_mov_b64_e32 v[34:35], s[58:59]
	s_movk_i32 s15, 0x80
	s_mov_b32 s44, 0xc0c0004
	v_mov_b64_e32 v[50:51], s[56:57]
	v_mov_b32_e32 v45, 8
	v_mov_b32_e32 v47, 0
	s_mov_b32 s45, 0
	v_mov_b32_e32 v44, 0
	v_mov_b32_e32 v46, 0
	v_writelane_b32 v66, s97, 57
                                        ; implicit-def: $sgpr74_sgpr75
                                        ; implicit-def: $sgpr80_sgpr81
                                        ; implicit-def: $sgpr12_sgpr13
                                        ; implicit-def: $sgpr78_sgpr79
                                        ; implicit-def: $sgpr76_sgpr77
                                        ; implicit-def: $sgpr98_sgpr99
	v_writelane_b32 v66, s33, 58
	s_branch .LBB13_16
.LBB13_13:                              ;   in Loop: Header=BB13_16 Depth=1
	s_or_b64 exec, exec, s[18:19]
	s_and_b64 s[8:9], s[8:9], exec
	s_andn2_b64 s[24:25], s[24:25], exec
	s_andn2_b64 s[0:1], s[0:1], exec
	s_orn2_b64 s[18:19], s[6:7], exec
.LBB13_14:                              ;   in Loop: Header=BB13_16 Depth=1
	s_or_b64 exec, exec, s[2:3]
	s_andn2_b64 s[2:3], s[60:61], exec
	s_and_b64 s[6:7], s[8:9], exec
	s_or_b64 s[60:61], s[2:3], s[6:7]
	s_andn2_b64 s[2:3], s[78:79], exec
	s_and_b64 s[6:7], s[24:25], exec
	s_or_b64 s[78:79], s[2:3], s[6:7]
	;; [unrolled: 3-line block ×3, first 2 shown]
	s_orn2_b64 s[0:1], s[18:19], exec
.LBB13_15:                              ;   in Loop: Header=BB13_16 Depth=1
	s_or_b64 exec, exec, s[16:17]
	s_and_b64 s[0:1], exec, s[0:1]
	s_or_b64 s[68:69], s[0:1], s[68:69]
	s_andn2_b64 s[0:1], s[12:13], exec
	s_and_b64 s[2:3], s[60:61], exec
	s_mov_b64 s[6:7], s[98:99]
	s_or_b64 s[12:13], s[0:1], s[2:3]
	s_andn2_b64 s[0:1], s[80:81], exec
	s_and_b64 s[2:3], s[78:79], exec
	s_or_b64 s[80:81], s[0:1], s[2:3]
	s_andn2_b64 s[0:1], s[74:75], exec
	s_and_b64 s[2:3], s[6:7], exec
	s_mov_b64 s[98:99], s[60:61]
	s_mov_b64 s[76:77], s[78:79]
	;; [unrolled: 1-line block ×3, first 2 shown]
	s_or_b64 s[74:75], s[0:1], s[2:3]
	v_mov_b64_e32 v[34:35], v[8:9]
	s_andn2_b64 exec, exec, s[68:69]
	s_cbranch_execz .LBB13_279
.LBB13_16:                              ; =>This Loop Header: Depth=1
                                        ;     Child Loop BB13_21 Depth 2
                                        ;     Child Loop BB13_35 Depth 2
	;; [unrolled: 1-line block ×17, first 2 shown]
	ds_read_b128 v[4:7], v3 offset:5120
	s_waitcnt lgkmcnt(0)
	v_readfirstlane_b32 s61, v5
	v_readfirstlane_b32 s60, v4
	s_nop 1
	v_cmp_gt_i64_e64 s[0:1], s[60:61], 0
	s_and_b64 vcc, exec, s[0:1]
	s_cbranch_vccnz .LBB13_48
; %bb.17:                               ;   in Loop: Header=BB13_16 Depth=1
	v_readlane_b32 s0, v66, 28
	v_readlane_b32 s1, v66, 29
	s_and_b64 vcc, exec, s[0:1]
	s_cbranch_vccz .LBB13_29
; %bb.18:                               ;   in Loop: Header=BB13_16 Depth=1
	s_mov_b64 s[0:1], 0xc01
	v_cmp_gt_i64_e32 vcc, s[0:1], v[6:7]
	s_mov_b64 s[6:7], 0
	s_mov_b64 s[0:1], 0
	s_cbranch_vccz .LBB13_30
; %bb.19:                               ;   in Loop: Header=BB13_16 Depth=1
	global_load_ushort v6, v3, s[50:51]
	global_load_ubyte v8, v[14:15], off
	v_readlane_b32 s0, v66, 46
	v_readlane_b32 s1, v66, 47
	s_mov_b64 s[8:9], 0
	s_waitcnt vmcnt(1)
	v_and_b32_e32 v2, 0xffff, v6
	v_mov_b64_e32 v[4:5], s[0:1]
	v_readfirstlane_b32 s0, v6
	v_lshl_add_u64 v[6:7], v[0:1], 0, v[2:3]
	s_and_b32 s2, 0xffff, s0
	v_mad_u64_u32 v[4:5], s[0:1], s62, v6, v[4:5]
	v_mul_lo_u32 v7, s62, v7
	v_mul_lo_u32 v9, s63, v6
	s_mul_i32 s0, s63, s2
	s_mul_hi_u32 s1, s62, s2
	s_mul_i32 s16, s62, s2
	v_add3_u32 v5, v9, v5, v7
	s_add_i32 s17, s1, s0
	v_mov_b64_e32 v[6:7], v[0:1]
	s_branch .LBB13_21
.LBB13_20:                              ;   in Loop: Header=BB13_21 Depth=2
	s_or_b64 exec, exec, s[2:3]
	v_lshl_add_u64 v[4:5], v[4:5], 0, s[16:17]
	v_mov_b32_e32 v8, v9
	s_andn2_b64 exec, exec, s[8:9]
	s_cbranch_execz .LBB13_82
.LBB13_21:                              ;   Parent Loop BB13_16 Depth=1
                                        ; =>  This Inner Loop Header: Depth=2
	v_lshl_add_u64 v[6:7], v[6:7], 0, v[2:3]
	v_cmp_gt_i64_e64 s[0:1], s[56:57], v[6:7]
	v_cmp_le_i64_e32 vcc, s[56:57], v[6:7]
	s_waitcnt lgkmcnt(0)
	v_mov_b32_e32 v10, 0
	v_mov_b32_e32 v9, 0
	s_and_saveexec_b64 s[2:3], s[0:1]
	s_cbranch_execz .LBB13_23
; %bb.22:                               ;   in Loop: Header=BB13_21 Depth=2
	global_load_ubyte v9, v[4:5], off
.LBB13_23:                              ;   in Loop: Header=BB13_21 Depth=2
	s_or_b64 exec, exec, s[2:3]
	s_waitcnt vmcnt(0)
	v_add_u32_sdwa v11, sext(v8), s15 dst_sel:DWORD dst_unused:UNUSED_PAD src0_sel:BYTE_0 src1_sel:DWORD
	v_and_b32_e32 v11, v11, v46
	v_cmp_eq_u32_e64 s[0:1], v11, v44
	s_cmp_lg_u64 s[0:1], 0
	s_cselect_b64 s[2:3], -1, 0
	s_and_b64 s[2:3], s[4:5], s[2:3]
	s_and_saveexec_b64 s[18:19], s[2:3]
	s_cbranch_execz .LBB13_27
; %bb.24:                               ;   in Loop: Header=BB13_21 Depth=2
	s_mov_b64 s[22:23], exec
	v_mbcnt_lo_u32_b32 v10, s22, 0
	v_mbcnt_hi_u32_b32 v10, s23, v10
	s_bcnt1_i32_b64 s24, s[0:1]
	v_cmp_eq_u32_e64 s[2:3], 0, v10
                                        ; implicit-def: $vgpr11
	s_and_saveexec_b64 s[20:21], s[2:3]
; %bb.25:                               ;   in Loop: Header=BB13_21 Depth=2
	s_bcnt1_i32_b64 s2, s[22:23]
	s_mul_i32 s2, s24, s2
	v_mov_b32_e32 v11, s2
	ds_add_rtn_u32 v11, v3, v11 offset:5136
; %bb.26:                               ;   in Loop: Header=BB13_21 Depth=2
	s_or_b64 exec, exec, s[20:21]
	s_waitcnt lgkmcnt(0)
	v_readfirstlane_b32 s2, v11
	s_nop 1
	v_mov_b32_e32 v11, s2
	v_mad_u32_u24 v10, s24, v10, v11
.LBB13_27:                              ;   in Loop: Header=BB13_21 Depth=2
	s_or_b64 exec, exec, s[18:19]
	ds_bpermute_b32 v10, v41, v10
	s_and_b64 s[2:3], exec, vcc
	s_or_b64 s[8:9], s[2:3], s[8:9]
	s_and_saveexec_b64 s[2:3], s[0:1]
	s_cbranch_execz .LBB13_20
; %bb.28:                               ;   in Loop: Header=BB13_21 Depth=2
	v_and_b32_e32 v36, s0, v18
	v_and_b32_e32 v11, s1, v19
	v_bcnt_u32_b32 v36, v36, 0
	v_bcnt_u32_b32 v11, v11, v36
	s_waitcnt lgkmcnt(0)
	v_add_u32_e32 v10, v10, v11
	ds_write_b8 v10, v8
	s_branch .LBB13_20
.LBB13_29:                              ;   in Loop: Header=BB13_16 Depth=1
	s_mov_b64 s[6:7], -1
	s_mov_b64 s[0:1], 0
.LBB13_30:                              ;   in Loop: Header=BB13_16 Depth=1
	s_and_b64 vcc, exec, s[6:7]
	s_cbranch_vccz .LBB13_46
.LBB13_31:                              ;   in Loop: Header=BB13_16 Depth=1
	s_mov_b64 s[0:1], exec
	v_readlane_b32 s2, v66, 30
	v_readlane_b32 s3, v66, 31
	s_and_b64 s[2:3], s[0:1], s[2:3]
	s_mov_b64 exec, s[2:3]
	s_cbranch_execz .LBB13_43
; %bb.32:                               ;   in Loop: Header=BB13_16 Depth=1
	global_load_ushort v2, v3, s[50:51]
	global_load_ubyte v38, v[14:15], off
	v_mov_b32_e32 v8, v0
	s_waitcnt vmcnt(1)
	v_readfirstlane_b32 s6, v2
	v_add_u32_sdwa v2, v2, v0 dst_sel:DWORD dst_unused:UNUSED_PAD src0_sel:WORD_0 src1_sel:DWORD
	v_cmp_gt_i64_e32 vcc, s[56:57], v[2:3]
	s_and_saveexec_b64 s[2:3], vcc
	s_cbranch_execz .LBB13_42
; %bb.33:                               ;   in Loop: Header=BB13_16 Depth=1
	s_and_b32 s86, s6, 0xffff
	s_cmp_eq_u32 s86, 1
	v_readlane_b32 s8, v66, 36
	s_cselect_b64 s[6:7], -1, 0
	v_readlane_b32 s9, v66, 37
	s_and_b64 s[16:17], s[8:9], s[6:7]
	s_mov_b64 s[8:9], -1
	v_mov_b64_e32 v[6:7], v[0:1]
	v_mov_b64_e32 v[4:5], v[2:3]
                                        ; implicit-def: $vgpr8_vgpr9
	s_and_saveexec_b64 s[6:7], s[16:17]
	s_cbranch_execz .LBB13_37
; %bb.34:                               ;   in Loop: Header=BB13_16 Depth=1
	v_lshl_add_u64 v[8:9], v[2:3], 0, 3
	v_lshl_add_u64 v[6:7], v[2:3], 0, 2
	;; [unrolled: 1-line block ×3, first 2 shown]
	v_mov_b64_e32 v[10:11], v[8:9]
	s_waitcnt vmcnt(0)
	v_lshlrev_b32_e32 v48, 24, v38
	s_mov_b64 s[8:9], 0
	v_mov_b64_e32 v[36:37], v[20:21]
	v_mov_b32_e32 v39, v0
	v_mov_b64_e32 v[8:9], v[6:7]
	v_mov_b64_e32 v[6:7], v[4:5]
	;; [unrolled: 1-line block ×3, first 2 shown]
.LBB13_35:                              ;   Parent Loop BB13_16 Depth=1
                                        ; =>  This Inner Loop Header: Depth=2
	v_mov_b64_e32 v[52:53], s[88:89]
	v_readlane_b32 s11, v66, 38
	v_mul_lo_u32 v64, v10, s73
	v_mul_lo_u32 v65, v11, s96
	v_mad_u64_u32 v[54:55], s[16:17], v4, s92, v[52:53]
	v_mad_u64_u32 v[56:57], s[16:17], v6, s33, v[52:53]
	;; [unrolled: 1-line block ×4, first 2 shown]
	v_mul_lo_u32 v38, v4, s10
	v_mul_lo_u32 v49, v5, s92
	;; [unrolled: 1-line block ×6, first 2 shown]
	v_add3_u32 v53, v65, v53, v64
	v_add3_u32 v55, v49, v55, v38
	;; [unrolled: 1-line block ×4, first 2 shown]
	global_load_ubyte v38, v[52:53], off
	global_load_ubyte v49, v[56:57], off
	s_nop 0
	global_load_ubyte v52, v[54:55], off
	global_load_ubyte v53, v[58:59], off
	s_mov_b32 s16, 0xc0c0007
	v_lshl_add_u64 v[36:37], v[36:37], 0, -4
	v_cmp_eq_u64_e32 vcc, 0, v[36:37]
	v_lshl_add_u64 v[10:11], v[10:11], 0, 4
	v_lshl_add_u64 v[8:9], v[8:9], 0, 4
	;; [unrolled: 1-line block ×4, first 2 shown]
	s_or_b64 s[8:9], vcc, s[8:9]
	s_waitcnt vmcnt(1)
	v_perm_b32 v54, v52, v49, s44
	s_waitcnt vmcnt(0)
	v_perm_b32 v55, v53, v38, s44
	v_perm_b32 v49, v49, v53, s44
	;; [unrolled: 1-line block ×3, first 2 shown]
	v_lshl_or_b32 v52, v55, 16, v54
	v_lshl_or_b32 v48, v49, 16, v48
	ds_write_b32 v39, v48
	v_add_u32_e32 v39, 4, v39
	v_mov_b32_e32 v48, v52
	s_andn2_b64 exec, exec, s[8:9]
	s_cbranch_execnz .LBB13_35
; %bb.36:                               ;   in Loop: Header=BB13_16 Depth=1
	s_or_b64 exec, exec, s[8:9]
	v_readlane_b32 s8, v66, 39
	v_lshl_add_u64 v[4:5], v[2:3], 0, v[20:21]
	v_readlane_b32 s9, v66, 40
	v_lshl_add_u64 v[8:9], v[4:5], 0, -1
	s_orn2_b64 s[8:9], s[8:9], exec
	v_mov_b64_e32 v[6:7], v[22:23]
.LBB13_37:                              ;   in Loop: Header=BB13_16 Depth=1
	s_or_b64 exec, exec, s[6:7]
	s_and_saveexec_b64 s[6:7], s[8:9]
	s_cbranch_execz .LBB13_41
; %bb.38:                               ;   in Loop: Header=BB13_16 Depth=1
	v_readlane_b32 s18, v66, 46
	v_readlane_b32 s19, v66, 47
	s_sub_u32 s8, 0, s86
	v_mul_lo_u32 v2, s62, v5
	v_mov_b64_e32 v[8:9], s[18:19]
	v_mad_u64_u32 v[8:9], s[18:19], s62, v4, v[8:9]
	v_mul_lo_u32 v7, s63, v4
	s_mul_i32 s18, s63, s86
	s_mul_hi_u32 s19, s62, s86
	s_mov_b64 s[16:17], 0
	s_subb_u32 s9, 0, 0
	v_add3_u32 v9, v7, v9, v2
	s_add_i32 s19, s19, s18
	s_mul_i32 s18, s62, s86
.LBB13_39:                              ;   Parent Loop BB13_16 Depth=1
                                        ; =>  This Inner Loop Header: Depth=2
	global_load_ubyte v2, v[8:9], off
	v_mov_b64_e32 v[10:11], v[4:5]
	v_lshl_add_u64 v[4:5], v[10:11], 0, s[86:87]
	v_cmp_le_i64_e32 vcc, s[56:57], v[4:5]
	s_waitcnt vmcnt(1)
	ds_write_b8 v6, v38
	v_lshl_add_u64 v[8:9], v[8:9], 0, s[18:19]
	v_mov_b64_e32 v[6:7], v[10:11]
	s_or_b64 s[16:17], vcc, s[16:17]
	s_waitcnt vmcnt(0)
	v_mov_b32_e32 v38, v2
	s_andn2_b64 exec, exec, s[16:17]
	s_cbranch_execnz .LBB13_39
; %bb.40:                               ;   in Loop: Header=BB13_16 Depth=1
	s_or_b64 exec, exec, s[16:17]
	v_lshl_add_u64 v[8:9], s[8:9], 0, v[4:5]
	v_mov_b32_e32 v38, v2
.LBB13_41:                              ;   in Loop: Header=BB13_16 Depth=1
	s_or_b64 exec, exec, s[6:7]
.LBB13_42:                              ;   in Loop: Header=BB13_16 Depth=1
	s_or_b64 exec, exec, s[2:3]
	s_waitcnt vmcnt(0)
	ds_write_b8 v8, v38
.LBB13_43:                              ;   in Loop: Header=BB13_16 Depth=1
	s_or_b64 exec, exec, s[0:1]
	s_waitcnt lgkmcnt(0)
	s_barrier
	s_mov_b64 s[0:1], exec
	v_readlane_b32 s2, v66, 12
	v_readlane_b32 s3, v66, 13
	s_and_b64 s[2:3], s[0:1], s[2:3]
	s_mov_b64 exec, s[2:3]
; %bb.44:                               ;   in Loop: Header=BB13_16 Depth=1
	ds_write_b64 v3, v[50:51] offset:5120
; %bb.45:                               ;   in Loop: Header=BB13_16 Depth=1
	s_or_b64 exec, exec, s[0:1]
	s_mov_b64 s[0:1], -1
	s_waitcnt lgkmcnt(0)
	s_barrier
.LBB13_46:                              ;   in Loop: Header=BB13_16 Depth=1
	s_and_b64 vcc, exec, s[0:1]
	s_cbranch_vccz .LBB13_48
; %bb.47:                               ;   in Loop: Header=BB13_16 Depth=1
	ds_read_b64 v[4:5], v3 offset:5120
	s_waitcnt lgkmcnt(0)
	v_readfirstlane_b32 s60, v4
.LBB13_48:                              ;   in Loop: Header=BB13_16 Depth=1
	s_cmp_lt_i32 s60, 1
	s_mov_b64 s[0:1], -1
                                        ; implicit-def: $vgpr10_vgpr11
                                        ; implicit-def: $vgpr6_vgpr7
	s_cbranch_scc1 .LBB13_58
; %bb.49:                               ;   in Loop: Header=BB13_16 Depth=1
	s_and_b64 vcc, exec, s[0:1]
	s_cbranch_vccnz .LBB13_72
.LBB13_50:                              ;   in Loop: Header=BB13_16 Depth=1
	s_lshl_b32 s2, s45, 6
	s_and_saveexec_b64 s[0:1], s[4:5]
	s_mov_b64 s[60:61], s[98:99]
	s_cbranch_execz .LBB13_52
.LBB13_51:                              ;   in Loop: Header=BB13_16 Depth=1
	v_lshl_add_u32 v2, s2, 3, v42
	ds_write_b128 v2, v[4:7]
	ds_write_b128 v2, v[8:11] offset:16
.LBB13_52:                              ;   in Loop: Header=BB13_16 Depth=1
	s_or_b64 exec, exec, s[0:1]
	s_waitcnt lgkmcnt(0)
	s_barrier
	s_mov_b64 s[0:1], exec
	v_readlane_b32 s6, v66, 24
	v_readlane_b32 s7, v66, 25
	s_and_b64 s[6:7], s[0:1], s[6:7]
	s_mov_b64 exec, s[6:7]
	s_cbranch_execz .LBB13_90
; %bb.53:                               ;   in Loop: Header=BB13_16 Depth=1
	v_readlane_b32 s6, v66, 32
	v_readlane_b32 s7, v66, 33
	s_andn2_b64 vcc, exec, s[6:7]
	v_mov_b64_e32 v[4:5], 0
	s_cbranch_vccnz .LBB13_89
; %bb.54:                               ;   in Loop: Header=BB13_16 Depth=1
	v_readlane_b32 s6, v66, 41
	v_readlane_b32 s7, v66, 42
	s_andn2_b64 vcc, exec, s[6:7]
	s_cbranch_vccnz .LBB13_85
; %bb.55:                               ;   in Loop: Header=BB13_16 Depth=1
	v_lshl_add_u32 v2, s45, 9, v43
	v_mov_b64_e32 v[4:5], 0
	s_mov_b32 s3, 0
.LBB13_56:                              ;   Parent Loop BB13_16 Depth=1
                                        ; =>  This Inner Loop Header: Depth=2
	ds_read2_b64 v[6:9], v2 offset1:4
	ds_read2_b64 v[36:39], v2 offset0:8 offset1:12
	ds_read2_b64 v[52:55], v2 offset0:16 offset1:20
	;; [unrolled: 1-line block ×3, first 2 shown]
	s_add_i32 s3, s3, 8
	s_waitcnt lgkmcnt(3)
	v_lshl_add_u64 v[4:5], v[6:7], 0, v[4:5]
	v_lshl_add_u64 v[4:5], v[8:9], 0, v[4:5]
	s_waitcnt lgkmcnt(2)
	v_lshl_add_u64 v[4:5], v[36:37], 0, v[4:5]
	v_lshl_add_u64 v[4:5], v[38:39], 0, v[4:5]
	;; [unrolled: 3-line block ×3, first 2 shown]
	s_waitcnt lgkmcnt(0)
	v_lshl_add_u64 v[4:5], v[56:57], 0, v[4:5]
	v_add_u32_e32 v2, 0x100, v2
	s_cmp_eq_u32 s82, s3
	v_lshl_add_u64 v[4:5], v[58:59], 0, v[4:5]
	s_cbranch_scc0 .LBB13_56
; %bb.57:                               ;   in Loop: Header=BB13_16 Depth=1
	s_mov_b32 s3, s82
	s_branch .LBB13_86
.LBB13_58:                              ;   in Loop: Header=BB13_16 Depth=1
	global_load_ushort v2, v3, s[50:51]
	s_mov_b64 s[4:5], s[12:13]
	s_mov_b64 s[12:13], s[74:75]
	s_mov_b32 s0, s87
	s_mov_b64 s[70:71], s[80:81]
	s_waitcnt vmcnt(0)
	v_readfirstlane_b32 s1, v2
	s_and_b32 s74, s1, 0xffff
	s_lshl_b32 s86, s74, 2
	s_mov_b32 s1, s57
	s_cmp_lg_u64 s[0:1], 0
	s_cbranch_scc0 .LBB13_81
; %bb.59:                               ;   in Loop: Header=BB13_16 Depth=1
	s_add_u32 s0, s86, 0
	s_addc_u32 s1, 0, 0
	s_xor_b64 s[0:1], s[0:1], 0
	v_cvt_f32_u32_e32 v2, s0
	v_cvt_f32_u32_e32 v4, s1
	s_sub_u32 s6, 0, s0
	s_subb_u32 s7, 0, s1
	v_fmac_f32_e32 v2, 0x4f800000, v4
	v_rcp_f32_e32 v2, v2
	s_nop 0
	v_mul_f32_e32 v2, 0x5f7ffffc, v2
	v_mul_f32_e32 v4, 0x2f800000, v2
	v_trunc_f32_e32 v4, v4
	v_fmac_f32_e32 v2, 0xcf800000, v4
	v_cvt_u32_f32_e32 v4, v4
	v_cvt_u32_f32_e32 v2, v2
	v_readfirstlane_b32 s8, v4
	v_readfirstlane_b32 s2, v2
	s_mul_i32 s3, s6, s8
	s_mul_hi_u32 s16, s6, s2
	s_mul_i32 s9, s7, s2
	s_add_i32 s3, s16, s3
	s_mul_i32 s17, s6, s2
	s_add_i32 s3, s3, s9
	s_mul_i32 s16, s2, s3
	s_mul_hi_u32 s18, s2, s17
	s_mul_hi_u32 s9, s2, s3
	s_add_u32 s16, s18, s16
	s_addc_u32 s9, 0, s9
	s_mul_hi_u32 s19, s8, s17
	s_mul_i32 s17, s8, s17
	s_add_u32 s16, s16, s17
	s_mul_hi_u32 s18, s8, s3
	s_addc_u32 s9, s9, s19
	s_addc_u32 s16, s18, 0
	s_mul_i32 s3, s8, s3
	s_add_u32 s3, s9, s3
	s_addc_u32 s9, 0, s16
	s_add_u32 s16, s2, s3
	s_cselect_b64 s[2:3], -1, 0
	s_cmp_lg_u64 s[2:3], 0
	s_addc_u32 s8, s8, s9
	s_mul_i32 s2, s6, s8
	s_mul_hi_u32 s3, s6, s16
	s_add_i32 s2, s3, s2
	s_mul_i32 s7, s7, s16
	s_add_i32 s2, s2, s7
	s_mul_i32 s6, s6, s16
	s_mul_hi_u32 s7, s8, s6
	s_mul_i32 s9, s8, s6
	s_mul_i32 s18, s16, s2
	s_mul_hi_u32 s6, s16, s6
	s_mul_hi_u32 s17, s16, s2
	s_add_u32 s6, s6, s18
	s_addc_u32 s17, 0, s17
	s_add_u32 s6, s6, s9
	s_mul_hi_u32 s3, s8, s2
	s_addc_u32 s6, s17, s7
	s_addc_u32 s3, s3, 0
	s_mul_i32 s2, s8, s2
	s_add_u32 s2, s6, s2
	s_addc_u32 s6, 0, s3
	s_add_u32 s9, s16, s2
	s_cselect_b64 s[2:3], -1, 0
	s_cmp_lg_u64 s[2:3], 0
	s_addc_u32 s8, s8, s6
	s_ashr_i32 s2, s57, 31
	s_add_u32 s6, s56, s2
	s_mov_b32 s3, s2
	s_addc_u32 s7, s57, s2
	s_xor_b64 s[6:7], s[6:7], s[2:3]
	s_mul_i32 s17, s6, s8
	s_mul_hi_u32 s18, s6, s9
	s_mul_hi_u32 s16, s6, s8
	s_add_u32 s17, s18, s17
	s_addc_u32 s16, 0, s16
	s_mul_hi_u32 s19, s7, s9
	s_mul_i32 s9, s7, s9
	s_add_u32 s9, s17, s9
	s_mul_hi_u32 s18, s7, s8
	s_addc_u32 s9, s16, s19
	s_addc_u32 s16, s18, 0
	s_mul_i32 s8, s7, s8
	s_add_u32 s8, s9, s8
	s_addc_u32 s9, 0, s16
	s_mul_i32 s9, s0, s9
	s_mul_hi_u32 s16, s0, s8
	s_add_i32 s9, s16, s9
	s_mul_i32 s16, s1, s8
	s_add_i32 s18, s9, s16
	s_sub_i32 s16, s7, s18
	s_mul_i32 s8, s0, s8
	s_sub_u32 s6, s6, s8
	s_cselect_b64 s[8:9], -1, 0
	s_cmp_lg_u64 s[8:9], 0
	s_subb_u32 s19, s16, s1
	s_sub_u32 s20, s6, s0
	s_cselect_b64 s[16:17], -1, 0
	s_cmp_lg_u64 s[16:17], 0
	s_subb_u32 s21, s19, 0
	s_cmp_ge_u32 s21, s1
	s_cselect_b32 s22, -1, 0
	s_cmp_ge_u32 s20, s0
	s_cselect_b32 s23, -1, 0
	s_cmp_eq_u32 s21, s1
	s_cselect_b32 s22, s23, s22
	s_cmp_lg_u64 s[16:17], 0
	s_subb_u32 s19, s19, s1
	s_sub_u32 s23, s20, s0
	s_cselect_b64 s[16:17], -1, 0
	s_cmp_lg_u64 s[16:17], 0
	s_subb_u32 s16, s19, 0
	s_cmp_lg_u32 s22, 0
	s_cselect_b32 s17, s23, s20
	s_cselect_b32 s16, s16, s21
	s_cmp_lg_u64 s[8:9], 0
	s_subb_u32 s7, s7, s18
	s_cmp_ge_u32 s7, s1
	s_cselect_b32 s8, -1, 0
	s_cmp_ge_u32 s6, s0
	s_cselect_b32 s0, -1, 0
	s_cmp_eq_u32 s7, s1
	s_cselect_b32 s0, s0, s8
	s_cmp_lg_u32 s0, 0
	s_cselect_b32 s1, s16, s7
	s_cselect_b32 s0, s17, s6
	s_xor_b64 s[0:1], s[0:1], s[2:3]
	s_sub_u32 s80, s0, s2
	s_subb_u32 s81, s1, s2
	s_cbranch_execnz .LBB13_61
.LBB13_60:                              ;   in Loop: Header=BB13_16 Depth=1
	v_cvt_f32_u32_e32 v2, s86
	s_sub_i32 s0, 0, s86
	s_mov_b32 s81, s87
	v_rcp_iflag_f32_e32 v2, v2
	s_nop 0
	v_mul_f32_e32 v2, 0x4f7ffffe, v2
	v_cvt_u32_f32_e32 v2, v2
	s_nop 0
	v_readfirstlane_b32 s1, v2
	s_mul_i32 s0, s0, s1
	s_mul_hi_u32 s0, s1, s0
	s_add_i32 s1, s1, s0
	s_mul_hi_u32 s0, s56, s1
	s_mul_i32 s0, s0, s86
	s_sub_i32 s0, s56, s0
	s_sub_i32 s1, s0, s86
	s_cmp_ge_u32 s0, s86
	s_cselect_b32 s0, s1, s0
	s_sub_i32 s1, s0, s86
	s_cmp_ge_u32 s0, s86
	s_cselect_b32 s80, s1, s0
.LBB13_61:                              ;   in Loop: Header=BB13_16 Depth=1
	s_sub_u32 s82, s56, s80
	s_subb_u32 s83, s57, s81
	s_mov_b32 s75, s87
	v_cmp_gt_i64_e32 vcc, s[82:83], v[16:17]
	v_mov_b64_e32 v[4:5], 0
	v_mov_b64_e32 v[6:7], 0
	;; [unrolled: 1-line block ×4, first 2 shown]
	s_and_saveexec_b64 s[30:31], vcc
	s_cbranch_execz .LBB13_65
; %bb.62:                               ;   in Loop: Header=BB13_16 Depth=1
	v_writelane_b32 v66, s45, 59
	v_writelane_b32 v66, s54, 60
	s_mov_b32 s33, s10
	s_mov_b32 s97, s95
	v_writelane_b32 v66, s55, 61
	s_mov_b64 s[10:11], s[90:91]
	v_readlane_b32 s0, v66, 26
	v_readlane_b32 s1, v66, 27
	;; [unrolled: 1-line block ×4, first 2 shown]
	s_mul_i32 s0, s67, s74
	s_mul_hi_u32 s1, s66, s74
	s_add_i32 s61, s1, s0
	s_mov_b64 s[72:73], 0
	s_mov_b64 s[92:93], s[88:89]
	;; [unrolled: 1-line block ×6, first 2 shown]
	v_mov_b64_e32 v[36:37], v[16:17]
.LBB13_63:                              ;   Parent Loop BB13_16 Depth=1
                                        ; =>  This Inner Loop Header: Depth=2
	v_lshl_add_u64 v[4:5], s[88:89], 0, v[30:31]
	v_lshl_add_u64 v[6:7], s[88:89], 0, v[28:29]
	v_lshl_add_u64 v[8:9], s[88:89], 0, v[26:27]
	v_lshl_add_u64 v[10:11], s[88:89], 0, v[24:25]
	global_load_sbyte v2, v[4:5], off
	s_nop 0
	global_load_sbyte v4, v[6:7], off
	global_load_sbyte v5, v[8:9], off
	s_nop 0
	global_load_sbyte v6, v[10:11], off
	s_mul_i32 s96, s66, s74
	v_lshl_add_u64 v[36:37], v[36:37], 0, s[86:87]
	v_cmp_le_i64_e32 vcc, s[82:83], v[36:37]
	s_waitcnt vmcnt(3)
	v_add_u32_e32 v2, 0x80, v2
	s_waitcnt vmcnt(2)
	v_add_u32_e32 v4, 0x80, v4
	v_and_b32_e32 v7, v2, v46
	v_bfe_u32 v2, v2, s14, 2
	s_waitcnt vmcnt(1)
	v_add_u32_e32 v5, 0x80, v5
	v_and_b32_e32 v8, v4, v46
	v_bfe_u32 v4, v4, s14, 2
	v_cmp_eq_u32_e64 s[0:1], v7, v44
	v_cmp_eq_u32_e64 s[20:21], 0, v2
	s_waitcnt vmcnt(0)
	v_add_u32_e32 v6, 0x80, v6
	v_and_b32_e32 v9, v5, v46
	v_bfe_u32 v5, v5, s14, 2
	v_cmp_eq_u32_e64 s[2:3], v8, v44
	v_cmp_eq_u32_e64 s[22:23], 0, v4
	s_and_b64 s[20:21], s[0:1], s[20:21]
	v_and_b32_e32 v10, v6, v46
	v_bfe_u32 v6, v6, s14, 2
	v_cmp_eq_u32_e64 s[16:17], v9, v44
	v_cmp_eq_u32_e64 s[24:25], 0, v5
	;; [unrolled: 1-line block ×5, first 2 shown]
	v_cndmask_b32_e64 v2, 0, 1, s[20:21]
	s_and_b64 s[20:21], s[2:3], s[22:23]
	v_cmp_eq_u32_e64 s[18:19], v10, v44
	v_cmp_eq_u32_e64 s[26:27], 0, v6
	;; [unrolled: 1-line block ×5, first 2 shown]
	v_cndmask_b32_e64 v4, 0, 1, s[20:21]
	s_and_b64 s[20:21], s[16:17], s[24:25]
	v_cmp_eq_u32_e64 s[36:37], 1, v5
	v_cmp_eq_u32_e64 s[44:45], 2, v5
	;; [unrolled: 1-line block ×3, first 2 shown]
	v_cndmask_b32_e64 v5, 0, 1, s[20:21]
	s_and_b64 s[20:21], s[18:19], s[26:27]
	v_cmp_eq_u32_e64 s[38:39], 1, v6
	v_cmp_eq_u32_e64 s[46:47], 2, v6
	;; [unrolled: 1-line block ×3, first 2 shown]
	v_cndmask_b32_e64 v6, 0, 1, s[20:21]
	v_cmp_ne_u32_e64 s[20:21], 0, v2
	v_cmp_ne_u32_e64 s[22:23], 0, v4
	v_cmp_ne_u32_e64 s[24:25], 0, v5
	v_cmp_ne_u32_e64 s[26:27], 0, v6
	s_bcnt1_i32_b64 s20, s[20:21]
	s_bcnt1_i32_b64 s21, s[22:23]
	s_bcnt1_i32_b64 s22, s[24:25]
	s_bcnt1_i32_b64 s23, s[26:27]
	s_add_u32 s6, s20, s6
	s_addc_u32 s7, 0, s7
	s_add_u32 s6, s6, s21
	s_addc_u32 s7, s7, 0
	s_add_u32 s6, s6, s22
	s_addc_u32 s7, s7, 0
	s_add_u32 s6, s6, s23
	s_addc_u32 s7, s7, 0
	s_and_b64 s[20:21], s[0:1], s[28:29]
	v_cndmask_b32_e64 v2, 0, 1, s[20:21]
	s_and_b64 s[20:21], s[2:3], s[34:35]
	v_cndmask_b32_e64 v6, 0, 1, s[20:21]
	s_and_b64 s[20:21], s[16:17], s[36:37]
	v_cndmask_b32_e64 v7, 0, 1, s[20:21]
	s_and_b64 s[20:21], s[18:19], s[38:39]
	v_cndmask_b32_e64 v8, 0, 1, s[20:21]
	v_cmp_ne_u32_e64 s[20:21], 0, v2
	v_cmp_ne_u32_e64 s[22:23], 0, v6
	v_cmp_ne_u32_e64 s[24:25], 0, v7
	v_cmp_ne_u32_e64 s[26:27], 0, v8
	s_bcnt1_i32_b64 s20, s[20:21]
	s_bcnt1_i32_b64 s21, s[22:23]
	s_bcnt1_i32_b64 s22, s[24:25]
	s_bcnt1_i32_b64 s23, s[26:27]
	s_add_u32 s20, s20, s64
	s_addc_u32 s24, 0, s65
	s_add_u32 s20, s20, s21
	s_addc_u32 s21, s24, 0
	s_add_u32 s20, s20, s22
	s_addc_u32 s21, s21, 0
	s_add_u32 s64, s20, s23
	s_addc_u32 s65, s21, 0
	s_and_b64 s[20:21], s[0:1], s[40:41]
	v_cndmask_b32_e64 v2, 0, 1, s[20:21]
	s_and_b64 s[20:21], s[2:3], s[42:43]
	v_cndmask_b32_e64 v8, 0, 1, s[20:21]
	s_and_b64 s[20:21], s[16:17], s[44:45]
	v_cndmask_b32_e64 v9, 0, 1, s[20:21]
	s_and_b64 s[20:21], s[18:19], s[46:47]
	;; [unrolled: 24-line block ×3, first 2 shown]
	v_cndmask_b32_e64 v38, 0, 1, s[0:1]
	v_cmp_ne_u32_e64 s[0:1], 0, v2
	v_cmp_ne_u32_e64 s[2:3], 0, v10
	;; [unrolled: 1-line block ×4, first 2 shown]
	s_bcnt1_i32_b64 s0, s[0:1]
	s_bcnt1_i32_b64 s1, s[2:3]
	;; [unrolled: 1-line block ×4, first 2 shown]
	s_add_u32 s0, s0, s8
	s_addc_u32 s8, 0, s9
	s_add_u32 s0, s0, s1
	s_addc_u32 s1, s8, 0
	;; [unrolled: 2-line block ×5, first 2 shown]
	v_mov_b64_e32 v[4:5], s[6:7]
	v_mov_b64_e32 v[6:7], s[64:65]
	;; [unrolled: 1-line block ×3, first 2 shown]
	s_or_b64 s[72:73], vcc, s[72:73]
	v_mov_b64_e32 v[10:11], s[8:9]
	s_andn2_b64 exec, exec, s[72:73]
	s_cbranch_execnz .LBB13_63
; %bb.64:                               ;   in Loop: Header=BB13_16 Depth=1
	s_or_b64 exec, exec, s[72:73]
	v_readlane_b32 s54, v66, 60
	v_readlane_b32 s50, v66, 48
	s_mov_b64 s[88:89], s[92:93]
	s_mov_b64 s[90:91], s[10:11]
	s_mov_b32 s95, s97
	v_readlane_b32 s55, v66, 61
	v_readlane_b32 s51, v66, 49
	s_mov_b32 s10, s33
	v_readlane_b32 s92, v66, 56
	v_readlane_b32 s33, v66, 58
	;; [unrolled: 1-line block ×5, first 2 shown]
	s_mov_b32 s44, 0xc0c0004
	v_readlane_b32 s45, v66, 59
.LBB13_65:                              ;   in Loop: Header=BB13_16 Depth=1
	s_or_b64 exec, exec, s[30:31]
	v_lshl_add_u64 v[36:37], s[82:83], 0, v[0:1]
	v_cmp_gt_i64_e32 vcc, s[56:57], v[36:37]
	s_and_saveexec_b64 s[2:3], vcc
	v_readlane_b32 s82, v66, 53
	s_cbranch_execz .LBB13_71
; %bb.66:                               ;   in Loop: Header=BB13_16 Depth=1
	v_mov_b64_e32 v[38:39], s[88:89]
	v_mad_u64_u32 v[38:39], s[0:1], v36, s62, v[38:39]
	v_mul_lo_u32 v2, v36, s63
	v_mul_lo_u32 v48, v37, s62
	v_add3_u32 v39, v48, v39, v2
	global_load_ubyte v2, v[38:39], off
	v_lshl_add_u64 v[38:39], v[32:33], 0, s[74:75]
	v_mov_b32_e32 v48, s81
	v_subrev_co_u32_e32 v49, vcc, s80, v38
	v_readlane_b32 s0, v66, 46
	s_nop 0
	v_subb_co_u32_e32 v38, vcc, v39, v48, vcc
	v_readlane_b32 s1, v66, 47
	v_mul_lo_u32 v48, s62, v38
	v_mul_lo_u32 v52, s63, v49
	v_mov_b64_e32 v[38:39], s[0:1]
	v_mad_u64_u32 v[38:39], s[0:1], s62, v49, v[38:39]
	s_mul_i32 s0, s63, s74
	s_mul_hi_u32 s1, s62, s74
	v_add3_u32 v39, v52, v39, v48
	s_add_i32 s7, s1, s0
	s_mul_i32 s6, s62, s74
	s_mov_b64 s[8:9], 0
	s_branch .LBB13_68
.LBB13_67:                              ;   in Loop: Header=BB13_68 Depth=2
	s_or_b64 exec, exec, s[16:17]
	s_waitcnt vmcnt(0)
	v_add_u32_sdwa v2, sext(v2), s15 dst_sel:DWORD dst_unused:UNUSED_PAD src0_sel:BYTE_0 src1_sel:DWORD
	s_and_b64 s[0:1], exec, vcc
	v_and_b32_e32 v49, v2, v46
	v_bfe_u32 v2, v2, s14, 2
	s_or_b64 s[8:9], s[0:1], s[8:9]
	v_cmp_eq_u32_e32 vcc, v49, v44
	v_cmp_eq_u32_e64 s[0:1], 0, v2
	s_and_b64 s[0:1], vcc, s[0:1]
	v_lshl_add_u64 v[38:39], v[38:39], 0, s[6:7]
	v_cndmask_b32_e64 v49, 0, 1, s[0:1]
	v_cmp_ne_u32_e64 s[0:1], 0, v49
	s_bcnt1_i32_b64 s86, s[0:1]
	v_cmp_eq_u32_e64 s[0:1], 1, v2
	s_and_b64 s[0:1], vcc, s[0:1]
	v_lshl_add_u64 v[4:5], s[86:87], 0, v[4:5]
	v_cndmask_b32_e64 v49, 0, 1, s[0:1]
	v_cmp_ne_u32_e64 s[0:1], 0, v49
	s_bcnt1_i32_b64 s86, s[0:1]
	;; [unrolled: 6-line block ×3, first 2 shown]
	v_cmp_eq_u32_e64 s[0:1], 3, v2
	s_and_b64 s[0:1], vcc, s[0:1]
	v_lshl_add_u64 v[8:9], s[86:87], 0, v[8:9]
	v_cndmask_b32_e64 v2, 0, 1, s[0:1]
	v_cmp_ne_u32_e32 vcc, 0, v2
	s_bcnt1_i32_b64 s86, vcc
	v_lshl_add_u64 v[10:11], s[86:87], 0, v[10:11]
	v_mov_b32_e32 v2, v48
	s_andn2_b64 exec, exec, s[8:9]
	s_cbranch_execz .LBB13_70
.LBB13_68:                              ;   Parent Loop BB13_16 Depth=1
                                        ; =>  This Inner Loop Header: Depth=2
	v_lshl_add_u64 v[36:37], v[36:37], 0, s[74:75]
	v_cmp_gt_i64_e64 s[0:1], s[56:57], v[36:37]
	v_cmp_le_i64_e32 vcc, s[56:57], v[36:37]
	v_mov_b32_e32 v48, 0
	s_and_saveexec_b64 s[16:17], s[0:1]
	s_cbranch_execz .LBB13_67
; %bb.69:                               ;   in Loop: Header=BB13_68 Depth=2
	global_load_ubyte v48, v[38:39], off
	s_branch .LBB13_67
.LBB13_70:                              ;   in Loop: Header=BB13_16 Depth=1
	s_or_b64 exec, exec, s[8:9]
.LBB13_71:                              ;   in Loop: Header=BB13_16 Depth=1
	s_or_b64 exec, exec, s[2:3]
	s_mov_b64 s[74:75], s[12:13]
	s_mov_b64 s[12:13], s[4:5]
	v_readlane_b32 s4, v66, 51
	v_readlane_b32 s73, v66, 50
	;; [unrolled: 1-line block ×3, first 2 shown]
	s_mov_b64 s[80:81], s[70:71]
	s_branch .LBB13_50
.LBB13_72:                              ;   in Loop: Header=BB13_16 Depth=1
	global_load_ushort v2, v3, s[50:51]
	v_mov_b64_e32 v[8:9], 0
	s_waitcnt vmcnt(0)
	v_readfirstlane_b32 s0, v2
	s_and_b32 s61, 0xffff, s0
	s_lshl_b32 s86, s61, 2
	v_cvt_f32_u32_e32 v4, s86
	s_sub_i32 s0, 0, s86
	v_rcp_iflag_f32_e32 v6, v4
	v_mov_b64_e32 v[4:5], 0
	v_mul_f32_e32 v6, 0x4f7ffffe, v6
	v_cvt_u32_f32_e32 v10, v6
	v_mov_b64_e32 v[6:7], 0
	v_readfirstlane_b32 s1, v10
	s_mul_i32 s0, s0, s1
	s_mul_hi_u32 s0, s1, s0
	s_add_i32 s1, s1, s0
	s_mul_hi_u32 s0, s60, s1
	s_mul_i32 s1, s0, s86
	s_sub_i32 s1, s60, s1
	s_add_i32 s2, s0, 1
	s_sub_i32 s3, s1, s86
	s_cmp_ge_u32 s1, s86
	s_cselect_b32 s0, s2, s0
	s_cselect_b32 s1, s3, s1
	s_add_i32 s2, s0, 1
	s_cmp_ge_u32 s1, s86
	s_cselect_b32 s0, s2, s0
	s_mul_hi_u32 s7, s61, s0
	s_mul_i32 s6, s61, s0
	s_lshl_b64 s[8:9], s[6:7], 2
	v_cmp_gt_u64_e32 vcc, s[8:9], v[16:17]
	v_mov_b64_e32 v[10:11], 0
	s_and_saveexec_b64 s[30:31], vcc
	s_cbranch_execz .LBB13_76
; %bb.73:                               ;   in Loop: Header=BB13_16 Depth=1
	s_mov_b64 s[70:71], s[80:81]
	s_mov_b64 s[4:5], s[12:13]
	;; [unrolled: 1-line block ×3, first 2 shown]
	s_mov_b32 s58, s45
	s_mov_b32 s11, s55
	s_mov_b64 s[64:65], 0
	v_mov_b32_e32 v38, v16
	s_mov_b64 s[72:73], 0
	s_mov_b64 s[74:75], 0
	;; [unrolled: 1-line block ×4, first 2 shown]
	v_mov_b64_e32 v[36:37], v[16:17]
.LBB13_74:                              ;   Parent Loop BB13_16 Depth=1
                                        ; =>  This Inner Loop Header: Depth=2
	ds_read_b32 v4, v38
	v_lshl_add_u64 v[36:37], v[36:37], 0, s[86:87]
	v_cmp_le_u64_e32 vcc, s[8:9], v[36:37]
	v_add_u32_e32 v38, s86, v38
	s_waitcnt lgkmcnt(0)
	v_add_u32_sdwa v5, sext(v4), s15 dst_sel:DWORD dst_unused:UNUSED_PAD src0_sel:BYTE_0 src1_sel:DWORD
	v_add_u32_sdwa v6, sext(v4), s15 dst_sel:DWORD dst_unused:UNUSED_PAD src0_sel:BYTE_1 src1_sel:DWORD
	v_and_b32_e32 v8, v5, v46
	v_bfe_u32 v5, v5, s14, 2
	v_add_u32_sdwa v7, sext(v4), s15 dst_sel:DWORD dst_unused:UNUSED_PAD src0_sel:BYTE_2 src1_sel:DWORD
	v_add_u32_sdwa v4, sext(v4), s15 dst_sel:DWORD dst_unused:UNUSED_PAD src0_sel:BYTE_3 src1_sel:DWORD
	v_and_b32_e32 v9, v6, v46
	v_bfe_u32 v6, v6, s14, 2
	v_cmp_eq_u32_e64 s[20:21], v8, v44
	v_cmp_eq_u32_e64 s[2:3], 0, v5
	v_and_b32_e32 v10, v7, v46
	v_and_b32_e32 v11, v4, v46
	v_bfe_u32 v7, v7, s14, 2
	v_bfe_u32 v4, v4, s14, 2
	v_cmp_eq_u32_e64 s[18:19], v9, v44
	v_cmp_eq_u32_e64 s[34:35], 0, v6
	s_and_b64 s[2:3], s[20:21], s[2:3]
	v_cmp_eq_u32_e64 s[16:17], v10, v44
	v_cmp_eq_u32_e64 s[36:37], 0, v7
	;; [unrolled: 1-line block ×6, first 2 shown]
	v_cndmask_b32_e64 v4, 0, 1, s[2:3]
	s_and_b64 s[2:3], s[18:19], s[34:35]
	v_cmp_eq_u32_e64 s[0:1], v11, v44
	v_cmp_eq_u32_e64 s[40:41], 1, v5
	;; [unrolled: 1-line block ×4, first 2 shown]
	v_cndmask_b32_e64 v5, 0, 1, s[2:3]
	s_and_b64 s[2:3], s[16:17], s[36:37]
	v_cmp_eq_u32_e64 s[42:43], 1, v6
	v_cmp_eq_u32_e64 s[50:51], 2, v6
	;; [unrolled: 1-line block ×3, first 2 shown]
	v_cndmask_b32_e64 v6, 0, 1, s[2:3]
	s_and_b64 s[2:3], s[0:1], s[38:39]
	v_cmp_eq_u32_e64 s[44:45], 1, v7
	v_cmp_eq_u32_e64 s[52:53], 2, v7
	;; [unrolled: 1-line block ×3, first 2 shown]
	v_cndmask_b32_e64 v7, 0, 1, s[2:3]
	v_cmp_ne_u32_e64 s[2:3], 0, v4
	v_cmp_ne_u32_e64 s[34:35], 0, v5
	;; [unrolled: 1-line block ×4, first 2 shown]
	s_bcnt1_i32_b64 s2, s[2:3]
	s_bcnt1_i32_b64 s3, s[34:35]
	;; [unrolled: 1-line block ×4, first 2 shown]
	s_add_u32 s2, s2, s82
	s_addc_u32 s35, 0, s83
	s_add_u32 s2, s2, s3
	s_addc_u32 s3, s35, 0
	;; [unrolled: 2-line block ×4, first 2 shown]
	s_and_b64 s[2:3], s[20:21], s[40:41]
	v_cndmask_b32_e64 v6, 0, 1, s[2:3]
	s_and_b64 s[2:3], s[18:19], s[42:43]
	v_cndmask_b32_e64 v7, 0, 1, s[2:3]
	;; [unrolled: 2-line block ×4, first 2 shown]
	v_cmp_ne_u32_e64 s[2:3], 0, v6
	v_cmp_ne_u32_e64 s[34:35], 0, v7
	;; [unrolled: 1-line block ×4, first 2 shown]
	s_bcnt1_i32_b64 s2, s[2:3]
	s_bcnt1_i32_b64 s3, s[34:35]
	;; [unrolled: 1-line block ×4, first 2 shown]
	s_add_u32 s2, s2, s80
	s_addc_u32 s35, 0, s81
	s_add_u32 s2, s2, s3
	s_addc_u32 s3, s35, 0
	;; [unrolled: 2-line block ×4, first 2 shown]
	s_and_b64 s[2:3], s[20:21], s[48:49]
	v_cndmask_b32_e64 v8, 0, 1, s[2:3]
	s_and_b64 s[2:3], s[18:19], s[50:51]
	v_cndmask_b32_e64 v9, 0, 1, s[2:3]
	;; [unrolled: 2-line block ×4, first 2 shown]
	v_cmp_ne_u32_e64 s[2:3], 0, v8
	v_cmp_ne_u32_e64 s[34:35], 0, v9
	;; [unrolled: 1-line block ×4, first 2 shown]
	s_bcnt1_i32_b64 s2, s[2:3]
	s_bcnt1_i32_b64 s3, s[34:35]
	;; [unrolled: 1-line block ×4, first 2 shown]
	s_add_u32 s2, s2, s74
	s_addc_u32 s35, 0, s75
	s_add_u32 s2, s2, s3
	s_addc_u32 s3, s35, 0
	;; [unrolled: 2-line block ×4, first 2 shown]
	s_and_b64 s[2:3], s[20:21], s[28:29]
	v_cndmask_b32_e64 v10, 0, 1, s[2:3]
	s_and_b64 s[2:3], s[18:19], s[26:27]
	v_cndmask_b32_e64 v11, 0, 1, s[2:3]
	s_and_b64 s[2:3], s[16:17], s[24:25]
	s_and_b64 s[0:1], s[0:1], s[22:23]
	v_cndmask_b32_e64 v39, 0, 1, s[2:3]
	v_cndmask_b32_e64 v48, 0, 1, s[0:1]
	v_cmp_ne_u32_e64 s[0:1], 0, v10
	v_cmp_ne_u32_e64 s[2:3], 0, v11
	v_cmp_ne_u32_e64 s[16:17], 0, v39
	v_cmp_ne_u32_e64 s[18:19], 0, v48
	s_bcnt1_i32_b64 s0, s[0:1]
	s_bcnt1_i32_b64 s1, s[2:3]
	;; [unrolled: 1-line block ×4, first 2 shown]
	s_add_u32 s0, s0, s72
	s_addc_u32 s7, 0, s73
	s_add_u32 s0, s0, s1
	s_addc_u32 s1, s7, 0
	;; [unrolled: 2-line block ×4, first 2 shown]
	v_mov_b64_e32 v[4:5], s[82:83]
	v_mov_b64_e32 v[6:7], s[80:81]
	;; [unrolled: 1-line block ×3, first 2 shown]
	s_or_b64 s[64:65], vcc, s[64:65]
	v_mov_b64_e32 v[10:11], s[72:73]
	s_andn2_b64 exec, exec, s[64:65]
	s_cbranch_execnz .LBB13_74
; %bb.75:                               ;   in Loop: Header=BB13_16 Depth=1
	s_or_b64 exec, exec, s[64:65]
	v_readlane_b32 s50, v66, 48
	s_mov_b64 s[74:75], s[12:13]
	s_mov_b64 s[12:13], s[4:5]
	v_readlane_b32 s4, v66, 51
	s_mov_b32 s55, s11
	v_readlane_b32 s51, v66, 49
	s_mov_b32 s44, 0xc0c0004
	s_mov_b32 s45, s58
	v_readlane_b32 s73, v66, 50
	v_readlane_b32 s5, v66, 52
	s_mov_b64 s[80:81], s[70:71]
	v_readlane_b32 s82, v66, 53
.LBB13_76:                              ;   in Loop: Header=BB13_16 Depth=1
	s_or_b64 exec, exec, s[30:31]
	s_and_b32 s22, s60, 0x7fffffff
	s_mov_b32 s23, s87
	v_lshl_add_u64 v[36:37], s[8:9], 0, v[0:1]
	v_and_b32_e32 v2, 0xffff, v2
	v_cmp_gt_u64_e32 vcc, s[22:23], v[36:37]
	s_and_saveexec_b64 s[8:9], vcc
	s_cbranch_execz .LBB13_80
; %bb.77:                               ;   in Loop: Header=BB13_16 Depth=1
	v_lshl_add_u32 v38, s6, 2, v0
	s_mov_b64 s[6:7], 0
.LBB13_78:                              ;   Parent Loop BB13_16 Depth=1
                                        ; =>  This Inner Loop Header: Depth=2
	ds_read_i8 v39, v38
	v_lshl_add_u64 v[36:37], v[36:37], 0, v[2:3]
	v_cmp_le_u64_e32 vcc, s[22:23], v[36:37]
	v_add_u32_e32 v38, s61, v38
	s_waitcnt lgkmcnt(0)
	v_add_u32_e32 v39, 0x80, v39
	v_and_b32_e32 v48, v39, v46
	v_bfe_u32 v39, v39, s14, 2
	v_cmp_eq_u32_e64 s[0:1], v48, v44
	v_cmp_eq_u32_e64 s[2:3], 0, v39
	;; [unrolled: 1-line block ×3, first 2 shown]
	s_and_b64 s[2:3], s[0:1], s[2:3]
	v_cmp_eq_u32_e64 s[18:19], 2, v39
	v_cmp_eq_u32_e64 s[20:21], 3, v39
	v_cndmask_b32_e64 v39, 0, 1, s[2:3]
	s_and_b64 s[2:3], s[0:1], s[16:17]
	v_cndmask_b32_e64 v48, 0, 1, s[2:3]
	s_and_b64 s[2:3], s[0:1], s[18:19]
	s_and_b64 s[0:1], s[0:1], s[20:21]
	v_cndmask_b32_e64 v52, 0, 1, s[0:1]
	v_cmp_ne_u32_e64 s[0:1], 0, v39
	v_cndmask_b32_e64 v49, 0, 1, s[2:3]
	v_cmp_ne_u32_e64 s[2:3], 0, v48
	s_bcnt1_i32_b64 s86, s[0:1]
	v_cmp_ne_u32_e64 s[16:17], 0, v49
	v_lshl_add_u64 v[4:5], s[86:87], 0, v[4:5]
	s_bcnt1_i32_b64 s86, s[2:3]
	v_cmp_ne_u32_e64 s[18:19], 0, v52
	v_lshl_add_u64 v[6:7], s[86:87], 0, v[6:7]
	s_bcnt1_i32_b64 s86, s[16:17]
	v_lshl_add_u64 v[8:9], s[86:87], 0, v[8:9]
	s_bcnt1_i32_b64 s86, s[18:19]
	s_or_b64 s[6:7], vcc, s[6:7]
	v_lshl_add_u64 v[10:11], s[86:87], 0, v[10:11]
	s_andn2_b64 exec, exec, s[6:7]
	s_cbranch_execnz .LBB13_78
; %bb.79:                               ;   in Loop: Header=BB13_16 Depth=1
	s_or_b64 exec, exec, s[6:7]
.LBB13_80:                              ;   in Loop: Header=BB13_16 Depth=1
	s_or_b64 exec, exec, s[8:9]
	s_lshl_b32 s2, s45, 6
	s_and_saveexec_b64 s[0:1], s[4:5]
	s_mov_b64 s[60:61], s[98:99]
	s_cbranch_execnz .LBB13_51
	s_branch .LBB13_52
.LBB13_81:                              ;   in Loop: Header=BB13_16 Depth=1
                                        ; implicit-def: $sgpr80_sgpr81
	s_branch .LBB13_60
.LBB13_82:                              ;   in Loop: Header=BB13_16 Depth=1
	s_or_b64 exec, exec, s[8:9]
	s_waitcnt lgkmcnt(0)
	s_barrier
	s_mov_b64 s[0:1], exec
	v_readlane_b32 s2, v66, 12
	v_readlane_b32 s3, v66, 13
	s_and_b64 s[2:3], s[0:1], s[2:3]
	s_mov_b64 exec, s[2:3]
	s_cbranch_execz .LBB13_84
; %bb.83:                               ;   in Loop: Header=BB13_16 Depth=1
	ds_read_b32 v4, v3 offset:5136
	s_waitcnt lgkmcnt(0)
	v_ashrrev_i32_e32 v5, 31, v4
	ds_write_b64 v3, v[4:5] offset:5120
.LBB13_84:                              ;   in Loop: Header=BB13_16 Depth=1
	s_or_b64 exec, exec, s[0:1]
	s_waitcnt lgkmcnt(0)
	s_barrier
	s_mov_b64 s[0:1], -1
	s_and_b64 vcc, exec, s[6:7]
	s_cbranch_vccnz .LBB13_31
	s_branch .LBB13_46
.LBB13_85:                              ;   in Loop: Header=BB13_16 Depth=1
	s_mov_b32 s3, 0
	v_mov_b64_e32 v[4:5], 0
.LBB13_86:                              ;   in Loop: Header=BB13_16 Depth=1
	v_readlane_b32 s6, v66, 44
	v_readlane_b32 s7, v66, 45
	s_andn2_b64 vcc, exec, s[6:7]
	s_cbranch_vccnz .LBB13_89
; %bb.87:                               ;   in Loop: Header=BB13_16 Depth=1
	s_lshl_b32 s6, s45, 9
	s_lshl_b32 s3, s3, 5
	s_add_i32 s6, s6, s3
	v_add_u32_e32 v2, s6, v43
	v_readlane_b32 s3, v66, 43
.LBB13_88:                              ;   Parent Loop BB13_16 Depth=1
                                        ; =>  This Inner Loop Header: Depth=2
	ds_read_b64 v[6:7], v2
	s_add_i32 s3, s3, -1
	v_add_u32_e32 v2, 32, v2
	s_cmp_lg_u32 s3, 0
	s_waitcnt lgkmcnt(0)
	v_lshl_add_u64 v[4:5], v[6:7], 0, v[4:5]
	s_cbranch_scc1 .LBB13_88
.LBB13_89:                              ;   in Loop: Header=BB13_16 Depth=1
	v_add_lshl_u32 v2, s2, v40, 3
	ds_write_b64 v2, v[4:5] offset:3072
.LBB13_90:                              ;   in Loop: Header=BB13_16 Depth=1
	s_or_b64 exec, exec, s[0:1]
	s_lshl_b32 s0, s2, 3
	v_mov_b32_e32 v2, s0
	s_waitcnt lgkmcnt(0)
	s_barrier
	ds_read_b128 v[8:11], v2 offset:3088
	ds_read_b128 v[4:7], v2 offset:3072
	s_lshl_b32 s64, 3, s14
	v_cmp_eq_u64_e64 s[0:1], 1, v[34:35]
	s_not_b32 s52, s64
	s_waitcnt lgkmcnt(1)
	v_readfirstlane_b32 s22, v8
	s_waitcnt lgkmcnt(0)
	v_cmp_eq_u64_e32 vcc, 1, v[4:5]
	v_readfirstlane_b32 s23, v9
	v_readfirstlane_b32 s2, v10
	v_readfirstlane_b32 s3, v11
	s_and_b64 s[18:19], vcc, s[0:1]
	s_mov_b64 s[0:1], -1
	s_mov_b64 s[20:21], -1
                                        ; implicit-def: $sgpr8_sgpr9
                                        ; implicit-def: $sgpr6_sgpr7
	s_and_saveexec_b64 s[16:17], s[18:19]
	s_cbranch_execz .LBB13_122
; %bb.91:                               ;   in Loop: Header=BB13_16 Depth=1
	ds_read_b64 v[8:9], v3 offset:5120
	s_waitcnt lgkmcnt(0)
	s_barrier
	v_readfirstlane_b32 s20, v8
	v_readfirstlane_b32 s21, v9
	s_mov_b64 s[6:7], exec
	v_readlane_b32 s8, v66, 26
	v_readlane_b32 s9, v66, 27
	s_and_b64 s[8:9], s[6:7], s[8:9]
	s_mov_b64 exec, s[8:9]
; %bb.92:                               ;   in Loop: Header=BB13_16 Depth=1
	ds_write_b8 v0, v3 offset:3072
; %bb.93:                               ;   in Loop: Header=BB13_16 Depth=1
	s_or_b64 exec, exec, s[6:7]
	v_cmp_lt_i64_e64 s[24:25], s[20:21], 1
	v_and_b32_e32 v44, s52, v44
	v_or_b32_e32 v46, s64, v46
	s_mov_b64 s[6:7], -1
	s_mov_b64 s[8:9], 0
	s_and_b64 vcc, exec, s[24:25]
	s_mov_b64 s[24:25], 0
	s_mov_b64 s[26:27], -1
	s_waitcnt lgkmcnt(0)
	s_barrier
                                        ; implicit-def: $vgpr47
	s_cbranch_vccz .LBB13_107
; %bb.94:                               ;   in Loop: Header=BB13_16 Depth=1
	s_mov_b32 s54, s87
	s_cmp_lg_u64 s[54:55], 0
	s_cbranch_scc0 .LBB13_148
; %bb.95:                               ;   in Loop: Header=BB13_16 Depth=1
	s_add_u32 s24, s84, 0
	s_addc_u32 s25, 0, 0
	s_xor_b64 s[24:25], s[24:25], 0
	v_cvt_f32_u32_e32 v2, s24
	v_cvt_f32_u32_e32 v8, s25
	s_sub_u32 s28, 0, s24
	s_subb_u32 s29, 0, s25
	v_fmac_f32_e32 v2, 0x4f800000, v8
	v_rcp_f32_e32 v2, v2
	s_nop 0
	v_mul_f32_e32 v2, 0x5f7ffffc, v2
	v_mul_f32_e32 v8, 0x2f800000, v2
	v_trunc_f32_e32 v8, v8
	v_fmac_f32_e32 v2, 0xcf800000, v8
	v_cvt_u32_f32_e32 v8, v8
	v_cvt_u32_f32_e32 v2, v2
	v_readfirstlane_b32 s30, v8
	v_readfirstlane_b32 s26, v2
	s_mul_i32 s27, s28, s30
	s_mul_hi_u32 s34, s28, s26
	s_mul_i32 s31, s29, s26
	s_add_i32 s27, s34, s27
	s_mul_i32 s35, s28, s26
	s_add_i32 s27, s27, s31
	s_mul_i32 s34, s26, s27
	s_mul_hi_u32 s36, s26, s35
	s_mul_hi_u32 s31, s26, s27
	s_add_u32 s34, s36, s34
	s_addc_u32 s31, 0, s31
	s_mul_hi_u32 s37, s30, s35
	s_mul_i32 s35, s30, s35
	s_add_u32 s34, s34, s35
	s_mul_hi_u32 s36, s30, s27
	s_addc_u32 s31, s31, s37
	s_addc_u32 s34, s36, 0
	s_mul_i32 s27, s30, s27
	s_add_u32 s27, s31, s27
	s_addc_u32 s31, 0, s34
	s_add_u32 s34, s26, s27
	s_cselect_b64 s[26:27], -1, 0
	s_cmp_lg_u64 s[26:27], 0
	s_addc_u32 s30, s30, s31
	s_mul_i32 s26, s28, s30
	s_mul_hi_u32 s27, s28, s34
	s_add_i32 s26, s27, s26
	s_mul_i32 s29, s29, s34
	s_add_i32 s26, s26, s29
	s_mul_i32 s28, s28, s34
	s_mul_hi_u32 s29, s30, s28
	s_mul_i32 s31, s30, s28
	s_mul_i32 s36, s34, s26
	s_mul_hi_u32 s28, s34, s28
	s_mul_hi_u32 s35, s34, s26
	s_add_u32 s28, s28, s36
	s_addc_u32 s35, 0, s35
	s_add_u32 s28, s28, s31
	s_mul_hi_u32 s27, s30, s26
	s_addc_u32 s28, s35, s29
	s_addc_u32 s27, s27, 0
	s_mul_i32 s26, s30, s26
	s_add_u32 s26, s28, s26
	s_addc_u32 s28, 0, s27
	s_add_u32 s31, s34, s26
	s_cselect_b64 s[26:27], -1, 0
	s_cmp_lg_u64 s[26:27], 0
	s_addc_u32 s30, s30, s28
	s_ashr_i32 s26, s55, 31
	s_add_u32 s28, s95, s26
	s_mov_b32 s27, s26
	s_addc_u32 s29, s55, s26
	s_xor_b64 s[28:29], s[28:29], s[26:27]
	s_mul_i32 s35, s28, s30
	s_mul_hi_u32 s36, s28, s31
	s_mul_hi_u32 s34, s28, s30
	s_add_u32 s35, s36, s35
	s_addc_u32 s34, 0, s34
	s_mul_hi_u32 s37, s29, s31
	s_mul_i32 s31, s29, s31
	s_add_u32 s31, s35, s31
	s_mul_hi_u32 s36, s29, s30
	s_addc_u32 s31, s34, s37
	s_addc_u32 s34, s36, 0
	s_mul_i32 s30, s29, s30
	s_add_u32 s30, s31, s30
	s_addc_u32 s31, 0, s34
	s_mul_i32 s31, s24, s31
	s_mul_hi_u32 s34, s24, s30
	s_add_i32 s31, s34, s31
	s_mul_i32 s34, s25, s30
	s_add_i32 s36, s31, s34
	s_sub_i32 s34, s29, s36
	s_mul_i32 s30, s24, s30
	s_sub_u32 s28, s28, s30
	s_cselect_b64 s[30:31], -1, 0
	s_cmp_lg_u64 s[30:31], 0
	s_subb_u32 s37, s34, s25
	s_sub_u32 s38, s28, s24
	s_cselect_b64 s[34:35], -1, 0
	s_cmp_lg_u64 s[34:35], 0
	s_subb_u32 s39, s37, 0
	s_cmp_ge_u32 s39, s25
	s_cselect_b32 s40, -1, 0
	s_cmp_ge_u32 s38, s24
	s_cselect_b32 s41, -1, 0
	s_cmp_eq_u32 s39, s25
	s_cselect_b32 s40, s41, s40
	s_cmp_lg_u64 s[34:35], 0
	s_subb_u32 s37, s37, s25
	s_sub_u32 s41, s38, s24
	s_cselect_b64 s[34:35], -1, 0
	s_cmp_lg_u64 s[34:35], 0
	s_subb_u32 s34, s37, 0
	s_cmp_lg_u32 s40, 0
	s_cselect_b32 s35, s41, s38
	s_cselect_b32 s34, s34, s39
	s_cmp_lg_u64 s[30:31], 0
	s_subb_u32 s29, s29, s36
	s_cmp_ge_u32 s29, s25
	s_cselect_b32 s30, -1, 0
	s_cmp_ge_u32 s28, s24
	s_cselect_b32 s24, -1, 0
	s_cmp_eq_u32 s29, s25
	s_cselect_b32 s24, s24, s30
	s_cmp_lg_u32 s24, 0
	s_cselect_b32 s25, s34, s29
	s_cselect_b32 s24, s35, s28
	s_xor_b64 s[24:25], s[24:25], s[26:27]
	s_sub_u32 s24, s24, s26
	s_subb_u32 s25, s25, s26
	s_cbranch_execnz .LBB13_97
.LBB13_96:                              ;   in Loop: Header=BB13_16 Depth=1
	v_cvt_f32_u32_e32 v2, s84
	s_sub_i32 s24, 0, s84
	v_rcp_iflag_f32_e32 v2, v2
	s_nop 0
	v_mul_f32_e32 v2, 0x4f7ffffe, v2
	v_cvt_u32_f32_e32 v2, v2
	s_nop 0
	v_readfirstlane_b32 s25, v2
	s_mul_i32 s24, s24, s25
	s_mul_hi_u32 s24, s25, s24
	s_add_i32 s25, s25, s24
	s_mul_hi_u32 s24, s95, s25
	s_mul_i32 s24, s24, s84
	s_sub_i32 s24, s95, s24
	s_sub_i32 s25, s24, s84
	s_cmp_ge_u32 s24, s84
	s_cselect_b32 s24, s25, s24
	s_sub_i32 s25, s24, s84
	s_cmp_ge_u32 s24, s84
	s_cselect_b32 s86, s25, s24
	s_mov_b64 s[24:25], s[86:87]
.LBB13_97:                              ;   in Loop: Header=BB13_16 Depth=1
	s_sub_u32 s30, s95, s24
	s_subb_u32 s31, s55, s25
	v_cmp_gt_i64_e32 vcc, s[30:31], v[0:1]
	s_mov_b64 s[26:27], 0
	s_mov_b64 s[24:25], 0
                                        ; implicit-def: $vgpr47
	s_and_saveexec_b64 s[28:29], vcc
	s_cbranch_execz .LBB13_106
; %bb.98:                               ;   in Loop: Header=BB13_16 Depth=1
	v_mov_b64_e32 v[8:9], v[12:13]
	v_mov_b64_e32 v[10:11], v[0:1]
                                        ; implicit-def: $sgpr34_sgpr35
	s_branch .LBB13_101
.LBB13_99:                              ;   in Loop: Header=BB13_101 Depth=2
	s_or_b64 exec, exec, s[36:37]
	s_waitcnt lgkmcnt(0)
	s_barrier
	ds_read_u16 v2, v3 offset:3072
	s_mov_b64 s[36:37], -1
	s_waitcnt lgkmcnt(0)
	s_barrier
	v_cmp_ne_u32_sdwa s[38:39], v2, v3 src0_sel:BYTE_0 src1_sel:DWORD
	s_and_b64 vcc, exec, s[38:39]
	s_mov_b64 s[38:39], -1
	s_cbranch_vccz .LBB13_104
.LBB13_100:                             ;   in Loop: Header=BB13_101 Depth=2
	s_and_b64 s[36:37], exec, s[36:37]
	s_or_b64 s[24:25], s[36:37], s[24:25]
	s_andn2_b64 s[34:35], s[34:35], exec
	s_and_b64 s[36:37], s[38:39], exec
	s_or_b64 s[34:35], s[34:35], s[36:37]
	s_andn2_b64 exec, exec, s[24:25]
	s_cbranch_execz .LBB13_105
.LBB13_101:                             ;   Parent Loop BB13_16 Depth=1
                                        ; =>  This Inner Loop Header: Depth=2
	v_cmp_gt_i64_e32 vcc, s[56:57], v[10:11]
	s_and_saveexec_b64 s[36:37], vcc
	s_cbranch_execz .LBB13_99
; %bb.102:                              ;   in Loop: Header=BB13_101 Depth=2
	global_load_ubyte v2, v[8:9], off
	s_waitcnt vmcnt(0)
	v_add_u32_sdwa v36, sext(v2), s15 dst_sel:DWORD dst_unused:UNUSED_PAD src0_sel:BYTE_0 src1_sel:DWORD
	v_and_b32_e32 v36, v36, v46
	v_cmp_eq_u32_e32 vcc, v36, v44
	s_and_b64 exec, exec, vcc
	s_cbranch_execz .LBB13_99
; %bb.103:                              ;   in Loop: Header=BB13_101 Depth=2
	v_lshlrev_b16_e32 v2, 8, v2
	v_or_b32_e32 v2, 1, v2
	ds_write_b16 v3, v2 offset:3072
	s_branch .LBB13_99
.LBB13_104:                             ;   in Loop: Header=BB13_101 Depth=2
	v_lshl_add_u64 v[10:11], v[10:11], 0, s[84:85]
	v_cmp_le_i64_e32 vcc, s[30:31], v[10:11]
	v_lshl_add_u64 v[8:9], v[8:9], 0, s[90:91]
	s_mov_b64 s[38:39], 0
	s_orn2_b64 s[36:37], vcc, exec
	s_branch .LBB13_100
.LBB13_105:                             ;   in Loop: Header=BB13_16 Depth=1
	s_or_b64 exec, exec, s[24:25]
	v_lshrrev_b32_sdwa v47, v45, v2 dst_sel:DWORD dst_unused:UNUSED_PAD src0_sel:DWORD src1_sel:WORD_0
	s_and_b64 s[24:25], s[34:35], exec
.LBB13_106:                             ;   in Loop: Header=BB13_16 Depth=1
	s_or_b64 exec, exec, s[28:29]
.LBB13_107:                             ;   in Loop: Header=BB13_16 Depth=1
	s_and_b64 vcc, exec, s[26:27]
	s_cbranch_vccz .LBB13_121
; %bb.108:                              ;   in Loop: Header=BB13_16 Depth=1
	v_readlane_b32 s6, v66, 34
	s_add_u32 s28, s20, s6
	v_readlane_b32 s6, v66, 35
	s_addc_u32 s7, s21, s6
	s_mov_b32 s6, s87
	s_cmp_lg_u64 s[6:7], 0
	s_cbranch_scc0 .LBB13_149
; %bb.109:                              ;   in Loop: Header=BB13_16 Depth=1
	s_add_u32 s8, s84, 0
	s_addc_u32 s9, 0, 0
	s_xor_b64 s[8:9], s[8:9], 0
	v_cvt_f32_u32_e32 v2, s8
	v_cvt_f32_u32_e32 v8, s9
	s_sub_u32 s6, 0, s8
	s_subb_u32 s29, 0, s9
	v_fmac_f32_e32 v2, 0x4f800000, v8
	v_rcp_f32_e32 v2, v2
	s_nop 0
	v_mul_f32_e32 v2, 0x5f7ffffc, v2
	v_mul_f32_e32 v8, 0x2f800000, v2
	v_trunc_f32_e32 v8, v8
	v_fmac_f32_e32 v2, 0xcf800000, v8
	v_cvt_u32_f32_e32 v8, v8
	v_cvt_u32_f32_e32 v2, v2
	v_readfirstlane_b32 s30, v8
	v_readfirstlane_b32 s26, v2
	s_mul_i32 s27, s6, s30
	s_mul_hi_u32 s34, s6, s26
	s_mul_i32 s31, s29, s26
	s_add_i32 s27, s34, s27
	s_mul_i32 s35, s6, s26
	s_add_i32 s27, s27, s31
	s_mul_i32 s34, s26, s27
	s_mul_hi_u32 s36, s26, s35
	s_mul_hi_u32 s31, s26, s27
	s_add_u32 s34, s36, s34
	s_addc_u32 s31, 0, s31
	s_mul_hi_u32 s37, s30, s35
	s_mul_i32 s35, s30, s35
	s_add_u32 s34, s34, s35
	s_mul_hi_u32 s36, s30, s27
	s_addc_u32 s31, s31, s37
	s_addc_u32 s34, s36, 0
	s_mul_i32 s27, s30, s27
	s_add_u32 s27, s31, s27
	s_addc_u32 s31, 0, s34
	s_add_u32 s34, s26, s27
	s_cselect_b64 s[26:27], -1, 0
	s_cmp_lg_u64 s[26:27], 0
	s_addc_u32 s30, s30, s31
	s_mul_i32 s26, s6, s30
	s_mul_hi_u32 s27, s6, s34
	s_add_i32 s26, s27, s26
	s_mul_i32 s29, s29, s34
	s_add_i32 s26, s26, s29
	s_mul_i32 s6, s6, s34
	s_mul_hi_u32 s29, s30, s6
	s_mul_i32 s31, s30, s6
	s_mul_i32 s36, s34, s26
	s_mul_hi_u32 s6, s34, s6
	s_mul_hi_u32 s35, s34, s26
	s_add_u32 s6, s6, s36
	s_addc_u32 s35, 0, s35
	s_add_u32 s6, s6, s31
	s_mul_hi_u32 s27, s30, s26
	s_addc_u32 s6, s35, s29
	s_addc_u32 s27, s27, 0
	s_mul_i32 s26, s30, s26
	s_add_u32 s6, s6, s26
	s_addc_u32 s29, 0, s27
	s_add_u32 s6, s34, s6
	s_cselect_b64 s[26:27], -1, 0
	s_cmp_lg_u64 s[26:27], 0
	s_addc_u32 s29, s30, s29
	s_ashr_i32 s26, s7, 31
	s_add_u32 s30, s28, s26
	s_mov_b32 s27, s26
	s_addc_u32 s31, s7, s26
	s_xor_b64 s[30:31], s[30:31], s[26:27]
	s_mul_i32 s35, s30, s29
	s_mul_hi_u32 s36, s30, s6
	s_mul_hi_u32 s34, s30, s29
	s_add_u32 s35, s36, s35
	s_addc_u32 s34, 0, s34
	s_mul_hi_u32 s37, s31, s6
	s_mul_i32 s6, s31, s6
	s_add_u32 s6, s35, s6
	s_mul_hi_u32 s36, s31, s29
	s_addc_u32 s6, s34, s37
	s_addc_u32 s34, s36, 0
	s_mul_i32 s29, s31, s29
	s_add_u32 s6, s6, s29
	s_addc_u32 s29, 0, s34
	s_mul_i32 s29, s8, s29
	s_mul_hi_u32 s34, s8, s6
	s_add_i32 s29, s34, s29
	s_mul_i32 s34, s9, s6
	s_add_i32 s29, s29, s34
	s_sub_i32 s36, s31, s29
	s_mul_i32 s6, s8, s6
	s_sub_u32 s6, s30, s6
	s_cselect_b64 s[34:35], -1, 0
	s_cmp_lg_u64 s[34:35], 0
	s_subb_u32 s30, s36, s9
	s_sub_u32 s38, s6, s8
	s_cselect_b64 s[36:37], -1, 0
	s_cmp_lg_u64 s[36:37], 0
	s_subb_u32 s39, s30, 0
	s_cmp_ge_u32 s39, s9
	s_cselect_b32 s40, -1, 0
	s_cmp_ge_u32 s38, s8
	s_cselect_b32 s41, -1, 0
	s_cmp_eq_u32 s39, s9
	s_cselect_b32 s40, s41, s40
	s_cmp_lg_u64 s[36:37], 0
	s_subb_u32 s30, s30, s9
	s_sub_u32 s41, s38, s8
	s_cselect_b64 s[36:37], -1, 0
	s_cmp_lg_u64 s[36:37], 0
	s_subb_u32 s30, s30, 0
	s_cmp_lg_u32 s40, 0
	s_cselect_b32 s36, s41, s38
	s_cselect_b32 s30, s30, s39
	s_cmp_lg_u64 s[34:35], 0
	s_subb_u32 s29, s31, s29
	s_cmp_ge_u32 s29, s9
	s_cselect_b32 s31, -1, 0
	s_cmp_ge_u32 s6, s8
	s_cselect_b32 s8, -1, 0
	s_cmp_eq_u32 s29, s9
	s_cselect_b32 s8, s8, s31
	s_cmp_lg_u32 s8, 0
	s_cselect_b32 s9, s30, s29
	s_cselect_b32 s8, s36, s6
	s_xor_b64 s[8:9], s[8:9], s[26:27]
	s_sub_u32 s8, s8, s26
	s_subb_u32 s9, s9, s26
	s_cbranch_execnz .LBB13_111
.LBB13_110:                             ;   in Loop: Header=BB13_16 Depth=1
	v_cvt_f32_u32_e32 v2, s84
	s_sub_i32 s6, 0, s84
	v_rcp_iflag_f32_e32 v2, v2
	s_nop 0
	v_mul_f32_e32 v2, 0x4f7ffffe, v2
	v_cvt_u32_f32_e32 v2, v2
	s_nop 0
	v_readfirstlane_b32 s8, v2
	s_mul_i32 s6, s6, s8
	s_mul_hi_u32 s6, s8, s6
	s_add_i32 s8, s8, s6
	s_mul_hi_u32 s6, s28, s8
	s_mul_i32 s6, s6, s84
	s_sub_i32 s6, s28, s6
	s_sub_i32 s8, s6, s84
	s_cmp_ge_u32 s6, s84
	s_cselect_b32 s6, s8, s6
	s_sub_i32 s8, s6, s84
	s_cmp_ge_u32 s6, s84
	s_cselect_b32 s86, s8, s6
	s_mov_b64 s[8:9], s[86:87]
.LBB13_111:                             ;   in Loop: Header=BB13_16 Depth=1
	s_sub_u32 s8, s28, s8
	s_subb_u32 s9, s7, s9
	v_cmp_gt_i64_e32 vcc, s[8:9], v[0:1]
                                        ; implicit-def: $vgpr47
	s_and_saveexec_b64 s[6:7], vcc
	s_cbranch_execz .LBB13_120
; %bb.112:                              ;   in Loop: Header=BB13_16 Depth=1
	s_mov_b64 s[26:27], 0
	v_mov_b32_e32 v2, v0
	v_mov_b64_e32 v[8:9], v[0:1]
                                        ; implicit-def: $sgpr28_sgpr29
	s_branch .LBB13_115
.LBB13_113:                             ;   in Loop: Header=BB13_115 Depth=2
	s_or_b64 exec, exec, s[30:31]
	s_waitcnt lgkmcnt(0)
	s_barrier
	ds_read_u16 v10, v3 offset:3072
	s_mov_b64 s[30:31], -1
	s_waitcnt lgkmcnt(0)
	s_barrier
	v_cmp_ne_u32_sdwa s[34:35], v10, v3 src0_sel:BYTE_0 src1_sel:DWORD
	s_and_b64 vcc, exec, s[34:35]
	s_mov_b64 s[34:35], -1
	s_cbranch_vccz .LBB13_118
.LBB13_114:                             ;   in Loop: Header=BB13_115 Depth=2
	s_and_b64 s[30:31], exec, s[30:31]
	s_or_b64 s[26:27], s[30:31], s[26:27]
	s_andn2_b64 s[28:29], s[28:29], exec
	s_and_b64 s[30:31], s[34:35], exec
	s_or_b64 s[28:29], s[28:29], s[30:31]
	s_andn2_b64 exec, exec, s[26:27]
	s_cbranch_execz .LBB13_119
.LBB13_115:                             ;   Parent Loop BB13_16 Depth=1
                                        ; =>  This Inner Loop Header: Depth=2
	v_cmp_gt_u64_e32 vcc, s[20:21], v[8:9]
	s_and_saveexec_b64 s[30:31], vcc
	s_cbranch_execz .LBB13_113
; %bb.116:                              ;   in Loop: Header=BB13_115 Depth=2
	ds_read_u8 v10, v2
	s_waitcnt lgkmcnt(0)
	v_add_u32_sdwa v11, sext(v10), s15 dst_sel:DWORD dst_unused:UNUSED_PAD src0_sel:BYTE_0 src1_sel:DWORD
	v_and_b32_e32 v11, v11, v46
	v_cmp_eq_u32_e32 vcc, v11, v44
	s_and_b64 exec, exec, vcc
	s_cbranch_execz .LBB13_113
; %bb.117:                              ;   in Loop: Header=BB13_115 Depth=2
	v_lshlrev_b16_e32 v10, 8, v10
	v_or_b32_e32 v10, 1, v10
	ds_write_b16 v3, v10 offset:3072
	s_branch .LBB13_113
.LBB13_118:                             ;   in Loop: Header=BB13_115 Depth=2
	v_lshl_add_u64 v[8:9], v[8:9], 0, s[84:85]
	v_cmp_le_i64_e32 vcc, s[8:9], v[8:9]
	v_add_u32_e32 v2, s84, v2
	s_mov_b64 s[34:35], 0
	s_orn2_b64 s[30:31], vcc, exec
	s_branch .LBB13_114
.LBB13_119:                             ;   in Loop: Header=BB13_16 Depth=1
	s_or_b64 exec, exec, s[26:27]
	s_andn2_b64 s[8:9], s[24:25], exec
	s_and_b64 s[20:21], s[28:29], exec
	v_lshrrev_b32_sdwa v47, v45, v10 dst_sel:DWORD dst_unused:UNUSED_PAD src0_sel:DWORD src1_sel:WORD_0
	s_or_b64 s[24:25], s[8:9], s[20:21]
.LBB13_120:                             ;   in Loop: Header=BB13_16 Depth=1
	s_or_b64 exec, exec, s[6:7]
	s_mov_b64 s[6:7], 0
	s_mov_b64 s[8:9], -1
.LBB13_121:                             ;   in Loop: Header=BB13_16 Depth=1
	s_orn2_b64 s[20:21], s[24:25], exec
.LBB13_122:                             ;   in Loop: Header=BB13_16 Depth=1
	s_or_b64 exec, exec, s[16:17]
	s_andn2_b64 s[16:17], s[76:77], exec
	s_and_b64 s[8:9], s[8:9], exec
	s_or_b64 s[16:17], s[16:17], s[8:9]
	s_andn2_b64 s[8:9], s[78:79], exec
	s_and_b64 s[6:7], s[6:7], exec
	s_andn2_b64 s[60:61], s[60:61], exec
	s_mov_b64 s[78:79], s[16:17]
	s_or_b64 s[98:99], s[8:9], s[6:7]
                                        ; implicit-def: $vgpr8_vgpr9
	s_and_saveexec_b64 s[16:17], s[20:21]
	s_cbranch_execz .LBB13_15
; %bb.123:                              ;   in Loop: Header=BB13_16 Depth=1
	s_xor_b64 s[6:7], s[18:19], -1
	v_mov_b32_e32 v2, 1
	s_mov_b64 s[8:9], 0
	v_mov_b64_e32 v[8:9], 1
	s_and_saveexec_b64 s[0:1], s[6:7]
	s_cbranch_execz .LBB13_132
; %bb.124:                              ;   in Loop: Header=BB13_16 Depth=1
	v_cmp_le_i64_e32 vcc, v[34:35], v[4:5]
	s_and_saveexec_b64 s[6:7], vcc
	s_xor_b64 s[6:7], exec, s[6:7]
	s_cbranch_execz .LBB13_129
; %bb.125:                              ;   in Loop: Header=BB13_16 Depth=1
	ds_read_b64 v[8:9], v3 offset:5120
	v_and_b32_e32 v44, s52, v44
	v_or_b32_e32 v46, s64, v46
	s_waitcnt lgkmcnt(0)
	v_cmp_ne_u64_e32 vcc, 0, v[8:9]
	s_cbranch_vccnz .LBB13_129
; %bb.126:                              ;   in Loop: Header=BB13_16 Depth=1
	s_mov_b64 s[8:9], exec
	v_readlane_b32 s18, v66, 12
	v_readlane_b32 s19, v66, 13
	s_and_b64 s[18:19], s[8:9], s[18:19]
	s_mov_b64 exec, s[18:19]
; %bb.127:                              ;   in Loop: Header=BB13_16 Depth=1
	ds_write_b64 v3, v[4:5] offset:5128
; %bb.128:                              ;   in Loop: Header=BB13_16 Depth=1
	s_or_b64 exec, exec, s[8:9]
	s_waitcnt lgkmcnt(0)
	s_barrier
.LBB13_129:                             ;   in Loop: Header=BB13_16 Depth=1
	s_or_saveexec_b64 s[6:7], s[6:7]
	s_mov_b64 s[8:9], 0
	v_mov_b32_e32 v2, 8
	s_xor_b64 exec, exec, s[6:7]
; %bb.130:                              ;   in Loop: Header=BB13_16 Depth=1
	v_sub_co_u32_e32 v34, vcc, v34, v4
	s_mov_b64 s[8:9], exec
	s_nop 0
	v_subb_co_u32_e32 v35, vcc, v35, v5, vcc
	v_mov_b32_e32 v2, 0
; %bb.131:                              ;   in Loop: Header=BB13_16 Depth=1
	s_or_b64 exec, exec, s[6:7]
	s_and_b64 s[8:9], s[8:9], exec
	v_mov_b64_e32 v[8:9], v[34:35]
.LBB13_132:                             ;   in Loop: Header=BB13_16 Depth=1
	s_or_b64 exec, exec, s[0:1]
	s_mov_b64 s[18:19], -1
	s_mov_b64 s[6:7], -1
                                        ; implicit-def: $sgpr0_sgpr1
                                        ; implicit-def: $sgpr24_sgpr25
	s_and_saveexec_b64 s[20:21], s[8:9]
	s_xor_b64 s[20:21], exec, s[20:21]
	s_cbranch_execz .LBB13_274
; %bb.133:                              ;   in Loop: Header=BB13_16 Depth=1
	v_cmp_eq_u64_e32 vcc, 1, v[6:7]
	v_cmp_eq_u64_e64 s[0:1], 1, v[8:9]
	s_and_b64 s[28:29], vcc, s[0:1]
                                        ; implicit-def: $sgpr24_sgpr25
                                        ; implicit-def: $sgpr0_sgpr1
	s_and_saveexec_b64 s[26:27], s[28:29]
	s_cbranch_execz .LBB13_167
; %bb.134:                              ;   in Loop: Header=BB13_16 Depth=1
	ds_read_b64 v[4:5], v3 offset:5120
	s_waitcnt lgkmcnt(0)
	s_barrier
	v_readfirstlane_b32 s34, v4
	v_readfirstlane_b32 s35, v5
	s_mov_b64 s[0:1], exec
	v_readlane_b32 s6, v66, 26
	v_readlane_b32 s7, v66, 27
	s_and_b64 s[6:7], s[0:1], s[6:7]
	s_mov_b64 exec, s[6:7]
; %bb.135:                              ;   in Loop: Header=BB13_16 Depth=1
	ds_write_b8 v0, v3 offset:3072
; %bb.136:                              ;   in Loop: Header=BB13_16 Depth=1
	s_or_b64 exec, exec, s[0:1]
	v_and_b32_e32 v4, s52, v44
	v_cmp_gt_i64_e64 s[6:7], s[34:35], 0
	v_lshl_or_b32 v44, 1, s14, v4
	v_or_b32_e32 v46, s64, v46
	s_mov_b64 s[0:1], -1
	s_mov_b64 s[24:25], 0
	s_and_b64 vcc, exec, s[6:7]
	s_mov_b64 s[6:7], 0
	s_mov_b64 s[8:9], -1
	s_waitcnt lgkmcnt(0)
	s_barrier
                                        ; implicit-def: $vgpr47
	s_cbranch_vccnz .LBB13_152
; %bb.137:                              ;   in Loop: Header=BB13_16 Depth=1
	s_mov_b32 s54, s87
	s_mov_b32 s11, s45
	s_cmp_lg_u64 s[54:55], 0
	s_cbranch_scc0 .LBB13_194
; %bb.138:                              ;   in Loop: Header=BB13_16 Depth=1
	s_add_u32 s6, s84, 0
	s_addc_u32 s7, 0, 0
	s_xor_b64 s[6:7], s[6:7], 0
	v_cvt_f32_u32_e32 v4, s6
	v_cvt_f32_u32_e32 v5, s7
	s_sub_u32 s30, 0, s6
	s_subb_u32 s31, 0, s7
	v_fmac_f32_e32 v4, 0x4f800000, v5
	v_rcp_f32_e32 v4, v4
	s_nop 0
	v_mul_f32_e32 v4, 0x5f7ffffc, v4
	v_mul_f32_e32 v5, 0x2f800000, v4
	v_trunc_f32_e32 v5, v5
	v_fmac_f32_e32 v4, 0xcf800000, v5
	v_cvt_u32_f32_e32 v5, v5
	v_cvt_u32_f32_e32 v4, v4
	v_readfirstlane_b32 s36, v5
	v_readfirstlane_b32 s8, v4
	s_mul_i32 s9, s30, s36
	s_mul_hi_u32 s38, s30, s8
	s_mul_i32 s37, s31, s8
	s_add_i32 s9, s38, s9
	s_mul_i32 s39, s30, s8
	s_add_i32 s9, s9, s37
	s_mul_i32 s38, s8, s9
	s_mul_hi_u32 s40, s8, s39
	s_mul_hi_u32 s37, s8, s9
	s_add_u32 s38, s40, s38
	s_addc_u32 s37, 0, s37
	s_mul_hi_u32 s41, s36, s39
	s_mul_i32 s39, s36, s39
	s_add_u32 s38, s38, s39
	s_mul_hi_u32 s40, s36, s9
	s_addc_u32 s37, s37, s41
	s_addc_u32 s38, s40, 0
	s_mul_i32 s9, s36, s9
	s_add_u32 s9, s37, s9
	s_addc_u32 s37, 0, s38
	s_add_u32 s38, s8, s9
	s_cselect_b64 s[8:9], -1, 0
	s_cmp_lg_u64 s[8:9], 0
	s_addc_u32 s36, s36, s37
	s_mul_i32 s8, s30, s36
	s_mul_hi_u32 s9, s30, s38
	s_add_i32 s8, s9, s8
	s_mul_i32 s31, s31, s38
	s_add_i32 s8, s8, s31
	s_mul_i32 s30, s30, s38
	s_mul_hi_u32 s31, s36, s30
	s_mul_i32 s37, s36, s30
	s_mul_i32 s40, s38, s8
	s_mul_hi_u32 s30, s38, s30
	s_mul_hi_u32 s39, s38, s8
	s_add_u32 s30, s30, s40
	s_addc_u32 s39, 0, s39
	s_add_u32 s30, s30, s37
	s_mul_hi_u32 s9, s36, s8
	s_addc_u32 s30, s39, s31
	s_addc_u32 s9, s9, 0
	s_mul_i32 s8, s36, s8
	s_add_u32 s8, s30, s8
	s_addc_u32 s30, 0, s9
	s_add_u32 s37, s38, s8
	s_cselect_b64 s[8:9], -1, 0
	s_cmp_lg_u64 s[8:9], 0
	s_addc_u32 s36, s36, s30
	s_ashr_i32 s8, s55, 31
	s_add_u32 s30, s95, s8
	s_mov_b32 s9, s8
	s_addc_u32 s31, s55, s8
	s_xor_b64 s[30:31], s[30:31], s[8:9]
	s_mul_i32 s39, s30, s36
	s_mul_hi_u32 s40, s30, s37
	s_mul_hi_u32 s38, s30, s36
	s_add_u32 s39, s40, s39
	s_addc_u32 s38, 0, s38
	s_mul_hi_u32 s41, s31, s37
	s_mul_i32 s37, s31, s37
	s_add_u32 s37, s39, s37
	s_mul_hi_u32 s40, s31, s36
	s_addc_u32 s37, s38, s41
	s_addc_u32 s38, s40, 0
	s_mul_i32 s36, s31, s36
	s_add_u32 s36, s37, s36
	s_addc_u32 s37, 0, s38
	s_mul_i32 s37, s6, s37
	s_mul_hi_u32 s38, s6, s36
	s_add_i32 s37, s38, s37
	s_mul_i32 s38, s7, s36
	s_add_i32 s40, s37, s38
	s_sub_i32 s38, s31, s40
	s_mul_i32 s36, s6, s36
	s_sub_u32 s30, s30, s36
	s_cselect_b64 s[36:37], -1, 0
	s_cmp_lg_u64 s[36:37], 0
	s_subb_u32 s41, s38, s7
	s_sub_u32 s42, s30, s6
	s_cselect_b64 s[38:39], -1, 0
	s_cmp_lg_u64 s[38:39], 0
	s_subb_u32 s43, s41, 0
	s_cmp_ge_u32 s43, s7
	s_cselect_b32 s44, -1, 0
	s_cmp_ge_u32 s42, s6
	s_cselect_b32 s45, -1, 0
	s_cmp_eq_u32 s43, s7
	s_cselect_b32 s44, s45, s44
	s_cmp_lg_u64 s[38:39], 0
	s_subb_u32 s41, s41, s7
	s_sub_u32 s45, s42, s6
	s_cselect_b64 s[38:39], -1, 0
	s_cmp_lg_u64 s[38:39], 0
	s_subb_u32 s38, s41, 0
	s_cmp_lg_u32 s44, 0
	s_cselect_b32 s39, s45, s42
	s_cselect_b32 s38, s38, s43
	s_cmp_lg_u64 s[36:37], 0
	s_subb_u32 s31, s31, s40
	s_cmp_ge_u32 s31, s7
	s_cselect_b32 s36, -1, 0
	s_cmp_ge_u32 s30, s6
	s_cselect_b32 s6, -1, 0
	s_cmp_eq_u32 s31, s7
	s_cselect_b32 s6, s6, s36
	s_cmp_lg_u32 s6, 0
	s_cselect_b32 s7, s38, s31
	s_cselect_b32 s6, s39, s30
	s_xor_b64 s[6:7], s[6:7], s[8:9]
	s_sub_u32 s6, s6, s8
	s_subb_u32 s7, s7, s8
	s_cbranch_execnz .LBB13_140
.LBB13_139:                             ;   in Loop: Header=BB13_16 Depth=1
	v_cvt_f32_u32_e32 v4, s84
	s_sub_i32 s6, 0, s84
	v_rcp_iflag_f32_e32 v4, v4
	s_nop 0
	v_mul_f32_e32 v4, 0x4f7ffffe, v4
	v_cvt_u32_f32_e32 v4, v4
	s_nop 0
	v_readfirstlane_b32 s7, v4
	s_mul_i32 s6, s6, s7
	s_mul_hi_u32 s6, s7, s6
	s_add_i32 s7, s7, s6
	s_mul_hi_u32 s6, s95, s7
	s_mul_i32 s6, s6, s84
	s_sub_i32 s6, s95, s6
	s_sub_i32 s7, s6, s84
	s_cmp_ge_u32 s6, s84
	s_cselect_b32 s6, s7, s6
	s_sub_i32 s7, s6, s84
	s_cmp_ge_u32 s6, s84
	s_cselect_b32 s86, s7, s6
	s_mov_b64 s[6:7], s[86:87]
.LBB13_140:                             ;   in Loop: Header=BB13_16 Depth=1
	s_sub_u32 s36, s95, s6
	s_subb_u32 s37, s55, s7
	v_cmp_gt_i64_e32 vcc, s[36:37], v[0:1]
	s_mov_b64 s[8:9], 0
	s_mov_b64 s[6:7], 0
                                        ; implicit-def: $vgpr47
	s_and_saveexec_b64 s[30:31], vcc
	s_mov_b32 s44, 0xc0c0004
	s_mov_b32 s45, s11
	s_cbranch_execz .LBB13_151
; %bb.141:                              ;   in Loop: Header=BB13_16 Depth=1
	v_mov_b64_e32 v[4:5], v[12:13]
	v_mov_b64_e32 v[10:11], v[0:1]
                                        ; implicit-def: $sgpr38_sgpr39
	s_branch .LBB13_144
.LBB13_142:                             ;   in Loop: Header=BB13_144 Depth=2
	s_or_b64 exec, exec, s[40:41]
	s_waitcnt lgkmcnt(0)
	s_barrier
	ds_read_u16 v34, v3 offset:3072
	s_mov_b64 s[40:41], -1
	s_waitcnt lgkmcnt(0)
	s_barrier
	v_cmp_ne_u32_sdwa s[42:43], v34, v3 src0_sel:BYTE_0 src1_sel:DWORD
	s_and_b64 vcc, exec, s[42:43]
	s_mov_b64 s[42:43], -1
	s_cbranch_vccz .LBB13_147
.LBB13_143:                             ;   in Loop: Header=BB13_144 Depth=2
	s_and_b64 s[40:41], exec, s[40:41]
	s_or_b64 s[6:7], s[40:41], s[6:7]
	s_andn2_b64 s[38:39], s[38:39], exec
	s_and_b64 s[40:41], s[42:43], exec
	s_or_b64 s[38:39], s[38:39], s[40:41]
	s_andn2_b64 exec, exec, s[6:7]
	s_cbranch_execz .LBB13_150
.LBB13_144:                             ;   Parent Loop BB13_16 Depth=1
                                        ; =>  This Inner Loop Header: Depth=2
	v_cmp_gt_i64_e32 vcc, s[56:57], v[10:11]
	s_and_saveexec_b64 s[40:41], vcc
	s_cbranch_execz .LBB13_142
; %bb.145:                              ;   in Loop: Header=BB13_144 Depth=2
	global_load_ubyte v34, v[4:5], off
	s_waitcnt vmcnt(0)
	v_add_u32_sdwa v35, sext(v34), s15 dst_sel:DWORD dst_unused:UNUSED_PAD src0_sel:BYTE_0 src1_sel:DWORD
	v_and_b32_e32 v35, v35, v46
	v_cmp_eq_u32_e32 vcc, v35, v44
	s_and_b64 exec, exec, vcc
	s_cbranch_execz .LBB13_142
; %bb.146:                              ;   in Loop: Header=BB13_144 Depth=2
	v_lshlrev_b16_e32 v34, 8, v34
	v_or_b32_e32 v34, 1, v34
	ds_write_b16 v3, v34 offset:3072
	s_branch .LBB13_142
.LBB13_147:                             ;   in Loop: Header=BB13_144 Depth=2
	v_lshl_add_u64 v[10:11], v[10:11], 0, s[84:85]
	v_cmp_le_i64_e32 vcc, s[36:37], v[10:11]
	v_lshl_add_u64 v[4:5], v[4:5], 0, s[90:91]
	s_mov_b64 s[42:43], 0
	s_orn2_b64 s[40:41], vcc, exec
	s_branch .LBB13_143
.LBB13_148:                             ;   in Loop: Header=BB13_16 Depth=1
                                        ; implicit-def: $sgpr24_sgpr25
	s_andn2_b64 vcc, exec, s[26:27]
	s_cbranch_vccz .LBB13_96
	s_branch .LBB13_97
.LBB13_149:                             ;   in Loop: Header=BB13_16 Depth=1
                                        ; implicit-def: $sgpr8_sgpr9
	s_branch .LBB13_110
.LBB13_150:                             ;   in Loop: Header=BB13_16 Depth=1
	s_or_b64 exec, exec, s[6:7]
	v_lshrrev_b32_sdwa v47, v45, v34 dst_sel:DWORD dst_unused:UNUSED_PAD src0_sel:DWORD src1_sel:WORD_0
	s_and_b64 s[6:7], s[38:39], exec
.LBB13_151:                             ;   in Loop: Header=BB13_16 Depth=1
	s_or_b64 exec, exec, s[30:31]
.LBB13_152:                             ;   in Loop: Header=BB13_16 Depth=1
	s_and_b64 vcc, exec, s[8:9]
	s_cbranch_vccz .LBB13_166
; %bb.153:                              ;   in Loop: Header=BB13_16 Depth=1
	v_readlane_b32 s0, v66, 34
	s_add_u32 s30, s34, s0
	v_readlane_b32 s0, v66, 35
	s_addc_u32 s1, s35, s0
	s_mov_b32 s0, s87
	s_cmp_lg_u64 s[0:1], 0
	s_cbranch_scc0 .LBB13_195
; %bb.154:                              ;   in Loop: Header=BB13_16 Depth=1
	s_add_u32 s8, s84, 0
	s_addc_u32 s9, 0, 0
	s_xor_b64 s[8:9], s[8:9], 0
	v_cvt_f32_u32_e32 v4, s8
	v_cvt_f32_u32_e32 v5, s9
	s_sub_u32 s0, 0, s8
	s_subb_u32 s31, 0, s9
	s_mov_b32 s11, s45
	v_fmac_f32_e32 v4, 0x4f800000, v5
	v_rcp_f32_e32 v4, v4
	s_nop 0
	v_mul_f32_e32 v4, 0x5f7ffffc, v4
	v_mul_f32_e32 v5, 0x2f800000, v4
	v_trunc_f32_e32 v5, v5
	v_fmac_f32_e32 v4, 0xcf800000, v5
	v_cvt_u32_f32_e32 v5, v5
	v_cvt_u32_f32_e32 v4, v4
	v_readfirstlane_b32 s36, v5
	v_readfirstlane_b32 s24, v4
	s_mul_i32 s25, s0, s36
	s_mul_hi_u32 s38, s0, s24
	s_mul_i32 s37, s31, s24
	s_add_i32 s25, s38, s25
	s_mul_i32 s39, s0, s24
	s_add_i32 s25, s25, s37
	s_mul_i32 s38, s24, s25
	s_mul_hi_u32 s40, s24, s39
	s_mul_hi_u32 s37, s24, s25
	s_add_u32 s38, s40, s38
	s_addc_u32 s37, 0, s37
	s_mul_hi_u32 s41, s36, s39
	s_mul_i32 s39, s36, s39
	s_add_u32 s38, s38, s39
	s_mul_hi_u32 s40, s36, s25
	s_addc_u32 s37, s37, s41
	s_addc_u32 s38, s40, 0
	s_mul_i32 s25, s36, s25
	s_add_u32 s25, s37, s25
	s_addc_u32 s37, 0, s38
	s_add_u32 s38, s24, s25
	s_cselect_b64 s[24:25], -1, 0
	s_cmp_lg_u64 s[24:25], 0
	s_addc_u32 s36, s36, s37
	s_mul_i32 s24, s0, s36
	s_mul_hi_u32 s25, s0, s38
	s_add_i32 s24, s25, s24
	s_mul_i32 s31, s31, s38
	s_add_i32 s24, s24, s31
	s_mul_i32 s0, s0, s38
	s_mul_hi_u32 s31, s36, s0
	s_mul_i32 s37, s36, s0
	s_mul_i32 s40, s38, s24
	s_mul_hi_u32 s0, s38, s0
	s_mul_hi_u32 s39, s38, s24
	s_add_u32 s0, s0, s40
	s_addc_u32 s39, 0, s39
	s_add_u32 s0, s0, s37
	s_mul_hi_u32 s25, s36, s24
	s_addc_u32 s0, s39, s31
	s_addc_u32 s25, s25, 0
	s_mul_i32 s24, s36, s24
	s_add_u32 s0, s0, s24
	s_addc_u32 s31, 0, s25
	s_add_u32 s0, s38, s0
	s_cselect_b64 s[24:25], -1, 0
	s_cmp_lg_u64 s[24:25], 0
	s_addc_u32 s31, s36, s31
	s_ashr_i32 s24, s1, 31
	s_add_u32 s36, s30, s24
	s_mov_b32 s25, s24
	s_addc_u32 s37, s1, s24
	s_xor_b64 s[36:37], s[36:37], s[24:25]
	s_mul_i32 s39, s36, s31
	s_mul_hi_u32 s40, s36, s0
	s_mul_hi_u32 s38, s36, s31
	s_add_u32 s39, s40, s39
	s_addc_u32 s38, 0, s38
	s_mul_hi_u32 s41, s37, s0
	s_mul_i32 s0, s37, s0
	s_add_u32 s0, s39, s0
	s_mul_hi_u32 s40, s37, s31
	s_addc_u32 s0, s38, s41
	s_addc_u32 s38, s40, 0
	s_mul_i32 s31, s37, s31
	s_add_u32 s0, s0, s31
	s_addc_u32 s31, 0, s38
	s_mul_i32 s31, s8, s31
	s_mul_hi_u32 s38, s8, s0
	s_add_i32 s31, s38, s31
	s_mul_i32 s38, s9, s0
	s_add_i32 s31, s31, s38
	s_sub_i32 s40, s37, s31
	s_mul_i32 s0, s8, s0
	s_sub_u32 s0, s36, s0
	s_cselect_b64 s[38:39], -1, 0
	s_cmp_lg_u64 s[38:39], 0
	s_subb_u32 s36, s40, s9
	s_sub_u32 s42, s0, s8
	s_cselect_b64 s[40:41], -1, 0
	s_cmp_lg_u64 s[40:41], 0
	s_subb_u32 s43, s36, 0
	s_cmp_ge_u32 s43, s9
	s_cselect_b32 s44, -1, 0
	s_cmp_ge_u32 s42, s8
	s_cselect_b32 s45, -1, 0
	s_cmp_eq_u32 s43, s9
	s_cselect_b32 s44, s45, s44
	s_cmp_lg_u64 s[40:41], 0
	s_subb_u32 s36, s36, s9
	s_sub_u32 s45, s42, s8
	s_cselect_b64 s[40:41], -1, 0
	s_cmp_lg_u64 s[40:41], 0
	s_subb_u32 s36, s36, 0
	s_cmp_lg_u32 s44, 0
	s_cselect_b32 s40, s45, s42
	s_cselect_b32 s36, s36, s43
	s_cmp_lg_u64 s[38:39], 0
	s_subb_u32 s31, s37, s31
	s_cmp_ge_u32 s31, s9
	s_cselect_b32 s37, -1, 0
	s_cmp_ge_u32 s0, s8
	s_cselect_b32 s8, -1, 0
	s_cmp_eq_u32 s31, s9
	s_cselect_b32 s8, s8, s37
	s_cmp_lg_u32 s8, 0
	s_cselect_b32 s9, s36, s31
	s_cselect_b32 s8, s40, s0
	s_xor_b64 s[8:9], s[8:9], s[24:25]
	s_sub_u32 s8, s8, s24
	s_mov_b32 s44, 0xc0c0004
	s_mov_b32 s45, s11
	s_subb_u32 s9, s9, s24
	s_cbranch_execnz .LBB13_156
.LBB13_155:                             ;   in Loop: Header=BB13_16 Depth=1
	v_cvt_f32_u32_e32 v4, s84
	s_sub_i32 s0, 0, s84
	v_rcp_iflag_f32_e32 v4, v4
	s_nop 0
	v_mul_f32_e32 v4, 0x4f7ffffe, v4
	v_cvt_u32_f32_e32 v4, v4
	s_nop 0
	v_readfirstlane_b32 s8, v4
	s_mul_i32 s0, s0, s8
	s_mul_hi_u32 s0, s8, s0
	s_add_i32 s8, s8, s0
	s_mul_hi_u32 s0, s30, s8
	s_mul_i32 s0, s0, s84
	s_sub_i32 s0, s30, s0
	s_sub_i32 s8, s0, s84
	s_cmp_ge_u32 s0, s84
	s_cselect_b32 s0, s8, s0
	s_sub_i32 s8, s0, s84
	s_cmp_ge_u32 s0, s84
	s_cselect_b32 s86, s8, s0
	s_mov_b64 s[8:9], s[86:87]
.LBB13_156:                             ;   in Loop: Header=BB13_16 Depth=1
	s_sub_u32 s8, s30, s8
	s_subb_u32 s9, s1, s9
	v_cmp_gt_i64_e32 vcc, s[8:9], v[0:1]
                                        ; implicit-def: $vgpr47
	s_and_saveexec_b64 s[0:1], vcc
	s_cbranch_execz .LBB13_165
; %bb.157:                              ;   in Loop: Header=BB13_16 Depth=1
	s_mov_b64 s[24:25], 0
	v_mov_b32_e32 v10, v0
	v_mov_b64_e32 v[4:5], v[0:1]
                                        ; implicit-def: $sgpr30_sgpr31
	s_branch .LBB13_160
.LBB13_158:                             ;   in Loop: Header=BB13_160 Depth=2
	s_or_b64 exec, exec, s[36:37]
	s_waitcnt lgkmcnt(0)
	s_barrier
	ds_read_u16 v11, v3 offset:3072
	s_mov_b64 s[36:37], -1
	s_waitcnt lgkmcnt(0)
	s_barrier
	v_cmp_eq_u32_sdwa s[38:39], v11, v3 src0_sel:BYTE_0 src1_sel:DWORD
	s_and_b64 vcc, exec, s[38:39]
	s_mov_b64 s[38:39], -1
	s_cbranch_vccnz .LBB13_163
.LBB13_159:                             ;   in Loop: Header=BB13_160 Depth=2
	s_and_b64 s[36:37], exec, s[36:37]
	s_or_b64 s[24:25], s[36:37], s[24:25]
	s_andn2_b64 s[30:31], s[30:31], exec
	s_and_b64 s[36:37], s[38:39], exec
	s_or_b64 s[30:31], s[30:31], s[36:37]
	s_andn2_b64 exec, exec, s[24:25]
	s_cbranch_execz .LBB13_164
.LBB13_160:                             ;   Parent Loop BB13_16 Depth=1
                                        ; =>  This Inner Loop Header: Depth=2
	v_cmp_gt_u64_e32 vcc, s[34:35], v[4:5]
	s_and_saveexec_b64 s[36:37], vcc
	s_cbranch_execz .LBB13_158
; %bb.161:                              ;   in Loop: Header=BB13_160 Depth=2
	ds_read_u8 v11, v10
	s_waitcnt lgkmcnt(0)
	v_add_u32_sdwa v34, sext(v11), s15 dst_sel:DWORD dst_unused:UNUSED_PAD src0_sel:BYTE_0 src1_sel:DWORD
	v_and_b32_e32 v34, v34, v46
	v_cmp_eq_u32_e32 vcc, v34, v44
	s_and_b64 exec, exec, vcc
	s_cbranch_execz .LBB13_158
; %bb.162:                              ;   in Loop: Header=BB13_160 Depth=2
	v_lshlrev_b16_e32 v11, 8, v11
	v_or_b32_e32 v11, 1, v11
	ds_write_b16 v3, v11 offset:3072
	s_branch .LBB13_158
.LBB13_163:                             ;   in Loop: Header=BB13_160 Depth=2
	v_lshl_add_u64 v[4:5], v[4:5], 0, s[84:85]
	v_cmp_le_i64_e32 vcc, s[8:9], v[4:5]
	v_add_u32_e32 v10, s84, v10
	s_mov_b64 s[38:39], 0
	s_orn2_b64 s[36:37], vcc, exec
	s_branch .LBB13_159
.LBB13_164:                             ;   in Loop: Header=BB13_16 Depth=1
	s_or_b64 exec, exec, s[24:25]
	s_andn2_b64 s[6:7], s[6:7], exec
	s_and_b64 s[8:9], s[30:31], exec
	v_lshrrev_b32_sdwa v47, v45, v11 dst_sel:DWORD dst_unused:UNUSED_PAD src0_sel:DWORD src1_sel:WORD_0
	s_or_b64 s[6:7], s[6:7], s[8:9]
.LBB13_165:                             ;   in Loop: Header=BB13_16 Depth=1
	s_or_b64 exec, exec, s[0:1]
	s_mov_b64 s[0:1], 0
	s_mov_b64 s[24:25], -1
.LBB13_166:                             ;   in Loop: Header=BB13_16 Depth=1
	s_orn2_b64 s[6:7], s[6:7], exec
.LBB13_167:                             ;   in Loop: Header=BB13_16 Depth=1
	s_or_b64 exec, exec, s[26:27]
	s_mov_b64 s[8:9], 0
	s_and_saveexec_b64 s[26:27], s[6:7]
	s_cbranch_execz .LBB13_273
; %bb.168:                              ;   in Loop: Header=BB13_16 Depth=1
	s_xor_b64 s[28:29], s[28:29], -1
	v_mov_b32_e32 v2, 1
	v_mov_b64_e32 v[4:5], 1
	s_and_saveexec_b64 s[6:7], s[28:29]
	s_cbranch_execz .LBB13_178
; %bb.169:                              ;   in Loop: Header=BB13_16 Depth=1
	v_cmp_le_i64_e32 vcc, v[8:9], v[6:7]
	s_and_saveexec_b64 s[8:9], vcc
	s_xor_b64 s[8:9], exec, s[8:9]
	s_cbranch_execz .LBB13_175
; %bb.170:                              ;   in Loop: Header=BB13_16 Depth=1
	ds_read_b64 v[4:5], v3 offset:5120
	v_and_b32_e32 v2, s52, v44
	v_lshl_or_b32 v44, 1, s14, v2
	v_or_b32_e32 v46, s64, v46
	s_waitcnt lgkmcnt(0)
	v_cmp_ne_u64_e32 vcc, 0, v[4:5]
	s_cbranch_vccnz .LBB13_174
; %bb.171:                              ;   in Loop: Header=BB13_16 Depth=1
	s_mov_b64 s[28:29], exec
	v_readlane_b32 s30, v66, 12
	v_readlane_b32 s31, v66, 13
	s_and_b64 s[30:31], s[28:29], s[30:31]
	s_mov_b64 exec, s[30:31]
; %bb.172:                              ;   in Loop: Header=BB13_16 Depth=1
	ds_write_b64 v3, v[6:7] offset:5128
; %bb.173:                              ;   in Loop: Header=BB13_16 Depth=1
	s_or_b64 exec, exec, s[28:29]
	s_waitcnt lgkmcnt(0)
	s_barrier
.LBB13_174:                             ;   in Loop: Header=BB13_16 Depth=1
                                        ; implicit-def: $vgpr4_vgpr5_vgpr6_vgpr7
.LBB13_175:                             ;   in Loop: Header=BB13_16 Depth=1
	s_or_saveexec_b64 s[8:9], s[8:9]
	s_mov_b64 s[28:29], 0
	v_mov_b32_e32 v2, 8
	s_xor_b64 exec, exec, s[8:9]
; %bb.176:                              ;   in Loop: Header=BB13_16 Depth=1
	v_sub_co_u32_e32 v8, vcc, v8, v6
	s_mov_b64 s[28:29], exec
	s_nop 0
	v_subb_co_u32_e32 v9, vcc, v9, v7, vcc
	v_mov_b32_e32 v2, 0
; %bb.177:                              ;   in Loop: Header=BB13_16 Depth=1
	s_or_b64 exec, exec, s[8:9]
	s_and_b64 s[8:9], s[28:29], exec
	v_mov_b64_e32 v[4:5], v[8:9]
.LBB13_178:                             ;   in Loop: Header=BB13_16 Depth=1
	s_or_b64 exec, exec, s[6:7]
	s_mov_b64 s[6:7], -1
                                        ; implicit-def: $sgpr34_sgpr35
                                        ; implicit-def: $sgpr36_sgpr37
	s_and_saveexec_b64 s[28:29], s[8:9]
	s_cbranch_execz .LBB13_272
; %bb.179:                              ;   in Loop: Header=BB13_16 Depth=1
	s_cmp_eq_u64 s[22:23], 1
	s_cselect_b64 s[6:7], -1, 0
	v_cmp_eq_u64_e32 vcc, 1, v[4:5]
	s_and_b64 s[40:41], s[6:7], vcc
	s_mov_b64 s[6:7], -1
                                        ; implicit-def: $sgpr36_sgpr37
                                        ; implicit-def: $sgpr34_sgpr35
	s_and_saveexec_b64 s[38:39], s[40:41]
	s_cbranch_execz .LBB13_213
; %bb.180:                              ;   in Loop: Header=BB13_16 Depth=1
	ds_read_b64 v[6:7], v3 offset:5120
	s_waitcnt lgkmcnt(0)
	s_barrier
	v_readfirstlane_b32 s42, v6
	v_readfirstlane_b32 s43, v7
	s_mov_b64 s[6:7], exec
	v_readlane_b32 s8, v66, 26
	v_readlane_b32 s9, v66, 27
	s_and_b64 s[8:9], s[6:7], s[8:9]
	s_mov_b64 exec, s[8:9]
; %bb.181:                              ;   in Loop: Header=BB13_16 Depth=1
	ds_write_b8 v0, v3 offset:3072
; %bb.182:                              ;   in Loop: Header=BB13_16 Depth=1
	s_or_b64 exec, exec, s[6:7]
	v_and_b32_e32 v6, s52, v44
	v_cmp_gt_i64_e64 s[6:7], s[42:43], 0
	v_lshl_or_b32 v44, 2, s14, v6
	v_or_b32_e32 v46, s64, v46
	s_mov_b64 s[34:35], -1
	s_mov_b64 s[36:37], 0
	s_and_b64 vcc, exec, s[6:7]
	s_mov_b64 s[6:7], 0
	s_mov_b64 s[8:9], -1
	s_waitcnt lgkmcnt(0)
	s_barrier
                                        ; implicit-def: $vgpr47
	s_cbranch_vccnz .LBB13_198
; %bb.183:                              ;   in Loop: Header=BB13_16 Depth=1
	s_mov_b32 s54, s87
	s_mov_b32 s58, s45
	s_cmp_lg_u64 s[54:55], 0
	s_cbranch_scc0 .LBB13_239
; %bb.184:                              ;   in Loop: Header=BB13_16 Depth=1
	s_add_u32 s6, s84, 0
	s_addc_u32 s7, 0, 0
	s_xor_b64 s[6:7], s[6:7], 0
	v_cvt_f32_u32_e32 v6, s6
	v_cvt_f32_u32_e32 v7, s7
	s_sub_u32 s30, 0, s6
	s_subb_u32 s31, 0, s7
	s_mov_b32 s11, s55
	v_fmac_f32_e32 v6, 0x4f800000, v7
	v_rcp_f32_e32 v6, v6
	s_nop 0
	v_mul_f32_e32 v6, 0x5f7ffffc, v6
	v_mul_f32_e32 v7, 0x2f800000, v6
	v_trunc_f32_e32 v7, v7
	v_fmac_f32_e32 v6, 0xcf800000, v7
	v_cvt_u32_f32_e32 v7, v7
	v_cvt_u32_f32_e32 v6, v6
	v_readfirstlane_b32 s44, v7
	v_readfirstlane_b32 s8, v6
	s_mul_i32 s9, s30, s44
	s_mul_hi_u32 s46, s30, s8
	s_mul_i32 s45, s31, s8
	s_add_i32 s9, s46, s9
	s_mul_i32 s47, s30, s8
	s_add_i32 s9, s9, s45
	s_mul_i32 s46, s8, s9
	s_mul_hi_u32 s48, s8, s47
	s_mul_hi_u32 s45, s8, s9
	s_add_u32 s46, s48, s46
	s_addc_u32 s45, 0, s45
	s_mul_hi_u32 s49, s44, s47
	s_mul_i32 s47, s44, s47
	s_add_u32 s46, s46, s47
	s_mul_hi_u32 s48, s44, s9
	s_addc_u32 s45, s45, s49
	s_addc_u32 s46, s48, 0
	s_mul_i32 s9, s44, s9
	s_add_u32 s9, s45, s9
	s_addc_u32 s45, 0, s46
	s_add_u32 s46, s8, s9
	s_cselect_b64 s[8:9], -1, 0
	s_cmp_lg_u64 s[8:9], 0
	s_addc_u32 s44, s44, s45
	s_mul_i32 s8, s30, s44
	s_mul_hi_u32 s9, s30, s46
	s_add_i32 s8, s9, s8
	s_mul_i32 s31, s31, s46
	s_add_i32 s8, s8, s31
	s_mul_i32 s30, s30, s46
	s_mul_hi_u32 s31, s44, s30
	s_mul_i32 s45, s44, s30
	s_mul_i32 s48, s46, s8
	s_mul_hi_u32 s30, s46, s30
	s_mul_hi_u32 s47, s46, s8
	s_add_u32 s30, s30, s48
	s_addc_u32 s47, 0, s47
	s_add_u32 s30, s30, s45
	s_mul_hi_u32 s9, s44, s8
	s_addc_u32 s30, s47, s31
	s_addc_u32 s9, s9, 0
	s_mul_i32 s8, s44, s8
	s_add_u32 s8, s30, s8
	s_addc_u32 s30, 0, s9
	s_add_u32 s45, s46, s8
	s_cselect_b64 s[8:9], -1, 0
	s_cmp_lg_u64 s[8:9], 0
	s_addc_u32 s44, s44, s30
	s_ashr_i32 s8, s55, 31
	s_add_u32 s30, s95, s8
	s_mov_b32 s9, s8
	s_addc_u32 s31, s55, s8
	s_xor_b64 s[30:31], s[30:31], s[8:9]
	s_mul_i32 s47, s30, s44
	s_mul_hi_u32 s48, s30, s45
	s_mul_hi_u32 s46, s30, s44
	s_add_u32 s47, s48, s47
	s_addc_u32 s46, 0, s46
	s_mul_hi_u32 s49, s31, s45
	s_mul_i32 s45, s31, s45
	s_add_u32 s45, s47, s45
	s_mul_hi_u32 s48, s31, s44
	s_addc_u32 s45, s46, s49
	s_addc_u32 s46, s48, 0
	s_mul_i32 s44, s31, s44
	s_add_u32 s44, s45, s44
	s_addc_u32 s45, 0, s46
	s_mul_i32 s45, s6, s45
	s_mul_hi_u32 s46, s6, s44
	s_add_i32 s45, s46, s45
	s_mul_i32 s46, s7, s44
	s_add_i32 s48, s45, s46
	s_sub_i32 s46, s31, s48
	s_mul_i32 s44, s6, s44
	s_sub_u32 s30, s30, s44
	s_cselect_b64 s[44:45], -1, 0
	s_cmp_lg_u64 s[44:45], 0
	s_subb_u32 s49, s46, s7
	s_sub_u32 s50, s30, s6
	s_cselect_b64 s[46:47], -1, 0
	s_cmp_lg_u64 s[46:47], 0
	s_subb_u32 s51, s49, 0
	s_cmp_ge_u32 s51, s7
	s_cselect_b32 s53, -1, 0
	s_cmp_ge_u32 s50, s6
	s_cselect_b32 s54, -1, 0
	s_cmp_eq_u32 s51, s7
	s_cselect_b32 s53, s54, s53
	s_cmp_lg_u64 s[46:47], 0
	s_subb_u32 s49, s49, s7
	s_sub_u32 s54, s50, s6
	s_cselect_b64 s[46:47], -1, 0
	s_cmp_lg_u64 s[46:47], 0
	s_subb_u32 s46, s49, 0
	s_cmp_lg_u32 s53, 0
	s_cselect_b32 s47, s54, s50
	s_cselect_b32 s46, s46, s51
	s_cmp_lg_u64 s[44:45], 0
	s_subb_u32 s31, s31, s48
	s_cmp_ge_u32 s31, s7
	s_cselect_b32 s44, -1, 0
	s_cmp_ge_u32 s30, s6
	s_cselect_b32 s6, -1, 0
	s_cmp_eq_u32 s31, s7
	s_cselect_b32 s6, s6, s44
	s_cmp_lg_u32 s6, 0
	s_cselect_b32 s7, s46, s31
	s_cselect_b32 s6, s47, s30
	s_xor_b64 s[6:7], s[6:7], s[8:9]
	s_sub_u32 s6, s6, s8
	s_subb_u32 s7, s7, s8
	s_cbranch_execnz .LBB13_186
.LBB13_185:                             ;   in Loop: Header=BB13_16 Depth=1
	v_cvt_f32_u32_e32 v6, s84
	s_sub_i32 s6, 0, s84
	v_rcp_iflag_f32_e32 v6, v6
	s_nop 0
	v_mul_f32_e32 v6, 0x4f7ffffe, v6
	v_cvt_u32_f32_e32 v6, v6
	s_nop 0
	v_readfirstlane_b32 s7, v6
	s_mul_i32 s6, s6, s7
	s_mul_hi_u32 s6, s7, s6
	s_add_i32 s7, s7, s6
	s_mul_hi_u32 s6, s95, s7
	s_mul_i32 s6, s6, s84
	s_sub_i32 s6, s95, s6
	s_sub_i32 s7, s6, s84
	s_cmp_ge_u32 s6, s84
	s_cselect_b32 s6, s7, s6
	s_sub_i32 s7, s6, s84
	s_cmp_ge_u32 s6, s84
	s_cselect_b32 s86, s7, s6
	s_mov_b64 s[6:7], s[86:87]
.LBB13_186:                             ;   in Loop: Header=BB13_16 Depth=1
	s_sub_u32 s44, s95, s6
	s_subb_u32 s45, s11, s7
	s_mov_b32 s55, s11
	v_cmp_gt_i64_e32 vcc, s[44:45], v[0:1]
	s_mov_b64 s[8:9], 0
	s_mov_b64 s[6:7], 0
                                        ; implicit-def: $vgpr47
	s_and_saveexec_b64 s[30:31], vcc
	s_cbranch_execz .LBB13_197
; %bb.187:                              ;   in Loop: Header=BB13_16 Depth=1
	v_mov_b64_e32 v[6:7], v[12:13]
	v_mov_b64_e32 v[8:9], v[0:1]
                                        ; implicit-def: $sgpr46_sgpr47
	s_branch .LBB13_190
.LBB13_188:                             ;   in Loop: Header=BB13_190 Depth=2
	s_or_b64 exec, exec, s[48:49]
	s_waitcnt lgkmcnt(0)
	s_barrier
	ds_read_u16 v10, v3 offset:3072
	s_mov_b64 s[48:49], -1
	s_waitcnt lgkmcnt(0)
	s_barrier
	v_cmp_ne_u32_sdwa s[50:51], v10, v3 src0_sel:BYTE_0 src1_sel:DWORD
	s_and_b64 vcc, exec, s[50:51]
	s_mov_b64 s[50:51], -1
	s_cbranch_vccz .LBB13_193
.LBB13_189:                             ;   in Loop: Header=BB13_190 Depth=2
	s_and_b64 s[48:49], exec, s[48:49]
	s_or_b64 s[6:7], s[48:49], s[6:7]
	s_andn2_b64 s[46:47], s[46:47], exec
	s_and_b64 s[48:49], s[50:51], exec
	s_or_b64 s[46:47], s[46:47], s[48:49]
	s_andn2_b64 exec, exec, s[6:7]
	s_cbranch_execz .LBB13_196
.LBB13_190:                             ;   Parent Loop BB13_16 Depth=1
                                        ; =>  This Inner Loop Header: Depth=2
	v_cmp_gt_i64_e32 vcc, s[56:57], v[8:9]
	s_and_saveexec_b64 s[48:49], vcc
	s_cbranch_execz .LBB13_188
; %bb.191:                              ;   in Loop: Header=BB13_190 Depth=2
	global_load_ubyte v10, v[6:7], off
	s_waitcnt vmcnt(0)
	v_add_u32_sdwa v11, sext(v10), s15 dst_sel:DWORD dst_unused:UNUSED_PAD src0_sel:BYTE_0 src1_sel:DWORD
	v_and_b32_e32 v11, v11, v46
	v_cmp_eq_u32_e32 vcc, v11, v44
	s_and_b64 exec, exec, vcc
	s_cbranch_execz .LBB13_188
; %bb.192:                              ;   in Loop: Header=BB13_190 Depth=2
	v_lshlrev_b16_e32 v10, 8, v10
	v_or_b32_e32 v10, 1, v10
	ds_write_b16 v3, v10 offset:3072
	s_branch .LBB13_188
.LBB13_193:                             ;   in Loop: Header=BB13_190 Depth=2
	v_lshl_add_u64 v[8:9], v[8:9], 0, s[84:85]
	v_cmp_le_i64_e32 vcc, s[44:45], v[8:9]
	v_lshl_add_u64 v[6:7], v[6:7], 0, s[90:91]
	s_mov_b64 s[50:51], 0
	s_orn2_b64 s[48:49], vcc, exec
	s_branch .LBB13_189
.LBB13_194:                             ;   in Loop: Header=BB13_16 Depth=1
                                        ; implicit-def: $sgpr6_sgpr7
	s_andn2_b64 vcc, exec, s[8:9]
	s_cbranch_vccz .LBB13_139
	s_branch .LBB13_140
.LBB13_195:                             ;   in Loop: Header=BB13_16 Depth=1
                                        ; implicit-def: $sgpr8_sgpr9
	s_branch .LBB13_155
.LBB13_196:                             ;   in Loop: Header=BB13_16 Depth=1
	s_or_b64 exec, exec, s[6:7]
	v_lshrrev_b32_sdwa v47, v45, v10 dst_sel:DWORD dst_unused:UNUSED_PAD src0_sel:DWORD src1_sel:WORD_0
	s_and_b64 s[6:7], s[46:47], exec
.LBB13_197:                             ;   in Loop: Header=BB13_16 Depth=1
	s_or_b64 exec, exec, s[30:31]
	v_readlane_b32 s50, v66, 48
	v_readlane_b32 s51, v66, 49
	s_mov_b32 s44, 0xc0c0004
	s_mov_b32 s45, s58
.LBB13_198:                             ;   in Loop: Header=BB13_16 Depth=1
	s_and_b64 vcc, exec, s[8:9]
	s_cbranch_vccz .LBB13_212
; %bb.199:                              ;   in Loop: Header=BB13_16 Depth=1
	v_readlane_b32 s8, v66, 34
	s_add_u32 s36, s42, s8
	v_readlane_b32 s8, v66, 35
	s_addc_u32 s9, s43, s8
	s_mov_b32 s8, s87
	s_cmp_lg_u64 s[8:9], 0
	s_cbranch_scc0 .LBB13_240
; %bb.200:                              ;   in Loop: Header=BB13_16 Depth=1
	s_add_u32 s30, s84, 0
	s_addc_u32 s31, 0, 0
	s_xor_b64 s[30:31], s[30:31], 0
	v_cvt_f32_u32_e32 v6, s30
	v_cvt_f32_u32_e32 v7, s31
	s_sub_u32 s8, 0, s30
	s_subb_u32 s37, 0, s31
	s_mov_b32 s11, s45
	v_fmac_f32_e32 v6, 0x4f800000, v7
	v_rcp_f32_e32 v6, v6
	s_nop 0
	v_mul_f32_e32 v6, 0x5f7ffffc, v6
	v_mul_f32_e32 v7, 0x2f800000, v6
	v_trunc_f32_e32 v7, v7
	v_fmac_f32_e32 v6, 0xcf800000, v7
	v_cvt_u32_f32_e32 v7, v7
	v_cvt_u32_f32_e32 v6, v6
	v_readfirstlane_b32 s44, v7
	v_readfirstlane_b32 s34, v6
	s_mul_i32 s35, s8, s44
	s_mul_hi_u32 s46, s8, s34
	s_mul_i32 s45, s37, s34
	s_add_i32 s35, s46, s35
	s_mul_i32 s47, s8, s34
	s_add_i32 s35, s35, s45
	s_mul_i32 s46, s34, s35
	s_mul_hi_u32 s48, s34, s47
	s_mul_hi_u32 s45, s34, s35
	s_add_u32 s46, s48, s46
	s_addc_u32 s45, 0, s45
	s_mul_hi_u32 s49, s44, s47
	s_mul_i32 s47, s44, s47
	s_add_u32 s46, s46, s47
	s_mul_hi_u32 s48, s44, s35
	s_addc_u32 s45, s45, s49
	s_addc_u32 s46, s48, 0
	s_mul_i32 s35, s44, s35
	s_add_u32 s35, s45, s35
	s_addc_u32 s45, 0, s46
	s_add_u32 s46, s34, s35
	s_cselect_b64 s[34:35], -1, 0
	s_cmp_lg_u64 s[34:35], 0
	s_addc_u32 s44, s44, s45
	s_mul_i32 s34, s8, s44
	s_mul_hi_u32 s35, s8, s46
	s_add_i32 s34, s35, s34
	s_mul_i32 s37, s37, s46
	s_add_i32 s34, s34, s37
	s_mul_i32 s8, s8, s46
	s_mul_hi_u32 s37, s44, s8
	s_mul_i32 s45, s44, s8
	s_mul_i32 s48, s46, s34
	s_mul_hi_u32 s8, s46, s8
	s_mul_hi_u32 s47, s46, s34
	s_add_u32 s8, s8, s48
	s_addc_u32 s47, 0, s47
	s_add_u32 s8, s8, s45
	s_mul_hi_u32 s35, s44, s34
	s_addc_u32 s8, s47, s37
	s_addc_u32 s35, s35, 0
	s_mul_i32 s34, s44, s34
	s_add_u32 s8, s8, s34
	s_addc_u32 s37, 0, s35
	s_add_u32 s8, s46, s8
	s_cselect_b64 s[34:35], -1, 0
	s_cmp_lg_u64 s[34:35], 0
	s_addc_u32 s37, s44, s37
	s_ashr_i32 s34, s9, 31
	s_add_u32 s44, s36, s34
	s_mov_b32 s35, s34
	s_addc_u32 s45, s9, s34
	s_xor_b64 s[44:45], s[44:45], s[34:35]
	s_mul_i32 s47, s44, s37
	s_mul_hi_u32 s48, s44, s8
	s_mul_hi_u32 s46, s44, s37
	s_add_u32 s47, s48, s47
	s_addc_u32 s46, 0, s46
	s_mul_hi_u32 s49, s45, s8
	s_mul_i32 s8, s45, s8
	s_add_u32 s8, s47, s8
	s_mul_hi_u32 s48, s45, s37
	s_addc_u32 s8, s46, s49
	s_addc_u32 s46, s48, 0
	s_mul_i32 s37, s45, s37
	s_add_u32 s8, s8, s37
	s_addc_u32 s37, 0, s46
	s_mul_i32 s37, s30, s37
	s_mul_hi_u32 s46, s30, s8
	s_add_i32 s37, s46, s37
	s_mul_i32 s46, s31, s8
	s_add_i32 s37, s37, s46
	s_sub_i32 s48, s45, s37
	s_mul_i32 s8, s30, s8
	s_sub_u32 s8, s44, s8
	s_cselect_b64 s[46:47], -1, 0
	s_cmp_lg_u64 s[46:47], 0
	s_subb_u32 s44, s48, s31
	s_sub_u32 s50, s8, s30
	s_cselect_b64 s[48:49], -1, 0
	s_cmp_lg_u64 s[48:49], 0
	s_subb_u32 s51, s44, 0
	s_cmp_ge_u32 s51, s31
	s_cselect_b32 s53, -1, 0
	s_cmp_ge_u32 s50, s30
	s_cselect_b32 s54, -1, 0
	s_cmp_eq_u32 s51, s31
	s_cselect_b32 s53, s54, s53
	s_cmp_lg_u64 s[48:49], 0
	s_subb_u32 s44, s44, s31
	s_sub_u32 s54, s50, s30
	s_cselect_b64 s[48:49], -1, 0
	s_cmp_lg_u64 s[48:49], 0
	s_subb_u32 s44, s44, 0
	s_cmp_lg_u32 s53, 0
	s_cselect_b32 s48, s54, s50
	s_cselect_b32 s44, s44, s51
	s_cmp_lg_u64 s[46:47], 0
	s_subb_u32 s37, s45, s37
	s_cmp_ge_u32 s37, s31
	s_cselect_b32 s45, -1, 0
	s_cmp_ge_u32 s8, s30
	s_cselect_b32 s30, -1, 0
	s_cmp_eq_u32 s37, s31
	s_cselect_b32 s30, s30, s45
	s_cmp_lg_u32 s30, 0
	s_cselect_b32 s31, s44, s37
	s_cselect_b32 s30, s48, s8
	s_xor_b64 s[30:31], s[30:31], s[34:35]
	v_readlane_b32 s50, v66, 48
	s_sub_u32 s30, s30, s34
	v_readlane_b32 s51, v66, 49
	s_mov_b32 s45, s11
	s_mov_b32 s44, 0xc0c0004
	s_subb_u32 s31, s31, s34
	s_cbranch_execnz .LBB13_202
.LBB13_201:                             ;   in Loop: Header=BB13_16 Depth=1
	v_cvt_f32_u32_e32 v6, s84
	s_sub_i32 s8, 0, s84
	v_rcp_iflag_f32_e32 v6, v6
	s_nop 0
	v_mul_f32_e32 v6, 0x4f7ffffe, v6
	v_cvt_u32_f32_e32 v6, v6
	s_nop 0
	v_readfirstlane_b32 s30, v6
	s_mul_i32 s8, s8, s30
	s_mul_hi_u32 s8, s30, s8
	s_add_i32 s30, s30, s8
	s_mul_hi_u32 s8, s36, s30
	s_mul_i32 s8, s8, s84
	s_sub_i32 s8, s36, s8
	s_sub_i32 s30, s8, s84
	s_cmp_ge_u32 s8, s84
	s_cselect_b32 s8, s30, s8
	s_sub_i32 s30, s8, s84
	s_cmp_ge_u32 s8, s84
	s_cselect_b32 s86, s30, s8
	s_mov_b64 s[30:31], s[86:87]
.LBB13_202:                             ;   in Loop: Header=BB13_16 Depth=1
	s_sub_u32 s30, s36, s30
	s_subb_u32 s31, s9, s31
	v_cmp_gt_i64_e32 vcc, s[30:31], v[0:1]
                                        ; implicit-def: $vgpr47
	s_and_saveexec_b64 s[8:9], vcc
	s_cbranch_execz .LBB13_211
; %bb.203:                              ;   in Loop: Header=BB13_16 Depth=1
	s_mov_b32 s11, s45
	s_mov_b64 s[34:35], 0
	v_mov_b32_e32 v8, v0
	v_mov_b64_e32 v[6:7], v[0:1]
                                        ; implicit-def: $sgpr36_sgpr37
	s_branch .LBB13_206
.LBB13_204:                             ;   in Loop: Header=BB13_206 Depth=2
	s_or_b64 exec, exec, s[44:45]
	s_waitcnt lgkmcnt(0)
	s_barrier
	ds_read_u16 v9, v3 offset:3072
	s_mov_b64 s[44:45], -1
	s_waitcnt lgkmcnt(0)
	s_barrier
	v_cmp_eq_u32_sdwa s[46:47], v9, v3 src0_sel:BYTE_0 src1_sel:DWORD
	s_and_b64 vcc, exec, s[46:47]
	s_mov_b64 s[46:47], -1
	s_cbranch_vccnz .LBB13_209
.LBB13_205:                             ;   in Loop: Header=BB13_206 Depth=2
	s_and_b64 s[44:45], exec, s[44:45]
	s_or_b64 s[34:35], s[44:45], s[34:35]
	s_andn2_b64 s[36:37], s[36:37], exec
	s_and_b64 s[44:45], s[46:47], exec
	s_or_b64 s[36:37], s[36:37], s[44:45]
	s_andn2_b64 exec, exec, s[34:35]
	s_cbranch_execz .LBB13_210
.LBB13_206:                             ;   Parent Loop BB13_16 Depth=1
                                        ; =>  This Inner Loop Header: Depth=2
	v_cmp_gt_u64_e32 vcc, s[42:43], v[6:7]
	s_and_saveexec_b64 s[44:45], vcc
	s_cbranch_execz .LBB13_204
; %bb.207:                              ;   in Loop: Header=BB13_206 Depth=2
	ds_read_u8 v9, v8
	s_waitcnt lgkmcnt(0)
	v_add_u32_sdwa v10, sext(v9), s15 dst_sel:DWORD dst_unused:UNUSED_PAD src0_sel:BYTE_0 src1_sel:DWORD
	v_and_b32_e32 v10, v10, v46
	v_cmp_eq_u32_e32 vcc, v10, v44
	s_and_b64 exec, exec, vcc
	s_cbranch_execz .LBB13_204
; %bb.208:                              ;   in Loop: Header=BB13_206 Depth=2
	v_lshlrev_b16_e32 v9, 8, v9
	v_or_b32_e32 v9, 1, v9
	ds_write_b16 v3, v9 offset:3072
	s_branch .LBB13_204
.LBB13_209:                             ;   in Loop: Header=BB13_206 Depth=2
	v_lshl_add_u64 v[6:7], v[6:7], 0, s[84:85]
	v_cmp_le_i64_e32 vcc, s[30:31], v[6:7]
	v_add_u32_e32 v8, s84, v8
	s_mov_b64 s[46:47], 0
	s_orn2_b64 s[44:45], vcc, exec
	s_branch .LBB13_205
.LBB13_210:                             ;   in Loop: Header=BB13_16 Depth=1
	s_or_b64 exec, exec, s[34:35]
	s_andn2_b64 s[6:7], s[6:7], exec
	s_and_b64 s[30:31], s[36:37], exec
	v_lshrrev_b32_sdwa v47, v45, v9 dst_sel:DWORD dst_unused:UNUSED_PAD src0_sel:DWORD src1_sel:WORD_0
	s_or_b64 s[6:7], s[6:7], s[30:31]
	s_mov_b32 s44, 0xc0c0004
	s_mov_b32 s45, s11
.LBB13_211:                             ;   in Loop: Header=BB13_16 Depth=1
	s_or_b64 exec, exec, s[8:9]
	s_mov_b64 s[34:35], 0
	s_mov_b64 s[36:37], -1
.LBB13_212:                             ;   in Loop: Header=BB13_16 Depth=1
	s_orn2_b64 s[6:7], s[6:7], exec
.LBB13_213:                             ;   in Loop: Header=BB13_16 Depth=1
	s_or_b64 exec, exec, s[38:39]
	s_mov_b64 s[8:9], 0
	s_and_saveexec_b64 s[38:39], s[6:7]
	s_cbranch_execz .LBB13_271
; %bb.214:                              ;   in Loop: Header=BB13_16 Depth=1
	s_xor_b64 s[30:31], s[40:41], -1
	v_mov_b32_e32 v2, 1
	v_mov_b64_e32 v[6:7], 1
	s_and_saveexec_b64 s[6:7], s[30:31]
	s_cbranch_execz .LBB13_223
; %bb.215:                              ;   in Loop: Header=BB13_16 Depth=1
	v_cmp_ge_i64_e32 vcc, s[22:23], v[4:5]
	s_and_saveexec_b64 s[8:9], vcc
	s_xor_b64 s[8:9], exec, s[8:9]
	s_cbranch_execz .LBB13_220
; %bb.216:                              ;   in Loop: Header=BB13_16 Depth=1
	ds_read_b64 v[6:7], v3 offset:5120
	v_and_b32_e32 v2, s52, v44
	v_lshl_or_b32 v44, 2, s14, v2
	v_or_b32_e32 v46, s64, v46
	s_waitcnt lgkmcnt(0)
	v_cmp_ne_u64_e32 vcc, 0, v[6:7]
	s_cbranch_vccnz .LBB13_220
; %bb.217:                              ;   in Loop: Header=BB13_16 Depth=1
	s_mov_b64 s[30:31], exec
	v_readlane_b32 s40, v66, 12
	v_readlane_b32 s41, v66, 13
	s_and_b64 s[40:41], s[30:31], s[40:41]
	s_mov_b64 exec, s[40:41]
; %bb.218:                              ;   in Loop: Header=BB13_16 Depth=1
	v_mov_b64_e32 v[6:7], s[22:23]
	ds_write_b64 v3, v[6:7] offset:5128
; %bb.219:                              ;   in Loop: Header=BB13_16 Depth=1
	s_or_b64 exec, exec, s[30:31]
	s_waitcnt lgkmcnt(0)
	s_barrier
.LBB13_220:                             ;   in Loop: Header=BB13_16 Depth=1
	s_or_saveexec_b64 s[8:9], s[8:9]
	s_mov_b64 s[30:31], 0
	v_mov_b32_e32 v2, 8
	s_xor_b64 exec, exec, s[8:9]
; %bb.221:                              ;   in Loop: Header=BB13_16 Depth=1
	v_mov_b32_e32 v2, s23
	v_subrev_co_u32_e32 v4, vcc, s22, v4
	s_mov_b64 s[30:31], exec
	s_nop 0
	v_subb_co_u32_e32 v5, vcc, v5, v2, vcc
	v_mov_b32_e32 v2, 0
; %bb.222:                              ;   in Loop: Header=BB13_16 Depth=1
	s_or_b64 exec, exec, s[8:9]
	s_and_b64 s[8:9], s[30:31], exec
	v_mov_b64_e32 v[6:7], v[4:5]
.LBB13_223:                             ;   in Loop: Header=BB13_16 Depth=1
	s_or_b64 exec, exec, s[6:7]
	s_mov_b64 s[6:7], -1
                                        ; implicit-def: $sgpr48_sgpr49
                                        ; implicit-def: $sgpr46_sgpr47
	s_and_saveexec_b64 s[22:23], s[8:9]
	s_cbranch_execz .LBB13_270
; %bb.224:                              ;   in Loop: Header=BB13_16 Depth=1
	s_cmp_eq_u64 s[2:3], 1
	s_cselect_b64 s[6:7], -1, 0
	v_cmp_eq_u64_e32 vcc, 1, v[6:7]
	s_and_b64 s[40:41], s[6:7], vcc
	s_mov_b64 s[8:9], -1
                                        ; implicit-def: $sgpr48_sgpr49
                                        ; implicit-def: $sgpr46_sgpr47
	s_and_saveexec_b64 s[42:43], s[40:41]
	s_cbranch_execz .LBB13_258
; %bb.225:                              ;   in Loop: Header=BB13_16 Depth=1
	ds_read_b64 v[4:5], v3 offset:5120
	s_mov_b32 s58, s45
	s_waitcnt lgkmcnt(0)
	s_barrier
	v_readfirstlane_b32 s44, v4
	v_readfirstlane_b32 s45, v5
	s_mov_b64 s[6:7], exec
	v_readlane_b32 s8, v66, 26
	v_readlane_b32 s9, v66, 27
	s_and_b64 s[8:9], s[6:7], s[8:9]
	s_mov_b64 exec, s[8:9]
; %bb.226:                              ;   in Loop: Header=BB13_16 Depth=1
	ds_write_b8 v0, v3 offset:3072
; %bb.227:                              ;   in Loop: Header=BB13_16 Depth=1
	s_or_b64 exec, exec, s[6:7]
	v_cmp_gt_i64_e64 s[6:7], s[44:45], 0
	v_or_b32_e32 v44, s64, v44
	v_or_b32_e32 v46, s64, v46
	s_mov_b64 s[46:47], -1
	s_mov_b64 s[48:49], 0
	s_and_b64 vcc, exec, s[6:7]
	s_mov_b64 s[6:7], 0
	s_mov_b64 s[8:9], -1
	s_waitcnt lgkmcnt(0)
	s_barrier
                                        ; implicit-def: $vgpr47
	s_cbranch_vccnz .LBB13_243
; %bb.228:                              ;   in Loop: Header=BB13_16 Depth=1
	s_mov_b32 s54, s87
	s_mov_b64 s[70:71], s[60:61]
	s_cmp_lg_u64 s[54:55], 0
	s_mov_b32 s61, s55
	s_cbranch_scc0 .LBB13_277
; %bb.229:                              ;   in Loop: Header=BB13_16 Depth=1
	s_add_u32 s6, s84, 0
	s_addc_u32 s7, 0, 0
	s_xor_b64 s[6:7], s[6:7], 0
	v_cvt_f32_u32_e32 v4, s6
	v_cvt_f32_u32_e32 v5, s7
	s_sub_u32 s30, 0, s6
	s_subb_u32 s31, 0, s7
	s_mov_b32 s11, s61
	v_fmac_f32_e32 v4, 0x4f800000, v5
	v_rcp_f32_e32 v4, v4
	s_nop 0
	v_mul_f32_e32 v4, 0x5f7ffffc, v4
	v_mul_f32_e32 v5, 0x2f800000, v4
	v_trunc_f32_e32 v5, v5
	v_fmac_f32_e32 v4, 0xcf800000, v5
	v_cvt_u32_f32_e32 v5, v5
	v_cvt_u32_f32_e32 v4, v4
	v_readfirstlane_b32 s50, v5
	v_readfirstlane_b32 s8, v4
	s_mul_i32 s9, s30, s50
	s_mul_hi_u32 s52, s30, s8
	s_mul_i32 s51, s31, s8
	s_add_i32 s9, s52, s9
	s_mul_i32 s53, s30, s8
	s_add_i32 s9, s9, s51
	s_mul_i32 s52, s8, s9
	s_mul_hi_u32 s54, s8, s53
	s_mul_hi_u32 s51, s8, s9
	s_add_u32 s52, s54, s52
	s_addc_u32 s51, 0, s51
	s_mul_hi_u32 s55, s50, s53
	s_mul_i32 s53, s50, s53
	s_add_u32 s52, s52, s53
	s_mul_hi_u32 s54, s50, s9
	s_addc_u32 s51, s51, s55
	s_addc_u32 s52, s54, 0
	s_mul_i32 s9, s50, s9
	s_add_u32 s9, s51, s9
	s_addc_u32 s51, 0, s52
	s_add_u32 s52, s8, s9
	s_cselect_b64 s[8:9], -1, 0
	s_cmp_lg_u64 s[8:9], 0
	s_addc_u32 s50, s50, s51
	s_mul_i32 s8, s30, s50
	s_mul_hi_u32 s9, s30, s52
	s_add_i32 s8, s9, s8
	s_mul_i32 s31, s31, s52
	s_add_i32 s8, s8, s31
	s_mul_i32 s30, s30, s52
	s_mul_hi_u32 s31, s50, s30
	s_mul_i32 s51, s50, s30
	s_mul_i32 s54, s52, s8
	s_mul_hi_u32 s30, s52, s30
	s_mul_hi_u32 s53, s52, s8
	s_add_u32 s30, s30, s54
	s_addc_u32 s53, 0, s53
	s_add_u32 s30, s30, s51
	s_mul_hi_u32 s9, s50, s8
	s_addc_u32 s30, s53, s31
	s_addc_u32 s9, s9, 0
	s_mul_i32 s8, s50, s8
	s_add_u32 s8, s30, s8
	s_addc_u32 s30, 0, s9
	s_add_u32 s51, s52, s8
	s_cselect_b64 s[8:9], -1, 0
	s_cmp_lg_u64 s[8:9], 0
	s_addc_u32 s50, s50, s30
	s_ashr_i32 s8, s61, 31
	s_add_u32 s30, s95, s8
	s_mov_b32 s9, s8
	s_addc_u32 s31, s61, s8
	s_xor_b64 s[30:31], s[30:31], s[8:9]
	s_mul_i32 s53, s30, s50
	s_mul_hi_u32 s54, s30, s51
	s_mul_hi_u32 s52, s30, s50
	s_add_u32 s53, s54, s53
	s_addc_u32 s52, 0, s52
	s_mul_hi_u32 s55, s31, s51
	s_mul_i32 s51, s31, s51
	s_add_u32 s51, s53, s51
	s_mul_hi_u32 s54, s31, s50
	s_addc_u32 s51, s52, s55
	s_addc_u32 s52, s54, 0
	s_mul_i32 s50, s31, s50
	s_add_u32 s50, s51, s50
	s_addc_u32 s51, 0, s52
	s_mul_i32 s51, s6, s51
	s_mul_hi_u32 s52, s6, s50
	s_add_i32 s51, s52, s51
	s_mul_i32 s52, s7, s50
	s_add_i32 s54, s51, s52
	s_sub_i32 s52, s31, s54
	s_mul_i32 s50, s6, s50
	s_sub_u32 s30, s30, s50
	s_cselect_b64 s[50:51], -1, 0
	s_cmp_lg_u64 s[50:51], 0
	s_subb_u32 s55, s52, s7
	s_sub_u32 s60, s30, s6
	s_cselect_b64 s[52:53], -1, 0
	s_cmp_lg_u64 s[52:53], 0
	s_subb_u32 s61, s55, 0
	s_cmp_ge_u32 s61, s7
	s_cselect_b32 s65, -1, 0
	s_cmp_ge_u32 s60, s6
	s_cselect_b32 s72, -1, 0
	s_cmp_eq_u32 s61, s7
	s_cselect_b32 s65, s72, s65
	s_cmp_lg_u64 s[52:53], 0
	s_subb_u32 s55, s55, s7
	s_sub_u32 s72, s60, s6
	s_cselect_b64 s[52:53], -1, 0
	s_cmp_lg_u64 s[52:53], 0
	s_subb_u32 s52, s55, 0
	s_cmp_lg_u32 s65, 0
	s_cselect_b32 s53, s72, s60
	s_cselect_b32 s52, s52, s61
	s_cmp_lg_u64 s[50:51], 0
	s_subb_u32 s31, s31, s54
	s_cmp_ge_u32 s31, s7
	s_cselect_b32 s50, -1, 0
	s_cmp_ge_u32 s30, s6
	s_cselect_b32 s6, -1, 0
	s_cmp_eq_u32 s31, s7
	s_cselect_b32 s6, s6, s50
	s_cmp_lg_u32 s6, 0
	s_cselect_b32 s7, s52, s31
	s_cselect_b32 s6, s53, s30
	s_xor_b64 s[6:7], s[6:7], s[8:9]
	s_sub_u32 s6, s6, s8
	s_subb_u32 s7, s7, s8
	s_mov_b64 s[60:61], s[70:71]
	s_cbranch_execnz .LBB13_231
.LBB13_230:                             ;   in Loop: Header=BB13_16 Depth=1
	v_cvt_f32_u32_e32 v4, s84
	s_sub_i32 s6, 0, s84
	v_rcp_iflag_f32_e32 v4, v4
	s_nop 0
	v_mul_f32_e32 v4, 0x4f7ffffe, v4
	v_cvt_u32_f32_e32 v4, v4
	s_nop 0
	v_readfirstlane_b32 s7, v4
	s_mul_i32 s6, s6, s7
	s_mul_hi_u32 s6, s7, s6
	s_add_i32 s7, s7, s6
	s_mul_hi_u32 s6, s95, s7
	s_mul_i32 s6, s6, s84
	s_sub_i32 s6, s95, s6
	s_sub_i32 s7, s6, s84
	s_cmp_ge_u32 s6, s84
	s_cselect_b32 s6, s7, s6
	s_sub_i32 s7, s6, s84
	s_cmp_ge_u32 s6, s84
	s_cselect_b32 s86, s7, s6
	s_mov_b64 s[6:7], s[86:87]
.LBB13_231:                             ;   in Loop: Header=BB13_16 Depth=1
	s_sub_u32 s50, s95, s6
	s_subb_u32 s51, s11, s7
	s_mov_b32 s55, s11
	v_cmp_gt_i64_e32 vcc, s[50:51], v[0:1]
	s_mov_b64 s[8:9], 0
	s_mov_b64 s[6:7], 0
                                        ; implicit-def: $vgpr47
	s_and_saveexec_b64 s[30:31], vcc
	s_cbranch_execz .LBB13_242
; %bb.232:                              ;   in Loop: Header=BB13_16 Depth=1
	s_mov_b32 s11, s55
	v_mov_b64_e32 v[4:5], v[12:13]
	v_mov_b64_e32 v[8:9], v[0:1]
                                        ; implicit-def: $sgpr52_sgpr53
	s_branch .LBB13_235
.LBB13_233:                             ;   in Loop: Header=BB13_235 Depth=2
	s_or_b64 exec, exec, s[54:55]
	s_waitcnt lgkmcnt(0)
	s_barrier
	ds_read_u16 v10, v3 offset:3072
	s_mov_b64 s[54:55], -1
	s_waitcnt lgkmcnt(0)
	s_barrier
	v_cmp_ne_u32_sdwa s[60:61], v10, v3 src0_sel:BYTE_0 src1_sel:DWORD
	s_and_b64 vcc, exec, s[60:61]
	s_mov_b64 s[60:61], -1
	s_cbranch_vccz .LBB13_238
.LBB13_234:                             ;   in Loop: Header=BB13_235 Depth=2
	s_and_b64 s[54:55], exec, s[54:55]
	s_or_b64 s[6:7], s[54:55], s[6:7]
	s_andn2_b64 s[52:53], s[52:53], exec
	s_and_b64 s[54:55], s[60:61], exec
	s_or_b64 s[52:53], s[52:53], s[54:55]
	s_andn2_b64 exec, exec, s[6:7]
	s_cbranch_execz .LBB13_241
.LBB13_235:                             ;   Parent Loop BB13_16 Depth=1
                                        ; =>  This Inner Loop Header: Depth=2
	v_cmp_gt_i64_e32 vcc, s[56:57], v[8:9]
	s_and_saveexec_b64 s[54:55], vcc
	s_cbranch_execz .LBB13_233
; %bb.236:                              ;   in Loop: Header=BB13_235 Depth=2
	global_load_ubyte v10, v[4:5], off
	s_waitcnt vmcnt(0)
	v_add_u32_sdwa v11, sext(v10), s15 dst_sel:DWORD dst_unused:UNUSED_PAD src0_sel:BYTE_0 src1_sel:DWORD
	v_and_b32_e32 v11, v11, v46
	v_cmp_eq_u32_e32 vcc, v11, v44
	s_and_b64 exec, exec, vcc
	s_cbranch_execz .LBB13_233
; %bb.237:                              ;   in Loop: Header=BB13_235 Depth=2
	v_lshlrev_b16_e32 v10, 8, v10
	v_or_b32_e32 v10, 1, v10
	ds_write_b16 v3, v10 offset:3072
	s_branch .LBB13_233
.LBB13_238:                             ;   in Loop: Header=BB13_235 Depth=2
	v_lshl_add_u64 v[8:9], v[8:9], 0, s[84:85]
	v_cmp_le_i64_e32 vcc, s[50:51], v[8:9]
	v_lshl_add_u64 v[4:5], v[4:5], 0, s[90:91]
	s_mov_b64 s[60:61], 0
	s_orn2_b64 s[54:55], vcc, exec
	s_branch .LBB13_234
.LBB13_239:                             ;   in Loop: Header=BB13_16 Depth=1
	s_mov_b32 s11, s55
                                        ; implicit-def: $sgpr6_sgpr7
	s_andn2_b64 vcc, exec, s[8:9]
	s_cbranch_vccz .LBB13_185
	s_branch .LBB13_186
.LBB13_240:                             ;   in Loop: Header=BB13_16 Depth=1
                                        ; implicit-def: $sgpr30_sgpr31
	s_branch .LBB13_201
.LBB13_241:                             ;   in Loop: Header=BB13_16 Depth=1
	s_or_b64 exec, exec, s[6:7]
	v_lshrrev_b32_sdwa v47, v45, v10 dst_sel:DWORD dst_unused:UNUSED_PAD src0_sel:DWORD src1_sel:WORD_0
	s_and_b64 s[6:7], s[52:53], exec
	s_mov_b32 s55, s11
	s_mov_b64 s[60:61], s[70:71]
.LBB13_242:                             ;   in Loop: Header=BB13_16 Depth=1
	s_or_b64 exec, exec, s[30:31]
	v_readlane_b32 s50, v66, 48
	v_readlane_b32 s51, v66, 49
.LBB13_243:                             ;   in Loop: Header=BB13_16 Depth=1
	s_and_b64 vcc, exec, s[8:9]
	s_cbranch_vccz .LBB13_257
; %bb.244:                              ;   in Loop: Header=BB13_16 Depth=1
	v_readlane_b32 s8, v66, 34
	s_add_u32 s48, s44, s8
	v_readlane_b32 s8, v66, 35
	s_addc_u32 s9, s45, s8
	s_mov_b32 s8, s87
	s_mov_b32 s11, s55
	s_cmp_lg_u64 s[8:9], 0
	s_cbranch_scc0 .LBB13_278
; %bb.245:                              ;   in Loop: Header=BB13_16 Depth=1
	s_add_u32 s30, s84, 0
	s_addc_u32 s31, 0, 0
	s_xor_b64 s[30:31], s[30:31], 0
	v_cvt_f32_u32_e32 v4, s30
	v_cvt_f32_u32_e32 v5, s31
	s_sub_u32 s8, 0, s30
	s_subb_u32 s49, 0, s31
	s_mov_b64 s[70:71], s[60:61]
	v_fmac_f32_e32 v4, 0x4f800000, v5
	v_rcp_f32_e32 v4, v4
	s_nop 0
	v_mul_f32_e32 v4, 0x5f7ffffc, v4
	v_mul_f32_e32 v5, 0x2f800000, v4
	v_trunc_f32_e32 v5, v5
	v_fmac_f32_e32 v4, 0xcf800000, v5
	v_cvt_u32_f32_e32 v5, v5
	v_cvt_u32_f32_e32 v4, v4
	v_readfirstlane_b32 s50, v5
	v_readfirstlane_b32 s46, v4
	s_mul_i32 s47, s8, s50
	s_mul_hi_u32 s52, s8, s46
	s_mul_i32 s51, s49, s46
	s_add_i32 s47, s52, s47
	s_mul_i32 s53, s8, s46
	s_add_i32 s47, s47, s51
	s_mul_i32 s52, s46, s47
	s_mul_hi_u32 s54, s46, s53
	s_mul_hi_u32 s51, s46, s47
	s_add_u32 s52, s54, s52
	s_addc_u32 s51, 0, s51
	s_mul_hi_u32 s55, s50, s53
	s_mul_i32 s53, s50, s53
	s_add_u32 s52, s52, s53
	s_mul_hi_u32 s54, s50, s47
	s_addc_u32 s51, s51, s55
	s_addc_u32 s52, s54, 0
	s_mul_i32 s47, s50, s47
	s_add_u32 s47, s51, s47
	s_addc_u32 s51, 0, s52
	s_add_u32 s52, s46, s47
	s_cselect_b64 s[46:47], -1, 0
	s_cmp_lg_u64 s[46:47], 0
	s_addc_u32 s50, s50, s51
	s_mul_i32 s46, s8, s50
	s_mul_hi_u32 s47, s8, s52
	s_add_i32 s46, s47, s46
	s_mul_i32 s49, s49, s52
	s_add_i32 s46, s46, s49
	s_mul_i32 s8, s8, s52
	s_mul_hi_u32 s49, s50, s8
	s_mul_i32 s51, s50, s8
	s_mul_i32 s54, s52, s46
	s_mul_hi_u32 s8, s52, s8
	s_mul_hi_u32 s53, s52, s46
	s_add_u32 s8, s8, s54
	s_addc_u32 s53, 0, s53
	s_add_u32 s8, s8, s51
	s_mul_hi_u32 s47, s50, s46
	s_addc_u32 s8, s53, s49
	s_addc_u32 s47, s47, 0
	s_mul_i32 s46, s50, s46
	s_add_u32 s8, s8, s46
	s_addc_u32 s49, 0, s47
	s_add_u32 s8, s52, s8
	s_cselect_b64 s[46:47], -1, 0
	s_cmp_lg_u64 s[46:47], 0
	s_addc_u32 s49, s50, s49
	s_ashr_i32 s46, s9, 31
	s_add_u32 s50, s48, s46
	s_mov_b32 s47, s46
	s_addc_u32 s51, s9, s46
	s_xor_b64 s[50:51], s[50:51], s[46:47]
	s_mul_i32 s53, s50, s49
	s_mul_hi_u32 s54, s50, s8
	s_mul_hi_u32 s52, s50, s49
	s_add_u32 s53, s54, s53
	s_addc_u32 s52, 0, s52
	s_mul_hi_u32 s55, s51, s8
	s_mul_i32 s8, s51, s8
	s_add_u32 s8, s53, s8
	s_mul_hi_u32 s54, s51, s49
	s_addc_u32 s8, s52, s55
	s_addc_u32 s52, s54, 0
	s_mul_i32 s49, s51, s49
	s_add_u32 s8, s8, s49
	s_addc_u32 s49, 0, s52
	s_mul_i32 s49, s30, s49
	s_mul_hi_u32 s52, s30, s8
	s_add_i32 s49, s52, s49
	s_mul_i32 s52, s31, s8
	s_add_i32 s49, s49, s52
	s_sub_i32 s54, s51, s49
	s_mul_i32 s8, s30, s8
	s_sub_u32 s8, s50, s8
	s_cselect_b64 s[52:53], -1, 0
	s_cmp_lg_u64 s[52:53], 0
	s_subb_u32 s50, s54, s31
	s_sub_u32 s60, s8, s30
	s_cselect_b64 s[54:55], -1, 0
	s_cmp_lg_u64 s[54:55], 0
	s_subb_u32 s61, s50, 0
	s_cmp_ge_u32 s61, s31
	s_cselect_b32 s65, -1, 0
	s_cmp_ge_u32 s60, s30
	s_cselect_b32 s72, -1, 0
	s_cmp_eq_u32 s61, s31
	s_cselect_b32 s65, s72, s65
	s_cmp_lg_u64 s[54:55], 0
	s_subb_u32 s50, s50, s31
	s_sub_u32 s72, s60, s30
	s_cselect_b64 s[54:55], -1, 0
	s_cmp_lg_u64 s[54:55], 0
	s_subb_u32 s50, s50, 0
	s_cmp_lg_u32 s65, 0
	s_cselect_b32 s54, s72, s60
	s_cselect_b32 s50, s50, s61
	s_cmp_lg_u64 s[52:53], 0
	s_subb_u32 s49, s51, s49
	s_cmp_ge_u32 s49, s31
	s_cselect_b32 s51, -1, 0
	s_cmp_ge_u32 s8, s30
	s_cselect_b32 s30, -1, 0
	s_cmp_eq_u32 s49, s31
	s_cselect_b32 s30, s30, s51
	s_cmp_lg_u32 s30, 0
	s_cselect_b32 s31, s50, s49
	s_cselect_b32 s30, s54, s8
	s_xor_b64 s[30:31], s[30:31], s[46:47]
	v_readlane_b32 s50, v66, 48
	s_sub_u32 s30, s30, s46
	s_mov_b64 s[60:61], s[70:71]
	v_readlane_b32 s51, v66, 49
	s_subb_u32 s31, s31, s46
	s_cbranch_execnz .LBB13_247
.LBB13_246:                             ;   in Loop: Header=BB13_16 Depth=1
	v_cvt_f32_u32_e32 v4, s84
	s_sub_i32 s8, 0, s84
	v_rcp_iflag_f32_e32 v4, v4
	s_nop 0
	v_mul_f32_e32 v4, 0x4f7ffffe, v4
	v_cvt_u32_f32_e32 v4, v4
	s_nop 0
	v_readfirstlane_b32 s30, v4
	s_mul_i32 s8, s8, s30
	s_mul_hi_u32 s8, s30, s8
	s_add_i32 s30, s30, s8
	s_mul_hi_u32 s8, s48, s30
	s_mul_i32 s8, s8, s84
	s_sub_i32 s8, s48, s8
	s_sub_i32 s30, s8, s84
	s_cmp_ge_u32 s8, s84
	s_cselect_b32 s8, s30, s8
	s_sub_i32 s30, s8, s84
	s_cmp_ge_u32 s8, s84
	s_cselect_b32 s86, s30, s8
	s_mov_b64 s[30:31], s[86:87]
.LBB13_247:                             ;   in Loop: Header=BB13_16 Depth=1
	s_sub_u32 s30, s48, s30
	s_subb_u32 s31, s9, s31
	v_cmp_gt_i64_e32 vcc, s[30:31], v[0:1]
                                        ; implicit-def: $vgpr47
	s_and_saveexec_b64 s[8:9], vcc
	s_mov_b32 s55, s11
	s_cbranch_execz .LBB13_256
; %bb.248:                              ;   in Loop: Header=BB13_16 Depth=1
	s_mov_b64 s[46:47], 0
	v_mov_b32_e32 v8, v0
	v_mov_b64_e32 v[4:5], v[0:1]
                                        ; implicit-def: $sgpr48_sgpr49
	s_branch .LBB13_251
.LBB13_249:                             ;   in Loop: Header=BB13_251 Depth=2
	s_or_b64 exec, exec, s[50:51]
	s_waitcnt lgkmcnt(0)
	s_barrier
	ds_read_u16 v9, v3 offset:3072
	s_mov_b64 s[50:51], -1
	s_waitcnt lgkmcnt(0)
	s_barrier
	v_cmp_eq_u32_sdwa s[52:53], v9, v3 src0_sel:BYTE_0 src1_sel:DWORD
	s_and_b64 vcc, exec, s[52:53]
	s_mov_b64 s[52:53], -1
	s_cbranch_vccnz .LBB13_254
.LBB13_250:                             ;   in Loop: Header=BB13_251 Depth=2
	s_and_b64 s[50:51], exec, s[50:51]
	s_or_b64 s[46:47], s[50:51], s[46:47]
	s_andn2_b64 s[48:49], s[48:49], exec
	s_and_b64 s[50:51], s[52:53], exec
	s_or_b64 s[48:49], s[48:49], s[50:51]
	s_andn2_b64 exec, exec, s[46:47]
	s_cbranch_execz .LBB13_255
.LBB13_251:                             ;   Parent Loop BB13_16 Depth=1
                                        ; =>  This Inner Loop Header: Depth=2
	v_cmp_gt_u64_e32 vcc, s[44:45], v[4:5]
	s_and_saveexec_b64 s[50:51], vcc
	s_cbranch_execz .LBB13_249
; %bb.252:                              ;   in Loop: Header=BB13_251 Depth=2
	ds_read_u8 v9, v8
	s_waitcnt lgkmcnt(0)
	v_add_u32_sdwa v10, sext(v9), s15 dst_sel:DWORD dst_unused:UNUSED_PAD src0_sel:BYTE_0 src1_sel:DWORD
	v_and_b32_e32 v10, v10, v46
	v_cmp_eq_u32_e32 vcc, v10, v44
	s_and_b64 exec, exec, vcc
	s_cbranch_execz .LBB13_249
; %bb.253:                              ;   in Loop: Header=BB13_251 Depth=2
	v_lshlrev_b16_e32 v9, 8, v9
	v_or_b32_e32 v9, 1, v9
	ds_write_b16 v3, v9 offset:3072
	s_branch .LBB13_249
.LBB13_254:                             ;   in Loop: Header=BB13_251 Depth=2
	v_lshl_add_u64 v[4:5], v[4:5], 0, s[84:85]
	v_cmp_le_i64_e32 vcc, s[30:31], v[4:5]
	v_add_u32_e32 v8, s84, v8
	s_mov_b64 s[52:53], 0
	s_orn2_b64 s[50:51], vcc, exec
	s_branch .LBB13_250
.LBB13_255:                             ;   in Loop: Header=BB13_16 Depth=1
	s_or_b64 exec, exec, s[46:47]
	s_andn2_b64 s[6:7], s[6:7], exec
	s_and_b64 s[30:31], s[48:49], exec
	v_readlane_b32 s50, v66, 48
	v_lshrrev_b32_sdwa v47, v45, v9 dst_sel:DWORD dst_unused:UNUSED_PAD src0_sel:DWORD src1_sel:WORD_0
	s_or_b64 s[6:7], s[6:7], s[30:31]
	v_readlane_b32 s51, v66, 49
.LBB13_256:                             ;   in Loop: Header=BB13_16 Depth=1
	s_or_b64 exec, exec, s[8:9]
	s_mov_b64 s[46:47], 0
	s_mov_b64 s[48:49], -1
.LBB13_257:                             ;   in Loop: Header=BB13_16 Depth=1
	s_orn2_b64 s[8:9], s[6:7], exec
	s_mov_b32 s44, 0xc0c0004
	s_mov_b32 s45, s58
.LBB13_258:                             ;   in Loop: Header=BB13_16 Depth=1
	s_or_b64 exec, exec, s[42:43]
	s_mov_b64 s[30:31], 0
	s_and_saveexec_b64 s[6:7], s[8:9]
	s_cbranch_execz .LBB13_269
; %bb.259:                              ;   in Loop: Header=BB13_16 Depth=1
	s_xor_b64 s[30:31], s[40:41], -1
	v_mov_b64_e32 v[4:5], 1
	v_mov_b32_e32 v2, 1
	s_and_saveexec_b64 s[8:9], s[30:31]
	s_cbranch_execz .LBB13_268
; %bb.260:                              ;   in Loop: Header=BB13_16 Depth=1
	v_cmp_ge_i64_e32 vcc, s[2:3], v[6:7]
	s_and_saveexec_b64 s[30:31], vcc
	s_xor_b64 s[30:31], exec, s[30:31]
	s_cbranch_execz .LBB13_265
; %bb.261:                              ;   in Loop: Header=BB13_16 Depth=1
	ds_read_b64 v[4:5], v3 offset:5120
	v_or_b32_e32 v44, s64, v44
	v_or_b32_e32 v46, s64, v46
	s_waitcnt lgkmcnt(0)
	v_cmp_ne_u64_e32 vcc, 0, v[4:5]
	s_cbranch_vccnz .LBB13_265
; %bb.262:                              ;   in Loop: Header=BB13_16 Depth=1
	s_mov_b64 s[40:41], exec
	v_readlane_b32 s42, v66, 12
	v_readlane_b32 s43, v66, 13
	s_and_b64 s[42:43], s[40:41], s[42:43]
	s_mov_b64 exec, s[42:43]
; %bb.263:                              ;   in Loop: Header=BB13_16 Depth=1
	v_mov_b64_e32 v[4:5], s[2:3]
	ds_write_b64 v3, v[4:5] offset:5128
; %bb.264:                              ;   in Loop: Header=BB13_16 Depth=1
	s_or_b64 exec, exec, s[40:41]
	s_waitcnt lgkmcnt(0)
	s_barrier
.LBB13_265:                             ;   in Loop: Header=BB13_16 Depth=1
	s_andn2_saveexec_b64 s[30:31], s[30:31]
; %bb.266:                              ;   in Loop: Header=BB13_16 Depth=1
	v_mov_b32_e32 v2, s3
	v_subrev_co_u32_e32 v6, vcc, s2, v6
	s_nop 1
	v_subb_co_u32_e32 v7, vcc, v7, v2, vcc
; %bb.267:                              ;   in Loop: Header=BB13_16 Depth=1
	s_or_b64 exec, exec, s[30:31]
	v_mov_b32_e32 v2, 8
	v_mov_b64_e32 v[4:5], v[6:7]
.LBB13_268:                             ;   in Loop: Header=BB13_16 Depth=1
	s_or_b64 exec, exec, s[8:9]
	s_mov_b64 s[30:31], exec
	v_mov_b64_e32 v[6:7], v[4:5]
.LBB13_269:                             ;   in Loop: Header=BB13_16 Depth=1
	s_or_b64 exec, exec, s[6:7]
	s_orn2_b64 s[6:7], s[30:31], exec
.LBB13_270:                             ;   in Loop: Header=BB13_16 Depth=1
	s_or_b64 exec, exec, s[22:23]
	s_andn2_b64 s[2:3], s[36:37], exec
	s_and_b64 s[8:9], s[48:49], exec
	s_or_b64 s[36:37], s[2:3], s[8:9]
	s_andn2_b64 s[2:3], s[34:35], exec
	s_and_b64 s[8:9], s[46:47], exec
	s_or_b64 s[34:35], s[2:3], s[8:9]
	s_and_b64 s[8:9], s[6:7], exec
	v_mov_b64_e32 v[4:5], v[6:7]
.LBB13_271:                             ;   in Loop: Header=BB13_16 Depth=1
	s_or_b64 exec, exec, s[38:39]
	s_orn2_b64 s[6:7], s[8:9], exec
.LBB13_272:                             ;   in Loop: Header=BB13_16 Depth=1
	s_or_b64 exec, exec, s[28:29]
	s_andn2_b64 s[2:3], s[24:25], exec
	s_and_b64 s[8:9], s[36:37], exec
	s_or_b64 s[24:25], s[2:3], s[8:9]
	s_andn2_b64 s[0:1], s[0:1], exec
	s_and_b64 s[2:3], s[34:35], exec
	s_or_b64 s[0:1], s[0:1], s[2:3]
	s_and_b64 s[8:9], s[6:7], exec
	v_mov_b64_e32 v[8:9], v[4:5]
.LBB13_273:                             ;   in Loop: Header=BB13_16 Depth=1
	s_or_b64 exec, exec, s[26:27]
	s_orn2_b64 s[6:7], s[8:9], exec
.LBB13_274:                             ;   in Loop: Header=BB13_16 Depth=1
	s_or_b64 exec, exec, s[20:21]
	s_mov_b64 s[8:9], 0
	s_and_saveexec_b64 s[2:3], s[6:7]
	s_xor_b64 s[2:3], exec, s[2:3]
	s_cbranch_execz .LBB13_14
; %bb.275:                              ;   in Loop: Header=BB13_16 Depth=1
	v_and_b32_e32 v2, 7, v2
	v_cmp_eq_u32_e32 vcc, 0, v2
	s_mov_b64 s[6:7], -1
	s_mov_b64 s[8:9], -1
	s_and_saveexec_b64 s[18:19], vcc
	s_cbranch_execz .LBB13_13
; %bb.276:                              ;   in Loop: Header=BB13_16 Depth=1
	s_xor_b32 s45, s45, 1
	s_add_i32 s20, s14, -2
	s_cmp_eq_u32 s14, 0
	s_cselect_b64 s[6:7], -1, 0
	s_xor_b64 s[8:9], exec, -1
	s_orn2_b64 s[6:7], s[6:7], exec
	s_mov_b32 s14, s20
	s_branch .LBB13_13
.LBB13_277:                             ;   in Loop: Header=BB13_16 Depth=1
	s_mov_b32 s11, s61
                                        ; implicit-def: $sgpr6_sgpr7
	s_andn2_b64 vcc, exec, s[8:9]
	s_mov_b64 s[60:61], s[70:71]
	s_cbranch_vccz .LBB13_230
	s_branch .LBB13_231
.LBB13_278:                             ;   in Loop: Header=BB13_16 Depth=1
                                        ; implicit-def: $sgpr30_sgpr31
	s_branch .LBB13_246
.LBB13_279:
	s_or_b64 exec, exec, s[68:69]
	s_xor_b64 s[6:7], s[80:81], -1
	s_xor_b64 s[0:1], s[74:75], -1
	;; [unrolled: 1-line block ×3, first 2 shown]
	s_mov_b64 s[2:3], 0
	s_and_saveexec_b64 s[8:9], s[0:1]
	s_xor_b64 s[0:1], exec, s[8:9]
	s_cbranch_execnz .LBB13_284
; %bb.280:
	s_andn2_saveexec_b64 s[0:1], s[0:1]
	s_cbranch_execnz .LBB13_309
.LBB13_281:
	s_or_b64 exec, exec, s[0:1]
	s_and_saveexec_b64 s[0:1], s[2:3]
.LBB13_282:
	; divergent unreachable
.LBB13_283:
	s_endpgm
.LBB13_284:
	s_and_saveexec_b64 s[2:3], s[6:7]
	s_xor_b64 s[2:3], exec, s[2:3]
	s_cbranch_execz .LBB13_307
; %bb.285:
	s_and_saveexec_b64 s[6:7], s[4:5]
	s_xor_b64 s[4:5], exec, s[6:7]
; %bb.286:
	v_xor_b32_e32 v47, 0xffffff80, v44
; %bb.287:
	s_or_b64 exec, exec, s[4:5]
	s_mov_b64 s[4:5], exec
	v_readlane_b32 s6, v66, 12
	v_readlane_b32 s7, v66, 13
	;; [unrolled: 1-line block ×3, first 2 shown]
	s_and_b64 s[6:7], s[4:5], s[6:7]
	v_readlane_b32 s24, v66, 22
	v_readlane_b32 s27, v66, 7
	;; [unrolled: 1-line block ×3, first 2 shown]
	s_mov_b64 exec, s[6:7]
; %bb.288:
	v_mov_b32_e32 v2, 0
	v_mov_b32_e32 v3, s56
	ds_write_b32 v2, v3 offset:5140
; %bb.289:
	s_or_b64 exec, exec, s[4:5]
	s_waitcnt lgkmcnt(0)
	s_barrier
	s_mov_b64 s[4:5], exec
	v_readlane_b32 s6, v66, 30
	v_readlane_b32 s7, v66, 31
	s_and_b64 s[6:7], s[4:5], s[6:7]
	s_mov_b64 exec, s[6:7]
	s_cbranch_execz .LBB13_304
; %bb.290:
	v_mov_b32_e32 v2, 0
	ds_read_b32 v4, v2 offset:5140
	s_mov_b64 s[6:7], 0
                                        ; implicit-def: $sgpr8_sgpr9
                                        ; implicit-def: $sgpr10_sgpr11
                                        ; implicit-def: $sgpr12_sgpr13
	s_waitcnt lgkmcnt(0)
	v_ashrrev_i32_e32 v5, 31, v4
	s_branch .LBB13_293
.LBB13_291:                             ;   in Loop: Header=BB13_293 Depth=1
	s_or_b64 exec, exec, s[20:21]
	s_andn2_b64 s[12:13], s[12:13], exec
	s_and_b64 s[18:19], s[18:19], exec
	s_andn2_b64 s[10:11], s[10:11], exec
	s_and_b64 s[16:17], s[16:17], exec
	s_or_b64 s[12:13], s[12:13], s[18:19]
	s_or_b64 s[10:11], s[10:11], s[16:17]
.LBB13_292:                             ;   in Loop: Header=BB13_293 Depth=1
	s_or_b64 exec, exec, s[14:15]
	s_and_b64 s[14:15], exec, s[10:11]
	s_or_b64 s[6:7], s[14:15], s[6:7]
	s_andn2_b64 s[8:9], s[8:9], exec
	s_and_b64 s[14:15], s[12:13], exec
	s_or_b64 s[8:9], s[8:9], s[14:15]
	s_andn2_b64 exec, exec, s[6:7]
	s_cbranch_execz .LBB13_299
.LBB13_293:                             ; =>This Inner Loop Header: Depth=1
	v_mov_b64_e32 v[2:3], v[0:1]
	v_cmp_lt_i64_e32 vcc, v[2:3], v[4:5]
	s_or_b64 s[12:13], s[12:13], exec
	s_or_b64 s[10:11], s[10:11], exec
                                        ; implicit-def: $vgpr0_vgpr1
	s_and_saveexec_b64 s[14:15], vcc
	s_cbranch_execz .LBB13_292
; %bb.294:                              ;   in Loop: Header=BB13_293 Depth=1
	global_load_ubyte v0, v[12:13], off
	s_mov_b64 s[16:17], -1
	s_mov_b64 s[18:19], 0
	s_waitcnt vmcnt(0)
	v_cmp_ne_u16_sdwa s[22:23], v0, v47 src0_sel:DWORD src1_sel:BYTE_0
                                        ; implicit-def: $vgpr0_vgpr1
	s_and_saveexec_b64 s[20:21], s[22:23]
	s_cbranch_execz .LBB13_291
; %bb.295:                              ;   in Loop: Header=BB13_293 Depth=1
	v_lshl_add_u64 v[0:1], v[2:3], 0, s[84:85]
	v_cmp_le_i64_e32 vcc, s[56:57], v[0:1]
	s_mov_b64 s[18:19], exec
	v_lshl_add_u64 v[12:13], v[12:13], 0, s[90:91]
	s_orn2_b64 s[16:17], vcc, exec
	s_branch .LBB13_291
.LBB13_296:
                                        ; implicit-def: $sgpr16_sgpr17
	s_branch .LBB13_3
.LBB13_297:
                                        ; implicit-def: $sgpr14_sgpr15
	s_branch .LBB13_6
.LBB13_298:
                                        ; implicit-def: $sgpr6_sgpr7
                                        ; kill: killed $sgpr6_sgpr7
	s_load_dwordx2 s[18:19], s[0:1], 0x0
	s_branch .LBB13_9
.LBB13_299:
	s_or_b64 exec, exec, s[6:7]
	s_xor_b64 s[6:7], s[8:9], -1
	s_and_saveexec_b64 s[8:9], s[6:7]
	s_xor_b64 s[8:9], exec, s[8:9]
	s_cbranch_execz .LBB13_304
; %bb.300:
	s_mov_b64 s[6:7], exec
	s_brev_b32 s8, -2
.LBB13_301:                             ; =>This Inner Loop Header: Depth=1
	s_ff1_i32_b64 s9, s[6:7]
	v_readlane_b32 s12, v2, s9
	s_lshl_b64 s[10:11], 1, s9
	s_min_i32 s8, s8, s12
	s_andn2_b64 s[6:7], s[6:7], s[10:11]
	s_cmp_lg_u64 s[6:7], 0
	s_cbranch_scc1 .LBB13_301
; %bb.302:
	v_mbcnt_lo_u32_b32 v0, exec_lo, 0
	v_mbcnt_hi_u32_b32 v0, exec_hi, v0
	v_cmp_eq_u32_e32 vcc, 0, v0
	s_and_saveexec_b64 s[6:7], vcc
	s_xor_b64 s[6:7], exec, s[6:7]
; %bb.303:
	v_mov_b32_e32 v0, 0
	v_mov_b32_e32 v1, s8
	ds_min_i32 v0, v1 offset:5140
.LBB13_304:
	s_or_b64 exec, exec, s[4:5]
	s_waitcnt lgkmcnt(0)
	s_barrier
	s_mov_b64 s[4:5], exec
	v_readlane_b32 s6, v66, 12
	v_readlane_b32 s7, v66, 13
	s_and_b64 s[6:7], s[4:5], s[6:7]
	s_mov_b64 exec, s[6:7]
	s_cbranch_execz .LBB13_306
; %bb.305:
	v_readlane_b32 s8, v66, 0
	v_readlane_b32 s9, v66, 1
	;; [unrolled: 1-line block ×4, first 2 shown]
	s_mul_i32 s6, s14, s9
	s_mul_hi_u32 s7, s14, s8
	s_add_i32 s6, s7, s6
	s_mul_i32 s7, s15, s8
	s_add_i32 s6, s6, s7
	s_mul_i32 s7, s14, s8
	v_readlane_b32 s16, v66, 18
	s_sub_u32 s7, s24, s7
	v_readlane_b32 s18, v66, 20
	v_readlane_b32 s19, v66, 21
	s_subb_u32 s6, 0, s6
	s_mul_i32 s8, s7, s19
	s_mul_hi_u32 s9, s7, s18
	v_readlane_b32 s17, v66, 19
	s_add_i32 s8, s9, s8
	s_mul_i32 s6, s6, s18
	s_add_i32 s11, s8, s6
	s_mul_i32 s10, s7, s18
	s_mul_i32 s6, s14, s17
	s_mul_hi_u32 s7, s14, s16
	s_add_i32 s6, s7, s6
	s_mul_i32 s7, s15, s16
	s_mul_i32 s13, s14, s16
	v_readlane_b32 s14, v66, 4
	s_add_i32 s12, s6, s7
	v_readlane_b32 s15, v66, 5
	s_mul_i32 s6, s14, s27
	s_mul_hi_u32 s7, s14, s26
	s_add_i32 s6, s7, s6
	s_mul_i32 s7, s15, s26
	s_add_i32 s6, s6, s7
	s_mul_i32 s7, s14, s26
	v_readlane_b32 s16, v66, 14
	s_sub_u32 s8, s24, s7
	v_readlane_b32 s18, v66, 16
	v_readlane_b32 s19, v66, 17
	s_subb_u32 s6, 0, s6
	s_mul_i32 s7, s8, s19
	s_mul_hi_u32 s9, s8, s18
	v_readlane_b32 s17, v66, 15
	s_add_i32 s7, s9, s7
	s_mul_i32 s6, s6, s18
	s_add_i32 s7, s7, s6
	s_mul_i32 s6, s8, s18
	s_mul_i32 s8, s14, s17
	s_mul_hi_u32 s9, s14, s16
	s_add_i32 s8, s9, s8
	s_mul_i32 s9, s15, s16
	s_add_i32 s9, s8, s9
	s_mul_i32 s8, s14, s16
	v_readlane_b32 s14, v66, 10
	v_readlane_b32 s15, v66, 11
	s_add_u32 s13, s14, s13
	s_addc_u32 s12, s15, s12
	v_mov_b32_e32 v2, 0
	s_add_u32 s10, s13, s10
	ds_read_b32 v0, v2 offset:5140
	s_addc_u32 s11, s12, s11
	s_lshl_b64 s[8:9], s[8:9], 3
	v_readlane_b32 s12, v66, 8
	v_readlane_b32 s13, v66, 9
	s_add_u32 s8, s12, s8
	s_addc_u32 s9, s13, s9
	s_lshl_b64 s[6:7], s[6:7], 3
	s_add_u32 s6, s8, s6
	s_addc_u32 s7, s9, s7
	s_waitcnt lgkmcnt(0)
	v_ashrrev_i32_e32 v1, 31, v0
	global_store_dwordx2 v2, v[0:1], s[6:7]
	global_store_byte v2, v47, s[10:11]
.LBB13_306:
	s_or_b64 exec, exec, s[4:5]
.LBB13_307:
	s_or_saveexec_b64 s[2:3], s[2:3]
	s_mov_b64 s[4:5], 0
	s_xor_b64 exec, exec, s[2:3]
	s_cbranch_execnz .LBB13_310
.LBB13_308:
	s_or_b64 exec, exec, s[2:3]
	s_and_b64 s[2:3], s[4:5], exec
	s_andn2_saveexec_b64 s[0:1], s[0:1]
	s_cbranch_execz .LBB13_281
.LBB13_309:
	s_or_b64 s[2:3], s[2:3], exec
	s_trap 2
	s_or_b64 exec, exec, s[0:1]
	s_and_saveexec_b64 s[0:1], s[2:3]
	s_cbranch_execnz .LBB13_282
	s_branch .LBB13_283
.LBB13_310:
	s_mov_b64 s[4:5], exec
	s_trap 2
	s_branch .LBB13_308
	.section	.rodata,"a",@progbits
	.p2align	6, 0x0
	.amdhsa_kernel _ZN2at6native12_GLOBAL__N_114gatherKthValueIalLi2EEEvNS_4cuda6detail10TensorInfoIKT_T0_EES8_S8_S8_S8_NS5_IS6_S8_EENS5_IlS8_EE
		.amdhsa_group_segment_fixed_size 5144
		.amdhsa_private_segment_fixed_size 0
		.amdhsa_kernarg_size 1536
		.amdhsa_user_sgpr_count 2
		.amdhsa_user_sgpr_dispatch_ptr 0
		.amdhsa_user_sgpr_queue_ptr 0
		.amdhsa_user_sgpr_kernarg_segment_ptr 1
		.amdhsa_user_sgpr_dispatch_id 0
		.amdhsa_user_sgpr_kernarg_preload_length 0
		.amdhsa_user_sgpr_kernarg_preload_offset 0
		.amdhsa_user_sgpr_private_segment_size 0
		.amdhsa_uses_dynamic_stack 0
		.amdhsa_enable_private_segment 0
		.amdhsa_system_sgpr_workgroup_id_x 1
		.amdhsa_system_sgpr_workgroup_id_y 1
		.amdhsa_system_sgpr_workgroup_id_z 1
		.amdhsa_system_sgpr_workgroup_info 0
		.amdhsa_system_vgpr_workitem_id 0
		.amdhsa_next_free_vgpr 67
		.amdhsa_next_free_sgpr 100
		.amdhsa_accum_offset 68
		.amdhsa_reserve_vcc 1
		.amdhsa_float_round_mode_32 0
		.amdhsa_float_round_mode_16_64 0
		.amdhsa_float_denorm_mode_32 3
		.amdhsa_float_denorm_mode_16_64 3
		.amdhsa_dx10_clamp 1
		.amdhsa_ieee_mode 1
		.amdhsa_fp16_overflow 0
		.amdhsa_tg_split 0
		.amdhsa_exception_fp_ieee_invalid_op 0
		.amdhsa_exception_fp_denorm_src 0
		.amdhsa_exception_fp_ieee_div_zero 0
		.amdhsa_exception_fp_ieee_overflow 0
		.amdhsa_exception_fp_ieee_underflow 0
		.amdhsa_exception_fp_ieee_inexact 0
		.amdhsa_exception_int_div_zero 0
	.end_amdhsa_kernel
	.section	.text._ZN2at6native12_GLOBAL__N_114gatherKthValueIalLi2EEEvNS_4cuda6detail10TensorInfoIKT_T0_EES8_S8_S8_S8_NS5_IS6_S8_EENS5_IlS8_EE,"axG",@progbits,_ZN2at6native12_GLOBAL__N_114gatherKthValueIalLi2EEEvNS_4cuda6detail10TensorInfoIKT_T0_EES8_S8_S8_S8_NS5_IS6_S8_EENS5_IlS8_EE,comdat
.Lfunc_end13:
	.size	_ZN2at6native12_GLOBAL__N_114gatherKthValueIalLi2EEEvNS_4cuda6detail10TensorInfoIKT_T0_EES8_S8_S8_S8_NS5_IS6_S8_EENS5_IlS8_EE, .Lfunc_end13-_ZN2at6native12_GLOBAL__N_114gatherKthValueIalLi2EEEvNS_4cuda6detail10TensorInfoIKT_T0_EES8_S8_S8_S8_NS5_IS6_S8_EENS5_IlS8_EE
                                        ; -- End function
	.set _ZN2at6native12_GLOBAL__N_114gatherKthValueIalLi2EEEvNS_4cuda6detail10TensorInfoIKT_T0_EES8_S8_S8_S8_NS5_IS6_S8_EENS5_IlS8_EE.num_vgpr, 67
	.set _ZN2at6native12_GLOBAL__N_114gatherKthValueIalLi2EEEvNS_4cuda6detail10TensorInfoIKT_T0_EES8_S8_S8_S8_NS5_IS6_S8_EENS5_IlS8_EE.num_agpr, 0
	.set _ZN2at6native12_GLOBAL__N_114gatherKthValueIalLi2EEEvNS_4cuda6detail10TensorInfoIKT_T0_EES8_S8_S8_S8_NS5_IS6_S8_EENS5_IlS8_EE.numbered_sgpr, 100
	.set _ZN2at6native12_GLOBAL__N_114gatherKthValueIalLi2EEEvNS_4cuda6detail10TensorInfoIKT_T0_EES8_S8_S8_S8_NS5_IS6_S8_EENS5_IlS8_EE.num_named_barrier, 0
	.set _ZN2at6native12_GLOBAL__N_114gatherKthValueIalLi2EEEvNS_4cuda6detail10TensorInfoIKT_T0_EES8_S8_S8_S8_NS5_IS6_S8_EENS5_IlS8_EE.private_seg_size, 0
	.set _ZN2at6native12_GLOBAL__N_114gatherKthValueIalLi2EEEvNS_4cuda6detail10TensorInfoIKT_T0_EES8_S8_S8_S8_NS5_IS6_S8_EENS5_IlS8_EE.uses_vcc, 1
	.set _ZN2at6native12_GLOBAL__N_114gatherKthValueIalLi2EEEvNS_4cuda6detail10TensorInfoIKT_T0_EES8_S8_S8_S8_NS5_IS6_S8_EENS5_IlS8_EE.uses_flat_scratch, 0
	.set _ZN2at6native12_GLOBAL__N_114gatherKthValueIalLi2EEEvNS_4cuda6detail10TensorInfoIKT_T0_EES8_S8_S8_S8_NS5_IS6_S8_EENS5_IlS8_EE.has_dyn_sized_stack, 0
	.set _ZN2at6native12_GLOBAL__N_114gatherKthValueIalLi2EEEvNS_4cuda6detail10TensorInfoIKT_T0_EES8_S8_S8_S8_NS5_IS6_S8_EENS5_IlS8_EE.has_recursion, 0
	.set _ZN2at6native12_GLOBAL__N_114gatherKthValueIalLi2EEEvNS_4cuda6detail10TensorInfoIKT_T0_EES8_S8_S8_S8_NS5_IS6_S8_EENS5_IlS8_EE.has_indirect_call, 0
	.section	.AMDGPU.csdata,"",@progbits
; Kernel info:
; codeLenInByte = 19272
; TotalNumSgprs: 106
; NumVgprs: 67
; NumAgprs: 0
; TotalNumVgprs: 67
; ScratchSize: 0
; MemoryBound: 0
; FloatMode: 240
; IeeeMode: 1
; LDSByteSize: 5144 bytes/workgroup (compile time only)
; SGPRBlocks: 13
; VGPRBlocks: 8
; NumSGPRsForWavesPerEU: 106
; NumVGPRsForWavesPerEU: 67
; AccumOffset: 68
; Occupancy: 7
; WaveLimiterHint : 1
; COMPUTE_PGM_RSRC2:SCRATCH_EN: 0
; COMPUTE_PGM_RSRC2:USER_SGPR: 2
; COMPUTE_PGM_RSRC2:TRAP_HANDLER: 0
; COMPUTE_PGM_RSRC2:TGID_X_EN: 1
; COMPUTE_PGM_RSRC2:TGID_Y_EN: 1
; COMPUTE_PGM_RSRC2:TGID_Z_EN: 1
; COMPUTE_PGM_RSRC2:TIDIG_COMP_CNT: 0
; COMPUTE_PGM_RSRC3_GFX90A:ACCUM_OFFSET: 16
; COMPUTE_PGM_RSRC3_GFX90A:TG_SPLIT: 0
	.section	.text._ZN2at6native12_GLOBAL__N_114gatherKthValueIalLi3EEEvNS_4cuda6detail10TensorInfoIKT_T0_EES8_S8_S8_S8_NS5_IS6_S8_EENS5_IlS8_EE,"axG",@progbits,_ZN2at6native12_GLOBAL__N_114gatherKthValueIalLi3EEEvNS_4cuda6detail10TensorInfoIKT_T0_EES8_S8_S8_S8_NS5_IS6_S8_EENS5_IlS8_EE,comdat
	.globl	_ZN2at6native12_GLOBAL__N_114gatherKthValueIalLi3EEEvNS_4cuda6detail10TensorInfoIKT_T0_EES8_S8_S8_S8_NS5_IS6_S8_EENS5_IlS8_EE ; -- Begin function _ZN2at6native12_GLOBAL__N_114gatherKthValueIalLi3EEEvNS_4cuda6detail10TensorInfoIKT_T0_EES8_S8_S8_S8_NS5_IS6_S8_EENS5_IlS8_EE
	.p2align	8
	.type	_ZN2at6native12_GLOBAL__N_114gatherKthValueIalLi3EEEvNS_4cuda6detail10TensorInfoIKT_T0_EES8_S8_S8_S8_NS5_IS6_S8_EENS5_IlS8_EE,@function
_ZN2at6native12_GLOBAL__N_114gatherKthValueIalLi3EEEvNS_4cuda6detail10TensorInfoIKT_T0_EES8_S8_S8_S8_NS5_IS6_S8_EENS5_IlS8_EE: ; @_ZN2at6native12_GLOBAL__N_114gatherKthValueIalLi3EEEvNS_4cuda6detail10TensorInfoIKT_T0_EES8_S8_S8_S8_NS5_IS6_S8_EENS5_IlS8_EE
; %bb.0:
	s_load_dwordx2 s[14:15], s[0:1], 0x500
	s_load_dwordx8 s[56:63], s[0:1], 0x1a0
	s_add_u32 s12, s0, 0x500
	s_addc_u32 s13, s1, 0
	s_mov_b32 s43, 0
	s_waitcnt lgkmcnt(0)
	s_mul_i32 s4, s15, s4
	s_add_i32 s3, s4, s3
	s_mul_i32 s3, s3, s14
	s_add_i32 s42, s3, s2
	v_mov_b64_e32 v[2:3], s[42:43]
	v_cmp_le_i64_e32 vcc, s[60:61], v[2:3]
	s_cbranch_vccnz .LBB14_304
; %bb.1:
	s_load_dwordx4 s[4:7], s[0:1], 0x10
	s_mov_b32 s8, s43
	s_waitcnt lgkmcnt(0)
	s_mov_b32 s9, s7
	s_cmp_lg_u64 s[8:9], 0
	s_cbranch_scc0 .LBB14_18
; %bb.2:
	s_ashr_i32 s8, s7, 31
	s_add_u32 s10, s6, s8
	s_mov_b32 s9, s8
	s_addc_u32 s11, s7, s8
	s_xor_b64 s[16:17], s[10:11], s[8:9]
	v_cvt_f32_u32_e32 v1, s16
	v_cvt_f32_u32_e32 v2, s17
	s_sub_u32 s3, 0, s16
	s_subb_u32 s15, 0, s17
	v_fmamk_f32 v1, v2, 0x4f800000, v1
	v_rcp_f32_e32 v1, v1
	s_nop 0
	v_mul_f32_e32 v1, 0x5f7ffffc, v1
	v_mul_f32_e32 v2, 0x2f800000, v1
	v_trunc_f32_e32 v2, v2
	v_fmamk_f32 v1, v2, 0xcf800000, v1
	v_cvt_u32_f32_e32 v2, v2
	v_cvt_u32_f32_e32 v1, v1
	v_readfirstlane_b32 s20, v2
	v_readfirstlane_b32 s18, v1
	s_mul_i32 s19, s3, s20
	s_mul_hi_u32 s22, s3, s18
	s_mul_i32 s21, s15, s18
	s_add_i32 s19, s22, s19
	s_add_i32 s19, s19, s21
	s_mul_i32 s23, s3, s18
	s_mul_i32 s22, s18, s19
	s_mul_hi_u32 s24, s18, s23
	s_mul_hi_u32 s21, s18, s19
	s_add_u32 s22, s24, s22
	s_addc_u32 s21, 0, s21
	s_mul_hi_u32 s25, s20, s23
	s_mul_i32 s23, s20, s23
	s_add_u32 s22, s22, s23
	s_mul_hi_u32 s24, s20, s19
	s_addc_u32 s21, s21, s25
	s_addc_u32 s22, s24, 0
	s_mul_i32 s19, s20, s19
	s_add_u32 s19, s21, s19
	s_addc_u32 s21, 0, s22
	s_add_u32 s22, s18, s19
	s_cselect_b64 s[18:19], -1, 0
	s_cmp_lg_u64 s[18:19], 0
	s_addc_u32 s20, s20, s21
	s_mul_i32 s18, s3, s20
	s_mul_hi_u32 s19, s3, s22
	s_add_i32 s18, s19, s18
	s_mul_i32 s15, s15, s22
	s_add_i32 s18, s18, s15
	s_mul_i32 s3, s3, s22
	s_mul_hi_u32 s19, s20, s3
	s_mul_i32 s21, s20, s3
	s_mul_i32 s24, s22, s18
	s_mul_hi_u32 s3, s22, s3
	s_mul_hi_u32 s23, s22, s18
	s_add_u32 s3, s3, s24
	s_addc_u32 s23, 0, s23
	s_add_u32 s3, s3, s21
	s_mul_hi_u32 s15, s20, s18
	s_addc_u32 s3, s23, s19
	s_addc_u32 s15, s15, 0
	s_mul_i32 s18, s20, s18
	s_add_u32 s3, s3, s18
	s_addc_u32 s15, 0, s15
	s_add_u32 s3, s22, s3
	s_cselect_b64 s[18:19], -1, 0
	s_cmp_lg_u64 s[18:19], 0
	s_addc_u32 s15, s20, s15
	s_add_u32 s18, s42, 0
	s_addc_u32 s19, 0, 0
	s_xor_b64 s[18:19], s[18:19], 0
	s_mul_i32 s21, s18, s15
	s_mul_hi_u32 s22, s18, s3
	s_mul_hi_u32 s20, s18, s15
	s_add_u32 s21, s22, s21
	s_addc_u32 s20, 0, s20
	s_mul_hi_u32 s23, s19, s3
	s_mul_i32 s3, s19, s3
	s_add_u32 s3, s21, s3
	s_mul_hi_u32 s22, s19, s15
	s_addc_u32 s3, s20, s23
	s_addc_u32 s20, s22, 0
	s_mul_i32 s15, s19, s15
	s_add_u32 s3, s3, s15
	s_addc_u32 s15, 0, s20
	s_mul_i32 s20, s16, s15
	s_mul_hi_u32 s21, s16, s3
	s_add_i32 s20, s21, s20
	s_mul_i32 s21, s17, s3
	s_add_i32 s24, s20, s21
	s_sub_i32 s22, s19, s24
	s_mul_i32 s20, s16, s3
	s_sub_u32 s18, s18, s20
	s_cselect_b64 s[20:21], -1, 0
	s_cmp_lg_u64 s[20:21], 0
	s_subb_u32 s25, s22, s17
	s_sub_u32 s26, s18, s16
	s_cselect_b64 s[22:23], -1, 0
	s_cmp_lg_u64 s[22:23], 0
	s_subb_u32 s22, s25, 0
	s_cmp_ge_u32 s22, s17
	s_cselect_b32 s23, -1, 0
	s_cmp_ge_u32 s26, s16
	s_cselect_b32 s25, -1, 0
	s_cmp_eq_u32 s22, s17
	s_cselect_b32 s22, s25, s23
	s_add_u32 s23, s3, 1
	s_addc_u32 s25, s15, 0
	s_add_u32 s26, s3, 2
	s_addc_u32 s27, s15, 0
	s_cmp_lg_u32 s22, 0
	s_cselect_b32 s22, s26, s23
	s_cselect_b32 s23, s27, s25
	s_cmp_lg_u64 s[20:21], 0
	s_subb_u32 s19, s19, s24
	s_cmp_ge_u32 s19, s17
	s_cselect_b32 s20, -1, 0
	s_cmp_ge_u32 s18, s16
	s_cselect_b32 s16, -1, 0
	s_cmp_eq_u32 s19, s17
	s_cselect_b32 s16, s16, s20
	s_cmp_lg_u32 s16, 0
	s_cselect_b32 s17, s23, s15
	s_cselect_b32 s16, s22, s3
	s_xor_b64 s[8:9], 0, s[8:9]
	s_xor_b64 s[16:17], s[16:17], s[8:9]
	s_sub_u32 s16, s16, s8
	s_subb_u32 s17, s17, s9
	s_cbranch_execnz .LBB14_4
.LBB14_3:
	v_cvt_f32_u32_e32 v1, s6
	s_sub_i32 s3, 0, s6
	s_mov_b32 s17, 0
	v_rcp_iflag_f32_e32 v1, v1
	s_nop 0
	v_mul_f32_e32 v1, 0x4f7ffffe, v1
	v_cvt_u32_f32_e32 v1, v1
	s_nop 0
	v_readfirstlane_b32 s8, v1
	s_mul_i32 s3, s3, s8
	s_mul_hi_u32 s3, s8, s3
	s_add_i32 s8, s8, s3
	s_mul_hi_u32 s3, s42, s8
	s_mul_i32 s9, s3, s6
	s_sub_i32 s9, s42, s9
	s_add_i32 s8, s3, 1
	s_sub_i32 s10, s9, s6
	s_cmp_ge_u32 s9, s6
	s_cselect_b32 s3, s8, s3
	s_cselect_b32 s9, s10, s9
	s_add_i32 s8, s3, 1
	s_cmp_ge_u32 s9, s6
	s_cselect_b32 s16, s8, s3
.LBB14_4:
	s_or_b64 s[8:9], s[16:17], s[4:5]
	s_mov_b32 s8, 0
	s_cmp_lg_u64 s[8:9], 0
	s_cbranch_scc0 .LBB14_19
; %bb.5:
	s_ashr_i32 s10, s5, 31
	s_add_u32 s8, s4, s10
	s_mov_b32 s11, s10
	s_addc_u32 s9, s5, s10
	s_xor_b64 s[18:19], s[8:9], s[10:11]
	v_cvt_f32_u32_e32 v1, s18
	v_cvt_f32_u32_e32 v2, s19
	s_sub_u32 s3, 0, s18
	s_subb_u32 s15, 0, s19
	v_fmamk_f32 v1, v2, 0x4f800000, v1
	v_rcp_f32_e32 v1, v1
	s_nop 0
	v_mul_f32_e32 v1, 0x5f7ffffc, v1
	v_mul_f32_e32 v2, 0x2f800000, v1
	v_trunc_f32_e32 v2, v2
	v_fmamk_f32 v1, v2, 0xcf800000, v1
	v_cvt_u32_f32_e32 v2, v2
	v_cvt_u32_f32_e32 v1, v1
	v_readfirstlane_b32 s22, v2
	v_readfirstlane_b32 s20, v1
	s_mul_i32 s21, s3, s22
	s_mul_hi_u32 s24, s3, s20
	s_mul_i32 s23, s15, s20
	s_add_i32 s21, s24, s21
	s_add_i32 s21, s21, s23
	s_mul_i32 s25, s3, s20
	s_mul_i32 s24, s20, s21
	s_mul_hi_u32 s26, s20, s25
	s_mul_hi_u32 s23, s20, s21
	s_add_u32 s24, s26, s24
	s_addc_u32 s23, 0, s23
	s_mul_hi_u32 s27, s22, s25
	s_mul_i32 s25, s22, s25
	s_add_u32 s24, s24, s25
	s_mul_hi_u32 s26, s22, s21
	s_addc_u32 s23, s23, s27
	s_addc_u32 s24, s26, 0
	s_mul_i32 s21, s22, s21
	s_add_u32 s21, s23, s21
	s_addc_u32 s23, 0, s24
	s_add_u32 s24, s20, s21
	s_cselect_b64 s[20:21], -1, 0
	s_cmp_lg_u64 s[20:21], 0
	s_addc_u32 s22, s22, s23
	s_mul_i32 s20, s3, s22
	s_mul_hi_u32 s21, s3, s24
	s_add_i32 s20, s21, s20
	s_mul_i32 s15, s15, s24
	s_add_i32 s20, s20, s15
	s_mul_i32 s3, s3, s24
	s_mul_hi_u32 s21, s22, s3
	s_mul_i32 s23, s22, s3
	s_mul_i32 s26, s24, s20
	s_mul_hi_u32 s3, s24, s3
	s_mul_hi_u32 s25, s24, s20
	s_add_u32 s3, s3, s26
	s_addc_u32 s25, 0, s25
	s_add_u32 s3, s3, s23
	s_mul_hi_u32 s15, s22, s20
	s_addc_u32 s3, s25, s21
	s_addc_u32 s15, s15, 0
	s_mul_i32 s20, s22, s20
	s_add_u32 s3, s3, s20
	s_addc_u32 s15, 0, s15
	s_add_u32 s3, s24, s3
	s_cselect_b64 s[20:21], -1, 0
	s_cmp_lg_u64 s[20:21], 0
	s_addc_u32 s15, s22, s15
	s_ashr_i32 s20, s17, 31
	s_add_u32 s22, s16, s20
	s_mov_b32 s21, s20
	s_addc_u32 s23, s17, s20
	s_xor_b64 s[22:23], s[22:23], s[20:21]
	s_mul_i32 s25, s22, s15
	s_mul_hi_u32 s26, s22, s3
	s_mul_hi_u32 s24, s22, s15
	s_add_u32 s25, s26, s25
	s_addc_u32 s24, 0, s24
	s_mul_hi_u32 s27, s23, s3
	s_mul_i32 s3, s23, s3
	s_add_u32 s3, s25, s3
	s_mul_hi_u32 s26, s23, s15
	s_addc_u32 s3, s24, s27
	s_addc_u32 s24, s26, 0
	s_mul_i32 s15, s23, s15
	s_add_u32 s3, s3, s15
	s_addc_u32 s15, 0, s24
	s_mul_i32 s24, s18, s15
	s_mul_hi_u32 s25, s18, s3
	s_add_i32 s24, s25, s24
	s_mul_i32 s25, s19, s3
	s_add_i32 s28, s24, s25
	s_sub_i32 s26, s23, s28
	s_mul_i32 s24, s18, s3
	s_sub_u32 s22, s22, s24
	s_cselect_b64 s[24:25], -1, 0
	s_cmp_lg_u64 s[24:25], 0
	s_subb_u32 s29, s26, s19
	s_sub_u32 s30, s22, s18
	s_cselect_b64 s[26:27], -1, 0
	s_cmp_lg_u64 s[26:27], 0
	s_subb_u32 s26, s29, 0
	s_cmp_ge_u32 s26, s19
	s_cselect_b32 s27, -1, 0
	s_cmp_ge_u32 s30, s18
	s_cselect_b32 s29, -1, 0
	s_cmp_eq_u32 s26, s19
	s_cselect_b32 s26, s29, s27
	s_add_u32 s27, s3, 1
	s_addc_u32 s29, s15, 0
	s_add_u32 s30, s3, 2
	s_addc_u32 s31, s15, 0
	s_cmp_lg_u32 s26, 0
	s_cselect_b32 s26, s30, s27
	s_cselect_b32 s27, s31, s29
	s_cmp_lg_u64 s[24:25], 0
	s_subb_u32 s23, s23, s28
	s_cmp_ge_u32 s23, s19
	s_cselect_b32 s24, -1, 0
	s_cmp_ge_u32 s22, s18
	s_cselect_b32 s18, -1, 0
	s_cmp_eq_u32 s23, s19
	s_cselect_b32 s18, s18, s24
	s_cmp_lg_u32 s18, 0
	s_cselect_b32 s19, s27, s15
	s_cselect_b32 s18, s26, s3
	s_xor_b64 s[10:11], s[20:21], s[10:11]
	s_xor_b64 s[18:19], s[18:19], s[10:11]
	s_sub_u32 s18, s18, s10
	s_subb_u32 s19, s19, s11
	s_load_dwordx4 s[24:27], s[0:1], 0x1d0
	s_cbranch_execnz .LBB14_7
.LBB14_6:
	v_cvt_f32_u32_e32 v1, s4
	s_sub_i32 s3, 0, s4
	s_mov_b32 s19, 0
	v_rcp_iflag_f32_e32 v1, v1
	s_nop 0
	v_mul_f32_e32 v1, 0x4f7ffffe, v1
	v_cvt_u32_f32_e32 v1, v1
	s_nop 0
	v_readfirstlane_b32 s8, v1
	s_mul_i32 s3, s3, s8
	s_mul_hi_u32 s3, s8, s3
	s_add_i32 s8, s8, s3
	s_mul_hi_u32 s3, s16, s8
	s_mul_i32 s9, s3, s4
	s_sub_i32 s9, s16, s9
	s_add_i32 s8, s3, 1
	s_sub_i32 s10, s9, s4
	s_cmp_ge_u32 s9, s4
	s_cselect_b32 s3, s8, s3
	s_cselect_b32 s9, s10, s9
	s_add_i32 s8, s3, 1
	s_cmp_ge_u32 s9, s4
	s_cselect_b32 s18, s8, s3
.LBB14_7:
                                        ; implicit-def: $vgpr67 : SGPR spill to VGPR lane
	s_waitcnt lgkmcnt(0)
	s_mov_b32 s9, s27
	v_writelane_b32 v67, s24, 0
	s_mov_b32 s8, 0
	s_cmp_lg_u64 s[8:9], 0
	v_writelane_b32 v67, s25, 1
	v_writelane_b32 v67, s26, 2
	;; [unrolled: 1-line block ×3, first 2 shown]
	s_cbranch_scc0 .LBB14_20
; %bb.8:
	s_ashr_i32 s8, s27, 31
	s_add_u32 s10, s26, s8
	s_mov_b32 s9, s8
	s_addc_u32 s11, s27, s8
	s_xor_b64 s[20:21], s[10:11], s[8:9]
	v_cvt_f32_u32_e32 v1, s20
	v_cvt_f32_u32_e32 v2, s21
	s_sub_u32 s3, 0, s20
	s_subb_u32 s15, 0, s21
	v_fmamk_f32 v1, v2, 0x4f800000, v1
	v_rcp_f32_e32 v1, v1
	s_nop 0
	v_mul_f32_e32 v1, 0x5f7ffffc, v1
	v_mul_f32_e32 v2, 0x2f800000, v1
	v_trunc_f32_e32 v2, v2
	v_fmamk_f32 v1, v2, 0xcf800000, v1
	v_cvt_u32_f32_e32 v2, v2
	v_cvt_u32_f32_e32 v1, v1
	v_readfirstlane_b32 s24, v2
	v_readfirstlane_b32 s22, v1
	s_mul_i32 s23, s3, s24
	s_mul_hi_u32 s26, s3, s22
	s_mul_i32 s25, s15, s22
	s_add_i32 s23, s26, s23
	s_add_i32 s23, s23, s25
	s_mul_i32 s27, s3, s22
	s_mul_i32 s26, s22, s23
	s_mul_hi_u32 s28, s22, s27
	s_mul_hi_u32 s25, s22, s23
	s_add_u32 s26, s28, s26
	s_addc_u32 s25, 0, s25
	s_mul_hi_u32 s29, s24, s27
	s_mul_i32 s27, s24, s27
	s_add_u32 s26, s26, s27
	s_mul_hi_u32 s28, s24, s23
	s_addc_u32 s25, s25, s29
	s_addc_u32 s26, s28, 0
	s_mul_i32 s23, s24, s23
	s_add_u32 s23, s25, s23
	s_addc_u32 s25, 0, s26
	s_add_u32 s26, s22, s23
	s_cselect_b64 s[22:23], -1, 0
	s_cmp_lg_u64 s[22:23], 0
	s_addc_u32 s24, s24, s25
	s_mul_i32 s22, s3, s24
	s_mul_hi_u32 s23, s3, s26
	s_add_i32 s22, s23, s22
	s_mul_i32 s15, s15, s26
	s_add_i32 s22, s22, s15
	s_mul_i32 s3, s3, s26
	s_mul_hi_u32 s23, s24, s3
	s_mul_i32 s25, s24, s3
	s_mul_i32 s28, s26, s22
	s_mul_hi_u32 s3, s26, s3
	s_mul_hi_u32 s27, s26, s22
	s_add_u32 s3, s3, s28
	s_addc_u32 s27, 0, s27
	s_add_u32 s3, s3, s25
	s_mul_hi_u32 s15, s24, s22
	s_addc_u32 s3, s27, s23
	s_addc_u32 s15, s15, 0
	s_mul_i32 s22, s24, s22
	s_add_u32 s3, s3, s22
	s_addc_u32 s15, 0, s15
	s_add_u32 s3, s26, s3
	s_cselect_b64 s[22:23], -1, 0
	s_cmp_lg_u64 s[22:23], 0
	s_addc_u32 s15, s24, s15
	s_add_u32 s22, s42, 0
	s_addc_u32 s23, 0, 0
	s_xor_b64 s[22:23], s[22:23], 0
	s_mul_i32 s25, s22, s15
	s_mul_hi_u32 s26, s22, s3
	s_mul_hi_u32 s24, s22, s15
	s_add_u32 s25, s26, s25
	s_addc_u32 s24, 0, s24
	s_mul_hi_u32 s27, s23, s3
	s_mul_i32 s3, s23, s3
	s_add_u32 s3, s25, s3
	s_mul_hi_u32 s26, s23, s15
	s_addc_u32 s3, s24, s27
	s_addc_u32 s24, s26, 0
	s_mul_i32 s15, s23, s15
	s_add_u32 s3, s3, s15
	s_addc_u32 s15, 0, s24
	s_mul_i32 s24, s20, s15
	s_mul_hi_u32 s25, s20, s3
	s_add_i32 s24, s25, s24
	s_mul_i32 s25, s21, s3
	s_add_i32 s28, s24, s25
	s_sub_i32 s26, s23, s28
	s_mul_i32 s24, s20, s3
	s_sub_u32 s22, s22, s24
	s_cselect_b64 s[24:25], -1, 0
	s_cmp_lg_u64 s[24:25], 0
	s_subb_u32 s29, s26, s21
	s_sub_u32 s30, s22, s20
	s_cselect_b64 s[26:27], -1, 0
	s_cmp_lg_u64 s[26:27], 0
	s_subb_u32 s26, s29, 0
	s_cmp_ge_u32 s26, s21
	s_cselect_b32 s27, -1, 0
	s_cmp_ge_u32 s30, s20
	s_cselect_b32 s29, -1, 0
	s_cmp_eq_u32 s26, s21
	s_cselect_b32 s26, s29, s27
	s_add_u32 s27, s3, 1
	s_addc_u32 s29, s15, 0
	s_add_u32 s30, s3, 2
	s_addc_u32 s31, s15, 0
	s_cmp_lg_u32 s26, 0
	s_cselect_b32 s26, s30, s27
	s_cselect_b32 s27, s31, s29
	s_cmp_lg_u64 s[24:25], 0
	s_subb_u32 s23, s23, s28
	s_cmp_ge_u32 s23, s21
	s_cselect_b32 s24, -1, 0
	s_cmp_ge_u32 s22, s20
	s_cselect_b32 s20, -1, 0
	s_cmp_eq_u32 s23, s21
	s_cselect_b32 s20, s20, s24
	s_cmp_lg_u32 s20, 0
	s_cselect_b32 s21, s27, s15
	s_cselect_b32 s20, s26, s3
	s_load_dwordx4 s[24:27], s[0:1], 0x1d0
	s_xor_b64 s[8:9], 0, s[8:9]
	s_xor_b64 s[20:21], s[20:21], s[8:9]
	s_sub_u32 s30, s20, s8
	s_subb_u32 s31, s21, s9
	s_cbranch_execnz .LBB14_10
.LBB14_9:
	s_waitcnt lgkmcnt(0)
	v_cvt_f32_u32_e32 v1, s26
	s_sub_i32 s3, 0, s26
	s_mov_b32 s31, 0
	v_rcp_iflag_f32_e32 v1, v1
	s_nop 0
	v_mul_f32_e32 v1, 0x4f7ffffe, v1
	v_cvt_u32_f32_e32 v1, v1
	s_nop 0
	v_readfirstlane_b32 s8, v1
	s_mul_i32 s3, s3, s8
	s_mul_hi_u32 s3, s8, s3
	s_add_i32 s8, s8, s3
	s_mul_hi_u32 s3, s42, s8
	s_mul_i32 s9, s3, s26
	s_sub_i32 s9, s42, s9
	s_add_i32 s8, s3, 1
	s_sub_i32 s10, s9, s26
	s_cmp_ge_u32 s9, s26
	s_cselect_b32 s3, s8, s3
	s_cselect_b32 s9, s10, s9
	s_add_i32 s8, s3, 1
	s_cmp_ge_u32 s9, s26
	s_cselect_b32 s30, s8, s3
.LBB14_10:
	s_waitcnt lgkmcnt(0)
	s_or_b64 s[8:9], s[30:31], s[24:25]
	s_mov_b32 s8, 0
	s_cmp_lg_u64 s[8:9], 0
	v_writelane_b32 v67, s30, 4
	s_nop 1
	v_writelane_b32 v67, s31, 5
	s_cbranch_scc0 .LBB14_21
; %bb.11:
	s_ashr_i32 s10, s25, 31
	s_add_u32 s8, s24, s10
	s_mov_b32 s11, s10
	s_addc_u32 s9, s25, s10
	s_xor_b64 s[20:21], s[8:9], s[10:11]
	v_cvt_f32_u32_e32 v1, s20
	v_cvt_f32_u32_e32 v2, s21
	s_sub_u32 s3, 0, s20
	s_subb_u32 s15, 0, s21
	v_fmamk_f32 v1, v2, 0x4f800000, v1
	v_rcp_f32_e32 v1, v1
	s_nop 0
	v_mul_f32_e32 v1, 0x5f7ffffc, v1
	v_mul_f32_e32 v2, 0x2f800000, v1
	v_trunc_f32_e32 v2, v2
	v_fmamk_f32 v1, v2, 0xcf800000, v1
	v_cvt_u32_f32_e32 v2, v2
	v_cvt_u32_f32_e32 v1, v1
	v_readfirstlane_b32 s24, v2
	v_readfirstlane_b32 s22, v1
	s_mul_i32 s23, s3, s24
	s_mul_hi_u32 s26, s3, s22
	s_mul_i32 s25, s15, s22
	s_add_i32 s23, s26, s23
	s_add_i32 s23, s23, s25
	s_mul_i32 s27, s3, s22
	s_mul_i32 s26, s22, s23
	s_mul_hi_u32 s28, s22, s27
	s_mul_hi_u32 s25, s22, s23
	s_add_u32 s26, s28, s26
	s_addc_u32 s25, 0, s25
	s_mul_hi_u32 s29, s24, s27
	s_mul_i32 s27, s24, s27
	s_add_u32 s26, s26, s27
	s_mul_hi_u32 s28, s24, s23
	s_addc_u32 s25, s25, s29
	s_addc_u32 s26, s28, 0
	s_mul_i32 s23, s24, s23
	s_add_u32 s23, s25, s23
	s_addc_u32 s25, 0, s26
	s_add_u32 s26, s22, s23
	s_cselect_b64 s[22:23], -1, 0
	s_cmp_lg_u64 s[22:23], 0
	s_addc_u32 s24, s24, s25
	s_mul_i32 s22, s3, s24
	s_mul_hi_u32 s23, s3, s26
	s_add_i32 s22, s23, s22
	s_mul_i32 s15, s15, s26
	s_add_i32 s22, s22, s15
	s_mul_i32 s3, s3, s26
	s_mul_hi_u32 s23, s24, s3
	s_mul_i32 s25, s24, s3
	s_mul_i32 s28, s26, s22
	s_mul_hi_u32 s3, s26, s3
	s_mul_hi_u32 s27, s26, s22
	s_add_u32 s3, s3, s28
	s_addc_u32 s27, 0, s27
	s_add_u32 s3, s3, s25
	s_mul_hi_u32 s15, s24, s22
	s_addc_u32 s3, s27, s23
	s_addc_u32 s15, s15, 0
	s_mul_i32 s22, s24, s22
	s_add_u32 s3, s3, s22
	s_addc_u32 s15, 0, s15
	s_add_u32 s3, s26, s3
	s_cselect_b64 s[22:23], -1, 0
	s_cmp_lg_u64 s[22:23], 0
	s_addc_u32 s15, s24, s15
	s_ashr_i32 s22, s31, 31
	s_add_u32 s24, s30, s22
	s_mov_b32 s23, s22
	s_addc_u32 s25, s31, s22
	s_xor_b64 s[24:25], s[24:25], s[22:23]
	s_mul_i32 s27, s24, s15
	s_mul_hi_u32 s28, s24, s3
	s_mul_hi_u32 s26, s24, s15
	s_add_u32 s27, s28, s27
	s_addc_u32 s26, 0, s26
	s_mul_hi_u32 s29, s25, s3
	s_mul_i32 s3, s25, s3
	s_add_u32 s3, s27, s3
	s_mul_hi_u32 s28, s25, s15
	s_addc_u32 s3, s26, s29
	s_addc_u32 s26, s28, 0
	s_mul_i32 s15, s25, s15
	s_add_u32 s3, s3, s15
	s_addc_u32 s15, 0, s26
	s_mul_i32 s26, s20, s15
	s_mul_hi_u32 s27, s20, s3
	s_add_i32 s26, s27, s26
	s_mul_i32 s27, s21, s3
	s_add_i32 s30, s26, s27
	s_sub_i32 s28, s25, s30
	s_mul_i32 s26, s20, s3
	s_sub_u32 s24, s24, s26
	s_cselect_b64 s[26:27], -1, 0
	s_cmp_lg_u64 s[26:27], 0
	s_subb_u32 s31, s28, s21
	s_sub_u32 s33, s24, s20
	s_cselect_b64 s[28:29], -1, 0
	s_cmp_lg_u64 s[28:29], 0
	s_subb_u32 s28, s31, 0
	s_cmp_ge_u32 s28, s21
	s_cselect_b32 s29, -1, 0
	s_cmp_ge_u32 s33, s20
	s_cselect_b32 s31, -1, 0
	s_cmp_eq_u32 s28, s21
	s_cselect_b32 s28, s31, s29
	s_add_u32 s29, s3, 1
	s_addc_u32 s31, s15, 0
	s_add_u32 s33, s3, 2
	s_addc_u32 s34, s15, 0
	s_cmp_lg_u32 s28, 0
	s_cselect_b32 s28, s33, s29
	s_cselect_b32 s29, s34, s31
	s_cmp_lg_u64 s[26:27], 0
	s_subb_u32 s25, s25, s30
	s_cmp_ge_u32 s25, s21
	s_cselect_b32 s26, -1, 0
	s_cmp_ge_u32 s24, s20
	s_cselect_b32 s20, -1, 0
	s_cmp_eq_u32 s25, s21
	s_cselect_b32 s20, s20, s26
	s_cmp_lg_u32 s20, 0
	s_cselect_b32 s21, s29, s15
	s_cselect_b32 s20, s28, s3
	s_xor_b64 s[10:11], s[22:23], s[10:11]
	s_load_dwordx4 s[24:27], s[0:1], 0x1d0
	s_xor_b64 s[20:21], s[20:21], s[10:11]
	s_sub_u32 s10, s20, s10
	s_subb_u32 s11, s21, s11
	v_writelane_b32 v67, s10, 6
	s_nop 1
	v_writelane_b32 v67, s11, 7
	s_load_dwordx4 s[28:31], s[0:1], 0x370
	s_cbranch_execnz .LBB14_13
.LBB14_12:
	s_waitcnt lgkmcnt(0)
	v_cvt_f32_u32_e32 v1, s24
	s_sub_i32 s3, 0, s24
	v_readlane_b32 s10, v67, 4
	s_mov_b32 s21, 0
	v_rcp_iflag_f32_e32 v1, v1
	v_readlane_b32 s11, v67, 5
	v_mul_f32_e32 v1, 0x4f7ffffe, v1
	v_cvt_u32_f32_e32 v1, v1
	s_nop 0
	v_readfirstlane_b32 s8, v1
	s_mul_i32 s3, s3, s8
	s_mul_hi_u32 s3, s8, s3
	s_add_i32 s8, s8, s3
	s_mul_hi_u32 s3, s10, s8
	s_mul_i32 s9, s3, s24
	s_sub_i32 s9, s10, s9
	s_add_i32 s8, s3, 1
	s_sub_i32 s10, s9, s24
	s_cmp_ge_u32 s9, s24
	s_cselect_b32 s3, s8, s3
	s_cselect_b32 s9, s10, s9
	s_add_i32 s8, s3, 1
	s_cmp_ge_u32 s9, s24
	s_cselect_b32 s20, s8, s3
	v_writelane_b32 v67, s20, 6
	s_nop 1
	v_writelane_b32 v67, s21, 7
.LBB14_13:
	s_waitcnt lgkmcnt(0)
	s_mov_b32 s9, s31
	v_writelane_b32 v67, s28, 8
	s_mov_b32 s8, 0
	s_cmp_lg_u64 s[8:9], 0
	v_writelane_b32 v67, s29, 9
	v_writelane_b32 v67, s30, 10
	v_writelane_b32 v67, s31, 11
	s_cbranch_scc0 .LBB14_22
; %bb.14:
	s_ashr_i32 s8, s31, 31
	s_add_u32 s10, s30, s8
	s_mov_b32 s9, s8
	s_addc_u32 s11, s31, s8
	s_xor_b64 s[20:21], s[10:11], s[8:9]
	v_cvt_f32_u32_e32 v1, s20
	v_cvt_f32_u32_e32 v2, s21
	s_sub_u32 s3, 0, s20
	s_subb_u32 s15, 0, s21
	v_fmamk_f32 v1, v2, 0x4f800000, v1
	v_rcp_f32_e32 v1, v1
	s_nop 0
	v_mul_f32_e32 v1, 0x5f7ffffc, v1
	v_mul_f32_e32 v2, 0x2f800000, v1
	v_trunc_f32_e32 v2, v2
	v_fmamk_f32 v1, v2, 0xcf800000, v1
	v_cvt_u32_f32_e32 v2, v2
	v_cvt_u32_f32_e32 v1, v1
	v_readfirstlane_b32 s24, v2
	v_readfirstlane_b32 s22, v1
	s_mul_i32 s23, s3, s24
	s_mul_hi_u32 s26, s3, s22
	s_mul_i32 s25, s15, s22
	s_add_i32 s23, s26, s23
	s_add_i32 s23, s23, s25
	s_mul_i32 s27, s3, s22
	s_mul_i32 s26, s22, s23
	s_mul_hi_u32 s28, s22, s27
	s_mul_hi_u32 s25, s22, s23
	s_add_u32 s26, s28, s26
	s_addc_u32 s25, 0, s25
	s_mul_hi_u32 s29, s24, s27
	s_mul_i32 s27, s24, s27
	s_add_u32 s26, s26, s27
	s_mul_hi_u32 s28, s24, s23
	s_addc_u32 s25, s25, s29
	s_addc_u32 s26, s28, 0
	s_mul_i32 s23, s24, s23
	s_add_u32 s23, s25, s23
	s_addc_u32 s25, 0, s26
	s_add_u32 s26, s22, s23
	s_cselect_b64 s[22:23], -1, 0
	s_cmp_lg_u64 s[22:23], 0
	s_addc_u32 s24, s24, s25
	s_mul_i32 s22, s3, s24
	s_mul_hi_u32 s23, s3, s26
	s_add_i32 s22, s23, s22
	s_mul_i32 s15, s15, s26
	s_add_i32 s22, s22, s15
	s_mul_i32 s3, s3, s26
	s_mul_hi_u32 s23, s24, s3
	s_mul_i32 s25, s24, s3
	s_mul_i32 s28, s26, s22
	s_mul_hi_u32 s3, s26, s3
	s_mul_hi_u32 s27, s26, s22
	s_add_u32 s3, s3, s28
	s_addc_u32 s27, 0, s27
	s_add_u32 s3, s3, s25
	s_mul_hi_u32 s15, s24, s22
	s_addc_u32 s3, s27, s23
	s_addc_u32 s15, s15, 0
	s_mul_i32 s22, s24, s22
	s_add_u32 s3, s3, s22
	s_addc_u32 s15, 0, s15
	s_add_u32 s3, s26, s3
	s_cselect_b64 s[22:23], -1, 0
	s_cmp_lg_u64 s[22:23], 0
	s_addc_u32 s15, s24, s15
	s_add_u32 s22, s42, 0
	s_addc_u32 s23, 0, 0
	s_xor_b64 s[22:23], s[22:23], 0
	s_mul_i32 s25, s22, s15
	s_mul_hi_u32 s26, s22, s3
	s_mul_hi_u32 s24, s22, s15
	s_add_u32 s25, s26, s25
	s_addc_u32 s24, 0, s24
	s_mul_hi_u32 s27, s23, s3
	s_mul_i32 s3, s23, s3
	s_add_u32 s3, s25, s3
	s_mul_hi_u32 s26, s23, s15
	s_addc_u32 s3, s24, s27
	s_addc_u32 s24, s26, 0
	s_mul_i32 s15, s23, s15
	s_add_u32 s3, s3, s15
	s_addc_u32 s15, 0, s24
	s_mul_i32 s24, s20, s15
	s_mul_hi_u32 s25, s20, s3
	s_add_i32 s24, s25, s24
	s_mul_i32 s25, s21, s3
	s_add_i32 s28, s24, s25
	s_sub_i32 s26, s23, s28
	s_mul_i32 s24, s20, s3
	s_sub_u32 s22, s22, s24
	s_cselect_b64 s[24:25], -1, 0
	s_cmp_lg_u64 s[24:25], 0
	s_subb_u32 s29, s26, s21
	s_sub_u32 s30, s22, s20
	s_cselect_b64 s[26:27], -1, 0
	s_cmp_lg_u64 s[26:27], 0
	s_subb_u32 s26, s29, 0
	s_cmp_ge_u32 s26, s21
	s_cselect_b32 s27, -1, 0
	s_cmp_ge_u32 s30, s20
	s_cselect_b32 s29, -1, 0
	s_cmp_eq_u32 s26, s21
	s_cselect_b32 s26, s29, s27
	s_add_u32 s27, s3, 1
	s_addc_u32 s29, s15, 0
	s_add_u32 s30, s3, 2
	s_addc_u32 s31, s15, 0
	s_cmp_lg_u32 s26, 0
	s_cselect_b32 s26, s30, s27
	s_cselect_b32 s27, s31, s29
	s_cmp_lg_u64 s[24:25], 0
	s_subb_u32 s23, s23, s28
	s_cmp_ge_u32 s23, s21
	s_cselect_b32 s24, -1, 0
	s_cmp_ge_u32 s22, s20
	s_cselect_b32 s20, -1, 0
	s_cmp_eq_u32 s23, s21
	s_cselect_b32 s20, s20, s24
	s_load_dwordx4 s[28:31], s[0:1], 0x370
	s_cmp_lg_u32 s20, 0
	s_cselect_b32 s21, s27, s15
	s_cselect_b32 s20, s26, s3
	s_xor_b64 s[8:9], 0, s[8:9]
	s_xor_b64 s[20:21], s[20:21], s[8:9]
	s_sub_u32 s38, s20, s8
	s_subb_u32 s39, s21, s9
	s_cbranch_execnz .LBB14_16
.LBB14_15:
	s_waitcnt lgkmcnt(0)
	v_cvt_f32_u32_e32 v1, s30
	s_sub_i32 s3, 0, s30
	s_mov_b32 s39, 0
	v_rcp_iflag_f32_e32 v1, v1
	s_nop 0
	v_mul_f32_e32 v1, 0x4f7ffffe, v1
	v_cvt_u32_f32_e32 v1, v1
	s_nop 0
	v_readfirstlane_b32 s8, v1
	s_mul_i32 s3, s3, s8
	s_mul_hi_u32 s3, s8, s3
	s_add_i32 s8, s8, s3
	s_mul_hi_u32 s3, s42, s8
	s_mul_i32 s9, s3, s30
	s_sub_i32 s9, s42, s9
	s_add_i32 s8, s3, 1
	s_sub_i32 s10, s9, s30
	s_cmp_ge_u32 s9, s30
	s_cselect_b32 s3, s8, s3
	s_cselect_b32 s9, s10, s9
	s_add_i32 s8, s3, 1
	s_cmp_ge_u32 s9, s30
	s_cselect_b32 s38, s8, s3
.LBB14_16:
	s_load_dwordx2 s[20:21], s[0:1], 0xe0
	s_load_dwordx4 s[8:11], s[0:1], 0xd0
	s_waitcnt lgkmcnt(0)
	s_or_b64 s[22:23], s[38:39], s[28:29]
	s_mov_b32 s22, 0
	s_cmp_lg_u64 s[22:23], 0
	v_writelane_b32 v67, s38, 12
	s_nop 1
	v_writelane_b32 v67, s39, 13
	s_cbranch_scc0 .LBB14_23
; %bb.17:
	s_ashr_i32 s22, s29, 31
	s_add_u32 s24, s28, s22
	s_mov_b32 s23, s22
	s_addc_u32 s25, s29, s22
	s_xor_b64 s[26:27], s[24:25], s[22:23]
	v_cvt_f32_u32_e32 v1, s26
	v_cvt_f32_u32_e32 v2, s27
	s_sub_u32 s3, 0, s26
	s_subb_u32 s15, 0, s27
	s_mov_b64 s[24:25], 0
	v_fmamk_f32 v1, v2, 0x4f800000, v1
	v_rcp_f32_e32 v1, v1
	s_nop 0
	v_mul_f32_e32 v1, 0x5f7ffffc, v1
	v_mul_f32_e32 v2, 0x2f800000, v1
	v_trunc_f32_e32 v2, v2
	v_fmamk_f32 v1, v2, 0xcf800000, v1
	v_cvt_u32_f32_e32 v2, v2
	v_cvt_u32_f32_e32 v1, v1
	v_readfirstlane_b32 s30, v2
	v_readfirstlane_b32 s28, v1
	s_mul_i32 s29, s3, s30
	s_mul_hi_u32 s33, s3, s28
	s_mul_i32 s31, s15, s28
	s_add_i32 s29, s33, s29
	s_add_i32 s29, s29, s31
	s_mul_i32 s34, s3, s28
	s_mul_i32 s33, s28, s29
	s_mul_hi_u32 s35, s28, s34
	s_mul_hi_u32 s31, s28, s29
	s_add_u32 s33, s35, s33
	s_addc_u32 s31, 0, s31
	s_mul_hi_u32 s36, s30, s34
	s_mul_i32 s34, s30, s34
	s_add_u32 s33, s33, s34
	s_mul_hi_u32 s35, s30, s29
	s_addc_u32 s31, s31, s36
	s_addc_u32 s33, s35, 0
	s_mul_i32 s29, s30, s29
	s_add_u32 s29, s31, s29
	s_addc_u32 s31, 0, s33
	s_add_u32 s33, s28, s29
	s_cselect_b64 s[28:29], -1, 0
	s_cmp_lg_u64 s[28:29], 0
	s_addc_u32 s30, s30, s31
	s_mul_i32 s28, s3, s30
	s_mul_hi_u32 s29, s3, s33
	s_add_i32 s28, s29, s28
	s_mul_i32 s15, s15, s33
	s_add_i32 s28, s28, s15
	s_mul_i32 s3, s3, s33
	s_mul_hi_u32 s29, s30, s3
	s_mul_i32 s31, s30, s3
	s_mul_i32 s35, s33, s28
	s_mul_hi_u32 s3, s33, s3
	s_mul_hi_u32 s34, s33, s28
	s_add_u32 s3, s3, s35
	s_addc_u32 s34, 0, s34
	s_add_u32 s3, s3, s31
	s_mul_hi_u32 s15, s30, s28
	s_addc_u32 s3, s34, s29
	s_addc_u32 s15, s15, 0
	s_mul_i32 s28, s30, s28
	s_add_u32 s3, s3, s28
	s_addc_u32 s15, 0, s15
	s_add_u32 s3, s33, s3
	s_cselect_b64 s[28:29], -1, 0
	s_cmp_lg_u64 s[28:29], 0
	s_addc_u32 s15, s30, s15
	s_ashr_i32 s28, s39, 31
	s_add_u32 s30, s38, s28
	s_mov_b32 s29, s28
	s_addc_u32 s31, s39, s28
	s_xor_b64 s[30:31], s[30:31], s[28:29]
	s_mul_i32 s34, s30, s15
	s_mul_hi_u32 s35, s30, s3
	s_mul_hi_u32 s33, s30, s15
	s_add_u32 s34, s35, s34
	s_addc_u32 s33, 0, s33
	s_mul_hi_u32 s36, s31, s3
	s_mul_i32 s3, s31, s3
	s_add_u32 s3, s34, s3
	s_mul_hi_u32 s35, s31, s15
	s_addc_u32 s3, s33, s36
	s_addc_u32 s33, s35, 0
	s_mul_i32 s15, s31, s15
	s_add_u32 s3, s3, s15
	s_addc_u32 s15, 0, s33
	s_mul_i32 s33, s26, s15
	s_mul_hi_u32 s34, s26, s3
	s_add_i32 s33, s34, s33
	s_mul_i32 s34, s27, s3
	s_add_i32 s33, s33, s34
	s_sub_i32 s36, s31, s33
	s_mul_i32 s34, s26, s3
	s_sub_u32 s30, s30, s34
	s_cselect_b64 s[34:35], -1, 0
	s_cmp_lg_u64 s[34:35], 0
	s_subb_u32 s38, s36, s27
	s_sub_u32 s39, s30, s26
	s_cselect_b64 s[36:37], -1, 0
	s_cmp_lg_u64 s[36:37], 0
	s_subb_u32 s36, s38, 0
	s_cmp_ge_u32 s36, s27
	s_cselect_b32 s37, -1, 0
	s_cmp_ge_u32 s39, s26
	s_cselect_b32 s38, -1, 0
	s_cmp_eq_u32 s36, s27
	s_cselect_b32 s36, s38, s37
	s_add_u32 s37, s3, 1
	s_addc_u32 s38, s15, 0
	s_add_u32 s39, s3, 2
	s_addc_u32 s40, s15, 0
	s_cmp_lg_u32 s36, 0
	s_cselect_b32 s36, s39, s37
	s_cselect_b32 s37, s40, s38
	s_cmp_lg_u64 s[34:35], 0
	s_subb_u32 s31, s31, s33
	s_cmp_ge_u32 s31, s27
	s_cselect_b32 s33, -1, 0
	s_cmp_ge_u32 s30, s26
	s_cselect_b32 s26, -1, 0
	s_cmp_eq_u32 s31, s27
	s_cselect_b32 s26, s26, s33
	s_cmp_lg_u32 s26, 0
	s_cselect_b32 s27, s37, s15
	s_cselect_b32 s26, s36, s3
	s_xor_b64 s[22:23], s[28:29], s[22:23]
	s_load_dwordx4 s[28:31], s[0:1], 0x370
	s_xor_b64 s[26:27], s[26:27], s[22:23]
	s_sub_u32 s22, s26, s22
	s_subb_u32 s23, s27, s23
	v_writelane_b32 v67, s22, 26
	s_nop 1
	v_writelane_b32 v67, s23, 27
	s_branch .LBB14_24
.LBB14_18:
                                        ; implicit-def: $sgpr16_sgpr17
	s_branch .LBB14_3
.LBB14_19:
                                        ; implicit-def: $sgpr18_sgpr19
	s_load_dwordx4 s[24:27], s[0:1], 0x1d0
	s_branch .LBB14_6
.LBB14_20:
                                        ; implicit-def: $sgpr30_sgpr31
	s_branch .LBB14_9
.LBB14_21:
                                        ; implicit-def: $sgpr10_sgpr11
                                        ; kill: killed $sgpr10_sgpr11
	s_load_dwordx4 s[28:31], s[0:1], 0x370
	s_branch .LBB14_12
.LBB14_22:
                                        ; implicit-def: $sgpr38_sgpr39
	s_branch .LBB14_15
.LBB14_23:
	s_mov_b64 s[24:25], -1
                                        ; implicit-def: $sgpr22_sgpr23
                                        ; kill: killed $sgpr22_sgpr23
.LBB14_24:
	s_load_dwordx2 s[22:23], s[0:1], 0x440
	s_load_dwordx4 s[36:39], s[0:1], 0x430
	s_andn2_b64 vcc, exec, s[24:25]
	s_waitcnt lgkmcnt(0)
	v_writelane_b32 v67, s22, 14
	s_nop 1
	v_writelane_b32 v67, s23, 15
	s_load_dwordx2 s[22:23], s[0:1], 0x2a0
	v_writelane_b32 v67, s36, 16
	s_nop 1
	v_writelane_b32 v67, s37, 17
	v_writelane_b32 v67, s38, 18
	;; [unrolled: 1-line block ×3, first 2 shown]
	s_load_dwordx4 s[36:39], s[0:1], 0x290
	s_waitcnt lgkmcnt(0)
	v_writelane_b32 v67, s22, 20
	s_nop 1
	v_writelane_b32 v67, s23, 21
	s_load_dwordx2 s[22:23], s[0:1], 0x0
	v_writelane_b32 v67, s36, 22
	s_nop 1
	v_writelane_b32 v67, s37, 23
	v_writelane_b32 v67, s38, 24
	;; [unrolled: 1-line block ×3, first 2 shown]
	s_cbranch_vccnz .LBB14_26
; %bb.25:
	v_cvt_f32_u32_e32 v1, s28
	s_sub_i32 s3, 0, s28
	v_readlane_b32 s26, v67, 12
	s_mov_b32 s29, 0
	v_rcp_iflag_f32_e32 v1, v1
	v_readlane_b32 s27, v67, 13
	v_mul_f32_e32 v1, 0x4f7ffffe, v1
	v_cvt_u32_f32_e32 v1, v1
	s_nop 0
	v_readfirstlane_b32 s15, v1
	s_mul_i32 s3, s3, s15
	s_mul_hi_u32 s3, s15, s3
	s_add_i32 s15, s15, s3
	s_mul_hi_u32 s3, s26, s15
	s_mul_i32 s24, s3, s28
	s_sub_i32 s24, s26, s24
	s_add_i32 s15, s3, 1
	s_sub_i32 s25, s24, s28
	s_cmp_ge_u32 s24, s28
	s_cselect_b32 s3, s15, s3
	s_cselect_b32 s24, s25, s24
	s_add_i32 s15, s3, 1
	s_cmp_ge_u32 s24, s28
	s_cselect_b32 s28, s15, s3
	v_writelane_b32 v67, s28, 26
	s_nop 1
	v_writelane_b32 v67, s29, 27
.LBB14_26:
	s_load_dwordx2 s[24:25], s[0:1], 0x360
	s_mov_b32 s99, 0
	s_load_dwordx2 s[0:1], s[0:1], 0x1c0
	s_waitcnt lgkmcnt(0)
	v_writelane_b32 v67, s24, 28
	s_nop 1
	v_writelane_b32 v67, s25, 29
	v_writelane_b32 v67, s0, 30
	v_cmp_eq_u32_e64 s[24:25], 0, v0
	s_nop 0
	v_writelane_b32 v67, s1, 31
	s_mov_b64 s[0:1], exec
	v_writelane_b32 v67, s24, 32
	s_nop 1
	v_writelane_b32 v67, s25, 33
	s_and_b64 s[24:25], s[0:1], s[24:25]
	s_mov_b64 exec, s[24:25]
	s_cbranch_execz .LBB14_28
; %bb.27:
	v_mov_b32_e32 v2, 0
	v_mov_b32_e32 v4, s56
	;; [unrolled: 1-line block ×4, first 2 shown]
	ds_write_b32 v2, v2 offset:5136
	ds_write_b128 v2, v[2:5] offset:5120
.LBB14_28:
	s_or_b64 exec, exec, s[0:1]
	s_mul_i32 s0, s18, s5
	s_mul_hi_u32 s1, s18, s4
	s_add_i32 s0, s1, s0
	s_mul_i32 s1, s19, s4
	s_add_i32 s0, s0, s1
	s_mul_i32 s1, s18, s4
	s_sub_u32 s1, s16, s1
	s_subb_u32 s0, s17, s0
	s_mul_i32 s3, s1, s11
	s_mul_hi_u32 s4, s1, s10
	s_add_i32 s3, s4, s3
	s_mul_i32 s0, s0, s10
	s_add_i32 s3, s3, s0
	s_mul_i32 s10, s1, s10
	s_mul_i32 s0, s18, s9
	s_mul_hi_u32 s1, s18, s8
	s_add_i32 s0, s1, s0
	s_mul_i32 s1, s19, s8
	s_add_i32 s9, s0, s1
	s_mul_i32 s0, s16, s7
	s_mul_hi_u32 s1, s16, s6
	s_add_i32 s0, s1, s0
	s_mul_i32 s1, s17, s6
	s_add_i32 s0, s0, s1
	s_mul_i32 s1, s16, s6
	s_mov_b32 s4, s42
	v_writelane_b32 v67, s4, 34
	s_sub_u32 s1, s42, s1
	s_subb_u32 s0, 0, s0
	v_writelane_b32 v67, s5, 35
	s_mul_i32 s4, s1, s21
	s_mul_hi_u32 s5, s1, s20
	s_add_i32 s4, s5, s4
	s_mul_i32 s0, s0, s20
	s_mul_i32 s8, s18, s8
	s_add_i32 s11, s4, s0
	s_add_u32 s0, s22, s8
	s_mul_i32 s15, s1, s20
	s_addc_u32 s1, s23, s9
	s_add_u32 s0, s0, s10
	v_mbcnt_lo_u32_b32 v1, -1, 0
	s_addc_u32 s1, s1, s3
	v_mbcnt_hi_u32_b32 v40, -1, v1
	s_add_u32 s90, s0, s15
	v_cmp_gt_u32_e32 vcc, 64, v0
	v_cmp_gt_i32_e64 s[6:7], 4, v40
	s_addc_u32 s91, s1, s11
	s_and_b64 s[0:1], vcc, s[6:7]
	v_writelane_b32 v67, s0, 36
	v_mov_b64_e32 v[4:5], 0xc00
	v_mov_b32_e32 v3, 0
	v_writelane_b32 v67, s1, 37
	v_cmp_gt_u32_e64 s[0:1], 2, v0
	v_mov_b64_e32 v[6:7], s[90:91]
	v_mov_b32_e32 v1, v3
	v_writelane_b32 v67, s0, 38
	s_waitcnt lgkmcnt(0)
	s_barrier
	v_writelane_b32 v67, s1, 39
	v_cmp_gt_i64_e64 s[0:1], s[56:57], v[4:5]
	v_lshlrev_b32_e32 v2, 2, v40
	s_nop 0
	v_writelane_b32 v67, s0, 40
	v_and_b32_e32 v41, 0x100, v2
	v_lshrrev_b32_e32 v2, 1, v0
	v_writelane_b32 v67, s1, 41
	v_mad_u64_u32 v[4:5], s[0:1], s62, v0, 0
	v_mad_u64_u32 v[14:15], s[0:1], s62, v0, v[6:7]
	v_cmp_gt_i64_e64 s[0:1], s[56:57], v[0:1]
	v_and_b32_e32 v2, 0x1e0, v2
	v_lshlrev_b64 v[6:7], v40, -1
	v_writelane_b32 v67, s0, 42
	v_or_b32_e32 v42, 0xc00, v2
	v_add_u32_e32 v2, 2, v0
	v_writelane_b32 v67, s1, 43
	s_load_dword s0, s[12:13], 0xc
	v_not_b32_e32 v18, v6
	v_mov_b32_e32 v6, s57
	v_cmp_gt_i64_e32 vcc, s[56:57], v[2:3]
	v_not_b32_e32 v19, v7
	s_waitcnt lgkmcnt(0)
	s_and_b32 s96, s0, 0xffff
	s_bfe_u32 s1, s0, 0xa0006
	s_cmp_gt_u32 s96, 63
	s_cselect_b64 s[6:7], -1, 0
	v_writelane_b32 v67, s6, 44
	s_add_u32 s0, s96, -1
	v_cndmask_b32_e32 v7, 0, v6, vcc
	v_writelane_b32 v67, s7, 45
	s_addc_u32 s6, 0, -1
	v_mov_b32_e32 v6, s56
	s_add_u32 s88, s0, s56
	v_cndmask_b32_e32 v6, v2, v6, vcc
	v_mov_b32_e32 v9, -1
	v_not_b32_e32 v8, v0
	v_writelane_b32 v67, s0, 46
	s_addc_u32 s95, s6, s57
	v_lshl_add_u64 v[6:7], v[6:7], 0, v[8:9]
	v_writelane_b32 v67, s6, 47
	s_cmp_lt_u32 s2, s14
	v_cmp_lt_u64_e64 s[6:7], 3, v[6:7]
	s_cselect_b32 s0, 12, 18
	v_and_b32_e32 v20, -4, v6
	v_writelane_b32 v67, s6, 48
	v_mov_b32_e32 v21, v7
	s_add_u32 s54, s12, s0
	v_writelane_b32 v67, s7, 49
	v_cmp_ne_u64_e64 s[6:7], v[6:7], v[20:21]
	s_addc_u32 s55, s13, 0
	s_add_i32 s0, s1, -1
	v_writelane_b32 v67, s6, 50
	s_and_b32 s2, s0, 0xffff
	v_lshlrev_b32_e32 v16, 2, v0
	v_writelane_b32 v67, s7, 51
	s_bfe_u32 s6, s96, 0x30006
	s_cmp_gt_u32 s2, 6
	s_cselect_b64 s[12:13], -1, 0
	v_writelane_b32 v67, s12, 52
	s_and_b32 s33, s1, 0x3f8
	s_cmp_lg_u32 s6, 0
	v_writelane_b32 v67, s13, 53
	v_writelane_b32 v67, s6, 54
	s_cselect_b64 s[6:7], -1, 0
	s_add_u32 s1, s8, s15
	s_addc_u32 s2, s9, s11
	s_add_u32 s1, s1, s10
	v_writelane_b32 v67, s6, 55
	s_addc_u32 s2, s2, s3
	v_or_b32_e32 v6, 3, v16
	v_writelane_b32 v67, s7, 56
	s_add_u32 s6, s22, s1
	s_addc_u32 s7, s23, s2
	v_mad_u64_u32 v[24:25], s[2:3], s62, v6, 0
	v_mov_b32_e32 v2, v25
	v_mad_u64_u32 v[6:7], s[2:3], s63, v6, v[2:3]
	v_mov_b32_e32 v25, v6
	v_or_b32_e32 v6, 2, v16
	v_mad_u64_u32 v[26:27], s[2:3], s62, v6, 0
	v_mov_b32_e32 v2, v27
	s_mov_b32 s49, s63
	v_mad_u64_u32 v[6:7], s[2:3], s63, v6, v[2:3]
                                        ; implicit-def: $vgpr66 : SGPR spill to VGPR lane
	v_mul_lo_u32 v10, s63, v0
	s_mov_b32 s73, s63
	v_mov_b32_e32 v27, v6
	v_mov_b64_e32 v[6:7], s[62:63]
	v_writelane_b32 v67, s6, 57
	v_writelane_b32 v66, s49, 0
	v_add_u32_e32 v5, v5, v10
	s_mov_b32 s72, s62
	v_mad_u64_u32 v[28:29], s[2:3], s62, v16, v[6:7]
	v_writelane_b32 v67, s7, 58
	v_writelane_b32 v66, s73, 1
	s_mov_b32 s94, s62
	v_mov_b32_e32 v2, v29
	v_lshlrev_b64 v[30:31], 2, v[4:5]
	v_mov_b64_e32 v[4:5], s[6:7]
	v_writelane_b32 v67, s54, 59
	v_writelane_b32 v66, s72, 2
	v_cmp_eq_u32_e64 s[4:5], 0, v40
	s_mov_b32 s53, s63
	v_mad_u64_u32 v[6:7], s[2:3], s63, v16, v[2:3]
	v_mad_u64_u32 v[12:13], s[2:3], s62, v0, v[4:5]
	v_writelane_b32 v67, s55, 60
	v_writelane_b32 v66, s94, 3
	s_mov_b32 s52, s62
	v_mov_b32_e32 v2, 0xc00
	s_mul_i32 s1, s63, s96
	s_mul_hi_u32 s2, s62, s96
	v_writelane_b32 v67, s53, 61
	v_writelane_b32 v66, s4, 4
	v_add_u32_e32 v15, v10, v15
	v_mov_b32_e32 v17, v3
	s_mov_b32 s97, s99
	v_lshl_add_u64 v[22:23], v[20:21], 0, v[0:1]
	s_mov_b32 s48, s63
	s_mov_b32 s67, s62
	;; [unrolled: 1-line block ×3, first 2 shown]
	s_lshl_b64 s[10:11], s[62:63], 2
	v_mov_b32_e32 v29, v6
	v_lshl_add_u64 v[32:33], s[56:57], 0, v[0:1]
	v_lshl_or_b32 v43, v40, 3, v2
	v_add_u32_e32 v13, v10, v13
	s_add_i32 s93, s2, s1
	s_mul_i32 s92, s62, s96
	s_mov_b64 s[82:83], 0
	v_mov_b64_e32 v[34:35], s[58:59]
	s_movk_i32 s1, 0x80
	s_mov_b32 s58, 0xc0c0004
	v_mov_b64_e32 v[50:51], s[56:57]
	v_mov_b32_e32 v45, 8
	v_mov_b32_e32 v47, 0
	;; [unrolled: 1-line block ×4, first 2 shown]
	s_mov_b32 s59, 0
	v_writelane_b32 v67, s52, 62
	v_writelane_b32 v66, s5, 5
                                        ; implicit-def: $sgpr68_sgpr69
                                        ; implicit-def: $sgpr86_sgpr87
                                        ; implicit-def: $sgpr60_sgpr61
                                        ; implicit-def: $sgpr78_sgpr79
                                        ; implicit-def: $sgpr84_sgpr85
                                        ; implicit-def: $sgpr74_sgpr75
	v_writelane_b32 v67, s48, 63
	v_writelane_b32 v66, s67, 6
	s_branch .LBB14_32
.LBB14_29:                              ;   in Loop: Header=BB14_32 Depth=1
	s_or_b64 exec, exec, s[14:15]
	s_and_b64 s[8:9], s[8:9], exec
	s_andn2_b64 s[24:25], s[24:25], exec
	s_andn2_b64 s[2:3], s[2:3], exec
	s_orn2_b64 s[18:19], s[12:13], exec
.LBB14_30:                              ;   in Loop: Header=BB14_32 Depth=1
	s_or_b64 exec, exec, s[6:7]
	s_andn2_b64 s[6:7], s[74:75], exec
	s_and_b64 s[8:9], s[8:9], exec
	s_or_b64 s[74:75], s[6:7], s[8:9]
	s_andn2_b64 s[6:7], s[84:85], exec
	s_and_b64 s[8:9], s[24:25], exec
	s_or_b64 s[84:85], s[6:7], s[8:9]
	;; [unrolled: 3-line block ×3, first 2 shown]
	s_orn2_b64 s[2:3], s[18:19], exec
.LBB14_31:                              ;   in Loop: Header=BB14_32 Depth=1
	s_or_b64 exec, exec, s[16:17]
	s_and_b64 s[2:3], exec, s[2:3]
	s_or_b64 s[82:83], s[2:3], s[82:83]
	s_andn2_b64 s[2:3], s[60:61], exec
	s_and_b64 s[6:7], s[74:75], exec
	s_or_b64 s[60:61], s[2:3], s[6:7]
	s_andn2_b64 s[2:3], s[86:87], exec
	s_and_b64 s[6:7], s[84:85], exec
	;; [unrolled: 3-line block ×3, first 2 shown]
	s_or_b64 s[68:69], s[2:3], s[6:7]
	v_mov_b64_e32 v[34:35], v[8:9]
	s_andn2_b64 exec, exec, s[82:83]
	s_cbranch_execz .LBB14_300
.LBB14_32:                              ; =>This Loop Header: Depth=1
                                        ;     Child Loop BB14_37 Depth 2
                                        ;     Child Loop BB14_51 Depth 2
	;; [unrolled: 1-line block ×17, first 2 shown]
	ds_read_b128 v[4:7], v3 offset:5120
	s_waitcnt lgkmcnt(0)
	v_readfirstlane_b32 s31, v5
	v_readfirstlane_b32 s30, v4
	s_nop 1
	v_cmp_gt_i64_e64 s[2:3], s[30:31], 0
	s_and_b64 vcc, exec, s[2:3]
	s_cbranch_vccnz .LBB14_64
; %bb.33:                               ;   in Loop: Header=BB14_32 Depth=1
	v_readlane_b32 s2, v67, 40
	v_readlane_b32 s3, v67, 41
	s_and_b64 vcc, exec, s[2:3]
	s_cbranch_vccz .LBB14_45
; %bb.34:                               ;   in Loop: Header=BB14_32 Depth=1
	s_mov_b64 s[2:3], 0xc01
	v_cmp_gt_i64_e32 vcc, s[2:3], v[6:7]
	s_mov_b64 s[6:7], 0
	s_mov_b64 s[2:3], 0
	s_cbranch_vccz .LBB14_46
; %bb.35:                               ;   in Loop: Header=BB14_32 Depth=1
	global_load_ushort v6, v3, s[54:55]
	global_load_ubyte v8, v[14:15], off
	v_readlane_b32 s2, v67, 57
	v_readlane_b32 s3, v67, 58
	s_mov_b64 s[8:9], 0
	s_waitcnt vmcnt(1)
	v_and_b32_e32 v2, 0xffff, v6
	v_mov_b64_e32 v[4:5], s[2:3]
	v_readfirstlane_b32 s2, v6
	v_lshl_add_u64 v[6:7], v[0:1], 0, v[2:3]
	s_and_b32 s12, 0xffff, s2
	v_mad_u64_u32 v[4:5], s[2:3], s62, v6, v[4:5]
	v_mul_lo_u32 v7, s62, v7
	v_mul_lo_u32 v9, s63, v6
	s_mul_i32 s2, s63, s12
	s_mul_hi_u32 s3, s62, s12
	s_mul_i32 s12, s62, s12
	v_add3_u32 v5, v9, v5, v7
	s_add_i32 s13, s3, s2
	v_mov_b64_e32 v[6:7], v[0:1]
	s_branch .LBB14_37
.LBB14_36:                              ;   in Loop: Header=BB14_37 Depth=2
	s_or_b64 exec, exec, s[2:3]
	v_lshl_add_u64 v[4:5], v[4:5], 0, s[12:13]
	v_mov_b32_e32 v8, v9
	s_andn2_b64 exec, exec, s[8:9]
	s_cbranch_execz .LBB14_99
.LBB14_37:                              ;   Parent Loop BB14_32 Depth=1
                                        ; =>  This Inner Loop Header: Depth=2
	v_lshl_add_u64 v[6:7], v[6:7], 0, v[2:3]
	v_cmp_gt_i64_e64 s[2:3], s[56:57], v[6:7]
	v_cmp_le_i64_e32 vcc, s[56:57], v[6:7]
	s_waitcnt lgkmcnt(0)
	v_mov_b32_e32 v10, 0
	v_mov_b32_e32 v9, 0
	s_and_saveexec_b64 s[14:15], s[2:3]
	s_cbranch_execz .LBB14_39
; %bb.38:                               ;   in Loop: Header=BB14_37 Depth=2
	global_load_ubyte v9, v[4:5], off
.LBB14_39:                              ;   in Loop: Header=BB14_37 Depth=2
	s_or_b64 exec, exec, s[14:15]
	s_waitcnt vmcnt(0)
	v_add_u32_sdwa v11, sext(v8), s1 dst_sel:DWORD dst_unused:UNUSED_PAD src0_sel:BYTE_0 src1_sel:DWORD
	v_and_b32_e32 v11, v11, v46
	v_cmp_eq_u32_e64 s[14:15], v11, v44
	s_cmp_lg_u64 s[14:15], 0
	s_cselect_b64 s[2:3], -1, 0
	s_and_b64 s[2:3], s[4:5], s[2:3]
	s_and_saveexec_b64 s[16:17], s[2:3]
	s_cbranch_execz .LBB14_43
; %bb.40:                               ;   in Loop: Header=BB14_37 Depth=2
	s_mov_b64 s[20:21], exec
	v_mbcnt_lo_u32_b32 v10, s20, 0
	v_mbcnt_hi_u32_b32 v10, s21, v10
	s_bcnt1_i32_b64 s22, s[14:15]
	v_cmp_eq_u32_e64 s[2:3], 0, v10
                                        ; implicit-def: $vgpr11
	s_and_saveexec_b64 s[18:19], s[2:3]
; %bb.41:                               ;   in Loop: Header=BB14_37 Depth=2
	s_bcnt1_i32_b64 s2, s[20:21]
	s_mul_i32 s2, s22, s2
	v_mov_b32_e32 v11, s2
	ds_add_rtn_u32 v11, v3, v11 offset:5136
; %bb.42:                               ;   in Loop: Header=BB14_37 Depth=2
	s_or_b64 exec, exec, s[18:19]
	s_waitcnt lgkmcnt(0)
	v_readfirstlane_b32 s2, v11
	s_nop 1
	v_mov_b32_e32 v11, s2
	v_mad_u32_u24 v10, s22, v10, v11
.LBB14_43:                              ;   in Loop: Header=BB14_37 Depth=2
	s_or_b64 exec, exec, s[16:17]
	ds_bpermute_b32 v10, v41, v10
	s_and_b64 s[2:3], exec, vcc
	s_or_b64 s[8:9], s[2:3], s[8:9]
	s_and_saveexec_b64 s[2:3], s[14:15]
	s_cbranch_execz .LBB14_36
; %bb.44:                               ;   in Loop: Header=BB14_37 Depth=2
	v_and_b32_e32 v36, s14, v18
	v_and_b32_e32 v11, s15, v19
	v_bcnt_u32_b32 v36, v36, 0
	v_bcnt_u32_b32 v11, v11, v36
	s_waitcnt lgkmcnt(0)
	v_add_u32_e32 v10, v10, v11
	ds_write_b8 v10, v8
	s_branch .LBB14_36
.LBB14_45:                              ;   in Loop: Header=BB14_32 Depth=1
	s_mov_b64 s[6:7], -1
	s_mov_b64 s[2:3], 0
.LBB14_46:                              ;   in Loop: Header=BB14_32 Depth=1
	s_and_b64 vcc, exec, s[6:7]
	s_cbranch_vccz .LBB14_62
.LBB14_47:                              ;   in Loop: Header=BB14_32 Depth=1
	s_mov_b64 s[2:3], exec
	v_readlane_b32 s6, v67, 42
	v_readlane_b32 s7, v67, 43
	s_and_b64 s[6:7], s[2:3], s[6:7]
	s_mov_b64 exec, s[6:7]
	s_cbranch_execz .LBB14_59
; %bb.48:                               ;   in Loop: Header=BB14_32 Depth=1
	global_load_ushort v2, v3, s[54:55]
	global_load_ubyte v38, v[14:15], off
	v_mov_b32_e32 v8, v0
	s_waitcnt vmcnt(1)
	v_readfirstlane_b32 s8, v2
	v_add_u32_sdwa v2, v2, v0 dst_sel:DWORD dst_unused:UNUSED_PAD src0_sel:WORD_0 src1_sel:DWORD
	v_cmp_gt_i64_e32 vcc, s[56:57], v[2:3]
	s_and_saveexec_b64 s[6:7], vcc
	s_cbranch_execz .LBB14_58
; %bb.49:                               ;   in Loop: Header=BB14_32 Depth=1
	s_and_b32 s98, s8, 0xffff
	s_cmp_eq_u32 s98, 1
	v_readlane_b32 s12, v67, 48
	s_cselect_b64 s[8:9], -1, 0
	v_readlane_b32 s13, v67, 49
	s_and_b64 s[14:15], s[12:13], s[8:9]
	s_mov_b64 s[12:13], -1
	v_mov_b64_e32 v[6:7], v[0:1]
	v_mov_b64_e32 v[4:5], v[2:3]
                                        ; implicit-def: $vgpr8_vgpr9
	s_and_saveexec_b64 s[8:9], s[14:15]
	s_cbranch_execz .LBB14_53
; %bb.50:                               ;   in Loop: Header=BB14_32 Depth=1
	v_lshl_add_u64 v[8:9], v[2:3], 0, 3
	v_lshl_add_u64 v[6:7], v[2:3], 0, 2
	;; [unrolled: 1-line block ×3, first 2 shown]
	v_mov_b64_e32 v[10:11], v[8:9]
	s_waitcnt vmcnt(0)
	v_lshlrev_b32_e32 v48, 24, v38
	s_mov_b64 s[12:13], 0
	v_mov_b64_e32 v[36:37], v[20:21]
	v_mov_b32_e32 v39, v0
	v_mov_b64_e32 v[8:9], v[6:7]
	v_mov_b64_e32 v[6:7], v[4:5]
	;; [unrolled: 1-line block ×3, first 2 shown]
.LBB14_51:                              ;   Parent Loop BB14_32 Depth=1
                                        ; =>  This Inner Loop Header: Depth=2
	v_mov_b64_e32 v[52:53], s[90:91]
	v_mul_lo_u32 v64, v10, s73
	v_mul_lo_u32 v65, v11, s67
	v_mad_u64_u32 v[54:55], s[14:15], v4, s72, v[52:53]
	v_mad_u64_u32 v[56:57], s[14:15], v6, s52, v[52:53]
	;; [unrolled: 1-line block ×4, first 2 shown]
	v_mul_lo_u32 v38, v4, s53
	v_mul_lo_u32 v49, v5, s72
	;; [unrolled: 1-line block ×6, first 2 shown]
	v_add3_u32 v53, v65, v53, v64
	v_add3_u32 v55, v49, v55, v38
	;; [unrolled: 1-line block ×4, first 2 shown]
	global_load_ubyte v38, v[52:53], off
	global_load_ubyte v49, v[56:57], off
	s_nop 0
	global_load_ubyte v52, v[54:55], off
	global_load_ubyte v53, v[58:59], off
	s_mov_b32 s14, 0xc0c0007
	v_lshl_add_u64 v[36:37], v[36:37], 0, -4
	v_cmp_eq_u64_e32 vcc, 0, v[36:37]
	v_lshl_add_u64 v[10:11], v[10:11], 0, 4
	v_lshl_add_u64 v[8:9], v[8:9], 0, 4
	;; [unrolled: 1-line block ×4, first 2 shown]
	s_or_b64 s[12:13], vcc, s[12:13]
	s_waitcnt vmcnt(1)
	v_perm_b32 v54, v52, v49, s58
	s_waitcnt vmcnt(0)
	v_perm_b32 v55, v53, v38, s58
	v_perm_b32 v49, v49, v53, s58
	;; [unrolled: 1-line block ×3, first 2 shown]
	v_lshl_or_b32 v52, v55, 16, v54
	v_lshl_or_b32 v48, v49, 16, v48
	ds_write_b32 v39, v48
	v_add_u32_e32 v39, 4, v39
	v_mov_b32_e32 v48, v52
	s_andn2_b64 exec, exec, s[12:13]
	s_cbranch_execnz .LBB14_51
; %bb.52:                               ;   in Loop: Header=BB14_32 Depth=1
	s_or_b64 exec, exec, s[12:13]
	v_readlane_b32 s12, v67, 50
	v_lshl_add_u64 v[4:5], v[2:3], 0, v[20:21]
	v_readlane_b32 s13, v67, 51
	v_lshl_add_u64 v[8:9], v[4:5], 0, -1
	s_orn2_b64 s[12:13], s[12:13], exec
	v_mov_b64_e32 v[6:7], v[22:23]
.LBB14_53:                              ;   in Loop: Header=BB14_32 Depth=1
	s_or_b64 exec, exec, s[8:9]
	s_and_saveexec_b64 s[8:9], s[12:13]
	s_cbranch_execz .LBB14_57
; %bb.54:                               ;   in Loop: Header=BB14_32 Depth=1
	v_readlane_b32 s16, v67, 57
	v_readlane_b32 s17, v67, 58
	s_sub_u32 s12, 0, s98
	v_mul_lo_u32 v2, s62, v5
	v_mov_b64_e32 v[8:9], s[16:17]
	v_mad_u64_u32 v[8:9], s[16:17], s62, v4, v[8:9]
	v_mul_lo_u32 v7, s63, v4
	s_mul_i32 s16, s63, s98
	s_mul_hi_u32 s17, s62, s98
	s_mov_b64 s[14:15], 0
	s_subb_u32 s13, 0, 0
	v_add3_u32 v9, v7, v9, v2
	s_add_i32 s17, s17, s16
	s_mul_i32 s16, s62, s98
.LBB14_55:                              ;   Parent Loop BB14_32 Depth=1
                                        ; =>  This Inner Loop Header: Depth=2
	global_load_ubyte v2, v[8:9], off
	v_mov_b64_e32 v[10:11], v[4:5]
	v_lshl_add_u64 v[4:5], v[10:11], 0, s[98:99]
	v_cmp_le_i64_e32 vcc, s[56:57], v[4:5]
	s_waitcnt vmcnt(1)
	ds_write_b8 v6, v38
	v_lshl_add_u64 v[8:9], v[8:9], 0, s[16:17]
	v_mov_b64_e32 v[6:7], v[10:11]
	s_or_b64 s[14:15], vcc, s[14:15]
	s_waitcnt vmcnt(0)
	v_mov_b32_e32 v38, v2
	s_andn2_b64 exec, exec, s[14:15]
	s_cbranch_execnz .LBB14_55
; %bb.56:                               ;   in Loop: Header=BB14_32 Depth=1
	s_or_b64 exec, exec, s[14:15]
	v_lshl_add_u64 v[8:9], s[12:13], 0, v[4:5]
	v_mov_b32_e32 v38, v2
.LBB14_57:                              ;   in Loop: Header=BB14_32 Depth=1
	s_or_b64 exec, exec, s[8:9]
.LBB14_58:                              ;   in Loop: Header=BB14_32 Depth=1
	s_or_b64 exec, exec, s[6:7]
	s_waitcnt vmcnt(0)
	ds_write_b8 v8, v38
.LBB14_59:                              ;   in Loop: Header=BB14_32 Depth=1
	s_or_b64 exec, exec, s[2:3]
	s_waitcnt lgkmcnt(0)
	s_barrier
	s_mov_b64 s[2:3], exec
	v_readlane_b32 s6, v67, 32
	v_readlane_b32 s7, v67, 33
	s_and_b64 s[6:7], s[2:3], s[6:7]
	s_mov_b64 exec, s[6:7]
; %bb.60:                               ;   in Loop: Header=BB14_32 Depth=1
	ds_write_b64 v3, v[50:51] offset:5120
; %bb.61:                               ;   in Loop: Header=BB14_32 Depth=1
	s_or_b64 exec, exec, s[2:3]
	s_mov_b64 s[2:3], -1
	s_waitcnt lgkmcnt(0)
	s_barrier
.LBB14_62:                              ;   in Loop: Header=BB14_32 Depth=1
	s_and_b64 vcc, exec, s[2:3]
	s_cbranch_vccz .LBB14_64
; %bb.63:                               ;   in Loop: Header=BB14_32 Depth=1
	ds_read_b64 v[4:5], v3 offset:5120
	s_waitcnt lgkmcnt(0)
	v_readfirstlane_b32 s30, v4
.LBB14_64:                              ;   in Loop: Header=BB14_32 Depth=1
	s_cmp_lt_i32 s30, 1
	s_mov_b64 s[2:3], -1
                                        ; implicit-def: $vgpr10_vgpr11
                                        ; implicit-def: $vgpr6_vgpr7
	s_cbranch_scc1 .LBB14_74
; %bb.65:                               ;   in Loop: Header=BB14_32 Depth=1
	s_and_b64 vcc, exec, s[2:3]
	s_cbranch_vccnz .LBB14_90
.LBB14_66:                              ;   in Loop: Header=BB14_32 Depth=1
	s_lshl_b32 s6, s59, 6
	s_and_saveexec_b64 s[2:3], s[4:5]
	s_cbranch_execz .LBB14_68
.LBB14_67:                              ;   in Loop: Header=BB14_32 Depth=1
	v_lshl_add_u32 v2, s6, 3, v42
	ds_write_b128 v2, v[4:7]
	ds_write_b128 v2, v[8:11] offset:16
.LBB14_68:                              ;   in Loop: Header=BB14_32 Depth=1
	s_or_b64 exec, exec, s[2:3]
	s_waitcnt lgkmcnt(0)
	s_barrier
	s_mov_b64 s[2:3], exec
	v_readlane_b32 s8, v67, 36
	v_readlane_b32 s9, v67, 37
	s_and_b64 s[8:9], s[2:3], s[8:9]
	s_mov_b64 exec, s[8:9]
	s_cbranch_execz .LBB14_107
; %bb.69:                               ;   in Loop: Header=BB14_32 Depth=1
	v_readlane_b32 s8, v67, 44
	v_readlane_b32 s9, v67, 45
	s_andn2_b64 vcc, exec, s[8:9]
	v_mov_b64_e32 v[4:5], 0
	s_cbranch_vccnz .LBB14_106
; %bb.70:                               ;   in Loop: Header=BB14_32 Depth=1
	v_readlane_b32 s8, v67, 52
	v_readlane_b32 s9, v67, 53
	s_andn2_b64 vcc, exec, s[8:9]
	s_cbranch_vccnz .LBB14_102
; %bb.71:                               ;   in Loop: Header=BB14_32 Depth=1
	v_lshl_add_u32 v2, s59, 9, v43
	v_mov_b64_e32 v[4:5], 0
	s_mov_b32 s7, 0
.LBB14_72:                              ;   Parent Loop BB14_32 Depth=1
                                        ; =>  This Inner Loop Header: Depth=2
	ds_read2_b64 v[6:9], v2 offset1:4
	ds_read2_b64 v[36:39], v2 offset0:8 offset1:12
	ds_read2_b64 v[52:55], v2 offset0:16 offset1:20
	;; [unrolled: 1-line block ×3, first 2 shown]
	s_add_i32 s7, s7, 8
	s_waitcnt lgkmcnt(3)
	v_lshl_add_u64 v[4:5], v[6:7], 0, v[4:5]
	v_lshl_add_u64 v[4:5], v[8:9], 0, v[4:5]
	s_waitcnt lgkmcnt(2)
	v_lshl_add_u64 v[4:5], v[36:37], 0, v[4:5]
	v_lshl_add_u64 v[4:5], v[38:39], 0, v[4:5]
	;; [unrolled: 3-line block ×3, first 2 shown]
	s_waitcnt lgkmcnt(0)
	v_lshl_add_u64 v[4:5], v[56:57], 0, v[4:5]
	v_add_u32_e32 v2, 0x100, v2
	s_cmp_eq_u32 s33, s7
	v_lshl_add_u64 v[4:5], v[58:59], 0, v[4:5]
	s_cbranch_scc0 .LBB14_72
; %bb.73:                               ;   in Loop: Header=BB14_32 Depth=1
	s_mov_b32 s7, s33
	s_branch .LBB14_103
.LBB14_74:                              ;   in Loop: Header=BB14_32 Depth=1
	global_load_ushort v2, v3, s[54:55]
	s_mov_b32 s2, s99
	s_waitcnt vmcnt(0)
	v_readfirstlane_b32 s3, v2
	s_and_b32 s64, s3, 0xffff
	s_lshl_b32 s98, s64, 2
	s_mov_b32 s3, s57
	s_cmp_lg_u64 s[2:3], 0
	s_cbranch_scc0 .LBB14_76
; %bb.75:                               ;   in Loop: Header=BB14_32 Depth=1
	s_add_u32 s2, s98, 0
	s_addc_u32 s3, 0, 0
	s_xor_b64 s[2:3], s[2:3], 0
	v_cvt_f32_u32_e32 v2, s2
	v_cvt_f32_u32_e32 v4, s3
	s_sub_u32 s8, 0, s2
	s_subb_u32 s9, 0, s3
	v_fmac_f32_e32 v2, 0x4f800000, v4
	v_rcp_f32_e32 v2, v2
	s_nop 0
	v_mul_f32_e32 v2, 0x5f7ffffc, v2
	v_mul_f32_e32 v4, 0x2f800000, v2
	v_trunc_f32_e32 v4, v4
	v_fmac_f32_e32 v2, 0xcf800000, v4
	v_cvt_u32_f32_e32 v4, v4
	v_cvt_u32_f32_e32 v2, v2
	v_readfirstlane_b32 s12, v4
	v_readfirstlane_b32 s6, v2
	s_mul_i32 s7, s8, s12
	s_mul_hi_u32 s14, s8, s6
	s_mul_i32 s13, s9, s6
	s_add_i32 s7, s14, s7
	s_mul_i32 s15, s8, s6
	s_add_i32 s7, s7, s13
	s_mul_i32 s14, s6, s7
	s_mul_hi_u32 s16, s6, s15
	s_mul_hi_u32 s13, s6, s7
	s_add_u32 s14, s16, s14
	s_addc_u32 s13, 0, s13
	s_mul_hi_u32 s17, s12, s15
	s_mul_i32 s15, s12, s15
	s_add_u32 s14, s14, s15
	s_mul_hi_u32 s16, s12, s7
	s_addc_u32 s13, s13, s17
	s_addc_u32 s14, s16, 0
	s_mul_i32 s7, s12, s7
	s_add_u32 s7, s13, s7
	s_addc_u32 s13, 0, s14
	s_add_u32 s14, s6, s7
	s_cselect_b64 s[6:7], -1, 0
	s_cmp_lg_u64 s[6:7], 0
	s_addc_u32 s12, s12, s13
	s_mul_i32 s6, s8, s12
	s_mul_hi_u32 s7, s8, s14
	s_add_i32 s6, s7, s6
	s_mul_i32 s9, s9, s14
	s_add_i32 s6, s6, s9
	s_mul_i32 s8, s8, s14
	s_mul_hi_u32 s9, s12, s8
	s_mul_i32 s13, s12, s8
	s_mul_i32 s16, s14, s6
	s_mul_hi_u32 s8, s14, s8
	s_mul_hi_u32 s15, s14, s6
	s_add_u32 s8, s8, s16
	s_addc_u32 s15, 0, s15
	s_add_u32 s8, s8, s13
	s_mul_hi_u32 s7, s12, s6
	s_addc_u32 s8, s15, s9
	s_addc_u32 s7, s7, 0
	s_mul_i32 s6, s12, s6
	s_add_u32 s6, s8, s6
	s_addc_u32 s8, 0, s7
	s_add_u32 s13, s14, s6
	s_cselect_b64 s[6:7], -1, 0
	s_cmp_lg_u64 s[6:7], 0
	s_addc_u32 s12, s12, s8
	s_ashr_i32 s6, s57, 31
	s_add_u32 s8, s56, s6
	s_mov_b32 s7, s6
	s_addc_u32 s9, s57, s6
	s_xor_b64 s[8:9], s[8:9], s[6:7]
	s_mul_i32 s15, s8, s12
	s_mul_hi_u32 s16, s8, s13
	s_mul_hi_u32 s14, s8, s12
	s_add_u32 s15, s16, s15
	s_addc_u32 s14, 0, s14
	s_mul_hi_u32 s17, s9, s13
	s_mul_i32 s13, s9, s13
	s_add_u32 s13, s15, s13
	s_mul_hi_u32 s16, s9, s12
	s_addc_u32 s13, s14, s17
	s_addc_u32 s14, s16, 0
	s_mul_i32 s12, s9, s12
	s_add_u32 s12, s13, s12
	s_addc_u32 s13, 0, s14
	s_mul_i32 s13, s2, s13
	s_mul_hi_u32 s14, s2, s12
	s_add_i32 s13, s14, s13
	s_mul_i32 s14, s3, s12
	s_add_i32 s16, s13, s14
	s_sub_i32 s14, s9, s16
	s_mul_i32 s12, s2, s12
	s_sub_u32 s8, s8, s12
	s_cselect_b64 s[12:13], -1, 0
	s_cmp_lg_u64 s[12:13], 0
	s_subb_u32 s17, s14, s3
	s_sub_u32 s18, s8, s2
	s_cselect_b64 s[14:15], -1, 0
	s_cmp_lg_u64 s[14:15], 0
	s_subb_u32 s19, s17, 0
	s_cmp_ge_u32 s19, s3
	s_cselect_b32 s20, -1, 0
	s_cmp_ge_u32 s18, s2
	s_cselect_b32 s21, -1, 0
	s_cmp_eq_u32 s19, s3
	s_cselect_b32 s20, s21, s20
	s_cmp_lg_u64 s[14:15], 0
	s_subb_u32 s17, s17, s3
	s_sub_u32 s21, s18, s2
	s_cselect_b64 s[14:15], -1, 0
	s_cmp_lg_u64 s[14:15], 0
	s_subb_u32 s14, s17, 0
	s_cmp_lg_u32 s20, 0
	s_cselect_b32 s15, s21, s18
	s_cselect_b32 s14, s14, s19
	s_cmp_lg_u64 s[12:13], 0
	s_subb_u32 s9, s9, s16
	s_cmp_ge_u32 s9, s3
	s_cselect_b32 s12, -1, 0
	s_cmp_ge_u32 s8, s2
	s_cselect_b32 s2, -1, 0
	s_cmp_eq_u32 s9, s3
	s_cselect_b32 s2, s2, s12
	s_cmp_lg_u32 s2, 0
	s_cselect_b32 s3, s14, s9
	s_cselect_b32 s2, s15, s8
	s_xor_b64 s[2:3], s[2:3], s[6:7]
	s_sub_u32 s66, s2, s6
	s_subb_u32 s67, s3, s6
	s_mov_b64 s[2:3], 0
	s_branch .LBB14_77
.LBB14_76:                              ;   in Loop: Header=BB14_32 Depth=1
	s_mov_b64 s[2:3], -1
                                        ; implicit-def: $sgpr66_sgpr67
.LBB14_77:                              ;   in Loop: Header=BB14_32 Depth=1
	s_mov_b64 s[76:77], s[78:79]
	s_mov_b64 s[78:79], s[74:75]
	;; [unrolled: 1-line block ×4, first 2 shown]
	s_andn2_b64 vcc, exec, s[2:3]
	s_cbranch_vccnz .LBB14_79
; %bb.78:                               ;   in Loop: Header=BB14_32 Depth=1
	v_cvt_f32_u32_e32 v2, s98
	s_sub_i32 s2, 0, s98
	s_mov_b32 s67, s99
	v_rcp_iflag_f32_e32 v2, v2
	s_nop 0
	v_mul_f32_e32 v2, 0x4f7ffffe, v2
	v_cvt_u32_f32_e32 v2, v2
	s_nop 0
	v_readfirstlane_b32 s3, v2
	s_mul_i32 s2, s2, s3
	s_mul_hi_u32 s2, s3, s2
	s_add_i32 s3, s3, s2
	s_mul_hi_u32 s2, s56, s3
	s_mul_i32 s2, s2, s98
	s_sub_i32 s2, s56, s2
	s_sub_i32 s3, s2, s98
	s_cmp_ge_u32 s2, s98
	s_cselect_b32 s2, s3, s2
	s_sub_i32 s3, s2, s98
	s_cmp_ge_u32 s2, s98
	s_cselect_b32 s66, s3, s2
.LBB14_79:                              ;   in Loop: Header=BB14_32 Depth=1
	s_sub_u32 s80, s56, s66
	s_subb_u32 s81, s57, s67
	s_mov_b32 s65, s99
	v_cmp_gt_i64_e32 vcc, s[80:81], v[16:17]
	v_mov_b64_e32 v[4:5], 0
	v_mov_b64_e32 v[6:7], 0
	;; [unrolled: 1-line block ×4, first 2 shown]
	s_and_saveexec_b64 s[68:69], vcc
	s_cbranch_execz .LBB14_83
; %bb.80:                               ;   in Loop: Header=BB14_32 Depth=1
	v_readlane_b32 s2, v67, 36
	v_readlane_b32 s3, v67, 37
	v_writelane_b32 v66, s94, 7
	s_mul_i32 s2, s11, s64
	s_mul_hi_u32 s3, s10, s64
	v_writelane_b32 v66, s95, 8
	s_mov_b32 s73, s88
	s_mov_b64 s[4:5], s[92:93]
	s_add_i32 s31, s3, s2
	s_mov_b64 s[70:71], 0
	s_mov_b64 s[88:89], s[90:91]
	;; [unrolled: 1-line block ×6, first 2 shown]
	v_mov_b64_e32 v[36:37], v[16:17]
.LBB14_81:                              ;   Parent Loop BB14_32 Depth=1
                                        ; =>  This Inner Loop Header: Depth=2
	v_lshl_add_u64 v[4:5], s[90:91], 0, v[30:31]
	v_lshl_add_u64 v[6:7], s[90:91], 0, v[28:29]
	;; [unrolled: 1-line block ×4, first 2 shown]
	global_load_sbyte v2, v[4:5], off
	s_nop 0
	global_load_sbyte v4, v[6:7], off
	global_load_sbyte v5, v[8:9], off
	s_nop 0
	global_load_sbyte v6, v[10:11], off
	s_mul_i32 s72, s10, s64
	v_lshl_add_u64 v[36:37], v[36:37], 0, s[98:99]
	v_cmp_le_i64_e32 vcc, s[80:81], v[36:37]
	s_waitcnt vmcnt(3)
	v_add_u32_e32 v2, 0x80, v2
	s_waitcnt vmcnt(2)
	v_add_u32_e32 v4, 0x80, v4
	v_and_b32_e32 v7, v2, v46
	v_bfe_u32 v2, v2, s0, 2
	s_waitcnt vmcnt(1)
	v_add_u32_e32 v5, 0x80, v5
	v_and_b32_e32 v8, v4, v46
	v_bfe_u32 v4, v4, s0, 2
	v_cmp_eq_u32_e64 s[2:3], v7, v44
	v_cmp_eq_u32_e64 s[20:21], 0, v2
	s_waitcnt vmcnt(0)
	v_add_u32_e32 v6, 0x80, v6
	v_and_b32_e32 v9, v5, v46
	v_bfe_u32 v5, v5, s0, 2
	v_cmp_eq_u32_e64 s[14:15], v8, v44
	v_cmp_eq_u32_e64 s[22:23], 0, v4
	s_and_b64 s[20:21], s[2:3], s[20:21]
	v_and_b32_e32 v10, v6, v46
	v_bfe_u32 v6, v6, s0, 2
	v_cmp_eq_u32_e64 s[16:17], v9, v44
	v_cmp_eq_u32_e64 s[24:25], 0, v5
	v_cmp_eq_u32_e64 s[28:29], 1, v2
	v_cmp_eq_u32_e64 s[40:41], 2, v2
	v_cmp_eq_u32_e64 s[48:49], 3, v2
	v_cndmask_b32_e64 v2, 0, 1, s[20:21]
	s_and_b64 s[20:21], s[14:15], s[22:23]
	v_cmp_eq_u32_e64 s[18:19], v10, v44
	v_cmp_eq_u32_e64 s[26:27], 0, v6
	;; [unrolled: 1-line block ×5, first 2 shown]
	v_cndmask_b32_e64 v4, 0, 1, s[20:21]
	s_and_b64 s[20:21], s[16:17], s[24:25]
	v_cmp_eq_u32_e64 s[36:37], 1, v5
	v_cmp_eq_u32_e64 s[44:45], 2, v5
	;; [unrolled: 1-line block ×3, first 2 shown]
	v_cndmask_b32_e64 v5, 0, 1, s[20:21]
	s_and_b64 s[20:21], s[18:19], s[26:27]
	v_cmp_eq_u32_e64 s[38:39], 1, v6
	v_cmp_eq_u32_e64 s[46:47], 2, v6
	;; [unrolled: 1-line block ×3, first 2 shown]
	v_cndmask_b32_e64 v6, 0, 1, s[20:21]
	v_cmp_ne_u32_e64 s[20:21], 0, v2
	v_cmp_ne_u32_e64 s[22:23], 0, v4
	v_cmp_ne_u32_e64 s[24:25], 0, v5
	v_cmp_ne_u32_e64 s[26:27], 0, v6
	s_bcnt1_i32_b64 s20, s[20:21]
	s_bcnt1_i32_b64 s21, s[22:23]
	s_bcnt1_i32_b64 s22, s[24:25]
	s_bcnt1_i32_b64 s23, s[26:27]
	s_add_u32 s6, s20, s6
	s_addc_u32 s7, 0, s7
	s_add_u32 s6, s6, s21
	s_addc_u32 s7, s7, 0
	s_add_u32 s6, s6, s22
	s_addc_u32 s7, s7, 0
	s_add_u32 s6, s6, s23
	s_addc_u32 s7, s7, 0
	s_and_b64 s[20:21], s[2:3], s[28:29]
	v_cndmask_b32_e64 v2, 0, 1, s[20:21]
	s_and_b64 s[20:21], s[14:15], s[34:35]
	v_cndmask_b32_e64 v6, 0, 1, s[20:21]
	s_and_b64 s[20:21], s[16:17], s[36:37]
	v_cndmask_b32_e64 v7, 0, 1, s[20:21]
	s_and_b64 s[20:21], s[18:19], s[38:39]
	v_cndmask_b32_e64 v8, 0, 1, s[20:21]
	v_cmp_ne_u32_e64 s[20:21], 0, v2
	v_cmp_ne_u32_e64 s[22:23], 0, v6
	v_cmp_ne_u32_e64 s[24:25], 0, v7
	v_cmp_ne_u32_e64 s[26:27], 0, v8
	s_bcnt1_i32_b64 s20, s[20:21]
	s_bcnt1_i32_b64 s21, s[22:23]
	s_bcnt1_i32_b64 s22, s[24:25]
	s_bcnt1_i32_b64 s23, s[26:27]
	s_add_u32 s12, s20, s12
	s_addc_u32 s13, 0, s13
	s_add_u32 s12, s12, s21
	s_addc_u32 s13, s13, 0
	s_add_u32 s12, s12, s22
	s_addc_u32 s13, s13, 0
	s_add_u32 s12, s12, s23
	s_addc_u32 s13, s13, 0
	s_and_b64 s[20:21], s[2:3], s[40:41]
	v_cndmask_b32_e64 v2, 0, 1, s[20:21]
	s_and_b64 s[20:21], s[14:15], s[42:43]
	v_cndmask_b32_e64 v8, 0, 1, s[20:21]
	s_and_b64 s[20:21], s[16:17], s[44:45]
	v_cndmask_b32_e64 v9, 0, 1, s[20:21]
	s_and_b64 s[20:21], s[18:19], s[46:47]
	;; [unrolled: 24-line block ×3, first 2 shown]
	v_cndmask_b32_e64 v38, 0, 1, s[2:3]
	v_cmp_ne_u32_e64 s[2:3], 0, v2
	v_cmp_ne_u32_e64 s[14:15], 0, v10
	;; [unrolled: 1-line block ×4, first 2 shown]
	s_bcnt1_i32_b64 s2, s[2:3]
	s_bcnt1_i32_b64 s3, s[14:15]
	;; [unrolled: 1-line block ×4, first 2 shown]
	s_add_u32 s2, s2, s8
	s_addc_u32 s8, 0, s9
	s_add_u32 s2, s2, s3
	s_addc_u32 s3, s8, 0
	;; [unrolled: 2-line block ×5, first 2 shown]
	v_mov_b64_e32 v[4:5], s[6:7]
	v_mov_b64_e32 v[6:7], s[12:13]
	;; [unrolled: 1-line block ×3, first 2 shown]
	s_or_b64 s[70:71], vcc, s[70:71]
	v_mov_b64_e32 v[10:11], s[8:9]
	s_andn2_b64 exec, exec, s[70:71]
	s_cbranch_execnz .LBB14_81
; %bb.82:                               ;   in Loop: Header=BB14_32 Depth=1
	s_or_b64 exec, exec, s[70:71]
	v_readlane_b32 s94, v66, 7
	v_readlane_b32 s54, v67, 59
	s_mov_b64 s[90:91], s[88:89]
	s_mov_b64 s[92:93], s[4:5]
	s_mov_b32 s88, s73
	v_readlane_b32 s95, v66, 8
	v_readlane_b32 s55, v67, 60
	;; [unrolled: 1-line block ×7, first 2 shown]
	s_mov_b32 s58, 0xc0c0004
	v_readlane_b32 s72, v66, 2
	v_readlane_b32 s94, v66, 3
.LBB14_83:                              ;   in Loop: Header=BB14_32 Depth=1
	s_or_b64 exec, exec, s[68:69]
	v_lshl_add_u64 v[36:37], s[80:81], 0, v[0:1]
	v_cmp_gt_i64_e32 vcc, s[56:57], v[36:37]
	s_and_saveexec_b64 s[6:7], vcc
	v_readlane_b32 s4, v66, 4
	s_mov_b64 s[68:69], s[60:61]
	s_mov_b64 s[60:61], s[74:75]
	v_readlane_b32 s5, v66, 5
	s_mov_b64 s[74:75], s[78:79]
	s_mov_b64 s[78:79], s[76:77]
	s_cbranch_execz .LBB14_89
; %bb.84:                               ;   in Loop: Header=BB14_32 Depth=1
	v_mov_b64_e32 v[38:39], s[90:91]
	v_mad_u64_u32 v[38:39], s[2:3], v36, s62, v[38:39]
	v_mul_lo_u32 v2, v36, s63
	v_mul_lo_u32 v48, v37, s62
	v_add3_u32 v39, v48, v39, v2
	global_load_ubyte v2, v[38:39], off
	v_lshl_add_u64 v[38:39], v[32:33], 0, s[64:65]
	v_mov_b32_e32 v48, s67
	v_subrev_co_u32_e32 v49, vcc, s66, v38
	v_readlane_b32 s2, v67, 57
	s_nop 0
	v_subb_co_u32_e32 v38, vcc, v39, v48, vcc
	v_readlane_b32 s3, v67, 58
	v_mul_lo_u32 v48, s62, v38
	v_mul_lo_u32 v52, s63, v49
	v_mov_b64_e32 v[38:39], s[2:3]
	v_mad_u64_u32 v[38:39], s[2:3], s62, v49, v[38:39]
	s_mul_i32 s2, s63, s64
	s_mul_hi_u32 s3, s62, s64
	v_add3_u32 v39, v52, v39, v48
	s_add_i32 s9, s3, s2
	s_mul_i32 s8, s62, s64
	s_mov_b64 s[12:13], 0
	s_branch .LBB14_86
.LBB14_85:                              ;   in Loop: Header=BB14_86 Depth=2
	s_or_b64 exec, exec, s[14:15]
	s_waitcnt vmcnt(0)
	v_add_u32_sdwa v2, sext(v2), s1 dst_sel:DWORD dst_unused:UNUSED_PAD src0_sel:BYTE_0 src1_sel:DWORD
	s_and_b64 s[2:3], exec, vcc
	v_and_b32_e32 v49, v2, v46
	v_bfe_u32 v2, v2, s0, 2
	s_or_b64 s[12:13], s[2:3], s[12:13]
	v_cmp_eq_u32_e32 vcc, v49, v44
	v_cmp_eq_u32_e64 s[2:3], 0, v2
	s_and_b64 s[2:3], vcc, s[2:3]
	v_lshl_add_u64 v[38:39], v[38:39], 0, s[8:9]
	v_cndmask_b32_e64 v49, 0, 1, s[2:3]
	v_cmp_ne_u32_e64 s[2:3], 0, v49
	s_bcnt1_i32_b64 s98, s[2:3]
	v_cmp_eq_u32_e64 s[2:3], 1, v2
	s_and_b64 s[2:3], vcc, s[2:3]
	v_lshl_add_u64 v[4:5], s[98:99], 0, v[4:5]
	v_cndmask_b32_e64 v49, 0, 1, s[2:3]
	v_cmp_ne_u32_e64 s[2:3], 0, v49
	s_bcnt1_i32_b64 s98, s[2:3]
	;; [unrolled: 6-line block ×3, first 2 shown]
	v_cmp_eq_u32_e64 s[2:3], 3, v2
	s_and_b64 s[2:3], vcc, s[2:3]
	v_lshl_add_u64 v[8:9], s[98:99], 0, v[8:9]
	v_cndmask_b32_e64 v2, 0, 1, s[2:3]
	v_cmp_ne_u32_e32 vcc, 0, v2
	s_bcnt1_i32_b64 s98, vcc
	v_lshl_add_u64 v[10:11], s[98:99], 0, v[10:11]
	v_mov_b32_e32 v2, v48
	s_andn2_b64 exec, exec, s[12:13]
	s_cbranch_execz .LBB14_88
.LBB14_86:                              ;   Parent Loop BB14_32 Depth=1
                                        ; =>  This Inner Loop Header: Depth=2
	v_lshl_add_u64 v[36:37], v[36:37], 0, s[64:65]
	v_cmp_gt_i64_e64 s[2:3], s[56:57], v[36:37]
	v_cmp_le_i64_e32 vcc, s[56:57], v[36:37]
	v_mov_b32_e32 v48, 0
	s_and_saveexec_b64 s[14:15], s[2:3]
	s_cbranch_execz .LBB14_85
; %bb.87:                               ;   in Loop: Header=BB14_86 Depth=2
	global_load_ubyte v48, v[38:39], off
	s_branch .LBB14_85
.LBB14_88:                              ;   in Loop: Header=BB14_32 Depth=1
	s_or_b64 exec, exec, s[12:13]
.LBB14_89:                              ;   in Loop: Header=BB14_32 Depth=1
	s_or_b64 exec, exec, s[6:7]
	v_readlane_b32 s67, v66, 6
	s_branch .LBB14_66
.LBB14_90:                              ;   in Loop: Header=BB14_32 Depth=1
	global_load_ushort v2, v3, s[54:55]
	v_mov_b64_e32 v[8:9], 0
	s_waitcnt vmcnt(0)
	v_readfirstlane_b32 s2, v2
	s_and_b32 s31, 0xffff, s2
	s_lshl_b32 s98, s31, 2
	v_cvt_f32_u32_e32 v4, s98
	s_sub_i32 s2, 0, s98
	v_rcp_iflag_f32_e32 v6, v4
	v_mov_b64_e32 v[4:5], 0
	v_mul_f32_e32 v6, 0x4f7ffffe, v6
	v_cvt_u32_f32_e32 v10, v6
	v_mov_b64_e32 v[6:7], 0
	v_readfirstlane_b32 s3, v10
	s_mul_i32 s2, s2, s3
	s_mul_hi_u32 s2, s3, s2
	s_add_i32 s3, s3, s2
	s_mul_hi_u32 s2, s30, s3
	s_mul_i32 s3, s2, s98
	s_sub_i32 s3, s30, s3
	s_add_i32 s6, s2, 1
	s_sub_i32 s7, s3, s98
	s_cmp_ge_u32 s3, s98
	s_cselect_b32 s2, s6, s2
	s_cselect_b32 s3, s7, s3
	s_add_i32 s6, s2, 1
	s_cmp_ge_u32 s3, s98
	s_cselect_b32 s2, s6, s2
	s_mul_hi_u32 s7, s31, s2
	s_mul_i32 s6, s31, s2
	s_lshl_b64 s[8:9], s[6:7], 2
	v_cmp_gt_u64_e32 vcc, s[8:9], v[16:17]
	v_mov_b64_e32 v[10:11], 0
	s_and_saveexec_b64 s[12:13], vcc
	s_cbranch_execz .LBB14_94
; %bb.91:                               ;   in Loop: Header=BB14_32 Depth=1
	s_mov_b64 s[76:77], s[78:79]
	s_mov_b64 s[78:79], s[74:75]
	;; [unrolled: 1-line block ×5, first 2 shown]
	v_mov_b32_e32 v38, v16
	s_mov_b64 s[66:67], 0
	s_mov_b64 s[68:69], 0
	;; [unrolled: 1-line block ×4, first 2 shown]
	v_mov_b64_e32 v[36:37], v[16:17]
.LBB14_92:                              ;   Parent Loop BB14_32 Depth=1
                                        ; =>  This Inner Loop Header: Depth=2
	ds_read_b32 v4, v38
	v_lshl_add_u64 v[36:37], v[36:37], 0, s[98:99]
	v_cmp_le_u64_e32 vcc, s[8:9], v[36:37]
	v_add_u32_e32 v38, s98, v38
	s_waitcnt lgkmcnt(0)
	v_add_u32_sdwa v5, sext(v4), s1 dst_sel:DWORD dst_unused:UNUSED_PAD src0_sel:BYTE_0 src1_sel:DWORD
	v_add_u32_sdwa v6, sext(v4), s1 dst_sel:DWORD dst_unused:UNUSED_PAD src0_sel:BYTE_1 src1_sel:DWORD
	v_and_b32_e32 v8, v5, v46
	v_bfe_u32 v5, v5, s0, 2
	v_add_u32_sdwa v7, sext(v4), s1 dst_sel:DWORD dst_unused:UNUSED_PAD src0_sel:BYTE_2 src1_sel:DWORD
	v_add_u32_sdwa v4, sext(v4), s1 dst_sel:DWORD dst_unused:UNUSED_PAD src0_sel:BYTE_3 src1_sel:DWORD
	v_and_b32_e32 v9, v6, v46
	v_bfe_u32 v6, v6, s0, 2
	v_cmp_eq_u32_e64 s[20:21], v8, v44
	v_cmp_eq_u32_e64 s[2:3], 0, v5
	v_and_b32_e32 v10, v7, v46
	v_and_b32_e32 v11, v4, v46
	v_bfe_u32 v7, v7, s0, 2
	v_bfe_u32 v4, v4, s0, 2
	v_cmp_eq_u32_e64 s[18:19], v9, v44
	v_cmp_eq_u32_e64 s[34:35], 0, v6
	s_and_b64 s[2:3], s[20:21], s[2:3]
	v_cmp_eq_u32_e64 s[16:17], v10, v44
	v_cmp_eq_u32_e64 s[36:37], 0, v7
	;; [unrolled: 1-line block ×6, first 2 shown]
	v_cndmask_b32_e64 v4, 0, 1, s[2:3]
	s_and_b64 s[2:3], s[18:19], s[34:35]
	v_cmp_eq_u32_e64 s[14:15], v11, v44
	v_cmp_eq_u32_e64 s[40:41], 1, v5
	;; [unrolled: 1-line block ×4, first 2 shown]
	v_cndmask_b32_e64 v5, 0, 1, s[2:3]
	s_and_b64 s[2:3], s[16:17], s[36:37]
	v_cmp_eq_u32_e64 s[42:43], 1, v6
	v_cmp_eq_u32_e64 s[50:51], 2, v6
	;; [unrolled: 1-line block ×3, first 2 shown]
	v_cndmask_b32_e64 v6, 0, 1, s[2:3]
	s_and_b64 s[2:3], s[14:15], s[38:39]
	v_cmp_eq_u32_e64 s[44:45], 1, v7
	v_cmp_eq_u32_e64 s[52:53], 2, v7
	;; [unrolled: 1-line block ×3, first 2 shown]
	v_cndmask_b32_e64 v7, 0, 1, s[2:3]
	v_cmp_ne_u32_e64 s[2:3], 0, v4
	v_cmp_ne_u32_e64 s[34:35], 0, v5
	v_cmp_ne_u32_e64 s[36:37], 0, v6
	v_cmp_ne_u32_e64 s[38:39], 0, v7
	s_bcnt1_i32_b64 s2, s[2:3]
	s_bcnt1_i32_b64 s3, s[34:35]
	s_bcnt1_i32_b64 s7, s[36:37]
	s_bcnt1_i32_b64 s34, s[38:39]
	s_add_u32 s2, s2, s80
	s_addc_u32 s35, 0, s81
	s_add_u32 s2, s2, s3
	s_addc_u32 s3, s35, 0
	s_add_u32 s2, s2, s7
	s_addc_u32 s3, s3, 0
	s_add_u32 s80, s2, s34
	s_addc_u32 s81, s3, 0
	s_and_b64 s[2:3], s[20:21], s[40:41]
	v_cndmask_b32_e64 v6, 0, 1, s[2:3]
	s_and_b64 s[2:3], s[18:19], s[42:43]
	v_cndmask_b32_e64 v7, 0, 1, s[2:3]
	s_and_b64 s[2:3], s[16:17], s[44:45]
	v_cndmask_b32_e64 v8, 0, 1, s[2:3]
	s_and_b64 s[2:3], s[14:15], s[46:47]
	v_cndmask_b32_e64 v9, 0, 1, s[2:3]
	v_cmp_ne_u32_e64 s[2:3], 0, v6
	v_cmp_ne_u32_e64 s[34:35], 0, v7
	v_cmp_ne_u32_e64 s[36:37], 0, v8
	v_cmp_ne_u32_e64 s[38:39], 0, v9
	s_bcnt1_i32_b64 s2, s[2:3]
	s_bcnt1_i32_b64 s3, s[34:35]
	s_bcnt1_i32_b64 s7, s[36:37]
	s_bcnt1_i32_b64 s34, s[38:39]
	s_add_u32 s2, s2, s70
	s_addc_u32 s35, 0, s71
	s_add_u32 s2, s2, s3
	s_addc_u32 s3, s35, 0
	s_add_u32 s2, s2, s7
	s_addc_u32 s3, s3, 0
	s_add_u32 s70, s2, s34
	s_addc_u32 s71, s3, 0
	s_and_b64 s[2:3], s[20:21], s[48:49]
	v_cndmask_b32_e64 v8, 0, 1, s[2:3]
	s_and_b64 s[2:3], s[18:19], s[50:51]
	v_cndmask_b32_e64 v9, 0, 1, s[2:3]
	s_and_b64 s[2:3], s[16:17], s[52:53]
	v_cndmask_b32_e64 v10, 0, 1, s[2:3]
	s_and_b64 s[2:3], s[14:15], s[54:55]
	;; [unrolled: 24-line block ×3, first 2 shown]
	v_cndmask_b32_e64 v48, 0, 1, s[2:3]
	v_cmp_ne_u32_e64 s[2:3], 0, v10
	v_cmp_ne_u32_e64 s[14:15], 0, v11
	;; [unrolled: 1-line block ×4, first 2 shown]
	s_bcnt1_i32_b64 s2, s[2:3]
	s_bcnt1_i32_b64 s3, s[14:15]
	;; [unrolled: 1-line block ×4, first 2 shown]
	s_add_u32 s2, s2, s66
	s_addc_u32 s15, 0, s67
	s_add_u32 s2, s2, s3
	s_addc_u32 s3, s15, 0
	;; [unrolled: 2-line block ×4, first 2 shown]
	v_mov_b64_e32 v[4:5], s[80:81]
	v_mov_b64_e32 v[6:7], s[70:71]
	;; [unrolled: 1-line block ×3, first 2 shown]
	s_or_b64 s[64:65], vcc, s[64:65]
	v_mov_b64_e32 v[10:11], s[66:67]
	s_andn2_b64 exec, exec, s[64:65]
	s_cbranch_execnz .LBB14_92
; %bb.93:                               ;   in Loop: Header=BB14_32 Depth=1
	s_or_b64 exec, exec, s[64:65]
	v_readlane_b32 s54, v67, 59
	v_readlane_b32 s4, v66, 4
	;; [unrolled: 1-line block ×7, first 2 shown]
	s_mov_b64 s[68:69], s[60:61]
	s_mov_b64 s[60:61], s[74:75]
	v_readlane_b32 s5, v66, 5
	v_readlane_b32 s67, v66, 6
	s_mov_b64 s[74:75], s[78:79]
	s_mov_b64 s[78:79], s[76:77]
.LBB14_94:                              ;   in Loop: Header=BB14_32 Depth=1
	s_or_b64 exec, exec, s[12:13]
	s_and_b32 s12, s30, 0x7fffffff
	s_mov_b32 s13, s99
	v_lshl_add_u64 v[36:37], s[8:9], 0, v[0:1]
	v_and_b32_e32 v2, 0xffff, v2
	v_cmp_gt_u64_e32 vcc, s[12:13], v[36:37]
	s_and_saveexec_b64 s[8:9], vcc
	s_cbranch_execz .LBB14_98
; %bb.95:                               ;   in Loop: Header=BB14_32 Depth=1
	v_lshl_add_u32 v38, s6, 2, v0
	s_mov_b64 s[6:7], 0
.LBB14_96:                              ;   Parent Loop BB14_32 Depth=1
                                        ; =>  This Inner Loop Header: Depth=2
	ds_read_i8 v39, v38
	v_lshl_add_u64 v[36:37], v[36:37], 0, v[2:3]
	v_cmp_le_u64_e32 vcc, s[12:13], v[36:37]
	v_add_u32_e32 v38, s31, v38
	s_waitcnt lgkmcnt(0)
	v_add_u32_e32 v39, 0x80, v39
	v_and_b32_e32 v48, v39, v46
	v_bfe_u32 v39, v39, s0, 2
	v_cmp_eq_u32_e64 s[2:3], v48, v44
	v_cmp_eq_u32_e64 s[14:15], 0, v39
	;; [unrolled: 1-line block ×3, first 2 shown]
	s_and_b64 s[14:15], s[2:3], s[14:15]
	v_cmp_eq_u32_e64 s[18:19], 2, v39
	v_cmp_eq_u32_e64 s[20:21], 3, v39
	v_cndmask_b32_e64 v39, 0, 1, s[14:15]
	s_and_b64 s[14:15], s[2:3], s[16:17]
	v_cndmask_b32_e64 v48, 0, 1, s[14:15]
	s_and_b64 s[14:15], s[2:3], s[18:19]
	s_and_b64 s[2:3], s[2:3], s[20:21]
	v_cndmask_b32_e64 v52, 0, 1, s[2:3]
	v_cmp_ne_u32_e64 s[2:3], 0, v39
	v_cndmask_b32_e64 v49, 0, 1, s[14:15]
	v_cmp_ne_u32_e64 s[14:15], 0, v48
	s_bcnt1_i32_b64 s98, s[2:3]
	v_cmp_ne_u32_e64 s[16:17], 0, v49
	v_lshl_add_u64 v[4:5], s[98:99], 0, v[4:5]
	s_bcnt1_i32_b64 s98, s[14:15]
	v_cmp_ne_u32_e64 s[18:19], 0, v52
	v_lshl_add_u64 v[6:7], s[98:99], 0, v[6:7]
	s_bcnt1_i32_b64 s98, s[16:17]
	v_lshl_add_u64 v[8:9], s[98:99], 0, v[8:9]
	s_bcnt1_i32_b64 s98, s[18:19]
	s_or_b64 s[6:7], vcc, s[6:7]
	v_lshl_add_u64 v[10:11], s[98:99], 0, v[10:11]
	s_andn2_b64 exec, exec, s[6:7]
	s_cbranch_execnz .LBB14_96
; %bb.97:                               ;   in Loop: Header=BB14_32 Depth=1
	s_or_b64 exec, exec, s[6:7]
.LBB14_98:                              ;   in Loop: Header=BB14_32 Depth=1
	s_or_b64 exec, exec, s[8:9]
	s_lshl_b32 s6, s59, 6
	s_and_saveexec_b64 s[2:3], s[4:5]
	s_cbranch_execnz .LBB14_67
	s_branch .LBB14_68
.LBB14_99:                              ;   in Loop: Header=BB14_32 Depth=1
	s_or_b64 exec, exec, s[8:9]
	s_waitcnt lgkmcnt(0)
	s_barrier
	s_mov_b64 s[2:3], exec
	v_readlane_b32 s8, v67, 32
	v_readlane_b32 s9, v67, 33
	s_and_b64 s[8:9], s[2:3], s[8:9]
	s_mov_b64 exec, s[8:9]
	s_cbranch_execz .LBB14_101
; %bb.100:                              ;   in Loop: Header=BB14_32 Depth=1
	ds_read_b32 v4, v3 offset:5136
	s_waitcnt lgkmcnt(0)
	v_ashrrev_i32_e32 v5, 31, v4
	ds_write_b64 v3, v[4:5] offset:5120
.LBB14_101:                             ;   in Loop: Header=BB14_32 Depth=1
	s_or_b64 exec, exec, s[2:3]
	s_waitcnt lgkmcnt(0)
	s_barrier
	s_mov_b64 s[2:3], -1
	s_and_b64 vcc, exec, s[6:7]
	s_cbranch_vccnz .LBB14_47
	s_branch .LBB14_62
.LBB14_102:                             ;   in Loop: Header=BB14_32 Depth=1
	s_mov_b32 s7, 0
	v_mov_b64_e32 v[4:5], 0
.LBB14_103:                             ;   in Loop: Header=BB14_32 Depth=1
	v_readlane_b32 s8, v67, 55
	v_readlane_b32 s9, v67, 56
	s_andn2_b64 vcc, exec, s[8:9]
	s_cbranch_vccnz .LBB14_106
; %bb.104:                              ;   in Loop: Header=BB14_32 Depth=1
	s_lshl_b32 s8, s59, 9
	s_lshl_b32 s7, s7, 5
	s_add_i32 s8, s8, s7
	v_add_u32_e32 v2, s8, v43
	v_readlane_b32 s7, v67, 54
.LBB14_105:                             ;   Parent Loop BB14_32 Depth=1
                                        ; =>  This Inner Loop Header: Depth=2
	ds_read_b64 v[6:7], v2
	s_add_i32 s7, s7, -1
	v_add_u32_e32 v2, 32, v2
	s_cmp_lg_u32 s7, 0
	s_waitcnt lgkmcnt(0)
	v_lshl_add_u64 v[4:5], v[6:7], 0, v[4:5]
	s_cbranch_scc1 .LBB14_105
.LBB14_106:                             ;   in Loop: Header=BB14_32 Depth=1
	v_add_lshl_u32 v2, s6, v40, 3
	ds_write_b64 v2, v[4:5] offset:3072
.LBB14_107:                             ;   in Loop: Header=BB14_32 Depth=1
	s_or_b64 exec, exec, s[2:3]
	s_lshl_b32 s2, s6, 3
	v_mov_b32_e32 v2, s2
	s_waitcnt lgkmcnt(0)
	s_barrier
	ds_read_b128 v[8:11], v2 offset:3088
	ds_read_b128 v[4:7], v2 offset:3072
	s_lshl_b32 s64, 3, s0
	v_cmp_eq_u64_e64 s[2:3], 1, v[34:35]
	s_not_b32 s50, s64
	s_waitcnt lgkmcnt(1)
	v_readfirstlane_b32 s22, v8
	s_waitcnt lgkmcnt(0)
	v_cmp_eq_u64_e32 vcc, 1, v[4:5]
	v_readfirstlane_b32 s23, v9
	v_readfirstlane_b32 s14, v10
	;; [unrolled: 1-line block ×3, first 2 shown]
	s_and_b64 s[18:19], vcc, s[2:3]
	s_mov_b64 s[2:3], -1
	s_mov_b64 s[12:13], -1
                                        ; implicit-def: $sgpr8_sgpr9
                                        ; implicit-def: $sgpr6_sgpr7
	s_and_saveexec_b64 s[16:17], s[18:19]
	s_cbranch_execz .LBB14_141
; %bb.108:                              ;   in Loop: Header=BB14_32 Depth=1
	ds_read_b64 v[8:9], v3 offset:5120
	s_waitcnt lgkmcnt(0)
	s_barrier
	v_readfirstlane_b32 s20, v8
	v_readfirstlane_b32 s21, v9
	s_mov_b64 s[6:7], exec
	v_readlane_b32 s8, v67, 38
	v_readlane_b32 s9, v67, 39
	s_and_b64 s[8:9], s[6:7], s[8:9]
	s_mov_b64 exec, s[8:9]
; %bb.109:                              ;   in Loop: Header=BB14_32 Depth=1
	ds_write_b8 v0, v3 offset:3072
; %bb.110:                              ;   in Loop: Header=BB14_32 Depth=1
	s_or_b64 exec, exec, s[6:7]
	v_cmp_lt_i64_e64 s[12:13], s[20:21], 1
	v_and_b32_e32 v44, s50, v44
	v_or_b32_e32 v46, s64, v46
	s_mov_b64 s[6:7], -1
	s_mov_b64 s[8:9], 0
	s_and_b64 vcc, exec, s[12:13]
	s_mov_b64 s[12:13], 0
	s_mov_b64 s[24:25], -1
	s_waitcnt lgkmcnt(0)
	s_barrier
                                        ; implicit-def: $vgpr47
	s_cbranch_vccz .LBB14_126
; %bb.111:                              ;   in Loop: Header=BB14_32 Depth=1
	s_mov_b32 s94, s99
	s_cmp_lg_u64 s[94:95], 0
	s_cbranch_scc0 .LBB14_113
; %bb.112:                              ;   in Loop: Header=BB14_32 Depth=1
	s_add_u32 s12, s96, 0
	s_addc_u32 s13, 0, 0
	s_xor_b64 s[12:13], s[12:13], 0
	v_cvt_f32_u32_e32 v2, s12
	v_cvt_f32_u32_e32 v8, s13
	s_sub_u32 s26, 0, s12
	s_subb_u32 s27, 0, s13
	v_fmac_f32_e32 v2, 0x4f800000, v8
	v_rcp_f32_e32 v2, v2
	s_nop 0
	v_mul_f32_e32 v2, 0x5f7ffffc, v2
	v_mul_f32_e32 v8, 0x2f800000, v2
	v_trunc_f32_e32 v8, v8
	v_fmac_f32_e32 v2, 0xcf800000, v8
	v_cvt_u32_f32_e32 v8, v8
	v_cvt_u32_f32_e32 v2, v2
	v_readfirstlane_b32 s28, v8
	v_readfirstlane_b32 s24, v2
	s_mul_i32 s25, s26, s28
	s_mul_hi_u32 s30, s26, s24
	s_mul_i32 s29, s27, s24
	s_add_i32 s25, s30, s25
	s_mul_i32 s31, s26, s24
	s_add_i32 s25, s25, s29
	s_mul_i32 s30, s24, s25
	s_mul_hi_u32 s34, s24, s31
	s_mul_hi_u32 s29, s24, s25
	s_add_u32 s30, s34, s30
	s_addc_u32 s29, 0, s29
	s_mul_hi_u32 s35, s28, s31
	s_mul_i32 s31, s28, s31
	s_add_u32 s30, s30, s31
	s_mul_hi_u32 s34, s28, s25
	s_addc_u32 s29, s29, s35
	s_addc_u32 s30, s34, 0
	s_mul_i32 s25, s28, s25
	s_add_u32 s25, s29, s25
	s_addc_u32 s29, 0, s30
	s_add_u32 s30, s24, s25
	s_cselect_b64 s[24:25], -1, 0
	s_cmp_lg_u64 s[24:25], 0
	s_addc_u32 s28, s28, s29
	s_mul_i32 s24, s26, s28
	s_mul_hi_u32 s25, s26, s30
	s_add_i32 s24, s25, s24
	s_mul_i32 s27, s27, s30
	s_add_i32 s24, s24, s27
	s_mul_i32 s26, s26, s30
	s_mul_hi_u32 s27, s28, s26
	s_mul_i32 s29, s28, s26
	s_mul_i32 s34, s30, s24
	s_mul_hi_u32 s26, s30, s26
	s_mul_hi_u32 s31, s30, s24
	s_add_u32 s26, s26, s34
	s_addc_u32 s31, 0, s31
	s_add_u32 s26, s26, s29
	s_mul_hi_u32 s25, s28, s24
	s_addc_u32 s26, s31, s27
	s_addc_u32 s25, s25, 0
	s_mul_i32 s24, s28, s24
	s_add_u32 s24, s26, s24
	s_addc_u32 s26, 0, s25
	s_add_u32 s29, s30, s24
	s_cselect_b64 s[24:25], -1, 0
	s_cmp_lg_u64 s[24:25], 0
	s_addc_u32 s28, s28, s26
	s_ashr_i32 s24, s95, 31
	s_add_u32 s26, s88, s24
	s_mov_b32 s25, s24
	s_addc_u32 s27, s95, s24
	s_xor_b64 s[26:27], s[26:27], s[24:25]
	s_mul_i32 s31, s26, s28
	s_mul_hi_u32 s34, s26, s29
	s_mul_hi_u32 s30, s26, s28
	s_add_u32 s31, s34, s31
	s_addc_u32 s30, 0, s30
	s_mul_hi_u32 s35, s27, s29
	s_mul_i32 s29, s27, s29
	s_add_u32 s29, s31, s29
	s_mul_hi_u32 s34, s27, s28
	s_addc_u32 s29, s30, s35
	s_addc_u32 s30, s34, 0
	s_mul_i32 s28, s27, s28
	s_add_u32 s28, s29, s28
	s_addc_u32 s29, 0, s30
	s_mul_i32 s29, s12, s29
	s_mul_hi_u32 s30, s12, s28
	s_add_i32 s29, s30, s29
	s_mul_i32 s30, s13, s28
	s_add_i32 s34, s29, s30
	s_sub_i32 s30, s27, s34
	s_mul_i32 s28, s12, s28
	s_sub_u32 s26, s26, s28
	s_cselect_b64 s[28:29], -1, 0
	s_cmp_lg_u64 s[28:29], 0
	s_subb_u32 s35, s30, s13
	s_sub_u32 s36, s26, s12
	s_cselect_b64 s[30:31], -1, 0
	s_cmp_lg_u64 s[30:31], 0
	s_subb_u32 s37, s35, 0
	s_cmp_ge_u32 s37, s13
	s_cselect_b32 s38, -1, 0
	s_cmp_ge_u32 s36, s12
	s_cselect_b32 s39, -1, 0
	s_cmp_eq_u32 s37, s13
	s_cselect_b32 s38, s39, s38
	s_cmp_lg_u64 s[30:31], 0
	s_subb_u32 s35, s35, s13
	s_sub_u32 s39, s36, s12
	s_cselect_b64 s[30:31], -1, 0
	s_cmp_lg_u64 s[30:31], 0
	s_subb_u32 s30, s35, 0
	s_cmp_lg_u32 s38, 0
	s_cselect_b32 s31, s39, s36
	s_cselect_b32 s30, s30, s37
	s_cmp_lg_u64 s[28:29], 0
	s_subb_u32 s27, s27, s34
	s_cmp_ge_u32 s27, s13
	s_cselect_b32 s28, -1, 0
	s_cmp_ge_u32 s26, s12
	s_cselect_b32 s12, -1, 0
	s_cmp_eq_u32 s27, s13
	s_cselect_b32 s12, s12, s28
	s_cmp_lg_u32 s12, 0
	s_cselect_b32 s13, s30, s27
	s_cselect_b32 s12, s31, s26
	s_xor_b64 s[12:13], s[12:13], s[24:25]
	s_sub_u32 s12, s12, s24
	s_subb_u32 s13, s13, s24
	s_mov_b64 s[24:25], 0
	s_branch .LBB14_114
.LBB14_113:                             ;   in Loop: Header=BB14_32 Depth=1
                                        ; implicit-def: $sgpr12_sgpr13
.LBB14_114:                             ;   in Loop: Header=BB14_32 Depth=1
	s_andn2_b64 vcc, exec, s[24:25]
	v_readlane_b32 s73, v66, 1
	s_mov_b32 s58, 0xc0c0004
	v_readlane_b32 s72, v66, 2
	v_readlane_b32 s94, v66, 3
	s_cbranch_vccnz .LBB14_116
; %bb.115:                              ;   in Loop: Header=BB14_32 Depth=1
	v_cvt_f32_u32_e32 v2, s96
	s_sub_i32 s12, 0, s96
	v_rcp_iflag_f32_e32 v2, v2
	s_nop 0
	v_mul_f32_e32 v2, 0x4f7ffffe, v2
	v_cvt_u32_f32_e32 v2, v2
	s_nop 0
	v_readfirstlane_b32 s13, v2
	s_mul_i32 s12, s12, s13
	s_mul_hi_u32 s12, s13, s12
	s_add_i32 s13, s13, s12
	s_mul_hi_u32 s12, s88, s13
	s_mul_i32 s12, s12, s96
	s_sub_i32 s12, s88, s12
	s_sub_i32 s13, s12, s96
	s_cmp_ge_u32 s12, s96
	s_cselect_b32 s12, s13, s12
	s_sub_i32 s13, s12, s96
	s_cmp_ge_u32 s12, s96
	s_cselect_b32 s98, s13, s12
	s_mov_b64 s[12:13], s[98:99]
.LBB14_116:                             ;   in Loop: Header=BB14_32 Depth=1
	s_sub_u32 s28, s88, s12
	s_subb_u32 s29, s95, s13
	v_cmp_gt_i64_e32 vcc, s[28:29], v[0:1]
	s_mov_b64 s[24:25], 0
	s_mov_b64 s[12:13], 0
                                        ; implicit-def: $vgpr47
	s_and_saveexec_b64 s[26:27], vcc
	s_cbranch_execz .LBB14_125
; %bb.117:                              ;   in Loop: Header=BB14_32 Depth=1
	v_mov_b64_e32 v[8:9], v[12:13]
	v_mov_b64_e32 v[10:11], v[0:1]
                                        ; implicit-def: $sgpr30_sgpr31
	s_branch .LBB14_120
.LBB14_118:                             ;   in Loop: Header=BB14_120 Depth=2
	s_or_b64 exec, exec, s[34:35]
	s_waitcnt lgkmcnt(0)
	s_barrier
	ds_read_u16 v2, v3 offset:3072
	s_mov_b64 s[34:35], -1
	s_waitcnt lgkmcnt(0)
	s_barrier
	v_cmp_ne_u32_sdwa s[36:37], v2, v3 src0_sel:BYTE_0 src1_sel:DWORD
	s_and_b64 vcc, exec, s[36:37]
	s_mov_b64 s[36:37], -1
	s_cbranch_vccz .LBB14_123
.LBB14_119:                             ;   in Loop: Header=BB14_120 Depth=2
	s_and_b64 s[34:35], exec, s[34:35]
	s_or_b64 s[12:13], s[34:35], s[12:13]
	s_andn2_b64 s[30:31], s[30:31], exec
	s_and_b64 s[34:35], s[36:37], exec
	s_or_b64 s[30:31], s[30:31], s[34:35]
	s_andn2_b64 exec, exec, s[12:13]
	s_cbranch_execz .LBB14_124
.LBB14_120:                             ;   Parent Loop BB14_32 Depth=1
                                        ; =>  This Inner Loop Header: Depth=2
	v_cmp_gt_i64_e32 vcc, s[56:57], v[10:11]
	s_and_saveexec_b64 s[34:35], vcc
	s_cbranch_execz .LBB14_118
; %bb.121:                              ;   in Loop: Header=BB14_120 Depth=2
	global_load_ubyte v2, v[8:9], off
	s_waitcnt vmcnt(0)
	v_add_u32_sdwa v36, sext(v2), s1 dst_sel:DWORD dst_unused:UNUSED_PAD src0_sel:BYTE_0 src1_sel:DWORD
	v_and_b32_e32 v36, v36, v46
	v_cmp_eq_u32_e32 vcc, v36, v44
	s_and_b64 exec, exec, vcc
	s_cbranch_execz .LBB14_118
; %bb.122:                              ;   in Loop: Header=BB14_120 Depth=2
	v_lshlrev_b16_e32 v2, 8, v2
	v_or_b32_e32 v2, 1, v2
	ds_write_b16 v3, v2 offset:3072
	s_branch .LBB14_118
.LBB14_123:                             ;   in Loop: Header=BB14_120 Depth=2
	v_lshl_add_u64 v[10:11], v[10:11], 0, s[96:97]
	v_cmp_le_i64_e32 vcc, s[28:29], v[10:11]
	v_lshl_add_u64 v[8:9], v[8:9], 0, s[92:93]
	s_mov_b64 s[36:37], 0
	s_orn2_b64 s[34:35], vcc, exec
	s_branch .LBB14_119
.LBB14_124:                             ;   in Loop: Header=BB14_32 Depth=1
	s_or_b64 exec, exec, s[12:13]
	v_lshrrev_b32_sdwa v47, v45, v2 dst_sel:DWORD dst_unused:UNUSED_PAD src0_sel:DWORD src1_sel:WORD_0
	s_and_b64 s[12:13], s[30:31], exec
.LBB14_125:                             ;   in Loop: Header=BB14_32 Depth=1
	s_or_b64 exec, exec, s[26:27]
.LBB14_126:                             ;   in Loop: Header=BB14_32 Depth=1
	s_and_b64 vcc, exec, s[24:25]
	s_cbranch_vccz .LBB14_140
; %bb.127:                              ;   in Loop: Header=BB14_32 Depth=1
	v_readlane_b32 s6, v67, 46
	s_add_u32 s26, s20, s6
	v_readlane_b32 s6, v67, 47
	s_addc_u32 s7, s21, s6
	s_mov_b32 s6, s99
	s_cmp_lg_u64 s[6:7], 0
	s_cbranch_scc0 .LBB14_158
; %bb.128:                              ;   in Loop: Header=BB14_32 Depth=1
	s_add_u32 s8, s96, 0
	s_addc_u32 s9, 0, 0
	s_xor_b64 s[8:9], s[8:9], 0
	v_cvt_f32_u32_e32 v2, s8
	v_cvt_f32_u32_e32 v8, s9
	s_sub_u32 s6, 0, s8
	s_subb_u32 s27, 0, s9
	v_fmac_f32_e32 v2, 0x4f800000, v8
	v_rcp_f32_e32 v2, v2
	s_nop 0
	v_mul_f32_e32 v2, 0x5f7ffffc, v2
	v_mul_f32_e32 v8, 0x2f800000, v2
	v_trunc_f32_e32 v8, v8
	v_fmac_f32_e32 v2, 0xcf800000, v8
	v_cvt_u32_f32_e32 v8, v8
	v_cvt_u32_f32_e32 v2, v2
	v_readfirstlane_b32 s28, v8
	v_readfirstlane_b32 s24, v2
	s_mul_i32 s25, s6, s28
	s_mul_hi_u32 s30, s6, s24
	s_mul_i32 s29, s27, s24
	s_add_i32 s25, s30, s25
	s_mul_i32 s31, s6, s24
	s_add_i32 s25, s25, s29
	s_mul_i32 s30, s24, s25
	s_mul_hi_u32 s34, s24, s31
	s_mul_hi_u32 s29, s24, s25
	s_add_u32 s30, s34, s30
	s_addc_u32 s29, 0, s29
	s_mul_hi_u32 s35, s28, s31
	s_mul_i32 s31, s28, s31
	s_add_u32 s30, s30, s31
	s_mul_hi_u32 s34, s28, s25
	s_addc_u32 s29, s29, s35
	s_addc_u32 s30, s34, 0
	s_mul_i32 s25, s28, s25
	s_add_u32 s25, s29, s25
	s_addc_u32 s29, 0, s30
	s_add_u32 s30, s24, s25
	s_cselect_b64 s[24:25], -1, 0
	s_cmp_lg_u64 s[24:25], 0
	s_addc_u32 s28, s28, s29
	s_mul_i32 s24, s6, s28
	s_mul_hi_u32 s25, s6, s30
	s_add_i32 s24, s25, s24
	s_mul_i32 s27, s27, s30
	s_add_i32 s24, s24, s27
	s_mul_i32 s6, s6, s30
	s_mul_hi_u32 s27, s28, s6
	s_mul_i32 s29, s28, s6
	s_mul_i32 s34, s30, s24
	s_mul_hi_u32 s6, s30, s6
	s_mul_hi_u32 s31, s30, s24
	s_add_u32 s6, s6, s34
	s_addc_u32 s31, 0, s31
	s_add_u32 s6, s6, s29
	s_mul_hi_u32 s25, s28, s24
	s_addc_u32 s6, s31, s27
	s_addc_u32 s25, s25, 0
	s_mul_i32 s24, s28, s24
	s_add_u32 s6, s6, s24
	s_addc_u32 s27, 0, s25
	s_add_u32 s6, s30, s6
	s_cselect_b64 s[24:25], -1, 0
	s_cmp_lg_u64 s[24:25], 0
	s_addc_u32 s27, s28, s27
	s_ashr_i32 s24, s7, 31
	s_add_u32 s28, s26, s24
	s_mov_b32 s25, s24
	s_addc_u32 s29, s7, s24
	s_xor_b64 s[28:29], s[28:29], s[24:25]
	s_mul_i32 s31, s28, s27
	s_mul_hi_u32 s34, s28, s6
	s_mul_hi_u32 s30, s28, s27
	s_add_u32 s31, s34, s31
	s_addc_u32 s30, 0, s30
	s_mul_hi_u32 s35, s29, s6
	s_mul_i32 s6, s29, s6
	s_add_u32 s6, s31, s6
	s_mul_hi_u32 s34, s29, s27
	s_addc_u32 s6, s30, s35
	s_addc_u32 s30, s34, 0
	s_mul_i32 s27, s29, s27
	s_add_u32 s6, s6, s27
	s_addc_u32 s27, 0, s30
	s_mul_i32 s27, s8, s27
	s_mul_hi_u32 s30, s8, s6
	s_add_i32 s27, s30, s27
	s_mul_i32 s30, s9, s6
	s_add_i32 s27, s27, s30
	s_sub_i32 s34, s29, s27
	s_mul_i32 s6, s8, s6
	s_sub_u32 s6, s28, s6
	s_cselect_b64 s[30:31], -1, 0
	s_cmp_lg_u64 s[30:31], 0
	s_subb_u32 s28, s34, s9
	s_sub_u32 s36, s6, s8
	s_cselect_b64 s[34:35], -1, 0
	s_cmp_lg_u64 s[34:35], 0
	s_subb_u32 s37, s28, 0
	s_cmp_ge_u32 s37, s9
	s_cselect_b32 s38, -1, 0
	s_cmp_ge_u32 s36, s8
	s_cselect_b32 s39, -1, 0
	s_cmp_eq_u32 s37, s9
	s_cselect_b32 s38, s39, s38
	s_cmp_lg_u64 s[34:35], 0
	s_subb_u32 s28, s28, s9
	s_sub_u32 s39, s36, s8
	s_cselect_b64 s[34:35], -1, 0
	s_cmp_lg_u64 s[34:35], 0
	s_subb_u32 s28, s28, 0
	s_cmp_lg_u32 s38, 0
	s_cselect_b32 s34, s39, s36
	s_cselect_b32 s28, s28, s37
	s_cmp_lg_u64 s[30:31], 0
	s_subb_u32 s27, s29, s27
	s_cmp_ge_u32 s27, s9
	s_cselect_b32 s29, -1, 0
	s_cmp_ge_u32 s6, s8
	s_cselect_b32 s8, -1, 0
	s_cmp_eq_u32 s27, s9
	s_cselect_b32 s8, s8, s29
	s_cmp_lg_u32 s8, 0
	s_cselect_b32 s9, s28, s27
	s_cselect_b32 s8, s34, s6
	s_xor_b64 s[8:9], s[8:9], s[24:25]
	s_sub_u32 s8, s8, s24
	s_subb_u32 s9, s9, s24
	s_cbranch_execnz .LBB14_130
.LBB14_129:                             ;   in Loop: Header=BB14_32 Depth=1
	v_cvt_f32_u32_e32 v2, s96
	s_sub_i32 s6, 0, s96
	v_rcp_iflag_f32_e32 v2, v2
	s_nop 0
	v_mul_f32_e32 v2, 0x4f7ffffe, v2
	v_cvt_u32_f32_e32 v2, v2
	s_nop 0
	v_readfirstlane_b32 s8, v2
	s_mul_i32 s6, s6, s8
	s_mul_hi_u32 s6, s8, s6
	s_add_i32 s8, s8, s6
	s_mul_hi_u32 s6, s26, s8
	s_mul_i32 s6, s6, s96
	s_sub_i32 s6, s26, s6
	s_sub_i32 s8, s6, s96
	s_cmp_ge_u32 s6, s96
	s_cselect_b32 s6, s8, s6
	s_sub_i32 s8, s6, s96
	s_cmp_ge_u32 s6, s96
	s_cselect_b32 s98, s8, s6
	s_mov_b64 s[8:9], s[98:99]
.LBB14_130:                             ;   in Loop: Header=BB14_32 Depth=1
	s_sub_u32 s8, s26, s8
	s_subb_u32 s9, s7, s9
	v_cmp_gt_i64_e32 vcc, s[8:9], v[0:1]
                                        ; implicit-def: $vgpr47
	s_and_saveexec_b64 s[6:7], vcc
	s_cbranch_execz .LBB14_139
; %bb.131:                              ;   in Loop: Header=BB14_32 Depth=1
	s_mov_b64 s[24:25], 0
	v_mov_b32_e32 v2, v0
	v_mov_b64_e32 v[8:9], v[0:1]
                                        ; implicit-def: $sgpr26_sgpr27
	s_branch .LBB14_134
.LBB14_132:                             ;   in Loop: Header=BB14_134 Depth=2
	s_or_b64 exec, exec, s[28:29]
	s_waitcnt lgkmcnt(0)
	s_barrier
	ds_read_u16 v10, v3 offset:3072
	s_mov_b64 s[28:29], -1
	s_waitcnt lgkmcnt(0)
	s_barrier
	v_cmp_ne_u32_sdwa s[30:31], v10, v3 src0_sel:BYTE_0 src1_sel:DWORD
	s_and_b64 vcc, exec, s[30:31]
	s_mov_b64 s[30:31], -1
	s_cbranch_vccz .LBB14_137
.LBB14_133:                             ;   in Loop: Header=BB14_134 Depth=2
	s_and_b64 s[28:29], exec, s[28:29]
	s_or_b64 s[24:25], s[28:29], s[24:25]
	s_andn2_b64 s[26:27], s[26:27], exec
	s_and_b64 s[28:29], s[30:31], exec
	s_or_b64 s[26:27], s[26:27], s[28:29]
	s_andn2_b64 exec, exec, s[24:25]
	s_cbranch_execz .LBB14_138
.LBB14_134:                             ;   Parent Loop BB14_32 Depth=1
                                        ; =>  This Inner Loop Header: Depth=2
	v_cmp_gt_u64_e32 vcc, s[20:21], v[8:9]
	s_and_saveexec_b64 s[28:29], vcc
	s_cbranch_execz .LBB14_132
; %bb.135:                              ;   in Loop: Header=BB14_134 Depth=2
	ds_read_u8 v10, v2
	s_waitcnt lgkmcnt(0)
	v_add_u32_sdwa v11, sext(v10), s1 dst_sel:DWORD dst_unused:UNUSED_PAD src0_sel:BYTE_0 src1_sel:DWORD
	v_and_b32_e32 v11, v11, v46
	v_cmp_eq_u32_e32 vcc, v11, v44
	s_and_b64 exec, exec, vcc
	s_cbranch_execz .LBB14_132
; %bb.136:                              ;   in Loop: Header=BB14_134 Depth=2
	v_lshlrev_b16_e32 v10, 8, v10
	v_or_b32_e32 v10, 1, v10
	ds_write_b16 v3, v10 offset:3072
	s_branch .LBB14_132
.LBB14_137:                             ;   in Loop: Header=BB14_134 Depth=2
	v_lshl_add_u64 v[8:9], v[8:9], 0, s[96:97]
	v_cmp_le_i64_e32 vcc, s[8:9], v[8:9]
	v_add_u32_e32 v2, s96, v2
	s_mov_b64 s[30:31], 0
	s_orn2_b64 s[28:29], vcc, exec
	s_branch .LBB14_133
.LBB14_138:                             ;   in Loop: Header=BB14_32 Depth=1
	s_or_b64 exec, exec, s[24:25]
	s_andn2_b64 s[8:9], s[12:13], exec
	s_and_b64 s[12:13], s[26:27], exec
	v_lshrrev_b32_sdwa v47, v45, v10 dst_sel:DWORD dst_unused:UNUSED_PAD src0_sel:DWORD src1_sel:WORD_0
	s_or_b64 s[12:13], s[8:9], s[12:13]
.LBB14_139:                             ;   in Loop: Header=BB14_32 Depth=1
	s_or_b64 exec, exec, s[6:7]
	s_mov_b64 s[6:7], 0
	s_mov_b64 s[8:9], -1
.LBB14_140:                             ;   in Loop: Header=BB14_32 Depth=1
	s_orn2_b64 s[12:13], s[12:13], exec
.LBB14_141:                             ;   in Loop: Header=BB14_32 Depth=1
	s_or_b64 exec, exec, s[16:17]
	s_andn2_b64 s[16:17], s[84:85], exec
	s_and_b64 s[8:9], s[8:9], exec
	s_or_b64 s[84:85], s[16:17], s[8:9]
	s_andn2_b64 s[8:9], s[78:79], exec
	s_and_b64 s[6:7], s[6:7], exec
	s_andn2_b64 s[74:75], s[74:75], exec
	s_or_b64 s[78:79], s[8:9], s[6:7]
                                        ; implicit-def: $vgpr8_vgpr9
	s_and_saveexec_b64 s[16:17], s[12:13]
	s_cbranch_execz .LBB14_31
; %bb.142:                              ;   in Loop: Header=BB14_32 Depth=1
	s_xor_b64 s[6:7], s[18:19], -1
	v_mov_b32_e32 v2, 1
	s_mov_b64 s[8:9], 0
	v_mov_b64_e32 v[8:9], 1
	s_and_saveexec_b64 s[2:3], s[6:7]
	s_cbranch_execz .LBB14_151
; %bb.143:                              ;   in Loop: Header=BB14_32 Depth=1
	v_cmp_le_i64_e32 vcc, v[34:35], v[4:5]
	s_and_saveexec_b64 s[6:7], vcc
	s_xor_b64 s[6:7], exec, s[6:7]
	s_cbranch_execz .LBB14_148
; %bb.144:                              ;   in Loop: Header=BB14_32 Depth=1
	ds_read_b64 v[8:9], v3 offset:5120
	v_and_b32_e32 v44, s50, v44
	v_or_b32_e32 v46, s64, v46
	s_waitcnt lgkmcnt(0)
	v_cmp_ne_u64_e32 vcc, 0, v[8:9]
	s_cbranch_vccnz .LBB14_148
; %bb.145:                              ;   in Loop: Header=BB14_32 Depth=1
	s_mov_b64 s[8:9], exec
	v_readlane_b32 s12, v67, 32
	v_readlane_b32 s13, v67, 33
	s_and_b64 s[12:13], s[8:9], s[12:13]
	s_mov_b64 exec, s[12:13]
; %bb.146:                              ;   in Loop: Header=BB14_32 Depth=1
	ds_write_b64 v3, v[4:5] offset:5128
; %bb.147:                              ;   in Loop: Header=BB14_32 Depth=1
	s_or_b64 exec, exec, s[8:9]
	s_waitcnt lgkmcnt(0)
	s_barrier
.LBB14_148:                             ;   in Loop: Header=BB14_32 Depth=1
	s_or_saveexec_b64 s[6:7], s[6:7]
	s_mov_b64 s[8:9], 0
	v_mov_b32_e32 v2, 8
	s_xor_b64 exec, exec, s[6:7]
; %bb.149:                              ;   in Loop: Header=BB14_32 Depth=1
	v_sub_co_u32_e32 v34, vcc, v34, v4
	s_mov_b64 s[8:9], exec
	s_nop 0
	v_subb_co_u32_e32 v35, vcc, v35, v5, vcc
	v_mov_b32_e32 v2, 0
; %bb.150:                              ;   in Loop: Header=BB14_32 Depth=1
	s_or_b64 exec, exec, s[6:7]
	s_and_b64 s[8:9], s[8:9], exec
	v_mov_b64_e32 v[8:9], v[34:35]
.LBB14_151:                             ;   in Loop: Header=BB14_32 Depth=1
	s_or_b64 exec, exec, s[2:3]
	s_mov_b64 s[18:19], -1
	s_mov_b64 s[6:7], -1
                                        ; implicit-def: $sgpr2_sgpr3
                                        ; implicit-def: $sgpr24_sgpr25
	s_and_saveexec_b64 s[12:13], s[8:9]
	s_xor_b64 s[20:21], exec, s[12:13]
	s_cbranch_execz .LBB14_296
; %bb.152:                              ;   in Loop: Header=BB14_32 Depth=1
	v_cmp_eq_u64_e32 vcc, 1, v[6:7]
	v_cmp_eq_u64_e64 s[2:3], 1, v[8:9]
	s_and_b64 s[28:29], vcc, s[2:3]
                                        ; implicit-def: $sgpr24_sgpr25
                                        ; implicit-def: $sgpr2_sgpr3
	s_and_saveexec_b64 s[26:27], s[28:29]
	s_cbranch_execz .LBB14_187
; %bb.153:                              ;   in Loop: Header=BB14_32 Depth=1
	ds_read_b64 v[4:5], v3 offset:5120
	s_waitcnt lgkmcnt(0)
	s_barrier
	v_readfirstlane_b32 s30, v4
	v_readfirstlane_b32 s31, v5
	s_mov_b64 s[2:3], exec
	v_readlane_b32 s6, v67, 38
	v_readlane_b32 s7, v67, 39
	s_and_b64 s[6:7], s[2:3], s[6:7]
	s_mov_b64 exec, s[6:7]
; %bb.154:                              ;   in Loop: Header=BB14_32 Depth=1
	ds_write_b8 v0, v3 offset:3072
; %bb.155:                              ;   in Loop: Header=BB14_32 Depth=1
	s_or_b64 exec, exec, s[2:3]
	v_and_b32_e32 v4, s50, v44
	v_cmp_gt_i64_e64 s[6:7], s[30:31], 0
	v_lshl_or_b32 v44, 1, s0, v4
	v_or_b32_e32 v46, s64, v46
	s_mov_b64 s[2:3], -1
	s_mov_b64 s[24:25], 0
	s_and_b64 vcc, exec, s[6:7]
	s_mov_b64 s[6:7], 0
	s_mov_b64 s[8:9], -1
	s_waitcnt lgkmcnt(0)
	s_barrier
                                        ; implicit-def: $vgpr47
	s_cbranch_vccnz .LBB14_172
; %bb.156:                              ;   in Loop: Header=BB14_32 Depth=1
	s_mov_b32 s94, s99
	s_cmp_lg_u64 s[94:95], 0
	s_cbranch_scc0 .LBB14_159
; %bb.157:                              ;   in Loop: Header=BB14_32 Depth=1
	s_add_u32 s6, s96, 0
	s_addc_u32 s7, 0, 0
	s_xor_b64 s[6:7], s[6:7], 0
	v_cvt_f32_u32_e32 v4, s6
	v_cvt_f32_u32_e32 v5, s7
	s_sub_u32 s12, 0, s6
	s_subb_u32 s13, 0, s7
	v_fmac_f32_e32 v4, 0x4f800000, v5
	v_rcp_f32_e32 v4, v4
	s_nop 0
	v_mul_f32_e32 v4, 0x5f7ffffc, v4
	v_mul_f32_e32 v5, 0x2f800000, v4
	v_trunc_f32_e32 v5, v5
	v_fmac_f32_e32 v4, 0xcf800000, v5
	v_cvt_u32_f32_e32 v5, v5
	v_cvt_u32_f32_e32 v4, v4
	v_readfirstlane_b32 s34, v5
	v_readfirstlane_b32 s8, v4
	s_mul_i32 s9, s12, s34
	s_mul_hi_u32 s36, s12, s8
	s_mul_i32 s35, s13, s8
	s_add_i32 s9, s36, s9
	s_mul_i32 s37, s12, s8
	s_add_i32 s9, s9, s35
	s_mul_i32 s36, s8, s9
	s_mul_hi_u32 s38, s8, s37
	s_mul_hi_u32 s35, s8, s9
	s_add_u32 s36, s38, s36
	s_addc_u32 s35, 0, s35
	s_mul_hi_u32 s39, s34, s37
	s_mul_i32 s37, s34, s37
	s_add_u32 s36, s36, s37
	s_mul_hi_u32 s38, s34, s9
	s_addc_u32 s35, s35, s39
	s_addc_u32 s36, s38, 0
	s_mul_i32 s9, s34, s9
	s_add_u32 s9, s35, s9
	s_addc_u32 s35, 0, s36
	s_add_u32 s36, s8, s9
	s_cselect_b64 s[8:9], -1, 0
	s_cmp_lg_u64 s[8:9], 0
	s_addc_u32 s34, s34, s35
	s_mul_i32 s8, s12, s34
	s_mul_hi_u32 s9, s12, s36
	s_add_i32 s8, s9, s8
	s_mul_i32 s13, s13, s36
	s_add_i32 s8, s8, s13
	s_mul_i32 s12, s12, s36
	s_mul_hi_u32 s13, s34, s12
	s_mul_i32 s35, s34, s12
	s_mul_i32 s38, s36, s8
	s_mul_hi_u32 s12, s36, s12
	s_mul_hi_u32 s37, s36, s8
	s_add_u32 s12, s12, s38
	s_addc_u32 s37, 0, s37
	s_add_u32 s12, s12, s35
	s_mul_hi_u32 s9, s34, s8
	s_addc_u32 s12, s37, s13
	s_addc_u32 s9, s9, 0
	s_mul_i32 s8, s34, s8
	s_add_u32 s8, s12, s8
	s_addc_u32 s12, 0, s9
	s_add_u32 s35, s36, s8
	s_cselect_b64 s[8:9], -1, 0
	s_cmp_lg_u64 s[8:9], 0
	s_addc_u32 s34, s34, s12
	s_ashr_i32 s8, s95, 31
	s_add_u32 s12, s88, s8
	s_mov_b32 s9, s8
	s_addc_u32 s13, s95, s8
	s_xor_b64 s[12:13], s[12:13], s[8:9]
	s_mul_i32 s37, s12, s34
	s_mul_hi_u32 s38, s12, s35
	s_mul_hi_u32 s36, s12, s34
	s_add_u32 s37, s38, s37
	s_addc_u32 s36, 0, s36
	s_mul_hi_u32 s39, s13, s35
	s_mul_i32 s35, s13, s35
	s_add_u32 s35, s37, s35
	s_mul_hi_u32 s38, s13, s34
	s_addc_u32 s35, s36, s39
	s_addc_u32 s36, s38, 0
	s_mul_i32 s34, s13, s34
	s_add_u32 s34, s35, s34
	s_addc_u32 s35, 0, s36
	s_mul_i32 s35, s6, s35
	s_mul_hi_u32 s36, s6, s34
	s_add_i32 s35, s36, s35
	s_mul_i32 s36, s7, s34
	s_add_i32 s38, s35, s36
	s_sub_i32 s36, s13, s38
	s_mul_i32 s34, s6, s34
	s_sub_u32 s12, s12, s34
	s_cselect_b64 s[34:35], -1, 0
	s_cmp_lg_u64 s[34:35], 0
	s_subb_u32 s39, s36, s7
	s_sub_u32 s40, s12, s6
	s_cselect_b64 s[36:37], -1, 0
	s_cmp_lg_u64 s[36:37], 0
	s_subb_u32 s41, s39, 0
	s_cmp_ge_u32 s41, s7
	s_cselect_b32 s42, -1, 0
	s_cmp_ge_u32 s40, s6
	s_cselect_b32 s43, -1, 0
	s_cmp_eq_u32 s41, s7
	s_cselect_b32 s42, s43, s42
	s_cmp_lg_u64 s[36:37], 0
	s_subb_u32 s39, s39, s7
	s_sub_u32 s43, s40, s6
	s_cselect_b64 s[36:37], -1, 0
	s_cmp_lg_u64 s[36:37], 0
	s_subb_u32 s36, s39, 0
	s_cmp_lg_u32 s42, 0
	s_cselect_b32 s37, s43, s40
	s_cselect_b32 s36, s36, s41
	s_cmp_lg_u64 s[34:35], 0
	s_subb_u32 s13, s13, s38
	s_cmp_ge_u32 s13, s7
	s_cselect_b32 s34, -1, 0
	s_cmp_ge_u32 s12, s6
	s_cselect_b32 s6, -1, 0
	s_cmp_eq_u32 s13, s7
	s_cselect_b32 s6, s6, s34
	s_cmp_lg_u32 s6, 0
	s_cselect_b32 s7, s36, s13
	s_cselect_b32 s6, s37, s12
	s_xor_b64 s[6:7], s[6:7], s[8:9]
	s_sub_u32 s6, s6, s8
	s_subb_u32 s7, s7, s8
	s_mov_b64 s[8:9], 0
	s_branch .LBB14_160
.LBB14_158:                             ;   in Loop: Header=BB14_32 Depth=1
                                        ; implicit-def: $sgpr8_sgpr9
	s_branch .LBB14_129
.LBB14_159:                             ;   in Loop: Header=BB14_32 Depth=1
                                        ; implicit-def: $sgpr6_sgpr7
.LBB14_160:                             ;   in Loop: Header=BB14_32 Depth=1
	s_andn2_b64 vcc, exec, s[8:9]
	v_readlane_b32 s73, v66, 1
	s_mov_b32 s58, 0xc0c0004
	v_readlane_b32 s72, v66, 2
	v_readlane_b32 s94, v66, 3
	s_cbranch_vccnz .LBB14_162
; %bb.161:                              ;   in Loop: Header=BB14_32 Depth=1
	v_cvt_f32_u32_e32 v4, s96
	s_sub_i32 s6, 0, s96
	v_rcp_iflag_f32_e32 v4, v4
	s_nop 0
	v_mul_f32_e32 v4, 0x4f7ffffe, v4
	v_cvt_u32_f32_e32 v4, v4
	s_nop 0
	v_readfirstlane_b32 s7, v4
	s_mul_i32 s6, s6, s7
	s_mul_hi_u32 s6, s7, s6
	s_add_i32 s7, s7, s6
	s_mul_hi_u32 s6, s88, s7
	s_mul_i32 s6, s6, s96
	s_sub_i32 s6, s88, s6
	s_sub_i32 s7, s6, s96
	s_cmp_ge_u32 s6, s96
	s_cselect_b32 s6, s7, s6
	s_sub_i32 s7, s6, s96
	s_cmp_ge_u32 s6, s96
	s_cselect_b32 s98, s7, s6
	s_mov_b64 s[6:7], s[98:99]
.LBB14_162:                             ;   in Loop: Header=BB14_32 Depth=1
	s_sub_u32 s34, s88, s6
	s_subb_u32 s35, s95, s7
	v_cmp_gt_i64_e32 vcc, s[34:35], v[0:1]
	s_mov_b64 s[8:9], 0
	s_mov_b64 s[6:7], 0
                                        ; implicit-def: $vgpr47
	s_and_saveexec_b64 s[12:13], vcc
	s_cbranch_execz .LBB14_171
; %bb.163:                              ;   in Loop: Header=BB14_32 Depth=1
	v_mov_b64_e32 v[4:5], v[12:13]
	v_mov_b64_e32 v[10:11], v[0:1]
                                        ; implicit-def: $sgpr36_sgpr37
	s_branch .LBB14_166
.LBB14_164:                             ;   in Loop: Header=BB14_166 Depth=2
	s_or_b64 exec, exec, s[38:39]
	s_waitcnt lgkmcnt(0)
	s_barrier
	ds_read_u16 v34, v3 offset:3072
	s_mov_b64 s[38:39], -1
	s_waitcnt lgkmcnt(0)
	s_barrier
	v_cmp_ne_u32_sdwa s[40:41], v34, v3 src0_sel:BYTE_0 src1_sel:DWORD
	s_and_b64 vcc, exec, s[40:41]
	s_mov_b64 s[40:41], -1
	s_cbranch_vccz .LBB14_169
.LBB14_165:                             ;   in Loop: Header=BB14_166 Depth=2
	s_and_b64 s[38:39], exec, s[38:39]
	s_or_b64 s[6:7], s[38:39], s[6:7]
	s_andn2_b64 s[36:37], s[36:37], exec
	s_and_b64 s[38:39], s[40:41], exec
	s_or_b64 s[36:37], s[36:37], s[38:39]
	s_andn2_b64 exec, exec, s[6:7]
	s_cbranch_execz .LBB14_170
.LBB14_166:                             ;   Parent Loop BB14_32 Depth=1
                                        ; =>  This Inner Loop Header: Depth=2
	v_cmp_gt_i64_e32 vcc, s[56:57], v[10:11]
	s_and_saveexec_b64 s[38:39], vcc
	s_cbranch_execz .LBB14_164
; %bb.167:                              ;   in Loop: Header=BB14_166 Depth=2
	global_load_ubyte v34, v[4:5], off
	s_waitcnt vmcnt(0)
	v_add_u32_sdwa v35, sext(v34), s1 dst_sel:DWORD dst_unused:UNUSED_PAD src0_sel:BYTE_0 src1_sel:DWORD
	v_and_b32_e32 v35, v35, v46
	v_cmp_eq_u32_e32 vcc, v35, v44
	s_and_b64 exec, exec, vcc
	s_cbranch_execz .LBB14_164
; %bb.168:                              ;   in Loop: Header=BB14_166 Depth=2
	v_lshlrev_b16_e32 v34, 8, v34
	v_or_b32_e32 v34, 1, v34
	ds_write_b16 v3, v34 offset:3072
	s_branch .LBB14_164
.LBB14_169:                             ;   in Loop: Header=BB14_166 Depth=2
	v_lshl_add_u64 v[10:11], v[10:11], 0, s[96:97]
	v_cmp_le_i64_e32 vcc, s[34:35], v[10:11]
	v_lshl_add_u64 v[4:5], v[4:5], 0, s[92:93]
	s_mov_b64 s[40:41], 0
	s_orn2_b64 s[38:39], vcc, exec
	s_branch .LBB14_165
.LBB14_170:                             ;   in Loop: Header=BB14_32 Depth=1
	s_or_b64 exec, exec, s[6:7]
	v_lshrrev_b32_sdwa v47, v45, v34 dst_sel:DWORD dst_unused:UNUSED_PAD src0_sel:DWORD src1_sel:WORD_0
	s_and_b64 s[6:7], s[36:37], exec
.LBB14_171:                             ;   in Loop: Header=BB14_32 Depth=1
	s_or_b64 exec, exec, s[12:13]
.LBB14_172:                             ;   in Loop: Header=BB14_32 Depth=1
	s_and_b64 vcc, exec, s[8:9]
	s_cbranch_vccz .LBB14_186
; %bb.173:                              ;   in Loop: Header=BB14_32 Depth=1
	v_readlane_b32 s2, v67, 46
	s_add_u32 s24, s30, s2
	v_readlane_b32 s2, v67, 47
	s_addc_u32 s3, s31, s2
	s_mov_b32 s2, s99
	s_cmp_lg_u64 s[2:3], 0
	s_cbranch_scc0 .LBB14_205
; %bb.174:                              ;   in Loop: Header=BB14_32 Depth=1
	s_add_u32 s8, s96, 0
	s_addc_u32 s9, 0, 0
	s_xor_b64 s[8:9], s[8:9], 0
	v_cvt_f32_u32_e32 v4, s8
	v_cvt_f32_u32_e32 v5, s9
	s_sub_u32 s2, 0, s8
	s_subb_u32 s25, 0, s9
	v_fmac_f32_e32 v4, 0x4f800000, v5
	v_rcp_f32_e32 v4, v4
	s_nop 0
	v_mul_f32_e32 v4, 0x5f7ffffc, v4
	v_mul_f32_e32 v5, 0x2f800000, v4
	v_trunc_f32_e32 v5, v5
	v_fmac_f32_e32 v4, 0xcf800000, v5
	v_cvt_u32_f32_e32 v5, v5
	v_cvt_u32_f32_e32 v4, v4
	v_readfirstlane_b32 s34, v5
	v_readfirstlane_b32 s12, v4
	s_mul_i32 s13, s2, s34
	s_mul_hi_u32 s36, s2, s12
	s_mul_i32 s35, s25, s12
	s_add_i32 s13, s36, s13
	s_mul_i32 s37, s2, s12
	s_add_i32 s13, s13, s35
	s_mul_i32 s36, s12, s13
	s_mul_hi_u32 s38, s12, s37
	s_mul_hi_u32 s35, s12, s13
	s_add_u32 s36, s38, s36
	s_addc_u32 s35, 0, s35
	s_mul_hi_u32 s39, s34, s37
	s_mul_i32 s37, s34, s37
	s_add_u32 s36, s36, s37
	s_mul_hi_u32 s38, s34, s13
	s_addc_u32 s35, s35, s39
	s_addc_u32 s36, s38, 0
	s_mul_i32 s13, s34, s13
	s_add_u32 s13, s35, s13
	s_addc_u32 s35, 0, s36
	s_add_u32 s36, s12, s13
	s_cselect_b64 s[12:13], -1, 0
	s_cmp_lg_u64 s[12:13], 0
	s_addc_u32 s34, s34, s35
	s_mul_i32 s12, s2, s34
	s_mul_hi_u32 s13, s2, s36
	s_add_i32 s12, s13, s12
	s_mul_i32 s25, s25, s36
	s_add_i32 s12, s12, s25
	s_mul_i32 s2, s2, s36
	s_mul_hi_u32 s25, s34, s2
	s_mul_i32 s35, s34, s2
	s_mul_i32 s38, s36, s12
	s_mul_hi_u32 s2, s36, s2
	s_mul_hi_u32 s37, s36, s12
	s_add_u32 s2, s2, s38
	s_addc_u32 s37, 0, s37
	s_add_u32 s2, s2, s35
	s_mul_hi_u32 s13, s34, s12
	s_addc_u32 s2, s37, s25
	s_addc_u32 s13, s13, 0
	s_mul_i32 s12, s34, s12
	s_add_u32 s2, s2, s12
	s_addc_u32 s25, 0, s13
	s_add_u32 s2, s36, s2
	s_cselect_b64 s[12:13], -1, 0
	s_cmp_lg_u64 s[12:13], 0
	s_addc_u32 s25, s34, s25
	s_ashr_i32 s12, s3, 31
	s_add_u32 s34, s24, s12
	s_mov_b32 s13, s12
	s_addc_u32 s35, s3, s12
	s_xor_b64 s[34:35], s[34:35], s[12:13]
	s_mul_i32 s37, s34, s25
	s_mul_hi_u32 s38, s34, s2
	s_mul_hi_u32 s36, s34, s25
	s_add_u32 s37, s38, s37
	s_addc_u32 s36, 0, s36
	s_mul_hi_u32 s39, s35, s2
	s_mul_i32 s2, s35, s2
	s_add_u32 s2, s37, s2
	s_mul_hi_u32 s38, s35, s25
	s_addc_u32 s2, s36, s39
	s_addc_u32 s36, s38, 0
	s_mul_i32 s25, s35, s25
	s_add_u32 s2, s2, s25
	s_addc_u32 s25, 0, s36
	s_mul_i32 s25, s8, s25
	s_mul_hi_u32 s36, s8, s2
	s_add_i32 s25, s36, s25
	s_mul_i32 s36, s9, s2
	s_add_i32 s25, s25, s36
	s_sub_i32 s38, s35, s25
	s_mul_i32 s2, s8, s2
	s_sub_u32 s2, s34, s2
	s_cselect_b64 s[36:37], -1, 0
	s_cmp_lg_u64 s[36:37], 0
	s_subb_u32 s34, s38, s9
	s_sub_u32 s40, s2, s8
	s_cselect_b64 s[38:39], -1, 0
	s_cmp_lg_u64 s[38:39], 0
	s_subb_u32 s41, s34, 0
	s_cmp_ge_u32 s41, s9
	s_cselect_b32 s42, -1, 0
	s_cmp_ge_u32 s40, s8
	s_cselect_b32 s43, -1, 0
	s_cmp_eq_u32 s41, s9
	s_cselect_b32 s42, s43, s42
	s_cmp_lg_u64 s[38:39], 0
	s_subb_u32 s34, s34, s9
	s_sub_u32 s43, s40, s8
	s_cselect_b64 s[38:39], -1, 0
	s_cmp_lg_u64 s[38:39], 0
	s_subb_u32 s34, s34, 0
	s_cmp_lg_u32 s42, 0
	s_cselect_b32 s38, s43, s40
	s_cselect_b32 s34, s34, s41
	s_cmp_lg_u64 s[36:37], 0
	s_subb_u32 s25, s35, s25
	s_cmp_ge_u32 s25, s9
	s_cselect_b32 s35, -1, 0
	s_cmp_ge_u32 s2, s8
	s_cselect_b32 s8, -1, 0
	s_cmp_eq_u32 s25, s9
	s_cselect_b32 s8, s8, s35
	s_cmp_lg_u32 s8, 0
	s_cselect_b32 s9, s34, s25
	s_cselect_b32 s8, s38, s2
	s_xor_b64 s[8:9], s[8:9], s[12:13]
	s_sub_u32 s8, s8, s12
	s_subb_u32 s9, s9, s12
	s_cbranch_execnz .LBB14_176
.LBB14_175:                             ;   in Loop: Header=BB14_32 Depth=1
	v_cvt_f32_u32_e32 v4, s96
	s_sub_i32 s2, 0, s96
	v_rcp_iflag_f32_e32 v4, v4
	s_nop 0
	v_mul_f32_e32 v4, 0x4f7ffffe, v4
	v_cvt_u32_f32_e32 v4, v4
	s_nop 0
	v_readfirstlane_b32 s8, v4
	s_mul_i32 s2, s2, s8
	s_mul_hi_u32 s2, s8, s2
	s_add_i32 s8, s8, s2
	s_mul_hi_u32 s2, s24, s8
	s_mul_i32 s2, s2, s96
	s_sub_i32 s2, s24, s2
	s_sub_i32 s8, s2, s96
	s_cmp_ge_u32 s2, s96
	s_cselect_b32 s2, s8, s2
	s_sub_i32 s8, s2, s96
	s_cmp_ge_u32 s2, s96
	s_cselect_b32 s98, s8, s2
	s_mov_b64 s[8:9], s[98:99]
.LBB14_176:                             ;   in Loop: Header=BB14_32 Depth=1
	s_sub_u32 s8, s24, s8
	s_subb_u32 s9, s3, s9
	v_cmp_gt_i64_e32 vcc, s[8:9], v[0:1]
                                        ; implicit-def: $vgpr47
	s_and_saveexec_b64 s[2:3], vcc
	s_cbranch_execz .LBB14_185
; %bb.177:                              ;   in Loop: Header=BB14_32 Depth=1
	s_mov_b64 s[12:13], 0
	v_mov_b32_e32 v10, v0
	v_mov_b64_e32 v[4:5], v[0:1]
                                        ; implicit-def: $sgpr24_sgpr25
	s_branch .LBB14_180
.LBB14_178:                             ;   in Loop: Header=BB14_180 Depth=2
	s_or_b64 exec, exec, s[34:35]
	s_waitcnt lgkmcnt(0)
	s_barrier
	ds_read_u16 v11, v3 offset:3072
	s_mov_b64 s[34:35], -1
	s_waitcnt lgkmcnt(0)
	s_barrier
	v_cmp_eq_u32_sdwa s[36:37], v11, v3 src0_sel:BYTE_0 src1_sel:DWORD
	s_and_b64 vcc, exec, s[36:37]
	s_mov_b64 s[36:37], -1
	s_cbranch_vccnz .LBB14_183
.LBB14_179:                             ;   in Loop: Header=BB14_180 Depth=2
	s_and_b64 s[34:35], exec, s[34:35]
	s_or_b64 s[12:13], s[34:35], s[12:13]
	s_andn2_b64 s[24:25], s[24:25], exec
	s_and_b64 s[34:35], s[36:37], exec
	s_or_b64 s[24:25], s[24:25], s[34:35]
	s_andn2_b64 exec, exec, s[12:13]
	s_cbranch_execz .LBB14_184
.LBB14_180:                             ;   Parent Loop BB14_32 Depth=1
                                        ; =>  This Inner Loop Header: Depth=2
	v_cmp_gt_u64_e32 vcc, s[30:31], v[4:5]
	s_and_saveexec_b64 s[34:35], vcc
	s_cbranch_execz .LBB14_178
; %bb.181:                              ;   in Loop: Header=BB14_180 Depth=2
	ds_read_u8 v11, v10
	s_waitcnt lgkmcnt(0)
	v_add_u32_sdwa v34, sext(v11), s1 dst_sel:DWORD dst_unused:UNUSED_PAD src0_sel:BYTE_0 src1_sel:DWORD
	v_and_b32_e32 v34, v34, v46
	v_cmp_eq_u32_e32 vcc, v34, v44
	s_and_b64 exec, exec, vcc
	s_cbranch_execz .LBB14_178
; %bb.182:                              ;   in Loop: Header=BB14_180 Depth=2
	v_lshlrev_b16_e32 v11, 8, v11
	v_or_b32_e32 v11, 1, v11
	ds_write_b16 v3, v11 offset:3072
	s_branch .LBB14_178
.LBB14_183:                             ;   in Loop: Header=BB14_180 Depth=2
	v_lshl_add_u64 v[4:5], v[4:5], 0, s[96:97]
	v_cmp_le_i64_e32 vcc, s[8:9], v[4:5]
	v_add_u32_e32 v10, s96, v10
	s_mov_b64 s[36:37], 0
	s_orn2_b64 s[34:35], vcc, exec
	s_branch .LBB14_179
.LBB14_184:                             ;   in Loop: Header=BB14_32 Depth=1
	s_or_b64 exec, exec, s[12:13]
	s_andn2_b64 s[6:7], s[6:7], exec
	s_and_b64 s[8:9], s[24:25], exec
	v_lshrrev_b32_sdwa v47, v45, v11 dst_sel:DWORD dst_unused:UNUSED_PAD src0_sel:DWORD src1_sel:WORD_0
	s_or_b64 s[6:7], s[6:7], s[8:9]
.LBB14_185:                             ;   in Loop: Header=BB14_32 Depth=1
	s_or_b64 exec, exec, s[2:3]
	s_mov_b64 s[2:3], 0
	s_mov_b64 s[24:25], -1
.LBB14_186:                             ;   in Loop: Header=BB14_32 Depth=1
	s_orn2_b64 s[6:7], s[6:7], exec
.LBB14_187:                             ;   in Loop: Header=BB14_32 Depth=1
	s_or_b64 exec, exec, s[26:27]
	s_mov_b64 s[8:9], 0
	s_and_saveexec_b64 s[26:27], s[6:7]
	s_cbranch_execz .LBB14_295
; %bb.188:                              ;   in Loop: Header=BB14_32 Depth=1
	s_xor_b64 s[12:13], s[28:29], -1
	v_mov_b32_e32 v2, 1
	v_mov_b64_e32 v[4:5], 1
	s_and_saveexec_b64 s[6:7], s[12:13]
	s_cbranch_execz .LBB14_198
; %bb.189:                              ;   in Loop: Header=BB14_32 Depth=1
	v_cmp_le_i64_e32 vcc, v[8:9], v[6:7]
	s_and_saveexec_b64 s[8:9], vcc
	s_xor_b64 s[8:9], exec, s[8:9]
	s_cbranch_execz .LBB14_195
; %bb.190:                              ;   in Loop: Header=BB14_32 Depth=1
	ds_read_b64 v[4:5], v3 offset:5120
	v_and_b32_e32 v2, s50, v44
	v_lshl_or_b32 v44, 1, s0, v2
	v_or_b32_e32 v46, s64, v46
	s_waitcnt lgkmcnt(0)
	v_cmp_ne_u64_e32 vcc, 0, v[4:5]
	s_cbranch_vccnz .LBB14_194
; %bb.191:                              ;   in Loop: Header=BB14_32 Depth=1
	s_mov_b64 s[12:13], exec
	v_readlane_b32 s28, v67, 32
	v_readlane_b32 s29, v67, 33
	s_and_b64 s[28:29], s[12:13], s[28:29]
	s_mov_b64 exec, s[28:29]
; %bb.192:                              ;   in Loop: Header=BB14_32 Depth=1
	ds_write_b64 v3, v[6:7] offset:5128
; %bb.193:                              ;   in Loop: Header=BB14_32 Depth=1
	s_or_b64 exec, exec, s[12:13]
	s_waitcnt lgkmcnt(0)
	s_barrier
.LBB14_194:                             ;   in Loop: Header=BB14_32 Depth=1
                                        ; implicit-def: $vgpr4_vgpr5_vgpr6_vgpr7
.LBB14_195:                             ;   in Loop: Header=BB14_32 Depth=1
	s_or_saveexec_b64 s[8:9], s[8:9]
	s_mov_b64 s[12:13], 0
	v_mov_b32_e32 v2, 8
	s_xor_b64 exec, exec, s[8:9]
; %bb.196:                              ;   in Loop: Header=BB14_32 Depth=1
	v_sub_co_u32_e32 v8, vcc, v8, v6
	s_mov_b64 s[12:13], exec
	s_nop 0
	v_subb_co_u32_e32 v9, vcc, v9, v7, vcc
	v_mov_b32_e32 v2, 0
; %bb.197:                              ;   in Loop: Header=BB14_32 Depth=1
	s_or_b64 exec, exec, s[8:9]
	s_and_b64 s[8:9], s[12:13], exec
	v_mov_b64_e32 v[4:5], v[8:9]
.LBB14_198:                             ;   in Loop: Header=BB14_32 Depth=1
	s_or_b64 exec, exec, s[6:7]
	s_mov_b64 s[6:7], -1
                                        ; implicit-def: $sgpr30_sgpr31
                                        ; implicit-def: $sgpr34_sgpr35
	s_and_saveexec_b64 s[28:29], s[8:9]
	s_cbranch_execz .LBB14_294
; %bb.199:                              ;   in Loop: Header=BB14_32 Depth=1
	s_cmp_eq_u64 s[22:23], 1
	s_cselect_b64 s[6:7], -1, 0
	v_cmp_eq_u64_e32 vcc, 1, v[4:5]
	s_and_b64 s[38:39], s[6:7], vcc
	s_mov_b64 s[6:7], -1
                                        ; implicit-def: $sgpr34_sgpr35
                                        ; implicit-def: $sgpr30_sgpr31
	s_and_saveexec_b64 s[36:37], s[38:39]
	s_cbranch_execz .LBB14_234
; %bb.200:                              ;   in Loop: Header=BB14_32 Depth=1
	ds_read_b64 v[6:7], v3 offset:5120
	s_waitcnt lgkmcnt(0)
	s_barrier
	v_readfirstlane_b32 s40, v6
	v_readfirstlane_b32 s41, v7
	s_mov_b64 s[6:7], exec
	v_readlane_b32 s8, v67, 38
	v_readlane_b32 s9, v67, 39
	s_and_b64 s[8:9], s[6:7], s[8:9]
	s_mov_b64 exec, s[8:9]
; %bb.201:                              ;   in Loop: Header=BB14_32 Depth=1
	ds_write_b8 v0, v3 offset:3072
; %bb.202:                              ;   in Loop: Header=BB14_32 Depth=1
	s_or_b64 exec, exec, s[6:7]
	v_and_b32_e32 v6, s50, v44
	v_cmp_gt_i64_e64 s[6:7], s[40:41], 0
	v_lshl_or_b32 v44, 2, s0, v6
	v_or_b32_e32 v46, s64, v46
	s_mov_b64 s[30:31], -1
	s_mov_b64 s[34:35], 0
	s_and_b64 vcc, exec, s[6:7]
	s_mov_b64 s[6:7], 0
	s_mov_b64 s[8:9], -1
	s_waitcnt lgkmcnt(0)
	s_barrier
                                        ; implicit-def: $vgpr47
	s_cbranch_vccnz .LBB14_219
; %bb.203:                              ;   in Loop: Header=BB14_32 Depth=1
	s_mov_b32 s94, s99
	s_cmp_lg_u64 s[94:95], 0
	s_cbranch_scc0 .LBB14_206
; %bb.204:                              ;   in Loop: Header=BB14_32 Depth=1
	s_add_u32 s6, s96, 0
	s_addc_u32 s7, 0, 0
	s_xor_b64 s[6:7], s[6:7], 0
	v_cvt_f32_u32_e32 v6, s6
	v_cvt_f32_u32_e32 v7, s7
	s_sub_u32 s12, 0, s6
	s_subb_u32 s13, 0, s7
	v_fmac_f32_e32 v6, 0x4f800000, v7
	v_rcp_f32_e32 v6, v6
	s_nop 0
	v_mul_f32_e32 v6, 0x5f7ffffc, v6
	v_mul_f32_e32 v7, 0x2f800000, v6
	v_trunc_f32_e32 v7, v7
	v_fmac_f32_e32 v6, 0xcf800000, v7
	v_cvt_u32_f32_e32 v7, v7
	v_cvt_u32_f32_e32 v6, v6
	v_readfirstlane_b32 s42, v7
	v_readfirstlane_b32 s8, v6
	s_mul_i32 s9, s12, s42
	s_mul_hi_u32 s44, s12, s8
	s_mul_i32 s43, s13, s8
	s_add_i32 s9, s44, s9
	s_mul_i32 s45, s12, s8
	s_add_i32 s9, s9, s43
	s_mul_i32 s44, s8, s9
	s_mul_hi_u32 s46, s8, s45
	s_mul_hi_u32 s43, s8, s9
	s_add_u32 s44, s46, s44
	s_addc_u32 s43, 0, s43
	s_mul_hi_u32 s47, s42, s45
	s_mul_i32 s45, s42, s45
	s_add_u32 s44, s44, s45
	s_mul_hi_u32 s46, s42, s9
	s_addc_u32 s43, s43, s47
	s_addc_u32 s44, s46, 0
	s_mul_i32 s9, s42, s9
	s_add_u32 s9, s43, s9
	s_addc_u32 s43, 0, s44
	s_add_u32 s44, s8, s9
	s_cselect_b64 s[8:9], -1, 0
	s_cmp_lg_u64 s[8:9], 0
	s_addc_u32 s42, s42, s43
	s_mul_i32 s8, s12, s42
	s_mul_hi_u32 s9, s12, s44
	s_add_i32 s8, s9, s8
	s_mul_i32 s13, s13, s44
	s_add_i32 s8, s8, s13
	s_mul_i32 s12, s12, s44
	s_mul_hi_u32 s13, s42, s12
	s_mul_i32 s43, s42, s12
	s_mul_i32 s46, s44, s8
	s_mul_hi_u32 s12, s44, s12
	s_mul_hi_u32 s45, s44, s8
	s_add_u32 s12, s12, s46
	s_addc_u32 s45, 0, s45
	s_add_u32 s12, s12, s43
	s_mul_hi_u32 s9, s42, s8
	s_addc_u32 s12, s45, s13
	s_addc_u32 s9, s9, 0
	s_mul_i32 s8, s42, s8
	s_add_u32 s8, s12, s8
	s_addc_u32 s12, 0, s9
	s_add_u32 s43, s44, s8
	s_cselect_b64 s[8:9], -1, 0
	s_cmp_lg_u64 s[8:9], 0
	s_addc_u32 s42, s42, s12
	s_ashr_i32 s8, s95, 31
	s_add_u32 s12, s88, s8
	s_mov_b32 s9, s8
	s_addc_u32 s13, s95, s8
	s_xor_b64 s[12:13], s[12:13], s[8:9]
	s_mul_i32 s45, s12, s42
	s_mul_hi_u32 s46, s12, s43
	s_mul_hi_u32 s44, s12, s42
	s_add_u32 s45, s46, s45
	s_addc_u32 s44, 0, s44
	s_mul_hi_u32 s47, s13, s43
	s_mul_i32 s43, s13, s43
	s_add_u32 s43, s45, s43
	s_mul_hi_u32 s46, s13, s42
	s_addc_u32 s43, s44, s47
	s_addc_u32 s44, s46, 0
	s_mul_i32 s42, s13, s42
	s_add_u32 s42, s43, s42
	s_addc_u32 s43, 0, s44
	s_mul_i32 s43, s6, s43
	s_mul_hi_u32 s44, s6, s42
	s_add_i32 s43, s44, s43
	s_mul_i32 s44, s7, s42
	s_add_i32 s46, s43, s44
	s_sub_i32 s44, s13, s46
	s_mul_i32 s42, s6, s42
	s_sub_u32 s12, s12, s42
	s_cselect_b64 s[42:43], -1, 0
	s_cmp_lg_u64 s[42:43], 0
	s_subb_u32 s47, s44, s7
	s_sub_u32 s48, s12, s6
	s_cselect_b64 s[44:45], -1, 0
	s_cmp_lg_u64 s[44:45], 0
	s_subb_u32 s49, s47, 0
	s_cmp_ge_u32 s49, s7
	s_cselect_b32 s51, -1, 0
	s_cmp_ge_u32 s48, s6
	s_cselect_b32 s52, -1, 0
	s_cmp_eq_u32 s49, s7
	s_cselect_b32 s51, s52, s51
	s_cmp_lg_u64 s[44:45], 0
	s_subb_u32 s47, s47, s7
	s_sub_u32 s52, s48, s6
	s_cselect_b64 s[44:45], -1, 0
	s_cmp_lg_u64 s[44:45], 0
	s_subb_u32 s44, s47, 0
	s_cmp_lg_u32 s51, 0
	s_cselect_b32 s45, s52, s48
	s_cselect_b32 s44, s44, s49
	s_cmp_lg_u64 s[42:43], 0
	s_subb_u32 s13, s13, s46
	s_cmp_ge_u32 s13, s7
	s_cselect_b32 s42, -1, 0
	s_cmp_ge_u32 s12, s6
	s_cselect_b32 s6, -1, 0
	s_cmp_eq_u32 s13, s7
	s_cselect_b32 s6, s6, s42
	s_cmp_lg_u32 s6, 0
	s_cselect_b32 s7, s44, s13
	s_cselect_b32 s6, s45, s12
	s_xor_b64 s[6:7], s[6:7], s[8:9]
	s_sub_u32 s6, s6, s8
	s_subb_u32 s7, s7, s8
	s_mov_b64 s[8:9], 0
	s_branch .LBB14_207
.LBB14_205:                             ;   in Loop: Header=BB14_32 Depth=1
                                        ; implicit-def: $sgpr8_sgpr9
	s_branch .LBB14_175
.LBB14_206:                             ;   in Loop: Header=BB14_32 Depth=1
                                        ; implicit-def: $sgpr6_sgpr7
.LBB14_207:                             ;   in Loop: Header=BB14_32 Depth=1
	s_andn2_b64 vcc, exec, s[8:9]
	v_readlane_b32 s73, v66, 1
	s_mov_b32 s58, 0xc0c0004
	v_readlane_b32 s72, v66, 2
	v_readlane_b32 s94, v66, 3
	s_cbranch_vccnz .LBB14_209
; %bb.208:                              ;   in Loop: Header=BB14_32 Depth=1
	v_cvt_f32_u32_e32 v6, s96
	s_sub_i32 s6, 0, s96
	v_rcp_iflag_f32_e32 v6, v6
	s_nop 0
	v_mul_f32_e32 v6, 0x4f7ffffe, v6
	v_cvt_u32_f32_e32 v6, v6
	s_nop 0
	v_readfirstlane_b32 s7, v6
	s_mul_i32 s6, s6, s7
	s_mul_hi_u32 s6, s7, s6
	s_add_i32 s7, s7, s6
	s_mul_hi_u32 s6, s88, s7
	s_mul_i32 s6, s6, s96
	s_sub_i32 s6, s88, s6
	s_sub_i32 s7, s6, s96
	s_cmp_ge_u32 s6, s96
	s_cselect_b32 s6, s7, s6
	s_sub_i32 s7, s6, s96
	s_cmp_ge_u32 s6, s96
	s_cselect_b32 s98, s7, s6
	s_mov_b64 s[6:7], s[98:99]
.LBB14_209:                             ;   in Loop: Header=BB14_32 Depth=1
	s_sub_u32 s42, s88, s6
	s_subb_u32 s43, s95, s7
	v_cmp_gt_i64_e32 vcc, s[42:43], v[0:1]
	s_mov_b64 s[8:9], 0
	s_mov_b64 s[6:7], 0
                                        ; implicit-def: $vgpr47
	s_and_saveexec_b64 s[12:13], vcc
	v_readlane_b32 s52, v67, 62
	s_cbranch_execz .LBB14_218
; %bb.210:                              ;   in Loop: Header=BB14_32 Depth=1
	v_mov_b64_e32 v[6:7], v[12:13]
	v_mov_b64_e32 v[8:9], v[0:1]
                                        ; implicit-def: $sgpr44_sgpr45
	s_branch .LBB14_213
.LBB14_211:                             ;   in Loop: Header=BB14_213 Depth=2
	s_or_b64 exec, exec, s[46:47]
	s_waitcnt lgkmcnt(0)
	s_barrier
	ds_read_u16 v10, v3 offset:3072
	s_mov_b64 s[46:47], -1
	s_waitcnt lgkmcnt(0)
	s_barrier
	v_cmp_ne_u32_sdwa s[48:49], v10, v3 src0_sel:BYTE_0 src1_sel:DWORD
	s_and_b64 vcc, exec, s[48:49]
	s_mov_b64 s[48:49], -1
	s_cbranch_vccz .LBB14_216
.LBB14_212:                             ;   in Loop: Header=BB14_213 Depth=2
	s_and_b64 s[46:47], exec, s[46:47]
	s_or_b64 s[6:7], s[46:47], s[6:7]
	s_andn2_b64 s[44:45], s[44:45], exec
	s_and_b64 s[46:47], s[48:49], exec
	s_or_b64 s[44:45], s[44:45], s[46:47]
	s_andn2_b64 exec, exec, s[6:7]
	s_cbranch_execz .LBB14_217
.LBB14_213:                             ;   Parent Loop BB14_32 Depth=1
                                        ; =>  This Inner Loop Header: Depth=2
	v_cmp_gt_i64_e32 vcc, s[56:57], v[8:9]
	s_and_saveexec_b64 s[46:47], vcc
	s_cbranch_execz .LBB14_211
; %bb.214:                              ;   in Loop: Header=BB14_213 Depth=2
	global_load_ubyte v10, v[6:7], off
	s_waitcnt vmcnt(0)
	v_add_u32_sdwa v11, sext(v10), s1 dst_sel:DWORD dst_unused:UNUSED_PAD src0_sel:BYTE_0 src1_sel:DWORD
	v_and_b32_e32 v11, v11, v46
	v_cmp_eq_u32_e32 vcc, v11, v44
	s_and_b64 exec, exec, vcc
	s_cbranch_execz .LBB14_211
; %bb.215:                              ;   in Loop: Header=BB14_213 Depth=2
	v_lshlrev_b16_e32 v10, 8, v10
	v_or_b32_e32 v10, 1, v10
	ds_write_b16 v3, v10 offset:3072
	s_branch .LBB14_211
.LBB14_216:                             ;   in Loop: Header=BB14_213 Depth=2
	v_lshl_add_u64 v[8:9], v[8:9], 0, s[96:97]
	v_cmp_le_i64_e32 vcc, s[42:43], v[8:9]
	v_lshl_add_u64 v[6:7], v[6:7], 0, s[92:93]
	s_mov_b64 s[48:49], 0
	s_orn2_b64 s[46:47], vcc, exec
	s_branch .LBB14_212
.LBB14_217:                             ;   in Loop: Header=BB14_32 Depth=1
	s_or_b64 exec, exec, s[6:7]
	v_lshrrev_b32_sdwa v47, v45, v10 dst_sel:DWORD dst_unused:UNUSED_PAD src0_sel:DWORD src1_sel:WORD_0
	s_and_b64 s[6:7], s[44:45], exec
.LBB14_218:                             ;   in Loop: Header=BB14_32 Depth=1
	s_or_b64 exec, exec, s[12:13]
	v_readlane_b32 s48, v67, 63
	v_readlane_b32 s49, v66, 0
.LBB14_219:                             ;   in Loop: Header=BB14_32 Depth=1
	s_and_b64 vcc, exec, s[8:9]
	s_cbranch_vccz .LBB14_233
; %bb.220:                              ;   in Loop: Header=BB14_32 Depth=1
	v_readlane_b32 s8, v67, 46
	s_add_u32 s34, s40, s8
	v_readlane_b32 s8, v67, 47
	s_addc_u32 s9, s41, s8
	s_mov_b32 s8, s99
	s_cmp_lg_u64 s[8:9], 0
	s_cbranch_scc0 .LBB14_251
; %bb.221:                              ;   in Loop: Header=BB14_32 Depth=1
	s_add_u32 s12, s96, 0
	s_addc_u32 s13, 0, 0
	s_xor_b64 s[12:13], s[12:13], 0
	v_cvt_f32_u32_e32 v6, s12
	v_cvt_f32_u32_e32 v7, s13
	s_sub_u32 s8, 0, s12
	s_subb_u32 s35, 0, s13
	v_fmac_f32_e32 v6, 0x4f800000, v7
	v_rcp_f32_e32 v6, v6
	s_nop 0
	v_mul_f32_e32 v6, 0x5f7ffffc, v6
	v_mul_f32_e32 v7, 0x2f800000, v6
	v_trunc_f32_e32 v7, v7
	v_fmac_f32_e32 v6, 0xcf800000, v7
	v_cvt_u32_f32_e32 v7, v7
	v_cvt_u32_f32_e32 v6, v6
	v_readfirstlane_b32 s42, v7
	v_readfirstlane_b32 s30, v6
	s_mul_i32 s31, s8, s42
	s_mul_hi_u32 s44, s8, s30
	s_mul_i32 s43, s35, s30
	s_add_i32 s31, s44, s31
	s_mul_i32 s45, s8, s30
	s_add_i32 s31, s31, s43
	s_mul_i32 s44, s30, s31
	s_mul_hi_u32 s46, s30, s45
	s_mul_hi_u32 s43, s30, s31
	s_add_u32 s44, s46, s44
	s_addc_u32 s43, 0, s43
	s_mul_hi_u32 s47, s42, s45
	s_mul_i32 s45, s42, s45
	s_add_u32 s44, s44, s45
	s_mul_hi_u32 s46, s42, s31
	s_addc_u32 s43, s43, s47
	s_addc_u32 s44, s46, 0
	s_mul_i32 s31, s42, s31
	s_add_u32 s31, s43, s31
	s_addc_u32 s43, 0, s44
	s_add_u32 s44, s30, s31
	s_cselect_b64 s[30:31], -1, 0
	s_cmp_lg_u64 s[30:31], 0
	s_addc_u32 s42, s42, s43
	s_mul_i32 s30, s8, s42
	s_mul_hi_u32 s31, s8, s44
	s_add_i32 s30, s31, s30
	s_mul_i32 s35, s35, s44
	s_add_i32 s30, s30, s35
	s_mul_i32 s8, s8, s44
	s_mul_hi_u32 s35, s42, s8
	s_mul_i32 s43, s42, s8
	s_mul_i32 s46, s44, s30
	s_mul_hi_u32 s8, s44, s8
	s_mul_hi_u32 s45, s44, s30
	s_add_u32 s8, s8, s46
	s_addc_u32 s45, 0, s45
	s_add_u32 s8, s8, s43
	s_mul_hi_u32 s31, s42, s30
	s_addc_u32 s8, s45, s35
	s_addc_u32 s31, s31, 0
	s_mul_i32 s30, s42, s30
	s_add_u32 s8, s8, s30
	s_addc_u32 s35, 0, s31
	s_add_u32 s8, s44, s8
	s_cselect_b64 s[30:31], -1, 0
	s_cmp_lg_u64 s[30:31], 0
	s_addc_u32 s35, s42, s35
	s_ashr_i32 s30, s9, 31
	s_add_u32 s42, s34, s30
	s_mov_b32 s31, s30
	s_addc_u32 s43, s9, s30
	s_xor_b64 s[42:43], s[42:43], s[30:31]
	s_mul_i32 s45, s42, s35
	s_mul_hi_u32 s46, s42, s8
	s_mul_hi_u32 s44, s42, s35
	s_add_u32 s45, s46, s45
	s_addc_u32 s44, 0, s44
	s_mul_hi_u32 s47, s43, s8
	s_mul_i32 s8, s43, s8
	s_add_u32 s8, s45, s8
	s_mul_hi_u32 s46, s43, s35
	s_addc_u32 s8, s44, s47
	s_addc_u32 s44, s46, 0
	s_mul_i32 s35, s43, s35
	s_add_u32 s8, s8, s35
	s_addc_u32 s35, 0, s44
	s_mul_i32 s35, s12, s35
	s_mul_hi_u32 s44, s12, s8
	s_add_i32 s35, s44, s35
	s_mul_i32 s44, s13, s8
	s_add_i32 s35, s35, s44
	s_sub_i32 s46, s43, s35
	s_mul_i32 s8, s12, s8
	s_sub_u32 s8, s42, s8
	s_cselect_b64 s[44:45], -1, 0
	s_cmp_lg_u64 s[44:45], 0
	s_subb_u32 s42, s46, s13
	s_sub_u32 s48, s8, s12
	s_cselect_b64 s[46:47], -1, 0
	s_cmp_lg_u64 s[46:47], 0
	s_subb_u32 s49, s42, 0
	s_cmp_ge_u32 s49, s13
	s_cselect_b32 s51, -1, 0
	s_cmp_ge_u32 s48, s12
	s_cselect_b32 s52, -1, 0
	s_cmp_eq_u32 s49, s13
	s_cselect_b32 s51, s52, s51
	s_cmp_lg_u64 s[46:47], 0
	s_subb_u32 s42, s42, s13
	s_sub_u32 s52, s48, s12
	s_cselect_b64 s[46:47], -1, 0
	s_cmp_lg_u64 s[46:47], 0
	s_subb_u32 s42, s42, 0
	s_cmp_lg_u32 s51, 0
	s_cselect_b32 s46, s52, s48
	s_cselect_b32 s42, s42, s49
	s_cmp_lg_u64 s[44:45], 0
	s_subb_u32 s35, s43, s35
	s_cmp_ge_u32 s35, s13
	s_cselect_b32 s43, -1, 0
	s_cmp_ge_u32 s8, s12
	s_cselect_b32 s12, -1, 0
	s_cmp_eq_u32 s35, s13
	s_cselect_b32 s12, s12, s43
	s_cmp_lg_u32 s12, 0
	s_cselect_b32 s13, s42, s35
	s_cselect_b32 s12, s46, s8
	s_xor_b64 s[12:13], s[12:13], s[30:31]
	s_sub_u32 s12, s12, s30
	v_readlane_b32 s48, v67, 63
	v_readlane_b32 s52, v67, 62
	;; [unrolled: 1-line block ×3, first 2 shown]
	s_subb_u32 s13, s13, s30
	s_cbranch_execnz .LBB14_223
.LBB14_222:                             ;   in Loop: Header=BB14_32 Depth=1
	v_cvt_f32_u32_e32 v6, s96
	s_sub_i32 s8, 0, s96
	v_rcp_iflag_f32_e32 v6, v6
	s_nop 0
	v_mul_f32_e32 v6, 0x4f7ffffe, v6
	v_cvt_u32_f32_e32 v6, v6
	s_nop 0
	v_readfirstlane_b32 s12, v6
	s_mul_i32 s8, s8, s12
	s_mul_hi_u32 s8, s12, s8
	s_add_i32 s12, s12, s8
	s_mul_hi_u32 s8, s34, s12
	s_mul_i32 s8, s8, s96
	s_sub_i32 s8, s34, s8
	s_sub_i32 s12, s8, s96
	s_cmp_ge_u32 s8, s96
	s_cselect_b32 s8, s12, s8
	s_sub_i32 s12, s8, s96
	s_cmp_ge_u32 s8, s96
	s_cselect_b32 s98, s12, s8
	s_mov_b64 s[12:13], s[98:99]
.LBB14_223:                             ;   in Loop: Header=BB14_32 Depth=1
	s_sub_u32 s12, s34, s12
	s_subb_u32 s13, s9, s13
	v_cmp_gt_i64_e32 vcc, s[12:13], v[0:1]
                                        ; implicit-def: $vgpr47
	s_and_saveexec_b64 s[8:9], vcc
	s_cbranch_execz .LBB14_232
; %bb.224:                              ;   in Loop: Header=BB14_32 Depth=1
	s_mov_b64 s[30:31], 0
	v_mov_b32_e32 v8, v0
	v_mov_b64_e32 v[6:7], v[0:1]
                                        ; implicit-def: $sgpr34_sgpr35
	s_branch .LBB14_227
.LBB14_225:                             ;   in Loop: Header=BB14_227 Depth=2
	s_or_b64 exec, exec, s[42:43]
	s_waitcnt lgkmcnt(0)
	s_barrier
	ds_read_u16 v9, v3 offset:3072
	s_mov_b64 s[42:43], -1
	s_waitcnt lgkmcnt(0)
	s_barrier
	v_cmp_eq_u32_sdwa s[44:45], v9, v3 src0_sel:BYTE_0 src1_sel:DWORD
	s_and_b64 vcc, exec, s[44:45]
	s_mov_b64 s[44:45], -1
	s_cbranch_vccnz .LBB14_230
.LBB14_226:                             ;   in Loop: Header=BB14_227 Depth=2
	s_and_b64 s[42:43], exec, s[42:43]
	s_or_b64 s[30:31], s[42:43], s[30:31]
	s_andn2_b64 s[34:35], s[34:35], exec
	s_and_b64 s[42:43], s[44:45], exec
	s_or_b64 s[34:35], s[34:35], s[42:43]
	s_andn2_b64 exec, exec, s[30:31]
	s_cbranch_execz .LBB14_231
.LBB14_227:                             ;   Parent Loop BB14_32 Depth=1
                                        ; =>  This Inner Loop Header: Depth=2
	v_cmp_gt_u64_e32 vcc, s[40:41], v[6:7]
	s_and_saveexec_b64 s[42:43], vcc
	s_cbranch_execz .LBB14_225
; %bb.228:                              ;   in Loop: Header=BB14_227 Depth=2
	ds_read_u8 v9, v8
	s_waitcnt lgkmcnt(0)
	v_add_u32_sdwa v10, sext(v9), s1 dst_sel:DWORD dst_unused:UNUSED_PAD src0_sel:BYTE_0 src1_sel:DWORD
	v_and_b32_e32 v10, v10, v46
	v_cmp_eq_u32_e32 vcc, v10, v44
	s_and_b64 exec, exec, vcc
	s_cbranch_execz .LBB14_225
; %bb.229:                              ;   in Loop: Header=BB14_227 Depth=2
	v_lshlrev_b16_e32 v9, 8, v9
	v_or_b32_e32 v9, 1, v9
	ds_write_b16 v3, v9 offset:3072
	s_branch .LBB14_225
.LBB14_230:                             ;   in Loop: Header=BB14_227 Depth=2
	v_lshl_add_u64 v[6:7], v[6:7], 0, s[96:97]
	v_cmp_le_i64_e32 vcc, s[12:13], v[6:7]
	v_add_u32_e32 v8, s96, v8
	s_mov_b64 s[44:45], 0
	s_orn2_b64 s[42:43], vcc, exec
	s_branch .LBB14_226
.LBB14_231:                             ;   in Loop: Header=BB14_32 Depth=1
	s_or_b64 exec, exec, s[30:31]
	s_andn2_b64 s[6:7], s[6:7], exec
	s_and_b64 s[12:13], s[34:35], exec
	v_lshrrev_b32_sdwa v47, v45, v9 dst_sel:DWORD dst_unused:UNUSED_PAD src0_sel:DWORD src1_sel:WORD_0
	s_or_b64 s[6:7], s[6:7], s[12:13]
.LBB14_232:                             ;   in Loop: Header=BB14_32 Depth=1
	s_or_b64 exec, exec, s[8:9]
	s_mov_b64 s[30:31], 0
	s_mov_b64 s[34:35], -1
.LBB14_233:                             ;   in Loop: Header=BB14_32 Depth=1
	s_orn2_b64 s[6:7], s[6:7], exec
.LBB14_234:                             ;   in Loop: Header=BB14_32 Depth=1
	s_or_b64 exec, exec, s[36:37]
	s_mov_b64 s[8:9], 0
	s_and_saveexec_b64 s[36:37], s[6:7]
	s_cbranch_execz .LBB14_293
; %bb.235:                              ;   in Loop: Header=BB14_32 Depth=1
	s_xor_b64 s[12:13], s[38:39], -1
	v_mov_b32_e32 v2, 1
	v_mov_b64_e32 v[6:7], 1
	s_and_saveexec_b64 s[6:7], s[12:13]
	s_cbranch_execz .LBB14_244
; %bb.236:                              ;   in Loop: Header=BB14_32 Depth=1
	v_cmp_ge_i64_e32 vcc, s[22:23], v[4:5]
	s_and_saveexec_b64 s[8:9], vcc
	s_xor_b64 s[8:9], exec, s[8:9]
	s_cbranch_execz .LBB14_241
; %bb.237:                              ;   in Loop: Header=BB14_32 Depth=1
	ds_read_b64 v[6:7], v3 offset:5120
	v_and_b32_e32 v2, s50, v44
	v_lshl_or_b32 v44, 2, s0, v2
	v_or_b32_e32 v46, s64, v46
	s_waitcnt lgkmcnt(0)
	v_cmp_ne_u64_e32 vcc, 0, v[6:7]
	s_cbranch_vccnz .LBB14_241
; %bb.238:                              ;   in Loop: Header=BB14_32 Depth=1
	s_mov_b64 s[12:13], exec
	v_readlane_b32 s38, v67, 32
	v_readlane_b32 s39, v67, 33
	s_and_b64 s[38:39], s[12:13], s[38:39]
	s_mov_b64 exec, s[38:39]
; %bb.239:                              ;   in Loop: Header=BB14_32 Depth=1
	v_mov_b64_e32 v[6:7], s[22:23]
	ds_write_b64 v3, v[6:7] offset:5128
; %bb.240:                              ;   in Loop: Header=BB14_32 Depth=1
	s_or_b64 exec, exec, s[12:13]
	s_waitcnt lgkmcnt(0)
	s_barrier
.LBB14_241:                             ;   in Loop: Header=BB14_32 Depth=1
	s_or_saveexec_b64 s[8:9], s[8:9]
	s_mov_b64 s[12:13], 0
	v_mov_b32_e32 v2, 8
	s_xor_b64 exec, exec, s[8:9]
; %bb.242:                              ;   in Loop: Header=BB14_32 Depth=1
	v_mov_b32_e32 v2, s23
	v_subrev_co_u32_e32 v4, vcc, s22, v4
	s_mov_b64 s[12:13], exec
	s_nop 0
	v_subb_co_u32_e32 v5, vcc, v5, v2, vcc
	v_mov_b32_e32 v2, 0
; %bb.243:                              ;   in Loop: Header=BB14_32 Depth=1
	s_or_b64 exec, exec, s[8:9]
	s_and_b64 s[8:9], s[12:13], exec
	v_mov_b64_e32 v[6:7], v[4:5]
.LBB14_244:                             ;   in Loop: Header=BB14_32 Depth=1
	s_or_b64 exec, exec, s[6:7]
	s_mov_b64 s[6:7], -1
                                        ; implicit-def: $sgpr46_sgpr47
                                        ; implicit-def: $sgpr44_sgpr45
	s_and_saveexec_b64 s[22:23], s[8:9]
	s_cbranch_execz .LBB14_292
; %bb.245:                              ;   in Loop: Header=BB14_32 Depth=1
	s_cmp_eq_u64 s[14:15], 1
	s_cselect_b64 s[6:7], -1, 0
	v_cmp_eq_u64_e32 vcc, 1, v[6:7]
	s_and_b64 s[38:39], s[6:7], vcc
	s_mov_b64 s[8:9], -1
                                        ; implicit-def: $sgpr46_sgpr47
                                        ; implicit-def: $sgpr44_sgpr45
	s_and_saveexec_b64 s[40:41], s[38:39]
	s_cbranch_execz .LBB14_280
; %bb.246:                              ;   in Loop: Header=BB14_32 Depth=1
	ds_read_b64 v[4:5], v3 offset:5120
	s_waitcnt lgkmcnt(0)
	s_barrier
	v_readfirstlane_b32 s42, v4
	v_readfirstlane_b32 s43, v5
	s_mov_b64 s[6:7], exec
	v_readlane_b32 s8, v67, 38
	v_readlane_b32 s9, v67, 39
	s_and_b64 s[8:9], s[6:7], s[8:9]
	s_mov_b64 exec, s[8:9]
; %bb.247:                              ;   in Loop: Header=BB14_32 Depth=1
	ds_write_b8 v0, v3 offset:3072
; %bb.248:                              ;   in Loop: Header=BB14_32 Depth=1
	s_or_b64 exec, exec, s[6:7]
	v_cmp_gt_i64_e64 s[6:7], s[42:43], 0
	v_or_b32_e32 v44, s64, v44
	v_or_b32_e32 v46, s64, v46
	s_mov_b64 s[44:45], -1
	s_mov_b64 s[46:47], 0
	s_and_b64 vcc, exec, s[6:7]
	s_mov_b64 s[6:7], 0
	s_mov_b64 s[8:9], -1
	s_waitcnt lgkmcnt(0)
	s_barrier
                                        ; implicit-def: $vgpr47
	s_cbranch_vccnz .LBB14_265
; %bb.249:                              ;   in Loop: Header=BB14_32 Depth=1
	s_mov_b32 s94, s99
	s_cmp_lg_u64 s[94:95], 0
	s_cbranch_scc0 .LBB14_252
; %bb.250:                              ;   in Loop: Header=BB14_32 Depth=1
	s_add_u32 s6, s96, 0
	s_addc_u32 s7, 0, 0
	s_xor_b64 s[6:7], s[6:7], 0
	v_cvt_f32_u32_e32 v4, s6
	v_cvt_f32_u32_e32 v5, s7
	s_sub_u32 s12, 0, s6
	s_subb_u32 s13, 0, s7
	v_fmac_f32_e32 v4, 0x4f800000, v5
	v_rcp_f32_e32 v4, v4
	s_nop 0
	v_mul_f32_e32 v4, 0x5f7ffffc, v4
	v_mul_f32_e32 v5, 0x2f800000, v4
	v_trunc_f32_e32 v5, v5
	v_fmac_f32_e32 v4, 0xcf800000, v5
	v_cvt_u32_f32_e32 v5, v5
	v_cvt_u32_f32_e32 v4, v4
	v_readfirstlane_b32 s48, v5
	v_readfirstlane_b32 s8, v4
	s_mul_i32 s9, s12, s48
	s_mul_hi_u32 s50, s12, s8
	s_mul_i32 s49, s13, s8
	s_add_i32 s9, s50, s9
	s_mul_i32 s51, s12, s8
	s_add_i32 s9, s9, s49
	s_mul_i32 s50, s8, s9
	s_mul_hi_u32 s52, s8, s51
	s_mul_hi_u32 s49, s8, s9
	s_add_u32 s50, s52, s50
	s_addc_u32 s49, 0, s49
	s_mul_hi_u32 s53, s48, s51
	s_mul_i32 s51, s48, s51
	s_add_u32 s50, s50, s51
	s_mul_hi_u32 s52, s48, s9
	s_addc_u32 s49, s49, s53
	s_addc_u32 s50, s52, 0
	s_mul_i32 s9, s48, s9
	s_add_u32 s9, s49, s9
	s_addc_u32 s49, 0, s50
	s_add_u32 s50, s8, s9
	s_cselect_b64 s[8:9], -1, 0
	s_cmp_lg_u64 s[8:9], 0
	s_addc_u32 s48, s48, s49
	s_mul_i32 s8, s12, s48
	s_mul_hi_u32 s9, s12, s50
	s_add_i32 s8, s9, s8
	s_mul_i32 s13, s13, s50
	s_add_i32 s8, s8, s13
	s_mul_i32 s12, s12, s50
	s_mul_hi_u32 s13, s48, s12
	s_mul_i32 s49, s48, s12
	s_mul_i32 s52, s50, s8
	s_mul_hi_u32 s12, s50, s12
	s_mul_hi_u32 s51, s50, s8
	s_add_u32 s12, s12, s52
	s_addc_u32 s51, 0, s51
	s_add_u32 s12, s12, s49
	s_mul_hi_u32 s9, s48, s8
	s_addc_u32 s12, s51, s13
	s_addc_u32 s9, s9, 0
	s_mul_i32 s8, s48, s8
	s_add_u32 s8, s12, s8
	s_addc_u32 s12, 0, s9
	s_add_u32 s49, s50, s8
	s_cselect_b64 s[8:9], -1, 0
	s_cmp_lg_u64 s[8:9], 0
	s_addc_u32 s48, s48, s12
	s_ashr_i32 s8, s95, 31
	s_add_u32 s12, s88, s8
	s_mov_b32 s9, s8
	s_addc_u32 s13, s95, s8
	s_xor_b64 s[12:13], s[12:13], s[8:9]
	s_mul_i32 s51, s12, s48
	s_mul_hi_u32 s52, s12, s49
	s_mul_hi_u32 s50, s12, s48
	s_add_u32 s51, s52, s51
	s_addc_u32 s50, 0, s50
	s_mul_hi_u32 s53, s13, s49
	s_mul_i32 s49, s13, s49
	s_add_u32 s49, s51, s49
	s_mul_hi_u32 s52, s13, s48
	s_addc_u32 s49, s50, s53
	s_addc_u32 s50, s52, 0
	s_mul_i32 s48, s13, s48
	s_add_u32 s48, s49, s48
	s_addc_u32 s49, 0, s50
	s_mul_i32 s49, s6, s49
	s_mul_hi_u32 s50, s6, s48
	s_add_i32 s49, s50, s49
	s_mul_i32 s50, s7, s48
	s_add_i32 s52, s49, s50
	s_sub_i32 s50, s13, s52
	s_mul_i32 s48, s6, s48
	s_sub_u32 s12, s12, s48
	s_cselect_b64 s[48:49], -1, 0
	s_cmp_lg_u64 s[48:49], 0
	s_subb_u32 s53, s50, s7
	s_sub_u32 s54, s12, s6
	s_cselect_b64 s[50:51], -1, 0
	s_cmp_lg_u64 s[50:51], 0
	s_subb_u32 s55, s53, 0
	s_cmp_ge_u32 s55, s7
	s_cselect_b32 s65, -1, 0
	s_cmp_ge_u32 s54, s6
	s_cselect_b32 s66, -1, 0
	s_cmp_eq_u32 s55, s7
	s_cselect_b32 s65, s66, s65
	s_cmp_lg_u64 s[50:51], 0
	s_subb_u32 s53, s53, s7
	s_sub_u32 s66, s54, s6
	s_cselect_b64 s[50:51], -1, 0
	s_cmp_lg_u64 s[50:51], 0
	s_subb_u32 s50, s53, 0
	s_cmp_lg_u32 s65, 0
	s_cselect_b32 s51, s66, s54
	s_cselect_b32 s50, s50, s55
	s_cmp_lg_u64 s[48:49], 0
	s_subb_u32 s13, s13, s52
	s_cmp_ge_u32 s13, s7
	s_cselect_b32 s48, -1, 0
	s_cmp_ge_u32 s12, s6
	s_cselect_b32 s6, -1, 0
	s_cmp_eq_u32 s13, s7
	s_cselect_b32 s6, s6, s48
	s_cmp_lg_u32 s6, 0
	s_cselect_b32 s7, s50, s13
	s_cselect_b32 s6, s51, s12
	s_xor_b64 s[6:7], s[6:7], s[8:9]
	s_sub_u32 s6, s6, s8
	s_subb_u32 s7, s7, s8
	s_mov_b64 s[8:9], 0
	s_branch .LBB14_253
.LBB14_251:                             ;   in Loop: Header=BB14_32 Depth=1
                                        ; implicit-def: $sgpr12_sgpr13
	s_branch .LBB14_222
.LBB14_252:                             ;   in Loop: Header=BB14_32 Depth=1
                                        ; implicit-def: $sgpr6_sgpr7
.LBB14_253:                             ;   in Loop: Header=BB14_32 Depth=1
	s_andn2_b64 vcc, exec, s[8:9]
	v_readlane_b32 s73, v66, 1
	s_mov_b32 s58, 0xc0c0004
	v_readlane_b32 s72, v66, 2
	v_readlane_b32 s94, v66, 3
	s_cbranch_vccnz .LBB14_255
; %bb.254:                              ;   in Loop: Header=BB14_32 Depth=1
	v_cvt_f32_u32_e32 v4, s96
	s_sub_i32 s6, 0, s96
	v_rcp_iflag_f32_e32 v4, v4
	s_nop 0
	v_mul_f32_e32 v4, 0x4f7ffffe, v4
	v_cvt_u32_f32_e32 v4, v4
	s_nop 0
	v_readfirstlane_b32 s7, v4
	s_mul_i32 s6, s6, s7
	s_mul_hi_u32 s6, s7, s6
	s_add_i32 s7, s7, s6
	s_mul_hi_u32 s6, s88, s7
	s_mul_i32 s6, s6, s96
	s_sub_i32 s6, s88, s6
	s_sub_i32 s7, s6, s96
	s_cmp_ge_u32 s6, s96
	s_cselect_b32 s6, s7, s6
	s_sub_i32 s7, s6, s96
	s_cmp_ge_u32 s6, s96
	s_cselect_b32 s98, s7, s6
	s_mov_b64 s[6:7], s[98:99]
.LBB14_255:                             ;   in Loop: Header=BB14_32 Depth=1
	s_sub_u32 s48, s88, s6
	s_subb_u32 s49, s95, s7
	s_mov_b32 s65, s88
	v_cmp_gt_i64_e32 vcc, s[48:49], v[0:1]
	s_mov_b64 s[8:9], 0
	s_mov_b64 s[6:7], 0
                                        ; implicit-def: $vgpr47
	s_and_saveexec_b64 s[12:13], vcc
	s_cbranch_execz .LBB14_264
; %bb.256:                              ;   in Loop: Header=BB14_32 Depth=1
	v_mov_b64_e32 v[4:5], v[12:13]
	v_mov_b64_e32 v[8:9], v[0:1]
                                        ; implicit-def: $sgpr50_sgpr51
	s_branch .LBB14_259
.LBB14_257:                             ;   in Loop: Header=BB14_259 Depth=2
	s_or_b64 exec, exec, s[52:53]
	s_waitcnt lgkmcnt(0)
	s_barrier
	ds_read_u16 v10, v3 offset:3072
	s_mov_b64 s[52:53], -1
	s_waitcnt lgkmcnt(0)
	s_barrier
	v_cmp_ne_u32_sdwa s[54:55], v10, v3 src0_sel:BYTE_0 src1_sel:DWORD
	s_and_b64 vcc, exec, s[54:55]
	s_mov_b64 s[54:55], -1
	s_cbranch_vccz .LBB14_262
.LBB14_258:                             ;   in Loop: Header=BB14_259 Depth=2
	s_and_b64 s[52:53], exec, s[52:53]
	s_or_b64 s[6:7], s[52:53], s[6:7]
	s_andn2_b64 s[50:51], s[50:51], exec
	s_and_b64 s[52:53], s[54:55], exec
	s_or_b64 s[50:51], s[50:51], s[52:53]
	s_andn2_b64 exec, exec, s[6:7]
	s_cbranch_execz .LBB14_263
.LBB14_259:                             ;   Parent Loop BB14_32 Depth=1
                                        ; =>  This Inner Loop Header: Depth=2
	v_cmp_gt_i64_e32 vcc, s[56:57], v[8:9]
	s_and_saveexec_b64 s[52:53], vcc
	s_cbranch_execz .LBB14_257
; %bb.260:                              ;   in Loop: Header=BB14_259 Depth=2
	global_load_ubyte v10, v[4:5], off
	s_waitcnt vmcnt(0)
	v_add_u32_sdwa v11, sext(v10), s1 dst_sel:DWORD dst_unused:UNUSED_PAD src0_sel:BYTE_0 src1_sel:DWORD
	v_and_b32_e32 v11, v11, v46
	v_cmp_eq_u32_e32 vcc, v11, v44
	s_and_b64 exec, exec, vcc
	s_cbranch_execz .LBB14_257
; %bb.261:                              ;   in Loop: Header=BB14_259 Depth=2
	v_lshlrev_b16_e32 v10, 8, v10
	v_or_b32_e32 v10, 1, v10
	ds_write_b16 v3, v10 offset:3072
	s_branch .LBB14_257
.LBB14_262:                             ;   in Loop: Header=BB14_259 Depth=2
	v_lshl_add_u64 v[8:9], v[8:9], 0, s[96:97]
	v_cmp_le_i64_e32 vcc, s[48:49], v[8:9]
	v_lshl_add_u64 v[4:5], v[4:5], 0, s[92:93]
	s_mov_b64 s[54:55], 0
	s_orn2_b64 s[52:53], vcc, exec
	s_branch .LBB14_258
.LBB14_263:                             ;   in Loop: Header=BB14_32 Depth=1
	s_or_b64 exec, exec, s[6:7]
	v_lshrrev_b32_sdwa v47, v45, v10 dst_sel:DWORD dst_unused:UNUSED_PAD src0_sel:DWORD src1_sel:WORD_0
	s_and_b64 s[6:7], s[50:51], exec
.LBB14_264:                             ;   in Loop: Header=BB14_32 Depth=1
	s_or_b64 exec, exec, s[12:13]
	v_readlane_b32 s54, v67, 59
	v_readlane_b32 s55, v67, 60
	;; [unrolled: 1-line block ×6, first 2 shown]
	s_mov_b32 s88, s65
.LBB14_265:                             ;   in Loop: Header=BB14_32 Depth=1
	s_and_b64 vcc, exec, s[8:9]
	s_cbranch_vccz .LBB14_279
; %bb.266:                              ;   in Loop: Header=BB14_32 Depth=1
	v_readlane_b32 s8, v67, 46
	s_add_u32 s46, s42, s8
	v_readlane_b32 s8, v67, 47
	s_addc_u32 s9, s43, s8
	s_mov_b32 s8, s99
	s_cmp_lg_u64 s[8:9], 0
	s_cbranch_scc0 .LBB14_299
; %bb.267:                              ;   in Loop: Header=BB14_32 Depth=1
	s_add_u32 s12, s96, 0
	s_addc_u32 s13, 0, 0
	s_xor_b64 s[12:13], s[12:13], 0
	v_cvt_f32_u32_e32 v4, s12
	v_cvt_f32_u32_e32 v5, s13
	s_sub_u32 s8, 0, s12
	s_subb_u32 s47, 0, s13
	v_fmac_f32_e32 v4, 0x4f800000, v5
	v_rcp_f32_e32 v4, v4
	s_nop 0
	v_mul_f32_e32 v4, 0x5f7ffffc, v4
	v_mul_f32_e32 v5, 0x2f800000, v4
	v_trunc_f32_e32 v5, v5
	v_fmac_f32_e32 v4, 0xcf800000, v5
	v_cvt_u32_f32_e32 v5, v5
	v_cvt_u32_f32_e32 v4, v4
	v_readfirstlane_b32 s48, v5
	v_readfirstlane_b32 s44, v4
	s_mul_i32 s45, s8, s48
	s_mul_hi_u32 s50, s8, s44
	s_mul_i32 s49, s47, s44
	s_add_i32 s45, s50, s45
	s_mul_i32 s51, s8, s44
	s_add_i32 s45, s45, s49
	s_mul_i32 s50, s44, s45
	s_mul_hi_u32 s52, s44, s51
	s_mul_hi_u32 s49, s44, s45
	s_add_u32 s50, s52, s50
	s_addc_u32 s49, 0, s49
	s_mul_hi_u32 s53, s48, s51
	s_mul_i32 s51, s48, s51
	s_add_u32 s50, s50, s51
	s_mul_hi_u32 s52, s48, s45
	s_addc_u32 s49, s49, s53
	s_addc_u32 s50, s52, 0
	s_mul_i32 s45, s48, s45
	s_add_u32 s45, s49, s45
	s_addc_u32 s49, 0, s50
	s_add_u32 s50, s44, s45
	s_cselect_b64 s[44:45], -1, 0
	s_cmp_lg_u64 s[44:45], 0
	s_addc_u32 s48, s48, s49
	s_mul_i32 s44, s8, s48
	s_mul_hi_u32 s45, s8, s50
	s_add_i32 s44, s45, s44
	s_mul_i32 s47, s47, s50
	s_add_i32 s44, s44, s47
	s_mul_i32 s8, s8, s50
	s_mul_hi_u32 s47, s48, s8
	s_mul_i32 s49, s48, s8
	s_mul_i32 s52, s50, s44
	s_mul_hi_u32 s8, s50, s8
	s_mul_hi_u32 s51, s50, s44
	s_add_u32 s8, s8, s52
	s_addc_u32 s51, 0, s51
	s_add_u32 s8, s8, s49
	s_mul_hi_u32 s45, s48, s44
	s_addc_u32 s8, s51, s47
	s_addc_u32 s45, s45, 0
	s_mul_i32 s44, s48, s44
	s_add_u32 s8, s8, s44
	s_addc_u32 s47, 0, s45
	s_add_u32 s8, s50, s8
	s_cselect_b64 s[44:45], -1, 0
	s_cmp_lg_u64 s[44:45], 0
	s_addc_u32 s47, s48, s47
	s_ashr_i32 s44, s9, 31
	s_add_u32 s48, s46, s44
	s_mov_b32 s45, s44
	s_addc_u32 s49, s9, s44
	s_xor_b64 s[48:49], s[48:49], s[44:45]
	s_mul_i32 s51, s48, s47
	s_mul_hi_u32 s52, s48, s8
	s_mul_hi_u32 s50, s48, s47
	s_add_u32 s51, s52, s51
	s_addc_u32 s50, 0, s50
	s_mul_hi_u32 s53, s49, s8
	s_mul_i32 s8, s49, s8
	s_add_u32 s8, s51, s8
	s_mul_hi_u32 s52, s49, s47
	s_addc_u32 s8, s50, s53
	s_addc_u32 s50, s52, 0
	s_mul_i32 s47, s49, s47
	s_add_u32 s8, s8, s47
	s_addc_u32 s47, 0, s50
	s_mul_i32 s47, s12, s47
	s_mul_hi_u32 s50, s12, s8
	s_add_i32 s47, s50, s47
	s_mul_i32 s50, s13, s8
	s_add_i32 s47, s47, s50
	s_sub_i32 s52, s49, s47
	s_mul_i32 s8, s12, s8
	s_sub_u32 s8, s48, s8
	s_cselect_b64 s[50:51], -1, 0
	s_cmp_lg_u64 s[50:51], 0
	s_subb_u32 s48, s52, s13
	s_sub_u32 s54, s8, s12
	s_cselect_b64 s[52:53], -1, 0
	s_cmp_lg_u64 s[52:53], 0
	s_subb_u32 s55, s48, 0
	s_cmp_ge_u32 s55, s13
	s_cselect_b32 s65, -1, 0
	s_cmp_ge_u32 s54, s12
	s_cselect_b32 s66, -1, 0
	s_cmp_eq_u32 s55, s13
	s_cselect_b32 s65, s66, s65
	s_cmp_lg_u64 s[52:53], 0
	s_subb_u32 s48, s48, s13
	s_sub_u32 s66, s54, s12
	s_cselect_b64 s[52:53], -1, 0
	s_cmp_lg_u64 s[52:53], 0
	s_subb_u32 s48, s48, 0
	s_cmp_lg_u32 s65, 0
	s_cselect_b32 s52, s66, s54
	s_cselect_b32 s48, s48, s55
	s_cmp_lg_u64 s[50:51], 0
	s_subb_u32 s47, s49, s47
	s_cmp_ge_u32 s47, s13
	s_cselect_b32 s49, -1, 0
	s_cmp_ge_u32 s8, s12
	s_cselect_b32 s12, -1, 0
	s_cmp_eq_u32 s47, s13
	s_cselect_b32 s12, s12, s49
	s_cmp_lg_u32 s12, 0
	s_cselect_b32 s13, s48, s47
	s_cselect_b32 s12, s52, s8
	s_xor_b64 s[12:13], s[12:13], s[44:45]
	v_readlane_b32 s54, v67, 59
	s_sub_u32 s12, s12, s44
	v_readlane_b32 s53, v67, 61
	v_readlane_b32 s55, v67, 60
	;; [unrolled: 1-line block ×5, first 2 shown]
	s_subb_u32 s13, s13, s44
	s_cbranch_execnz .LBB14_269
.LBB14_268:                             ;   in Loop: Header=BB14_32 Depth=1
	v_cvt_f32_u32_e32 v4, s96
	s_sub_i32 s8, 0, s96
	v_rcp_iflag_f32_e32 v4, v4
	s_nop 0
	v_mul_f32_e32 v4, 0x4f7ffffe, v4
	v_cvt_u32_f32_e32 v4, v4
	s_nop 0
	v_readfirstlane_b32 s12, v4
	s_mul_i32 s8, s8, s12
	s_mul_hi_u32 s8, s12, s8
	s_add_i32 s12, s12, s8
	s_mul_hi_u32 s8, s46, s12
	s_mul_i32 s8, s8, s96
	s_sub_i32 s8, s46, s8
	s_sub_i32 s12, s8, s96
	s_cmp_ge_u32 s8, s96
	s_cselect_b32 s8, s12, s8
	s_sub_i32 s12, s8, s96
	s_cmp_ge_u32 s8, s96
	s_cselect_b32 s98, s12, s8
	s_mov_b64 s[12:13], s[98:99]
.LBB14_269:                             ;   in Loop: Header=BB14_32 Depth=1
	s_sub_u32 s12, s46, s12
	s_subb_u32 s13, s9, s13
	v_cmp_gt_i64_e32 vcc, s[12:13], v[0:1]
                                        ; implicit-def: $vgpr47
	s_and_saveexec_b64 s[8:9], vcc
	s_cbranch_execz .LBB14_278
; %bb.270:                              ;   in Loop: Header=BB14_32 Depth=1
	s_mov_b64 s[44:45], 0
	v_mov_b32_e32 v8, v0
	v_mov_b64_e32 v[4:5], v[0:1]
                                        ; implicit-def: $sgpr46_sgpr47
	s_branch .LBB14_273
.LBB14_271:                             ;   in Loop: Header=BB14_273 Depth=2
	s_or_b64 exec, exec, s[48:49]
	s_waitcnt lgkmcnt(0)
	s_barrier
	ds_read_u16 v9, v3 offset:3072
	s_mov_b64 s[48:49], -1
	s_waitcnt lgkmcnt(0)
	s_barrier
	v_cmp_eq_u32_sdwa s[50:51], v9, v3 src0_sel:BYTE_0 src1_sel:DWORD
	s_and_b64 vcc, exec, s[50:51]
	s_mov_b64 s[50:51], -1
	s_cbranch_vccnz .LBB14_276
.LBB14_272:                             ;   in Loop: Header=BB14_273 Depth=2
	s_and_b64 s[48:49], exec, s[48:49]
	s_or_b64 s[44:45], s[48:49], s[44:45]
	s_andn2_b64 s[46:47], s[46:47], exec
	s_and_b64 s[48:49], s[50:51], exec
	s_or_b64 s[46:47], s[46:47], s[48:49]
	s_andn2_b64 exec, exec, s[44:45]
	s_cbranch_execz .LBB14_277
.LBB14_273:                             ;   Parent Loop BB14_32 Depth=1
                                        ; =>  This Inner Loop Header: Depth=2
	v_cmp_gt_u64_e32 vcc, s[42:43], v[4:5]
	s_and_saveexec_b64 s[48:49], vcc
	s_cbranch_execz .LBB14_271
; %bb.274:                              ;   in Loop: Header=BB14_273 Depth=2
	ds_read_u8 v9, v8
	s_waitcnt lgkmcnt(0)
	v_add_u32_sdwa v10, sext(v9), s1 dst_sel:DWORD dst_unused:UNUSED_PAD src0_sel:BYTE_0 src1_sel:DWORD
	v_and_b32_e32 v10, v10, v46
	v_cmp_eq_u32_e32 vcc, v10, v44
	s_and_b64 exec, exec, vcc
	s_cbranch_execz .LBB14_271
; %bb.275:                              ;   in Loop: Header=BB14_273 Depth=2
	v_lshlrev_b16_e32 v9, 8, v9
	v_or_b32_e32 v9, 1, v9
	ds_write_b16 v3, v9 offset:3072
	s_branch .LBB14_271
.LBB14_276:                             ;   in Loop: Header=BB14_273 Depth=2
	v_lshl_add_u64 v[4:5], v[4:5], 0, s[96:97]
	v_cmp_le_i64_e32 vcc, s[12:13], v[4:5]
	v_add_u32_e32 v8, s96, v8
	s_mov_b64 s[50:51], 0
	s_orn2_b64 s[48:49], vcc, exec
	s_branch .LBB14_272
.LBB14_277:                             ;   in Loop: Header=BB14_32 Depth=1
	s_or_b64 exec, exec, s[44:45]
	s_andn2_b64 s[6:7], s[6:7], exec
	s_and_b64 s[12:13], s[46:47], exec
	v_lshrrev_b32_sdwa v47, v45, v9 dst_sel:DWORD dst_unused:UNUSED_PAD src0_sel:DWORD src1_sel:WORD_0
	s_or_b64 s[6:7], s[6:7], s[12:13]
	v_readlane_b32 s48, v67, 63
	v_readlane_b32 s49, v66, 0
.LBB14_278:                             ;   in Loop: Header=BB14_32 Depth=1
	s_or_b64 exec, exec, s[8:9]
	s_mov_b64 s[44:45], 0
	s_mov_b64 s[46:47], -1
.LBB14_279:                             ;   in Loop: Header=BB14_32 Depth=1
	s_orn2_b64 s[8:9], s[6:7], exec
.LBB14_280:                             ;   in Loop: Header=BB14_32 Depth=1
	s_or_b64 exec, exec, s[40:41]
	s_mov_b64 s[12:13], 0
	s_and_saveexec_b64 s[6:7], s[8:9]
	s_cbranch_execz .LBB14_291
; %bb.281:                              ;   in Loop: Header=BB14_32 Depth=1
	s_xor_b64 s[12:13], s[38:39], -1
	v_mov_b64_e32 v[4:5], 1
	v_mov_b32_e32 v2, 1
	s_and_saveexec_b64 s[8:9], s[12:13]
	s_cbranch_execz .LBB14_290
; %bb.282:                              ;   in Loop: Header=BB14_32 Depth=1
	v_cmp_ge_i64_e32 vcc, s[14:15], v[6:7]
	s_and_saveexec_b64 s[12:13], vcc
	s_xor_b64 s[12:13], exec, s[12:13]
	s_cbranch_execz .LBB14_287
; %bb.283:                              ;   in Loop: Header=BB14_32 Depth=1
	ds_read_b64 v[4:5], v3 offset:5120
	v_or_b32_e32 v44, s64, v44
	v_or_b32_e32 v46, s64, v46
	s_waitcnt lgkmcnt(0)
	v_cmp_ne_u64_e32 vcc, 0, v[4:5]
	s_cbranch_vccnz .LBB14_287
; %bb.284:                              ;   in Loop: Header=BB14_32 Depth=1
	s_mov_b64 s[38:39], exec
	v_readlane_b32 s40, v67, 32
	v_readlane_b32 s41, v67, 33
	s_and_b64 s[40:41], s[38:39], s[40:41]
	s_mov_b64 exec, s[40:41]
; %bb.285:                              ;   in Loop: Header=BB14_32 Depth=1
	v_mov_b64_e32 v[4:5], s[14:15]
	ds_write_b64 v3, v[4:5] offset:5128
; %bb.286:                              ;   in Loop: Header=BB14_32 Depth=1
	s_or_b64 exec, exec, s[38:39]
	s_waitcnt lgkmcnt(0)
	s_barrier
.LBB14_287:                             ;   in Loop: Header=BB14_32 Depth=1
	s_andn2_saveexec_b64 s[12:13], s[12:13]
; %bb.288:                              ;   in Loop: Header=BB14_32 Depth=1
	v_mov_b32_e32 v2, s15
	v_subrev_co_u32_e32 v6, vcc, s14, v6
	s_nop 1
	v_subb_co_u32_e32 v7, vcc, v7, v2, vcc
; %bb.289:                              ;   in Loop: Header=BB14_32 Depth=1
	s_or_b64 exec, exec, s[12:13]
	v_mov_b32_e32 v2, 8
	v_mov_b64_e32 v[4:5], v[6:7]
.LBB14_290:                             ;   in Loop: Header=BB14_32 Depth=1
	s_or_b64 exec, exec, s[8:9]
	s_mov_b64 s[12:13], exec
	v_mov_b64_e32 v[6:7], v[4:5]
.LBB14_291:                             ;   in Loop: Header=BB14_32 Depth=1
	s_or_b64 exec, exec, s[6:7]
	s_orn2_b64 s[6:7], s[12:13], exec
.LBB14_292:                             ;   in Loop: Header=BB14_32 Depth=1
	s_or_b64 exec, exec, s[22:23]
	s_andn2_b64 s[8:9], s[34:35], exec
	s_and_b64 s[12:13], s[46:47], exec
	s_or_b64 s[34:35], s[8:9], s[12:13]
	s_andn2_b64 s[8:9], s[30:31], exec
	s_and_b64 s[12:13], s[44:45], exec
	s_or_b64 s[30:31], s[8:9], s[12:13]
	s_and_b64 s[8:9], s[6:7], exec
	v_mov_b64_e32 v[4:5], v[6:7]
.LBB14_293:                             ;   in Loop: Header=BB14_32 Depth=1
	s_or_b64 exec, exec, s[36:37]
	s_orn2_b64 s[6:7], s[8:9], exec
.LBB14_294:                             ;   in Loop: Header=BB14_32 Depth=1
	s_or_b64 exec, exec, s[28:29]
	s_andn2_b64 s[8:9], s[24:25], exec
	s_and_b64 s[12:13], s[34:35], exec
	s_or_b64 s[24:25], s[8:9], s[12:13]
	s_andn2_b64 s[2:3], s[2:3], exec
	s_and_b64 s[8:9], s[30:31], exec
	s_or_b64 s[2:3], s[2:3], s[8:9]
	s_and_b64 s[8:9], s[6:7], exec
	v_mov_b64_e32 v[8:9], v[4:5]
.LBB14_295:                             ;   in Loop: Header=BB14_32 Depth=1
	s_or_b64 exec, exec, s[26:27]
	s_orn2_b64 s[6:7], s[8:9], exec
.LBB14_296:                             ;   in Loop: Header=BB14_32 Depth=1
	s_or_b64 exec, exec, s[20:21]
	s_mov_b64 s[8:9], 0
	s_and_saveexec_b64 s[12:13], s[6:7]
	s_xor_b64 s[6:7], exec, s[12:13]
	s_cbranch_execz .LBB14_30
; %bb.297:                              ;   in Loop: Header=BB14_32 Depth=1
	v_and_b32_e32 v2, 7, v2
	v_cmp_eq_u32_e32 vcc, 0, v2
	s_mov_b64 s[12:13], -1
	s_mov_b64 s[8:9], -1
	s_and_saveexec_b64 s[14:15], vcc
	s_cbranch_execz .LBB14_29
; %bb.298:                              ;   in Loop: Header=BB14_32 Depth=1
	s_xor_b32 s59, s59, 1
	s_add_i32 s18, s0, -2
	s_cmp_eq_u32 s0, 0
	s_cselect_b64 s[12:13], -1, 0
	s_xor_b64 s[8:9], exec, -1
	s_orn2_b64 s[12:13], s[12:13], exec
	s_mov_b32 s0, s18
	s_branch .LBB14_29
.LBB14_299:                             ;   in Loop: Header=BB14_32 Depth=1
                                        ; implicit-def: $sgpr12_sgpr13
	s_branch .LBB14_268
.LBB14_300:
	s_or_b64 exec, exec, s[82:83]
	s_xor_b64 s[6:7], s[86:87], -1
	s_xor_b64 s[0:1], s[68:69], -1
	;; [unrolled: 1-line block ×3, first 2 shown]
	s_mov_b64 s[2:3], 0
	s_and_saveexec_b64 s[8:9], s[0:1]
	s_xor_b64 s[0:1], exec, s[8:9]
	s_cbranch_execnz .LBB14_305
; %bb.301:
	s_andn2_saveexec_b64 s[0:1], s[0:1]
	s_cbranch_execnz .LBB14_327
.LBB14_302:
	s_or_b64 exec, exec, s[0:1]
	s_and_saveexec_b64 s[0:1], s[2:3]
.LBB14_303:
	; divergent unreachable
.LBB14_304:
	s_endpgm
.LBB14_305:
	s_and_saveexec_b64 s[2:3], s[6:7]
	s_xor_b64 s[2:3], exec, s[2:3]
	s_cbranch_execz .LBB14_325
; %bb.306:
	s_and_saveexec_b64 s[6:7], s[4:5]
	s_xor_b64 s[4:5], exec, s[6:7]
; %bb.307:
	v_xor_b32_e32 v47, 0xffffff80, v44
; %bb.308:
	s_or_b64 exec, exec, s[4:5]
	s_mov_b64 s[4:5], exec
	v_readlane_b32 s6, v67, 32
	v_readlane_b32 s7, v67, 33
	;; [unrolled: 1-line block ×3, first 2 shown]
	s_and_b64 s[6:7], s[4:5], s[6:7]
	v_readlane_b32 s24, v67, 34
	v_readlane_b32 s29, v67, 9
	;; [unrolled: 1-line block ×5, first 2 shown]
	s_mov_b64 exec, s[6:7]
; %bb.309:
	v_mov_b32_e32 v2, 0
	v_mov_b32_e32 v3, s56
	ds_write_b32 v2, v3 offset:5140
; %bb.310:
	s_or_b64 exec, exec, s[4:5]
	s_waitcnt lgkmcnt(0)
	s_barrier
	s_mov_b64 s[4:5], exec
	v_readlane_b32 s6, v67, 42
	v_readlane_b32 s7, v67, 43
	s_and_b64 s[6:7], s[4:5], s[6:7]
	s_mov_b64 exec, s[6:7]
	s_cbranch_execz .LBB14_322
; %bb.311:
	v_mov_b32_e32 v2, 0
	ds_read_b32 v4, v2 offset:5140
	s_mov_b64 s[6:7], 0
                                        ; implicit-def: $sgpr8_sgpr9
                                        ; implicit-def: $sgpr10_sgpr11
                                        ; implicit-def: $sgpr12_sgpr13
	s_waitcnt lgkmcnt(0)
	v_ashrrev_i32_e32 v5, 31, v4
	s_branch .LBB14_314
.LBB14_312:                             ;   in Loop: Header=BB14_314 Depth=1
	s_or_b64 exec, exec, s[20:21]
	s_andn2_b64 s[12:13], s[12:13], exec
	s_and_b64 s[18:19], s[18:19], exec
	s_andn2_b64 s[10:11], s[10:11], exec
	s_and_b64 s[16:17], s[16:17], exec
	s_or_b64 s[12:13], s[12:13], s[18:19]
	s_or_b64 s[10:11], s[10:11], s[16:17]
.LBB14_313:                             ;   in Loop: Header=BB14_314 Depth=1
	s_or_b64 exec, exec, s[14:15]
	s_and_b64 s[14:15], exec, s[10:11]
	s_or_b64 s[6:7], s[14:15], s[6:7]
	s_andn2_b64 s[8:9], s[8:9], exec
	s_and_b64 s[14:15], s[12:13], exec
	s_or_b64 s[8:9], s[8:9], s[14:15]
	s_andn2_b64 exec, exec, s[6:7]
	s_cbranch_execz .LBB14_317
.LBB14_314:                             ; =>This Inner Loop Header: Depth=1
	v_mov_b64_e32 v[2:3], v[0:1]
	v_cmp_lt_i64_e32 vcc, v[2:3], v[4:5]
	s_or_b64 s[12:13], s[12:13], exec
	s_or_b64 s[10:11], s[10:11], exec
                                        ; implicit-def: $vgpr0_vgpr1
	s_and_saveexec_b64 s[14:15], vcc
	s_cbranch_execz .LBB14_313
; %bb.315:                              ;   in Loop: Header=BB14_314 Depth=1
	global_load_ubyte v0, v[12:13], off
	s_mov_b64 s[16:17], -1
	s_mov_b64 s[18:19], 0
	s_waitcnt vmcnt(0)
	v_cmp_ne_u16_sdwa s[22:23], v0, v47 src0_sel:DWORD src1_sel:BYTE_0
                                        ; implicit-def: $vgpr0_vgpr1
	s_and_saveexec_b64 s[20:21], s[22:23]
	s_cbranch_execz .LBB14_312
; %bb.316:                              ;   in Loop: Header=BB14_314 Depth=1
	v_lshl_add_u64 v[0:1], v[2:3], 0, s[96:97]
	v_cmp_le_i64_e32 vcc, s[56:57], v[0:1]
	s_mov_b64 s[18:19], exec
	v_lshl_add_u64 v[12:13], v[12:13], 0, s[92:93]
	s_orn2_b64 s[16:17], vcc, exec
	s_branch .LBB14_312
.LBB14_317:
	s_or_b64 exec, exec, s[6:7]
	s_xor_b64 s[6:7], s[8:9], -1
	s_and_saveexec_b64 s[8:9], s[6:7]
	s_xor_b64 s[8:9], exec, s[8:9]
	s_cbranch_execz .LBB14_322
; %bb.318:
	s_mov_b64 s[6:7], exec
	s_brev_b32 s8, -2
.LBB14_319:                             ; =>This Inner Loop Header: Depth=1
	s_ff1_i32_b64 s9, s[6:7]
	v_readlane_b32 s12, v2, s9
	s_lshl_b64 s[10:11], 1, s9
	s_min_i32 s8, s8, s12
	s_andn2_b64 s[6:7], s[6:7], s[10:11]
	s_cmp_lg_u64 s[6:7], 0
	s_cbranch_scc1 .LBB14_319
; %bb.320:
	v_mbcnt_lo_u32_b32 v0, exec_lo, 0
	v_mbcnt_hi_u32_b32 v0, exec_hi, v0
	v_cmp_eq_u32_e32 vcc, 0, v0
	s_and_saveexec_b64 s[6:7], vcc
	s_xor_b64 s[6:7], exec, s[6:7]
; %bb.321:
	v_mov_b32_e32 v0, 0
	v_mov_b32_e32 v1, s8
	ds_min_i32 v0, v1 offset:5140
.LBB14_322:
	s_or_b64 exec, exec, s[4:5]
	s_waitcnt lgkmcnt(0)
	s_barrier
	s_mov_b64 s[4:5], exec
	v_readlane_b32 s6, v67, 32
	v_readlane_b32 s7, v67, 33
	s_and_b64 s[6:7], s[4:5], s[6:7]
	s_mov_b64 exec, s[6:7]
	s_cbranch_execz .LBB14_324
; %bb.323:
	v_readlane_b32 s22, v67, 12
	v_readlane_b32 s23, v67, 13
	s_mul_i32 s6, s22, s31
	s_mul_hi_u32 s7, s22, s30
	s_add_i32 s6, s7, s6
	s_mul_i32 s7, s23, s30
	s_add_i32 s6, s6, s7
	s_mul_i32 s7, s22, s30
	v_readlane_b32 s10, v67, 14
	s_sub_u32 s8, s24, s7
	v_readlane_b32 s11, v67, 15
	s_subb_u32 s6, 0, s6
	s_mul_i32 s7, s8, s11
	s_mul_hi_u32 s9, s8, s10
	v_readlane_b32 s16, v67, 0
	s_add_i32 s7, s9, s7
	s_mul_i32 s6, s6, s10
	v_readlane_b32 s17, v67, 1
	v_readlane_b32 s20, v67, 6
	s_add_i32 s7, s7, s6
	s_mul_i32 s6, s8, s10
	v_readlane_b32 s21, v67, 7
	s_mul_i32 s8, s20, s17
	s_mul_hi_u32 s9, s20, s16
	s_add_i32 s8, s9, s8
	s_mul_i32 s9, s21, s16
	s_add_i32 s8, s8, s9
	s_mul_i32 s9, s20, s16
	v_readlane_b32 s16, v67, 4
	v_readlane_b32 s36, v67, 22
	;; [unrolled: 1-line block ×3, first 2 shown]
	s_sub_u32 s9, s16, s9
	v_readlane_b32 s38, v67, 24
	v_readlane_b32 s39, v67, 25
	s_subb_u32 s8, s17, s8
	s_mul_i32 s10, s9, s39
	s_mul_hi_u32 s11, s9, s38
	v_readlane_b32 s37, v67, 23
	s_add_i32 s10, s11, s10
	s_mul_i32 s8, s8, s38
	s_add_i32 s12, s10, s8
	s_mul_i32 s13, s9, s38
	s_mul_i32 s8, s20, s37
	s_mul_hi_u32 s9, s20, s36
	v_readlane_b32 s18, v67, 2
	v_readlane_b32 s19, v67, 3
	s_add_i32 s8, s9, s8
	s_mul_i32 s9, s21, s36
	s_add_i32 s14, s8, s9
	s_mul_i32 s8, s16, s19
	s_mul_hi_u32 s9, s16, s18
	s_add_i32 s8, s9, s8
	s_mul_i32 s9, s17, s18
	s_add_i32 s8, s8, s9
	s_mul_i32 s9, s16, s18
	v_readlane_b32 s18, v67, 20
	s_sub_u32 s9, s24, s9
	v_readlane_b32 s19, v67, 21
	s_subb_u32 s8, 0, s8
	s_mul_i32 s10, s9, s19
	s_mul_hi_u32 s11, s9, s18
	s_add_i32 s10, s11, s10
	s_mul_i32 s8, s8, s18
	s_mul_i32 s17, s9, s18
	v_readlane_b32 s18, v67, 26
	s_add_i32 s16, s10, s8
	v_readlane_b32 s19, v67, 27
	s_mul_i32 s8, s18, s29
	s_mul_hi_u32 s9, s18, s28
	s_add_i32 s8, s9, s8
	s_mul_i32 s9, s19, s28
	s_add_i32 s8, s8, s9
	s_mul_i32 s9, s18, s28
	s_sub_u32 s10, s22, s9
	s_mul_i32 s15, s20, s36
	s_subb_u32 s8, s23, s8
	v_readlane_b32 s20, v67, 16
	v_readlane_b32 s22, v67, 18
	;; [unrolled: 1-line block ×3, first 2 shown]
	s_mul_i32 s9, s10, s23
	s_mul_hi_u32 s11, s10, s22
	v_readlane_b32 s21, v67, 17
	s_add_i32 s9, s11, s9
	s_mul_i32 s8, s8, s22
	s_add_i32 s9, s9, s8
	s_mul_i32 s8, s10, s22
	s_mul_i32 s10, s18, s21
	s_mul_hi_u32 s11, s18, s20
	s_add_i32 s10, s11, s10
	s_mul_i32 s11, s19, s20
	s_add_i32 s11, s10, s11
	s_mul_i32 s10, s18, s20
	v_readlane_b32 s18, v67, 30
	v_readlane_b32 s19, v67, 31
	s_add_u32 s15, s18, s15
	s_addc_u32 s14, s19, s14
	s_add_u32 s13, s15, s13
	s_addc_u32 s14, s14, s12
	;; [unrolled: 2-line block ×3, first 2 shown]
	s_lshl_b64 s[10:11], s[10:11], 3
	v_readlane_b32 s14, v67, 28
	v_mov_b32_e32 v2, 0
	v_readlane_b32 s15, v67, 29
	s_add_u32 s10, s14, s10
	ds_read_b32 v0, v2 offset:5140
	s_addc_u32 s11, s15, s11
	s_lshl_b64 s[8:9], s[8:9], 3
	s_add_u32 s8, s10, s8
	s_addc_u32 s9, s11, s9
	s_lshl_b64 s[6:7], s[6:7], 3
	s_add_u32 s6, s8, s6
	s_addc_u32 s7, s9, s7
	s_waitcnt lgkmcnt(0)
	v_ashrrev_i32_e32 v1, 31, v0
	global_store_dwordx2 v2, v[0:1], s[6:7]
	global_store_byte v2, v47, s[12:13]
.LBB14_324:
	s_or_b64 exec, exec, s[4:5]
.LBB14_325:
	s_or_saveexec_b64 s[2:3], s[2:3]
	s_mov_b64 s[4:5], 0
	s_xor_b64 exec, exec, s[2:3]
	s_cbranch_execnz .LBB14_328
.LBB14_326:
	s_or_b64 exec, exec, s[2:3]
	s_and_b64 s[2:3], s[4:5], exec
	s_andn2_saveexec_b64 s[0:1], s[0:1]
	s_cbranch_execz .LBB14_302
.LBB14_327:
	s_or_b64 s[2:3], s[2:3], exec
	s_trap 2
	s_or_b64 exec, exec, s[0:1]
	s_and_saveexec_b64 s[0:1], s[2:3]
	s_cbranch_execnz .LBB14_303
	s_branch .LBB14_304
.LBB14_328:
	s_mov_b64 s[4:5], exec
	s_trap 2
	s_branch .LBB14_326
	.section	.rodata,"a",@progbits
	.p2align	6, 0x0
	.amdhsa_kernel _ZN2at6native12_GLOBAL__N_114gatherKthValueIalLi3EEEvNS_4cuda6detail10TensorInfoIKT_T0_EES8_S8_S8_S8_NS5_IS6_S8_EENS5_IlS8_EE
		.amdhsa_group_segment_fixed_size 5144
		.amdhsa_private_segment_fixed_size 0
		.amdhsa_kernarg_size 1536
		.amdhsa_user_sgpr_count 2
		.amdhsa_user_sgpr_dispatch_ptr 0
		.amdhsa_user_sgpr_queue_ptr 0
		.amdhsa_user_sgpr_kernarg_segment_ptr 1
		.amdhsa_user_sgpr_dispatch_id 0
		.amdhsa_user_sgpr_kernarg_preload_length 0
		.amdhsa_user_sgpr_kernarg_preload_offset 0
		.amdhsa_user_sgpr_private_segment_size 0
		.amdhsa_uses_dynamic_stack 0
		.amdhsa_enable_private_segment 0
		.amdhsa_system_sgpr_workgroup_id_x 1
		.amdhsa_system_sgpr_workgroup_id_y 1
		.amdhsa_system_sgpr_workgroup_id_z 1
		.amdhsa_system_sgpr_workgroup_info 0
		.amdhsa_system_vgpr_workitem_id 0
		.amdhsa_next_free_vgpr 68
		.amdhsa_next_free_sgpr 100
		.amdhsa_accum_offset 68
		.amdhsa_reserve_vcc 1
		.amdhsa_float_round_mode_32 0
		.amdhsa_float_round_mode_16_64 0
		.amdhsa_float_denorm_mode_32 3
		.amdhsa_float_denorm_mode_16_64 3
		.amdhsa_dx10_clamp 1
		.amdhsa_ieee_mode 1
		.amdhsa_fp16_overflow 0
		.amdhsa_tg_split 0
		.amdhsa_exception_fp_ieee_invalid_op 0
		.amdhsa_exception_fp_denorm_src 0
		.amdhsa_exception_fp_ieee_div_zero 0
		.amdhsa_exception_fp_ieee_overflow 0
		.amdhsa_exception_fp_ieee_underflow 0
		.amdhsa_exception_fp_ieee_inexact 0
		.amdhsa_exception_int_div_zero 0
	.end_amdhsa_kernel
	.section	.text._ZN2at6native12_GLOBAL__N_114gatherKthValueIalLi3EEEvNS_4cuda6detail10TensorInfoIKT_T0_EES8_S8_S8_S8_NS5_IS6_S8_EENS5_IlS8_EE,"axG",@progbits,_ZN2at6native12_GLOBAL__N_114gatherKthValueIalLi3EEEvNS_4cuda6detail10TensorInfoIKT_T0_EES8_S8_S8_S8_NS5_IS6_S8_EENS5_IlS8_EE,comdat
.Lfunc_end14:
	.size	_ZN2at6native12_GLOBAL__N_114gatherKthValueIalLi3EEEvNS_4cuda6detail10TensorInfoIKT_T0_EES8_S8_S8_S8_NS5_IS6_S8_EENS5_IlS8_EE, .Lfunc_end14-_ZN2at6native12_GLOBAL__N_114gatherKthValueIalLi3EEEvNS_4cuda6detail10TensorInfoIKT_T0_EES8_S8_S8_S8_NS5_IS6_S8_EENS5_IlS8_EE
                                        ; -- End function
	.set _ZN2at6native12_GLOBAL__N_114gatherKthValueIalLi3EEEvNS_4cuda6detail10TensorInfoIKT_T0_EES8_S8_S8_S8_NS5_IS6_S8_EENS5_IlS8_EE.num_vgpr, 68
	.set _ZN2at6native12_GLOBAL__N_114gatherKthValueIalLi3EEEvNS_4cuda6detail10TensorInfoIKT_T0_EES8_S8_S8_S8_NS5_IS6_S8_EENS5_IlS8_EE.num_agpr, 0
	.set _ZN2at6native12_GLOBAL__N_114gatherKthValueIalLi3EEEvNS_4cuda6detail10TensorInfoIKT_T0_EES8_S8_S8_S8_NS5_IS6_S8_EENS5_IlS8_EE.numbered_sgpr, 100
	.set _ZN2at6native12_GLOBAL__N_114gatherKthValueIalLi3EEEvNS_4cuda6detail10TensorInfoIKT_T0_EES8_S8_S8_S8_NS5_IS6_S8_EENS5_IlS8_EE.num_named_barrier, 0
	.set _ZN2at6native12_GLOBAL__N_114gatherKthValueIalLi3EEEvNS_4cuda6detail10TensorInfoIKT_T0_EES8_S8_S8_S8_NS5_IS6_S8_EENS5_IlS8_EE.private_seg_size, 0
	.set _ZN2at6native12_GLOBAL__N_114gatherKthValueIalLi3EEEvNS_4cuda6detail10TensorInfoIKT_T0_EES8_S8_S8_S8_NS5_IS6_S8_EENS5_IlS8_EE.uses_vcc, 1
	.set _ZN2at6native12_GLOBAL__N_114gatherKthValueIalLi3EEEvNS_4cuda6detail10TensorInfoIKT_T0_EES8_S8_S8_S8_NS5_IS6_S8_EENS5_IlS8_EE.uses_flat_scratch, 0
	.set _ZN2at6native12_GLOBAL__N_114gatherKthValueIalLi3EEEvNS_4cuda6detail10TensorInfoIKT_T0_EES8_S8_S8_S8_NS5_IS6_S8_EENS5_IlS8_EE.has_dyn_sized_stack, 0
	.set _ZN2at6native12_GLOBAL__N_114gatherKthValueIalLi3EEEvNS_4cuda6detail10TensorInfoIKT_T0_EES8_S8_S8_S8_NS5_IS6_S8_EENS5_IlS8_EE.has_recursion, 0
	.set _ZN2at6native12_GLOBAL__N_114gatherKthValueIalLi3EEEvNS_4cuda6detail10TensorInfoIKT_T0_EES8_S8_S8_S8_NS5_IS6_S8_EENS5_IlS8_EE.has_indirect_call, 0
	.section	.AMDGPU.csdata,"",@progbits
; Kernel info:
; codeLenInByte = 21776
; TotalNumSgprs: 106
; NumVgprs: 68
; NumAgprs: 0
; TotalNumVgprs: 68
; ScratchSize: 0
; MemoryBound: 0
; FloatMode: 240
; IeeeMode: 1
; LDSByteSize: 5144 bytes/workgroup (compile time only)
; SGPRBlocks: 13
; VGPRBlocks: 8
; NumSGPRsForWavesPerEU: 106
; NumVGPRsForWavesPerEU: 68
; AccumOffset: 68
; Occupancy: 7
; WaveLimiterHint : 1
; COMPUTE_PGM_RSRC2:SCRATCH_EN: 0
; COMPUTE_PGM_RSRC2:USER_SGPR: 2
; COMPUTE_PGM_RSRC2:TRAP_HANDLER: 0
; COMPUTE_PGM_RSRC2:TGID_X_EN: 1
; COMPUTE_PGM_RSRC2:TGID_Y_EN: 1
; COMPUTE_PGM_RSRC2:TGID_Z_EN: 1
; COMPUTE_PGM_RSRC2:TIDIG_COMP_CNT: 0
; COMPUTE_PGM_RSRC3_GFX90A:ACCUM_OFFSET: 16
; COMPUTE_PGM_RSRC3_GFX90A:TG_SPLIT: 0
	.section	.text._ZN2at6native12_GLOBAL__N_114gatherKthValueIalLin1EEEvNS_4cuda6detail10TensorInfoIKT_T0_EES8_S8_S8_S8_NS5_IS6_S8_EENS5_IlS8_EE,"axG",@progbits,_ZN2at6native12_GLOBAL__N_114gatherKthValueIalLin1EEEvNS_4cuda6detail10TensorInfoIKT_T0_EES8_S8_S8_S8_NS5_IS6_S8_EENS5_IlS8_EE,comdat
	.globl	_ZN2at6native12_GLOBAL__N_114gatherKthValueIalLin1EEEvNS_4cuda6detail10TensorInfoIKT_T0_EES8_S8_S8_S8_NS5_IS6_S8_EENS5_IlS8_EE ; -- Begin function _ZN2at6native12_GLOBAL__N_114gatherKthValueIalLin1EEEvNS_4cuda6detail10TensorInfoIKT_T0_EES8_S8_S8_S8_NS5_IS6_S8_EENS5_IlS8_EE
	.p2align	8
	.type	_ZN2at6native12_GLOBAL__N_114gatherKthValueIalLin1EEEvNS_4cuda6detail10TensorInfoIKT_T0_EES8_S8_S8_S8_NS5_IS6_S8_EENS5_IlS8_EE,@function
_ZN2at6native12_GLOBAL__N_114gatherKthValueIalLin1EEEvNS_4cuda6detail10TensorInfoIKT_T0_EES8_S8_S8_S8_NS5_IS6_S8_EENS5_IlS8_EE: ; @_ZN2at6native12_GLOBAL__N_114gatherKthValueIalLin1EEEvNS_4cuda6detail10TensorInfoIKT_T0_EES8_S8_S8_S8_NS5_IS6_S8_EENS5_IlS8_EE
; %bb.0:
	s_load_dwordx2 s[14:15], s[0:1], 0x500
	s_load_dwordx8 s[56:63], s[0:1], 0x1a0
	s_add_u32 s12, s0, 0x500
	s_addc_u32 s13, s1, 0
	s_mov_b32 s5, 0
	s_waitcnt lgkmcnt(0)
	s_mul_i32 s4, s15, s4
	s_add_i32 s3, s4, s3
	s_mul_i32 s3, s3, s14
	s_add_i32 s4, s3, s2
	v_mov_b64_e32 v[2:3], s[4:5]
	v_cmp_le_i64_e32 vcc, s[60:61], v[2:3]
	s_cbranch_vccnz .LBB15_316
; %bb.1:
	s_load_dword s8, s[0:1], 0x198
	s_mov_b64 s[10:11], 0
	s_mov_b64 s[6:7], s[4:5]
	s_waitcnt lgkmcnt(0)
	s_cmp_lt_i32 s8, 2
	s_cbranch_scc1 .LBB15_9
; %bb.2:
	s_add_i32 s3, s8, 1
	s_add_i32 s6, s8, -1
	s_mov_b32 s8, 0
	s_mov_b32 s7, s8
	s_lshl_b64 s[6:7], s[6:7], 3
	s_add_u32 s6, s0, s6
	s_addc_u32 s7, s1, s7
	s_add_u32 s16, s6, 8
	s_addc_u32 s17, s7, 0
	s_mov_b64 s[18:19], s[4:5]
.LBB15_3:                               ; =>This Inner Loop Header: Depth=1
	s_load_dwordx2 s[20:21], s[16:17], 0x0
	s_waitcnt lgkmcnt(0)
	s_or_b64 s[6:7], s[18:19], s[20:21]
	s_mov_b32 s9, s7
	s_cmp_lg_u64 s[8:9], 0
	s_cbranch_scc0 .LBB15_8
; %bb.4:                                ;   in Loop: Header=BB15_3 Depth=1
	s_ashr_i32 s6, s21, 31
	s_add_u32 s22, s20, s6
	s_mov_b32 s7, s6
	s_addc_u32 s23, s21, s6
	s_xor_b64 s[22:23], s[22:23], s[6:7]
	v_cvt_f32_u32_e32 v1, s22
	v_cvt_f32_u32_e32 v2, s23
	s_sub_u32 s9, 0, s22
	s_subb_u32 s15, 0, s23
	v_fmac_f32_e32 v1, 0x4f800000, v2
	v_rcp_f32_e32 v1, v1
	s_nop 0
	v_mul_f32_e32 v1, 0x5f7ffffc, v1
	v_mul_f32_e32 v2, 0x2f800000, v1
	v_trunc_f32_e32 v2, v2
	v_fmac_f32_e32 v1, 0xcf800000, v2
	v_cvt_u32_f32_e32 v2, v2
	v_cvt_u32_f32_e32 v1, v1
	v_readfirstlane_b32 s26, v2
	v_readfirstlane_b32 s24, v1
	s_mul_i32 s25, s9, s26
	s_mul_hi_u32 s28, s9, s24
	s_mul_i32 s27, s15, s24
	s_add_i32 s25, s28, s25
	s_add_i32 s25, s25, s27
	s_mul_i32 s29, s9, s24
	s_mul_i32 s28, s24, s25
	s_mul_hi_u32 s30, s24, s29
	s_mul_hi_u32 s27, s24, s25
	s_add_u32 s28, s30, s28
	s_addc_u32 s27, 0, s27
	s_mul_hi_u32 s31, s26, s29
	s_mul_i32 s29, s26, s29
	s_add_u32 s28, s28, s29
	s_mul_hi_u32 s30, s26, s25
	s_addc_u32 s27, s27, s31
	s_addc_u32 s28, s30, 0
	s_mul_i32 s25, s26, s25
	s_add_u32 s25, s27, s25
	s_addc_u32 s27, 0, s28
	s_add_u32 s28, s24, s25
	s_cselect_b64 s[24:25], -1, 0
	s_cmp_lg_u64 s[24:25], 0
	s_addc_u32 s26, s26, s27
	s_mul_i32 s24, s9, s26
	s_mul_hi_u32 s25, s9, s28
	s_add_i32 s24, s25, s24
	s_mul_i32 s15, s15, s28
	s_add_i32 s24, s24, s15
	s_mul_i32 s9, s9, s28
	s_mul_hi_u32 s25, s26, s9
	s_mul_i32 s27, s26, s9
	s_mul_i32 s30, s28, s24
	s_mul_hi_u32 s9, s28, s9
	s_mul_hi_u32 s29, s28, s24
	s_add_u32 s9, s9, s30
	s_addc_u32 s29, 0, s29
	s_add_u32 s9, s9, s27
	s_mul_hi_u32 s15, s26, s24
	s_addc_u32 s9, s29, s25
	s_addc_u32 s15, s15, 0
	s_mul_i32 s24, s26, s24
	s_add_u32 s9, s9, s24
	s_addc_u32 s15, 0, s15
	s_add_u32 s9, s28, s9
	s_cselect_b64 s[24:25], -1, 0
	s_cmp_lg_u64 s[24:25], 0
	s_addc_u32 s15, s26, s15
	s_ashr_i32 s24, s19, 31
	s_add_u32 s26, s18, s24
	s_mov_b32 s25, s24
	s_addc_u32 s27, s19, s24
	s_xor_b64 s[26:27], s[26:27], s[24:25]
	s_mul_i32 s29, s26, s15
	s_mul_hi_u32 s30, s26, s9
	s_mul_hi_u32 s28, s26, s15
	s_add_u32 s29, s30, s29
	s_addc_u32 s28, 0, s28
	s_mul_hi_u32 s31, s27, s9
	s_mul_i32 s9, s27, s9
	s_add_u32 s9, s29, s9
	s_mul_hi_u32 s30, s27, s15
	s_addc_u32 s9, s28, s31
	s_addc_u32 s28, s30, 0
	s_mul_i32 s15, s27, s15
	s_add_u32 s9, s9, s15
	s_addc_u32 s15, 0, s28
	s_mul_i32 s28, s22, s15
	s_mul_hi_u32 s29, s22, s9
	s_add_i32 s28, s29, s28
	s_mul_i32 s29, s23, s9
	s_add_i32 s33, s28, s29
	s_sub_i32 s30, s27, s33
	s_mul_i32 s28, s22, s9
	s_sub_u32 s26, s26, s28
	s_cselect_b64 s[28:29], -1, 0
	s_cmp_lg_u64 s[28:29], 0
	s_subb_u32 s34, s30, s23
	s_sub_u32 s35, s26, s22
	s_cselect_b64 s[30:31], -1, 0
	s_cmp_lg_u64 s[30:31], 0
	s_subb_u32 s30, s34, 0
	s_cmp_ge_u32 s30, s23
	s_cselect_b32 s31, -1, 0
	s_cmp_ge_u32 s35, s22
	s_cselect_b32 s34, -1, 0
	s_cmp_eq_u32 s30, s23
	s_cselect_b32 s30, s34, s31
	s_add_u32 s31, s9, 1
	s_addc_u32 s34, s15, 0
	s_add_u32 s35, s9, 2
	s_addc_u32 s36, s15, 0
	s_cmp_lg_u32 s30, 0
	s_cselect_b32 s30, s35, s31
	s_cselect_b32 s31, s36, s34
	s_cmp_lg_u64 s[28:29], 0
	s_subb_u32 s27, s27, s33
	s_cmp_ge_u32 s27, s23
	s_cselect_b32 s28, -1, 0
	s_cmp_ge_u32 s26, s22
	s_cselect_b32 s22, -1, 0
	s_cmp_eq_u32 s27, s23
	s_cselect_b32 s22, s22, s28
	s_cmp_lg_u32 s22, 0
	s_cselect_b32 s23, s31, s15
	s_cselect_b32 s22, s30, s9
	s_xor_b64 s[6:7], s[24:25], s[6:7]
	s_xor_b64 s[22:23], s[22:23], s[6:7]
	s_sub_u32 s6, s22, s6
	s_subb_u32 s7, s23, s7
	s_cbranch_execnz .LBB15_6
.LBB15_5:                               ;   in Loop: Header=BB15_3 Depth=1
	v_cvt_f32_u32_e32 v1, s20
	s_sub_i32 s6, 0, s20
	v_rcp_iflag_f32_e32 v1, v1
	s_nop 0
	v_mul_f32_e32 v1, 0x4f7ffffe, v1
	v_cvt_u32_f32_e32 v1, v1
	s_nop 0
	v_readfirstlane_b32 s7, v1
	s_mul_i32 s6, s6, s7
	s_mul_hi_u32 s6, s7, s6
	s_add_i32 s7, s7, s6
	s_mul_hi_u32 s6, s18, s7
	s_mul_i32 s9, s6, s20
	s_sub_i32 s9, s18, s9
	s_add_i32 s7, s6, 1
	s_sub_i32 s15, s9, s20
	s_cmp_ge_u32 s9, s20
	s_cselect_b32 s6, s7, s6
	s_cselect_b32 s9, s15, s9
	s_add_i32 s7, s6, 1
	s_cmp_ge_u32 s9, s20
	s_cselect_b32 s6, s7, s6
	s_mov_b32 s7, s8
.LBB15_6:                               ;   in Loop: Header=BB15_3 Depth=1
	s_mul_i32 s9, s6, s21
	s_mul_hi_u32 s15, s6, s20
	s_load_dwordx2 s[22:23], s[16:17], 0xc8
	s_add_i32 s9, s15, s9
	s_mul_i32 s15, s7, s20
	s_add_i32 s9, s9, s15
	s_mul_i32 s15, s6, s20
	s_sub_u32 s15, s18, s15
	s_subb_u32 s9, s19, s9
	s_waitcnt lgkmcnt(0)
	s_mul_i32 s9, s22, s9
	s_mul_hi_u32 s18, s22, s15
	s_add_i32 s9, s18, s9
	s_mul_i32 s18, s23, s15
	s_add_i32 s9, s9, s18
	s_mul_i32 s15, s22, s15
	s_add_u32 s10, s15, s10
	s_addc_u32 s11, s9, s11
	s_add_i32 s3, s3, -1
	s_add_u32 s16, s16, -8
	s_addc_u32 s17, s17, -1
	s_cmp_gt_u32 s3, 2
	s_cbranch_scc0 .LBB15_9
; %bb.7:                                ;   in Loop: Header=BB15_3 Depth=1
	s_mov_b64 s[18:19], s[6:7]
	s_branch .LBB15_3
.LBB15_8:                               ;   in Loop: Header=BB15_3 Depth=1
                                        ; implicit-def: $sgpr6_sgpr7
	s_branch .LBB15_5
.LBB15_9:
	s_load_dword s15, s[0:1], 0x358
	s_load_dwordx2 s[8:9], s[0:1], 0xd0
	s_add_u32 s16, s0, 0x1c0
	s_addc_u32 s17, s1, 0
	s_mov_b64 s[60:61], 0
	s_waitcnt lgkmcnt(0)
	s_cmp_lt_i32 s15, 2
	s_mov_b64 s[28:29], s[4:5]
	s_cbranch_scc1 .LBB15_17
; %bb.10:
	s_mov_b32 s18, 0
	s_add_i32 s20, s15, -1
	s_mov_b32 s21, s18
	s_add_i32 s3, s15, 1
	s_lshl_b64 s[20:21], s[20:21], 3
	s_add_u32 s15, s16, s20
	s_addc_u32 s19, s17, s21
	s_add_u32 s20, s15, 8
	s_addc_u32 s21, s19, 0
	s_mov_b64 s[22:23], s[4:5]
.LBB15_11:                              ; =>This Inner Loop Header: Depth=1
	s_load_dwordx2 s[24:25], s[20:21], 0x0
	s_waitcnt lgkmcnt(0)
	s_or_b64 s[26:27], s[22:23], s[24:25]
	s_mov_b32 s19, s27
	s_cmp_lg_u64 s[18:19], 0
	s_cbranch_scc0 .LBB15_16
; %bb.12:                               ;   in Loop: Header=BB15_11 Depth=1
	s_ashr_i32 s26, s25, 31
	s_add_u32 s28, s24, s26
	s_mov_b32 s27, s26
	s_addc_u32 s29, s25, s26
	s_xor_b64 s[28:29], s[28:29], s[26:27]
	v_cvt_f32_u32_e32 v1, s28
	v_cvt_f32_u32_e32 v2, s29
	s_sub_u32 s15, 0, s28
	s_subb_u32 s19, 0, s29
	v_fmac_f32_e32 v1, 0x4f800000, v2
	v_rcp_f32_e32 v1, v1
	s_nop 0
	v_mul_f32_e32 v1, 0x5f7ffffc, v1
	v_mul_f32_e32 v2, 0x2f800000, v1
	v_trunc_f32_e32 v2, v2
	v_fmac_f32_e32 v1, 0xcf800000, v2
	v_cvt_u32_f32_e32 v2, v2
	v_cvt_u32_f32_e32 v1, v1
	v_readfirstlane_b32 s33, v2
	v_readfirstlane_b32 s30, v1
	s_mul_i32 s31, s15, s33
	s_mul_hi_u32 s35, s15, s30
	s_mul_i32 s34, s19, s30
	s_add_i32 s31, s35, s31
	s_add_i32 s31, s31, s34
	s_mul_i32 s36, s15, s30
	s_mul_i32 s35, s30, s31
	s_mul_hi_u32 s37, s30, s36
	s_mul_hi_u32 s34, s30, s31
	s_add_u32 s35, s37, s35
	s_addc_u32 s34, 0, s34
	s_mul_hi_u32 s38, s33, s36
	s_mul_i32 s36, s33, s36
	s_add_u32 s35, s35, s36
	s_mul_hi_u32 s37, s33, s31
	s_addc_u32 s34, s34, s38
	s_addc_u32 s35, s37, 0
	s_mul_i32 s31, s33, s31
	s_add_u32 s31, s34, s31
	s_addc_u32 s34, 0, s35
	s_add_u32 s35, s30, s31
	s_cselect_b64 s[30:31], -1, 0
	s_cmp_lg_u64 s[30:31], 0
	s_addc_u32 s33, s33, s34
	s_mul_i32 s30, s15, s33
	s_mul_hi_u32 s31, s15, s35
	s_add_i32 s30, s31, s30
	s_mul_i32 s19, s19, s35
	s_add_i32 s30, s30, s19
	s_mul_i32 s15, s15, s35
	s_mul_hi_u32 s31, s33, s15
	s_mul_i32 s34, s33, s15
	s_mul_i32 s37, s35, s30
	s_mul_hi_u32 s15, s35, s15
	s_mul_hi_u32 s36, s35, s30
	s_add_u32 s15, s15, s37
	s_addc_u32 s36, 0, s36
	s_add_u32 s15, s15, s34
	s_mul_hi_u32 s19, s33, s30
	s_addc_u32 s15, s36, s31
	s_addc_u32 s19, s19, 0
	s_mul_i32 s30, s33, s30
	s_add_u32 s15, s15, s30
	s_addc_u32 s19, 0, s19
	s_add_u32 s15, s35, s15
	s_cselect_b64 s[30:31], -1, 0
	s_cmp_lg_u64 s[30:31], 0
	s_addc_u32 s19, s33, s19
	s_ashr_i32 s30, s23, 31
	s_add_u32 s34, s22, s30
	s_mov_b32 s31, s30
	s_addc_u32 s35, s23, s30
	s_xor_b64 s[34:35], s[34:35], s[30:31]
	s_mul_i32 s36, s34, s19
	s_mul_hi_u32 s37, s34, s15
	s_mul_hi_u32 s33, s34, s19
	s_add_u32 s36, s37, s36
	s_addc_u32 s33, 0, s33
	s_mul_hi_u32 s38, s35, s15
	s_mul_i32 s15, s35, s15
	s_add_u32 s15, s36, s15
	s_mul_hi_u32 s37, s35, s19
	s_addc_u32 s15, s33, s38
	s_addc_u32 s33, s37, 0
	s_mul_i32 s19, s35, s19
	s_add_u32 s15, s15, s19
	s_addc_u32 s19, 0, s33
	s_mul_i32 s33, s28, s19
	s_mul_hi_u32 s36, s28, s15
	s_add_i32 s33, s36, s33
	s_mul_i32 s36, s29, s15
	s_add_i32 s33, s33, s36
	s_sub_i32 s38, s35, s33
	s_mul_i32 s36, s28, s15
	s_sub_u32 s34, s34, s36
	s_cselect_b64 s[36:37], -1, 0
	s_cmp_lg_u64 s[36:37], 0
	s_subb_u32 s40, s38, s29
	s_sub_u32 s41, s34, s28
	s_cselect_b64 s[38:39], -1, 0
	s_cmp_lg_u64 s[38:39], 0
	s_subb_u32 s38, s40, 0
	s_cmp_ge_u32 s38, s29
	s_cselect_b32 s39, -1, 0
	s_cmp_ge_u32 s41, s28
	s_cselect_b32 s40, -1, 0
	s_cmp_eq_u32 s38, s29
	s_cselect_b32 s38, s40, s39
	s_add_u32 s39, s15, 1
	s_addc_u32 s40, s19, 0
	s_add_u32 s41, s15, 2
	s_addc_u32 s42, s19, 0
	s_cmp_lg_u32 s38, 0
	s_cselect_b32 s38, s41, s39
	s_cselect_b32 s39, s42, s40
	s_cmp_lg_u64 s[36:37], 0
	s_subb_u32 s33, s35, s33
	s_cmp_ge_u32 s33, s29
	s_cselect_b32 s35, -1, 0
	s_cmp_ge_u32 s34, s28
	s_cselect_b32 s28, -1, 0
	s_cmp_eq_u32 s33, s29
	s_cselect_b32 s28, s28, s35
	s_cmp_lg_u32 s28, 0
	s_cselect_b32 s29, s39, s19
	s_cselect_b32 s28, s38, s15
	s_xor_b64 s[26:27], s[30:31], s[26:27]
	s_xor_b64 s[28:29], s[28:29], s[26:27]
	s_sub_u32 s28, s28, s26
	s_subb_u32 s29, s29, s27
	s_cbranch_execnz .LBB15_14
.LBB15_13:                              ;   in Loop: Header=BB15_11 Depth=1
	v_cvt_f32_u32_e32 v1, s24
	s_sub_i32 s15, 0, s24
	s_mov_b32 s29, s18
	v_rcp_iflag_f32_e32 v1, v1
	s_nop 0
	v_mul_f32_e32 v1, 0x4f7ffffe, v1
	v_cvt_u32_f32_e32 v1, v1
	s_nop 0
	v_readfirstlane_b32 s19, v1
	s_mul_i32 s15, s15, s19
	s_mul_hi_u32 s15, s19, s15
	s_add_i32 s19, s19, s15
	s_mul_hi_u32 s15, s22, s19
	s_mul_i32 s26, s15, s24
	s_sub_i32 s26, s22, s26
	s_add_i32 s19, s15, 1
	s_sub_i32 s27, s26, s24
	s_cmp_ge_u32 s26, s24
	s_cselect_b32 s15, s19, s15
	s_cselect_b32 s26, s27, s26
	s_add_i32 s19, s15, 1
	s_cmp_ge_u32 s26, s24
	s_cselect_b32 s28, s19, s15
.LBB15_14:                              ;   in Loop: Header=BB15_11 Depth=1
	s_mul_i32 s15, s28, s25
	s_mul_hi_u32 s19, s28, s24
	s_load_dwordx2 s[26:27], s[20:21], 0xc8
	s_add_i32 s15, s19, s15
	s_mul_i32 s19, s29, s24
	s_add_i32 s15, s15, s19
	s_mul_i32 s19, s28, s24
	s_sub_u32 s19, s22, s19
	s_subb_u32 s15, s23, s15
	s_waitcnt lgkmcnt(0)
	s_mul_i32 s15, s26, s15
	s_mul_hi_u32 s22, s26, s19
	s_add_i32 s15, s22, s15
	s_mul_i32 s22, s27, s19
	s_add_i32 s15, s15, s22
	s_mul_i32 s19, s26, s19
	s_add_u32 s60, s19, s60
	s_addc_u32 s61, s15, s61
	s_add_i32 s3, s3, -1
	s_add_u32 s20, s20, -8
	s_addc_u32 s21, s21, -1
	s_cmp_gt_u32 s3, 2
	s_cbranch_scc0 .LBB15_17
; %bb.15:                               ;   in Loop: Header=BB15_11 Depth=1
	s_mov_b64 s[22:23], s[28:29]
	s_branch .LBB15_11
.LBB15_16:                              ;   in Loop: Header=BB15_11 Depth=1
                                        ; implicit-def: $sgpr28_sgpr29
	s_branch .LBB15_13
.LBB15_17:
	s_load_dword s18, s[0:1], 0x4f8
	s_load_dwordx2 s[20:21], s[16:17], 0xd0
                                        ; implicit-def: $vgpr66 : SGPR spill to VGPR lane
	s_add_u32 s15, s0, 0x360
	v_writelane_b32 v66, s28, 0
                                        ; kill: killed $sgpr16 killed $sgpr17
	s_addc_u32 s17, s1, 0
	s_waitcnt lgkmcnt(0)
	s_cmp_lt_i32 s18, 2
	v_writelane_b32 v66, s29, 1
	v_writelane_b32 v66, s20, 2
	s_mov_b64 s[66:67], 0
	s_nop 0
	v_writelane_b32 v66, s21, 3
	s_cbranch_scc1 .LBB15_25
; %bb.18:
	s_mov_b32 s16, 0
	s_add_i32 s3, s18, 1
	s_add_i32 s18, s18, -1
	s_mov_b32 s19, s16
	s_lshl_b64 s[18:19], s[18:19], 3
	s_add_u32 s15, s15, s18
	s_addc_u32 s17, s17, s19
	s_add_u32 s18, s15, 8
	s_addc_u32 s19, s17, 0
.LBB15_19:                              ; =>This Inner Loop Header: Depth=1
	s_load_dwordx2 s[20:21], s[18:19], 0x0
	s_waitcnt lgkmcnt(0)
	s_or_b64 s[22:23], s[4:5], s[20:21]
	s_mov_b32 s17, s23
	s_cmp_lg_u64 s[16:17], 0
	s_cbranch_scc0 .LBB15_24
; %bb.20:                               ;   in Loop: Header=BB15_19 Depth=1
	s_ashr_i32 s22, s21, 31
	s_add_u32 s24, s20, s22
	s_mov_b32 s23, s22
	s_addc_u32 s25, s21, s22
	s_xor_b64 s[24:25], s[24:25], s[22:23]
	v_cvt_f32_u32_e32 v1, s24
	v_cvt_f32_u32_e32 v2, s25
	s_sub_u32 s15, 0, s24
	s_subb_u32 s17, 0, s25
	v_fmac_f32_e32 v1, 0x4f800000, v2
	v_rcp_f32_e32 v1, v1
	s_nop 0
	v_mul_f32_e32 v1, 0x5f7ffffc, v1
	v_mul_f32_e32 v2, 0x2f800000, v1
	v_trunc_f32_e32 v2, v2
	v_fmac_f32_e32 v1, 0xcf800000, v2
	v_cvt_u32_f32_e32 v2, v2
	v_cvt_u32_f32_e32 v1, v1
	v_readfirstlane_b32 s28, v2
	v_readfirstlane_b32 s26, v1
	s_mul_i32 s27, s15, s28
	s_mul_hi_u32 s30, s15, s26
	s_mul_i32 s29, s17, s26
	s_add_i32 s27, s30, s27
	s_add_i32 s27, s27, s29
	s_mul_i32 s31, s15, s26
	s_mul_i32 s30, s26, s27
	s_mul_hi_u32 s33, s26, s31
	s_mul_hi_u32 s29, s26, s27
	s_add_u32 s30, s33, s30
	s_addc_u32 s29, 0, s29
	s_mul_hi_u32 s34, s28, s31
	s_mul_i32 s31, s28, s31
	s_add_u32 s30, s30, s31
	s_mul_hi_u32 s33, s28, s27
	s_addc_u32 s29, s29, s34
	s_addc_u32 s30, s33, 0
	s_mul_i32 s27, s28, s27
	s_add_u32 s27, s29, s27
	s_addc_u32 s29, 0, s30
	s_add_u32 s30, s26, s27
	s_cselect_b64 s[26:27], -1, 0
	s_cmp_lg_u64 s[26:27], 0
	s_addc_u32 s28, s28, s29
	s_mul_i32 s26, s15, s28
	s_mul_hi_u32 s27, s15, s30
	s_add_i32 s26, s27, s26
	s_mul_i32 s17, s17, s30
	s_add_i32 s26, s26, s17
	s_mul_i32 s15, s15, s30
	s_mul_hi_u32 s27, s28, s15
	s_mul_i32 s29, s28, s15
	s_mul_i32 s33, s30, s26
	s_mul_hi_u32 s15, s30, s15
	s_mul_hi_u32 s31, s30, s26
	s_add_u32 s15, s15, s33
	s_addc_u32 s31, 0, s31
	s_add_u32 s15, s15, s29
	s_mul_hi_u32 s17, s28, s26
	s_addc_u32 s15, s31, s27
	s_addc_u32 s17, s17, 0
	s_mul_i32 s26, s28, s26
	s_add_u32 s15, s15, s26
	s_addc_u32 s17, 0, s17
	s_add_u32 s15, s30, s15
	s_cselect_b64 s[26:27], -1, 0
	s_cmp_lg_u64 s[26:27], 0
	s_addc_u32 s17, s28, s17
	s_ashr_i32 s26, s5, 31
	s_add_u32 s28, s4, s26
	s_mov_b32 s27, s26
	s_addc_u32 s29, s5, s26
	s_xor_b64 s[28:29], s[28:29], s[26:27]
	s_mul_i32 s31, s28, s17
	s_mul_hi_u32 s33, s28, s15
	s_mul_hi_u32 s30, s28, s17
	s_add_u32 s31, s33, s31
	s_addc_u32 s30, 0, s30
	s_mul_hi_u32 s34, s29, s15
	s_mul_i32 s15, s29, s15
	s_add_u32 s15, s31, s15
	s_mul_hi_u32 s33, s29, s17
	s_addc_u32 s15, s30, s34
	s_addc_u32 s30, s33, 0
	s_mul_i32 s17, s29, s17
	s_add_u32 s15, s15, s17
	s_addc_u32 s17, 0, s30
	s_mul_i32 s30, s24, s17
	s_mul_hi_u32 s31, s24, s15
	s_add_i32 s30, s31, s30
	s_mul_i32 s31, s25, s15
	s_add_i32 s33, s30, s31
	s_sub_i32 s34, s29, s33
	s_mul_i32 s30, s24, s15
	s_sub_u32 s28, s28, s30
	s_cselect_b64 s[30:31], -1, 0
	s_cmp_lg_u64 s[30:31], 0
	s_subb_u32 s36, s34, s25
	s_sub_u32 s37, s28, s24
	s_cselect_b64 s[34:35], -1, 0
	s_cmp_lg_u64 s[34:35], 0
	s_subb_u32 s34, s36, 0
	s_cmp_ge_u32 s34, s25
	s_cselect_b32 s35, -1, 0
	s_cmp_ge_u32 s37, s24
	s_cselect_b32 s36, -1, 0
	s_cmp_eq_u32 s34, s25
	s_cselect_b32 s34, s36, s35
	s_add_u32 s35, s15, 1
	s_addc_u32 s36, s17, 0
	s_add_u32 s37, s15, 2
	s_addc_u32 s38, s17, 0
	s_cmp_lg_u32 s34, 0
	s_cselect_b32 s34, s37, s35
	s_cselect_b32 s35, s38, s36
	s_cmp_lg_u64 s[30:31], 0
	s_subb_u32 s29, s29, s33
	s_cmp_ge_u32 s29, s25
	s_cselect_b32 s30, -1, 0
	s_cmp_ge_u32 s28, s24
	s_cselect_b32 s24, -1, 0
	s_cmp_eq_u32 s29, s25
	s_cselect_b32 s24, s24, s30
	s_cmp_lg_u32 s24, 0
	s_cselect_b32 s25, s35, s17
	s_cselect_b32 s24, s34, s15
	s_xor_b64 s[22:23], s[26:27], s[22:23]
	s_xor_b64 s[24:25], s[24:25], s[22:23]
	s_sub_u32 s86, s24, s22
	s_subb_u32 s87, s25, s23
	s_cbranch_execnz .LBB15_22
.LBB15_21:                              ;   in Loop: Header=BB15_19 Depth=1
	v_cvt_f32_u32_e32 v1, s20
	s_sub_i32 s15, 0, s20
	s_mov_b32 s87, s16
	v_rcp_iflag_f32_e32 v1, v1
	s_nop 0
	v_mul_f32_e32 v1, 0x4f7ffffe, v1
	v_cvt_u32_f32_e32 v1, v1
	s_nop 0
	v_readfirstlane_b32 s17, v1
	s_mul_i32 s15, s15, s17
	s_mul_hi_u32 s15, s17, s15
	s_add_i32 s17, s17, s15
	s_mul_hi_u32 s15, s4, s17
	s_mul_i32 s22, s15, s20
	s_sub_i32 s22, s4, s22
	s_add_i32 s17, s15, 1
	s_sub_i32 s23, s22, s20
	s_cmp_ge_u32 s22, s20
	s_cselect_b32 s15, s17, s15
	s_cselect_b32 s22, s23, s22
	s_add_i32 s17, s15, 1
	s_cmp_ge_u32 s22, s20
	s_cselect_b32 s86, s17, s15
.LBB15_22:                              ;   in Loop: Header=BB15_19 Depth=1
	s_mul_i32 s15, s86, s21
	s_mul_hi_u32 s17, s86, s20
	s_load_dwordx2 s[22:23], s[18:19], 0xc8
	s_add_i32 s15, s17, s15
	s_mul_i32 s17, s87, s20
	s_add_i32 s15, s15, s17
	s_mul_i32 s17, s86, s20
	s_sub_u32 s4, s4, s17
	s_subb_u32 s5, s5, s15
	s_waitcnt lgkmcnt(0)
	s_mul_i32 s5, s22, s5
	s_mul_hi_u32 s15, s22, s4
	s_add_i32 s5, s15, s5
	s_mul_i32 s15, s23, s4
	s_add_i32 s5, s5, s15
	s_mul_i32 s4, s22, s4
	s_add_u32 s66, s4, s66
	s_addc_u32 s67, s5, s67
	s_add_i32 s3, s3, -1
	s_add_u32 s18, s18, -8
	s_addc_u32 s19, s19, -1
	s_cmp_gt_u32 s3, 2
	s_cbranch_scc0 .LBB15_26
; %bb.23:                               ;   in Loop: Header=BB15_19 Depth=1
	s_mov_b64 s[4:5], s[86:87]
	s_branch .LBB15_19
.LBB15_24:                              ;   in Loop: Header=BB15_19 Depth=1
                                        ; implicit-def: $sgpr86_sgpr87
	s_branch .LBB15_21
.LBB15_25:
	s_mov_b64 s[86:87], s[4:5]
.LBB15_26:
	s_load_dwordx2 s[4:5], s[0:1], 0x430
	s_mov_b32 s81, 0
                                        ; kill: killed $sgpr0 killed $sgpr1
	s_waitcnt lgkmcnt(0)
	v_writelane_b32 v66, s4, 4
	s_nop 1
	v_writelane_b32 v66, s5, 5
	s_load_dwordx2 s[16:17], s[0:1], 0x0
	s_load_dwordx2 s[4:5], s[0:1], 0x1c0
	s_waitcnt lgkmcnt(0)
	v_writelane_b32 v66, s4, 6
	s_nop 1
	v_writelane_b32 v66, s5, 7
	s_load_dwordx2 s[4:5], s[0:1], 0x360
	s_waitcnt lgkmcnt(0)
	v_writelane_b32 v66, s4, 8
	s_nop 1
	v_writelane_b32 v66, s5, 9
	v_cmp_eq_u32_e64 s[4:5], 0, v0
	s_mov_b64 s[0:1], exec
	s_nop 0
	v_writelane_b32 v66, s4, 10
	s_nop 1
	v_writelane_b32 v66, s5, 11
	s_and_b64 s[4:5], s[0:1], s[4:5]
	s_mov_b64 exec, s[4:5]
	s_cbranch_execz .LBB15_28
; %bb.27:
	v_mov_b32_e32 v2, 0
	v_mov_b32_e32 v4, s56
	;; [unrolled: 1-line block ×4, first 2 shown]
	ds_write_b32 v2, v2 offset:5136
	ds_write_b128 v2, v[2:5] offset:5120
.LBB15_28:
	s_or_b64 exec, exec, s[0:1]
	s_mul_i32 s0, s8, s7
	s_mul_hi_u32 s1, s8, s6
	s_add_i32 s0, s1, s0
	s_mul_i32 s1, s9, s6
	s_add_i32 s3, s0, s1
	s_mul_i32 s8, s8, s6
	s_add_u32 s0, s16, s8
	s_addc_u32 s1, s17, s3
	s_add_u32 s18, s0, s10
	s_addc_u32 s19, s1, s11
	v_cmp_gt_u32_e64 s[0:1], 2, v0
	v_mov_b64_e32 v[4:5], 0xc00
	v_mbcnt_lo_u32_b32 v1, -1, 0
	v_writelane_b32 v66, s0, 12
	v_mov_b32_e32 v3, 0
	v_mbcnt_hi_u32_b32 v40, -1, v1
	v_writelane_b32 v66, s1, 13
	v_cmp_gt_i64_e64 s[0:1], s[56:57], v[4:5]
	v_mov_b32_e32 v1, v3
	s_waitcnt lgkmcnt(0)
	v_writelane_b32 v66, s0, 14
	s_barrier
	s_nop 0
	v_writelane_b32 v66, s1, 15
	v_writelane_b32 v66, s18, 16
	v_mad_u64_u32 v[4:5], s[0:1], s62, v0, 0
	s_nop 0
	v_mov_b64_e32 v[6:7], s[18:19]
	v_mad_u64_u32 v[14:15], s[0:1], s62, v0, v[6:7]
	v_writelane_b32 v66, s19, 17
	v_cmp_gt_i64_e64 s[0:1], s[56:57], v[0:1]
	v_cmp_gt_u32_e32 vcc, 64, v0
	v_cmp_gt_i32_e64 s[6:7], 4, v40
	v_writelane_b32 v66, s0, 18
	s_and_b64 s[54:55], vcc, s[6:7]
	v_lshlrev_b32_e32 v2, 2, v40
	v_writelane_b32 v66, s1, 19
	s_load_dword s0, s[12:13], 0xc
	v_and_b32_e32 v41, 0x100, v2
	v_lshrrev_b32_e32 v2, 1, v0
	v_and_b32_e32 v2, 0x1e0, v2
	v_lshlrev_b64 v[6:7], v40, -1
	s_waitcnt lgkmcnt(0)
	s_and_b32 s78, s0, 0xffff
	s_bfe_u32 s0, s0, 0xa0006
	s_cmp_gt_u32 s78, 63
	s_cselect_b64 s[6:7], -1, 0
	v_writelane_b32 v66, s6, 20
	s_add_u32 s1, s78, -1
	v_or_b32_e32 v42, 0xc00, v2
	v_writelane_b32 v66, s7, 21
	s_addc_u32 s6, 0, -1
	v_add_u32_e32 v2, 2, v0
	v_not_b32_e32 v18, v6
	s_add_u32 s93, s1, s56
	v_mov_b32_e32 v6, s57
	v_cmp_gt_i64_e32 vcc, s[56:57], v[2:3]
	v_not_b32_e32 v19, v7
	s_addc_u32 s53, s6, s57
	v_cndmask_b32_e32 v7, 0, v6, vcc
	v_mov_b32_e32 v6, s56
	s_cmp_lt_u32 s2, s14
	v_cndmask_b32_e32 v6, v2, v6, vcc
	v_mov_b32_e32 v9, -1
	v_not_b32_e32 v8, v0
	v_writelane_b32 v66, s1, 22
	s_cselect_b32 s1, 12, 18
	v_lshl_add_u64 v[6:7], v[6:7], 0, v[8:9]
	v_writelane_b32 v66, s6, 23
	s_add_u32 s48, s12, s1
	v_cmp_lt_u64_e64 s[6:7], 3, v[6:7]
	s_addc_u32 s49, s13, 0
	v_and_b32_e32 v20, -4, v6
	v_writelane_b32 v66, s6, 24
	v_mov_b32_e32 v21, v7
	s_add_i32 s1, s0, -1
	v_writelane_b32 v66, s7, 25
	v_cmp_ne_u64_e64 s[6:7], v[6:7], v[20:21]
	s_bfe_u32 s2, s78, 0x30006
	s_and_b32 s1, s1, 0xffff
	v_writelane_b32 v66, s6, 26
	s_cmp_gt_u32 s1, 6
	v_lshlrev_b32_e32 v16, 2, v0
	v_writelane_b32 v66, s7, 27
	s_cselect_b64 s[6:7], -1, 0
	v_writelane_b32 v66, s6, 28
	s_and_b32 s33, s0, 0x3f8
	s_cmp_lg_u32 s2, 0
	v_writelane_b32 v66, s7, 29
	v_writelane_b32 v66, s2, 30
	s_cselect_b64 s[0:1], -1, 0
	v_writelane_b32 v66, s0, 31
	v_or_b32_e32 v6, 3, v16
	v_mul_lo_u32 v10, s63, v0
	v_writelane_b32 v66, s1, 32
	s_add_u32 s0, s10, s8
	s_addc_u32 s1, s11, s3
	s_add_u32 s2, s16, s0
	s_addc_u32 s3, s17, s1
	v_mad_u64_u32 v[24:25], s[0:1], s62, v6, 0
	v_mov_b32_e32 v2, v25
	v_mad_u64_u32 v[6:7], s[0:1], s63, v6, v[2:3]
	v_mov_b32_e32 v25, v6
	v_or_b32_e32 v6, 2, v16
	v_mad_u64_u32 v[26:27], s[0:1], s62, v6, 0
	v_mov_b32_e32 v2, v27
	v_add_u32_e32 v5, v5, v10
	v_mad_u64_u32 v[6:7], s[0:1], s63, v6, v[2:3]
	v_writelane_b32 v66, s2, 33
	v_mov_b32_e32 v27, v6
	v_mov_b64_e32 v[6:7], s[62:63]
	v_lshlrev_b64 v[30:31], 2, v[4:5]
	v_writelane_b32 v66, s3, 34
	v_mov_b64_e32 v[4:5], s[2:3]
                                        ; implicit-def: $sgpr2_sgpr3
	v_mad_u64_u32 v[28:29], s[0:1], s62, v16, v[6:7]
                                        ; kill: killed $sgpr2_sgpr3
                                        ; implicit-def: $sgpr2_sgpr3
	v_mov_b32_e32 v2, v29
                                        ; kill: killed $sgpr2_sgpr3
	s_mov_b32 s2, 0
	v_mad_u64_u32 v[6:7], s[0:1], s63, v16, v[2:3]
	v_mad_u64_u32 v[12:13], s[0:1], s62, v0, v[4:5]
	v_writelane_b32 v66, s2, 35
	s_mul_i32 s0, s63, s78
	s_mul_hi_u32 s1, s62, s78
	v_writelane_b32 v66, s86, 36
	s_add_i32 s91, s1, s0
	s_mul_i32 s90, s62, s78
	v_writelane_b32 v66, s87, 37
	v_writelane_b32 v66, s90, 38
	s_mov_b32 s83, s62
	s_mov_b32 s92, s62
	v_writelane_b32 v66, s91, 39
	v_writelane_b32 v66, s54, 40
	v_mov_b32_e32 v2, 0xc00
	v_cmp_eq_u32_e64 s[4:5], 0, v40
	v_writelane_b32 v66, s55, 41
	v_writelane_b32 v66, s48, 42
	v_add_u32_e32 v15, v10, v15
	v_mov_b32_e32 v17, v3
	v_writelane_b32 v66, s49, 43
	v_writelane_b32 v66, s83, 44
	s_mov_b32 s79, s81
	v_lshl_add_u64 v[22:23], v[20:21], 0, v[0:1]
	s_mov_b32 s64, s63
	s_mov_b32 s52, s63
	;; [unrolled: 1-line block ×7, first 2 shown]
	s_lshl_b64 s[72:73], s[62:63], 2
	v_mov_b32_e32 v29, v6
	v_lshl_add_u64 v[32:33], s[56:57], 0, v[0:1]
	v_lshl_or_b32 v43, v40, 3, v2
	v_add_u32_e32 v13, v10, v13
	s_mov_b64 s[74:75], 0
	v_mov_b64_e32 v[34:35], s[58:59]
	s_movk_i32 s85, 0x80
	v_mov_b64_e32 v[50:51], s[56:57]
	v_mov_b32_e32 v45, 8
	v_mov_b32_e32 v47, 0
	v_mov_b32_e32 v44, 0
	v_mov_b32_e32 v46, 0
	v_writelane_b32 v66, s92, 45
                                        ; implicit-def: $sgpr0_sgpr1
                                        ; implicit-def: $sgpr68_sgpr69
                                        ; implicit-def: $sgpr76_sgpr77
                                        ; implicit-def: $sgpr58_sgpr59
	v_writelane_b32 v66, s52, 46
	s_branch .LBB15_32
.LBB15_29:                              ;   in Loop: Header=BB15_32 Depth=1
	s_or_b64 exec, exec, s[14:15]
	s_and_b64 s[6:7], s[6:7], exec
	s_andn2_b64 s[24:25], s[24:25], exec
	s_andn2_b64 s[2:3], s[2:3], exec
	s_orn2_b64 s[18:19], s[8:9], exec
.LBB15_30:                              ;   in Loop: Header=BB15_32 Depth=1
	s_or_b64 exec, exec, s[0:1]
	s_andn2_b64 s[0:1], s[70:71], exec
	s_and_b64 s[6:7], s[6:7], exec
	s_or_b64 s[70:71], s[0:1], s[6:7]
	s_andn2_b64 s[0:1], s[98:99], exec
	s_and_b64 s[6:7], s[24:25], exec
	s_or_b64 s[98:99], s[0:1], s[6:7]
	;; [unrolled: 3-line block ×3, first 2 shown]
	s_orn2_b64 s[2:3], s[18:19], exec
.LBB15_31:                              ;   in Loop: Header=BB15_32 Depth=1
	s_or_b64 exec, exec, s[16:17]
	s_and_b64 s[0:1], exec, s[2:3]
	s_or_b64 s[74:75], s[0:1], s[74:75]
	v_readlane_b32 s0, v66, 49
	v_readlane_b32 s1, v66, 50
	s_andn2_b64 s[0:1], s[0:1], exec
	s_and_b64 s[2:3], s[70:71], exec
	s_or_b64 s[0:1], s[0:1], s[2:3]
	v_writelane_b32 v66, s0, 49
	s_and_b64 s[2:3], s[98:99], exec
	s_mov_b64 s[58:59], s[70:71]
	v_writelane_b32 v66, s1, 50
	s_mov_b64 s[76:77], s[98:99]
	v_readlane_b32 s0, v66, 51
	v_readlane_b32 s1, v66, 52
	s_andn2_b64 s[0:1], s[0:1], exec
	s_or_b64 s[0:1], s[0:1], s[2:3]
	v_writelane_b32 v66, s0, 51
	s_and_b64 s[2:3], s[10:11], exec
	s_mov_b64 s[68:69], s[10:11]
	v_writelane_b32 v66, s1, 52
	v_mov_b64_e32 v[34:35], v[8:9]
	v_readlane_b32 s0, v66, 47
	v_readlane_b32 s1, v66, 48
	s_andn2_b64 s[0:1], s[0:1], exec
	s_or_b64 s[0:1], s[0:1], s[2:3]
	s_andn2_b64 exec, exec, s[74:75]
	s_cbranch_execz .LBB15_300
.LBB15_32:                              ; =>This Loop Header: Depth=1
                                        ;     Child Loop BB15_37 Depth 2
                                        ;     Child Loop BB15_52 Depth 2
	;; [unrolled: 1-line block ×17, first 2 shown]
	ds_read_b128 v[4:7], v3 offset:5120
	v_writelane_b32 v66, s0, 47
	s_mov_b32 s10, s97
	s_mov_b32 s11, s88
	v_writelane_b32 v66, s1, 48
	s_waitcnt lgkmcnt(0)
	v_readfirstlane_b32 s97, v5
	v_readfirstlane_b32 s96, v4
	s_nop 1
	v_cmp_gt_i64_e64 s[0:1], s[96:97], 0
	s_and_b64 vcc, exec, s[0:1]
	s_cbranch_vccnz .LBB15_45
; %bb.33:                               ;   in Loop: Header=BB15_32 Depth=1
	v_readlane_b32 s0, v66, 14
	v_readlane_b32 s1, v66, 15
	s_and_b64 vcc, exec, s[0:1]
	s_cbranch_vccz .LBB15_46
; %bb.34:                               ;   in Loop: Header=BB15_32 Depth=1
	s_mov_b64 s[0:1], 0xc01
	v_cmp_gt_i64_e32 vcc, s[0:1], v[6:7]
	s_mov_b64 s[0:1], 0
	s_mov_b64 s[2:3], 0
	s_mov_b32 s97, s10
	s_cbranch_vccz .LBB15_47
; %bb.35:                               ;   in Loop: Header=BB15_32 Depth=1
	global_load_ushort v6, v3, s[48:49]
	global_load_ubyte v8, v[14:15], off
	v_readlane_b32 s2, v66, 33
	v_readlane_b32 s3, v66, 34
	s_mov_b64 s[6:7], 0
	s_waitcnt vmcnt(1)
	v_and_b32_e32 v2, 0xffff, v6
	v_mov_b64_e32 v[4:5], s[2:3]
	v_readfirstlane_b32 s2, v6
	v_lshl_add_u64 v[6:7], v[0:1], 0, v[2:3]
	s_and_b32 s8, 0xffff, s2
	v_mad_u64_u32 v[4:5], s[2:3], s62, v6, v[4:5]
	v_mul_lo_u32 v7, s62, v7
	v_mul_lo_u32 v9, s63, v6
	s_mul_i32 s2, s63, s8
	s_mul_hi_u32 s3, s62, s8
	s_mul_i32 s8, s62, s8
	v_add3_u32 v5, v9, v5, v7
	s_add_i32 s9, s3, s2
	v_mov_b64_e32 v[6:7], v[0:1]
	s_branch .LBB15_37
.LBB15_36:                              ;   in Loop: Header=BB15_37 Depth=2
	s_or_b64 exec, exec, s[2:3]
	v_lshl_add_u64 v[4:5], v[4:5], 0, s[8:9]
	v_mov_b32_e32 v8, v9
	s_andn2_b64 exec, exec, s[6:7]
	s_cbranch_execz .LBB15_63
.LBB15_37:                              ;   Parent Loop BB15_32 Depth=1
                                        ; =>  This Inner Loop Header: Depth=2
	v_lshl_add_u64 v[6:7], v[6:7], 0, v[2:3]
	v_cmp_gt_i64_e64 s[2:3], s[56:57], v[6:7]
	v_cmp_le_i64_e32 vcc, s[56:57], v[6:7]
	s_waitcnt lgkmcnt(0)
	v_mov_b32_e32 v10, 0
	v_mov_b32_e32 v9, 0
	s_and_saveexec_b64 s[14:15], s[2:3]
	s_cbranch_execz .LBB15_39
; %bb.38:                               ;   in Loop: Header=BB15_37 Depth=2
	global_load_ubyte v9, v[4:5], off
.LBB15_39:                              ;   in Loop: Header=BB15_37 Depth=2
	s_or_b64 exec, exec, s[14:15]
	s_waitcnt vmcnt(0)
	v_add_u32_sdwa v11, sext(v8), s85 dst_sel:DWORD dst_unused:UNUSED_PAD src0_sel:BYTE_0 src1_sel:DWORD
	v_and_b32_e32 v11, v11, v46
	v_cmp_eq_u32_e64 s[14:15], v11, v44
	s_cmp_lg_u64 s[14:15], 0
	s_cselect_b64 s[2:3], -1, 0
	s_and_b64 s[2:3], s[4:5], s[2:3]
	s_and_saveexec_b64 s[16:17], s[2:3]
	s_cbranch_execz .LBB15_43
; %bb.40:                               ;   in Loop: Header=BB15_37 Depth=2
	s_mov_b64 s[20:21], exec
	v_mbcnt_lo_u32_b32 v10, s20, 0
	v_mbcnt_hi_u32_b32 v10, s21, v10
	s_bcnt1_i32_b64 s22, s[14:15]
	v_cmp_eq_u32_e64 s[2:3], 0, v10
                                        ; implicit-def: $vgpr11
	s_and_saveexec_b64 s[18:19], s[2:3]
; %bb.41:                               ;   in Loop: Header=BB15_37 Depth=2
	s_bcnt1_i32_b64 s2, s[20:21]
	s_mul_i32 s2, s22, s2
	v_mov_b32_e32 v11, s2
	ds_add_rtn_u32 v11, v3, v11 offset:5136
; %bb.42:                               ;   in Loop: Header=BB15_37 Depth=2
	s_or_b64 exec, exec, s[18:19]
	s_waitcnt lgkmcnt(0)
	v_readfirstlane_b32 s2, v11
	s_nop 1
	v_mov_b32_e32 v11, s2
	v_mad_u32_u24 v10, s22, v10, v11
.LBB15_43:                              ;   in Loop: Header=BB15_37 Depth=2
	s_or_b64 exec, exec, s[16:17]
	ds_bpermute_b32 v10, v41, v10
	s_and_b64 s[2:3], exec, vcc
	s_or_b64 s[6:7], s[2:3], s[6:7]
	s_and_saveexec_b64 s[2:3], s[14:15]
	s_cbranch_execz .LBB15_36
; %bb.44:                               ;   in Loop: Header=BB15_37 Depth=2
	v_and_b32_e32 v36, s14, v18
	v_and_b32_e32 v11, s15, v19
	v_bcnt_u32_b32 v36, v36, 0
	v_bcnt_u32_b32 v11, v11, v36
	s_waitcnt lgkmcnt(0)
	v_add_u32_e32 v10, v10, v11
	ds_write_b8 v10, v8
	s_branch .LBB15_36
.LBB15_45:                              ;   in Loop: Header=BB15_32 Depth=1
	s_mov_b32 s97, s10
	s_branch .LBB15_68
.LBB15_46:                              ;   in Loop: Header=BB15_32 Depth=1
	s_mov_b64 s[0:1], -1
	s_mov_b64 s[2:3], 0
	s_mov_b32 s97, s10
.LBB15_47:                              ;   in Loop: Header=BB15_32 Depth=1
	s_and_b64 vcc, exec, s[0:1]
	s_cbranch_vccz .LBB15_66
.LBB15_48:                              ;   in Loop: Header=BB15_32 Depth=1
	s_mov_b64 s[0:1], exec
	v_readlane_b32 s2, v66, 18
	v_readlane_b32 s3, v66, 19
	s_and_b64 s[2:3], s[0:1], s[2:3]
	s_mov_b64 exec, s[2:3]
	s_cbranch_execz .LBB15_60
; %bb.49:                               ;   in Loop: Header=BB15_32 Depth=1
	global_load_ushort v2, v3, s[48:49]
	global_load_ubyte v38, v[14:15], off
	v_mov_b32_e32 v8, v0
	s_waitcnt vmcnt(1)
	v_readfirstlane_b32 s6, v2
	v_add_u32_sdwa v2, v2, v0 dst_sel:DWORD dst_unused:UNUSED_PAD src0_sel:WORD_0 src1_sel:DWORD
	v_cmp_gt_i64_e32 vcc, s[56:57], v[2:3]
	s_and_saveexec_b64 s[2:3], vcc
	s_cbranch_execz .LBB15_59
; %bb.50:                               ;   in Loop: Header=BB15_32 Depth=1
	s_and_b32 s80, s6, 0xffff
	s_cmp_eq_u32 s80, 1
	v_readlane_b32 s8, v66, 24
	s_cselect_b64 s[6:7], -1, 0
	v_readlane_b32 s9, v66, 25
	s_and_b64 s[14:15], s[8:9], s[6:7]
	s_mov_b64 s[8:9], -1
	v_mov_b64_e32 v[6:7], v[0:1]
	v_mov_b64_e32 v[4:5], v[2:3]
                                        ; implicit-def: $vgpr8_vgpr9
	s_and_saveexec_b64 s[6:7], s[14:15]
	s_cbranch_execz .LBB15_54
; %bb.51:                               ;   in Loop: Header=BB15_32 Depth=1
	v_lshl_add_u64 v[8:9], v[2:3], 0, 3
	v_lshl_add_u64 v[6:7], v[2:3], 0, 2
	;; [unrolled: 1-line block ×3, first 2 shown]
	v_mov_b64_e32 v[10:11], v[8:9]
	v_readlane_b32 s18, v66, 16
	s_waitcnt vmcnt(0)
	v_lshlrev_b32_e32 v48, 24, v38
	s_mov_b64 s[8:9], 0
	v_mov_b64_e32 v[36:37], v[20:21]
	v_mov_b32_e32 v39, v0
	v_mov_b64_e32 v[8:9], v[6:7]
	v_mov_b64_e32 v[6:7], v[4:5]
	;; [unrolled: 1-line block ×3, first 2 shown]
	s_mov_b32 s12, s11
	s_mov_b32 s13, s94
	;; [unrolled: 1-line block ×3, first 2 shown]
	v_readlane_b32 s19, v66, 17
.LBB15_52:                              ;   Parent Loop BB15_32 Depth=1
                                        ; =>  This Inner Loop Header: Depth=2
	s_nop 1
	v_mov_b64_e32 v[52:53], s[18:19]
	v_mul_lo_u32 v64, v10, s95
	v_mul_lo_u32 v65, v11, s13
	v_mad_u64_u32 v[54:55], s[14:15], v4, s83, v[52:53]
	v_mad_u64_u32 v[56:57], s[14:15], v6, s92, v[52:53]
	;; [unrolled: 1-line block ×4, first 2 shown]
	v_mul_lo_u32 v38, v4, s64
	v_mul_lo_u32 v49, v5, s83
	;; [unrolled: 1-line block ×6, first 2 shown]
	v_add3_u32 v53, v65, v53, v64
	v_add3_u32 v55, v49, v55, v38
	;; [unrolled: 1-line block ×4, first 2 shown]
	global_load_ubyte v38, v[52:53], off
	global_load_ubyte v49, v[56:57], off
	s_nop 0
	global_load_ubyte v52, v[54:55], off
	global_load_ubyte v53, v[58:59], off
	s_mov_b32 s14, 0xc0c0007
	v_lshl_add_u64 v[36:37], v[36:37], 0, -4
	v_cmp_eq_u64_e32 vcc, 0, v[36:37]
	v_lshl_add_u64 v[10:11], v[10:11], 0, 4
	v_lshl_add_u64 v[8:9], v[8:9], 0, 4
	;; [unrolled: 1-line block ×4, first 2 shown]
	s_or_b64 s[8:9], vcc, s[8:9]
	s_waitcnt vmcnt(1)
	v_perm_b32 v54, v52, v49, s16
	s_waitcnt vmcnt(0)
	v_perm_b32 v55, v53, v38, s16
	v_perm_b32 v49, v49, v53, s16
	;; [unrolled: 1-line block ×3, first 2 shown]
	v_lshl_or_b32 v52, v55, 16, v54
	v_lshl_or_b32 v48, v49, 16, v48
	ds_write_b32 v39, v48
	v_add_u32_e32 v39, 4, v39
	v_mov_b32_e32 v48, v52
	s_andn2_b64 exec, exec, s[8:9]
	s_cbranch_execnz .LBB15_52
; %bb.53:                               ;   in Loop: Header=BB15_32 Depth=1
	s_or_b64 exec, exec, s[8:9]
	v_readlane_b32 s8, v66, 26
	v_lshl_add_u64 v[4:5], v[2:3], 0, v[20:21]
	v_readlane_b32 s9, v66, 27
	v_lshl_add_u64 v[8:9], v[4:5], 0, -1
	s_orn2_b64 s[8:9], s[8:9], exec
	v_mov_b64_e32 v[6:7], v[22:23]
.LBB15_54:                              ;   in Loop: Header=BB15_32 Depth=1
	s_or_b64 exec, exec, s[6:7]
	s_and_saveexec_b64 s[6:7], s[8:9]
	s_cbranch_execz .LBB15_58
; %bb.55:                               ;   in Loop: Header=BB15_32 Depth=1
	v_readlane_b32 s12, v66, 33
	v_readlane_b32 s13, v66, 34
	s_sub_u32 s8, 0, s80
	v_mul_lo_u32 v2, s62, v5
	v_mov_b64_e32 v[8:9], s[12:13]
	v_mad_u64_u32 v[8:9], s[16:17], s62, v4, v[8:9]
	v_mul_lo_u32 v7, s63, v4
	s_mul_i32 s16, s63, s80
	s_mul_hi_u32 s17, s62, s80
	s_mov_b64 s[14:15], 0
	s_subb_u32 s9, 0, 0
	v_add3_u32 v9, v7, v9, v2
	s_add_i32 s17, s17, s16
	s_mul_i32 s16, s62, s80
.LBB15_56:                              ;   Parent Loop BB15_32 Depth=1
                                        ; =>  This Inner Loop Header: Depth=2
	global_load_ubyte v2, v[8:9], off
	v_mov_b64_e32 v[10:11], v[4:5]
	v_lshl_add_u64 v[4:5], v[10:11], 0, s[80:81]
	v_cmp_le_i64_e32 vcc, s[56:57], v[4:5]
	s_waitcnt vmcnt(1)
	ds_write_b8 v6, v38
	v_lshl_add_u64 v[8:9], v[8:9], 0, s[16:17]
	v_mov_b64_e32 v[6:7], v[10:11]
	s_or_b64 s[14:15], vcc, s[14:15]
	s_waitcnt vmcnt(0)
	v_mov_b32_e32 v38, v2
	s_andn2_b64 exec, exec, s[14:15]
	s_cbranch_execnz .LBB15_56
; %bb.57:                               ;   in Loop: Header=BB15_32 Depth=1
	s_or_b64 exec, exec, s[14:15]
	v_lshl_add_u64 v[8:9], s[8:9], 0, v[4:5]
	v_mov_b32_e32 v38, v2
.LBB15_58:                              ;   in Loop: Header=BB15_32 Depth=1
	s_or_b64 exec, exec, s[6:7]
.LBB15_59:                              ;   in Loop: Header=BB15_32 Depth=1
	s_or_b64 exec, exec, s[2:3]
	s_waitcnt vmcnt(0)
	ds_write_b8 v8, v38
.LBB15_60:                              ;   in Loop: Header=BB15_32 Depth=1
	s_or_b64 exec, exec, s[0:1]
	s_waitcnt lgkmcnt(0)
	s_barrier
	s_mov_b64 s[0:1], exec
	v_readlane_b32 s2, v66, 10
	v_readlane_b32 s3, v66, 11
	s_and_b64 s[2:3], s[0:1], s[2:3]
	s_mov_b64 exec, s[2:3]
; %bb.61:                               ;   in Loop: Header=BB15_32 Depth=1
	ds_write_b64 v3, v[50:51] offset:5120
; %bb.62:                               ;   in Loop: Header=BB15_32 Depth=1
	s_or_b64 exec, exec, s[0:1]
	s_waitcnt lgkmcnt(0)
	s_barrier
	s_cbranch_execz .LBB15_68
	s_branch .LBB15_67
.LBB15_63:                              ;   in Loop: Header=BB15_32 Depth=1
	s_or_b64 exec, exec, s[6:7]
	s_waitcnt lgkmcnt(0)
	s_barrier
	s_mov_b64 s[2:3], exec
	v_readlane_b32 s6, v66, 10
	v_readlane_b32 s7, v66, 11
	s_and_b64 s[6:7], s[2:3], s[6:7]
	s_mov_b64 exec, s[6:7]
	s_cbranch_execz .LBB15_65
; %bb.64:                               ;   in Loop: Header=BB15_32 Depth=1
	ds_read_b32 v4, v3 offset:5136
	s_waitcnt lgkmcnt(0)
	v_ashrrev_i32_e32 v5, 31, v4
	ds_write_b64 v3, v[4:5] offset:5120
.LBB15_65:                              ;   in Loop: Header=BB15_32 Depth=1
	s_or_b64 exec, exec, s[2:3]
	s_waitcnt lgkmcnt(0)
	s_barrier
	s_mov_b64 s[2:3], -1
	s_and_b64 vcc, exec, s[0:1]
	s_cbranch_vccnz .LBB15_48
.LBB15_66:                              ;   in Loop: Header=BB15_32 Depth=1
	s_and_b64 vcc, exec, s[2:3]
	s_cbranch_vccz .LBB15_68
.LBB15_67:                              ;   in Loop: Header=BB15_32 Depth=1
	ds_read_b64 v[4:5], v3 offset:5120
	s_waitcnt lgkmcnt(0)
	v_readfirstlane_b32 s96, v4
.LBB15_68:                              ;   in Loop: Header=BB15_32 Depth=1
	s_cmp_lt_i32 s96, 1
	s_mov_b64 s[0:1], -1
                                        ; implicit-def: $vgpr10_vgpr11
                                        ; implicit-def: $vgpr6_vgpr7
	s_cbranch_scc0 .LBB15_83
; %bb.69:                               ;   in Loop: Header=BB15_32 Depth=1
	global_load_ushort v2, v3, s[48:49]
	s_mov_b32 s0, s81
	s_waitcnt vmcnt(0)
	v_readfirstlane_b32 s1, v2
	s_and_b32 s30, s1, 0xffff
	s_lshl_b32 s80, s30, 2
	s_mov_b32 s1, s57
	s_cmp_lg_u64 s[0:1], 0
	s_cbranch_scc0 .LBB15_101
; %bb.70:                               ;   in Loop: Header=BB15_32 Depth=1
	s_add_u32 s0, s80, 0
	s_addc_u32 s1, 0, 0
	s_xor_b64 s[0:1], s[0:1], 0
	v_cvt_f32_u32_e32 v2, s0
	v_cvt_f32_u32_e32 v4, s1
	s_sub_u32 s6, 0, s0
	s_subb_u32 s7, 0, s1
	v_fmac_f32_e32 v2, 0x4f800000, v4
	v_rcp_f32_e32 v2, v2
	s_nop 0
	v_mul_f32_e32 v2, 0x5f7ffffc, v2
	v_mul_f32_e32 v4, 0x2f800000, v2
	v_trunc_f32_e32 v4, v4
	v_fmac_f32_e32 v2, 0xcf800000, v4
	v_cvt_u32_f32_e32 v4, v4
	v_cvt_u32_f32_e32 v2, v2
	v_readfirstlane_b32 s8, v4
	v_readfirstlane_b32 s2, v2
	s_mul_i32 s3, s6, s8
	s_mul_hi_u32 s14, s6, s2
	s_mul_i32 s9, s7, s2
	s_add_i32 s3, s14, s3
	s_mul_i32 s15, s6, s2
	s_add_i32 s3, s3, s9
	s_mul_i32 s14, s2, s3
	s_mul_hi_u32 s16, s2, s15
	s_mul_hi_u32 s9, s2, s3
	s_add_u32 s14, s16, s14
	s_addc_u32 s9, 0, s9
	s_mul_hi_u32 s17, s8, s15
	s_mul_i32 s15, s8, s15
	s_add_u32 s14, s14, s15
	s_mul_hi_u32 s16, s8, s3
	s_addc_u32 s9, s9, s17
	s_addc_u32 s14, s16, 0
	s_mul_i32 s3, s8, s3
	s_add_u32 s3, s9, s3
	s_addc_u32 s9, 0, s14
	s_add_u32 s14, s2, s3
	s_cselect_b64 s[2:3], -1, 0
	s_cmp_lg_u64 s[2:3], 0
	s_addc_u32 s8, s8, s9
	s_mul_i32 s2, s6, s8
	s_mul_hi_u32 s3, s6, s14
	s_add_i32 s2, s3, s2
	s_mul_i32 s7, s7, s14
	s_add_i32 s2, s2, s7
	s_mul_i32 s6, s6, s14
	s_mul_hi_u32 s7, s8, s6
	s_mul_i32 s9, s8, s6
	s_mul_i32 s16, s14, s2
	s_mul_hi_u32 s6, s14, s6
	s_mul_hi_u32 s15, s14, s2
	s_add_u32 s6, s6, s16
	s_addc_u32 s15, 0, s15
	s_add_u32 s6, s6, s9
	s_mul_hi_u32 s3, s8, s2
	s_addc_u32 s6, s15, s7
	s_addc_u32 s3, s3, 0
	s_mul_i32 s2, s8, s2
	s_add_u32 s2, s6, s2
	s_addc_u32 s6, 0, s3
	s_add_u32 s9, s14, s2
	s_cselect_b64 s[2:3], -1, 0
	s_cmp_lg_u64 s[2:3], 0
	s_addc_u32 s8, s8, s6
	s_ashr_i32 s2, s57, 31
	s_add_u32 s6, s56, s2
	s_mov_b32 s3, s2
	s_addc_u32 s7, s57, s2
	s_xor_b64 s[6:7], s[6:7], s[2:3]
	s_mul_i32 s15, s6, s8
	s_mul_hi_u32 s16, s6, s9
	s_mul_hi_u32 s14, s6, s8
	s_add_u32 s15, s16, s15
	s_addc_u32 s14, 0, s14
	s_mul_hi_u32 s17, s7, s9
	s_mul_i32 s9, s7, s9
	s_add_u32 s9, s15, s9
	s_mul_hi_u32 s16, s7, s8
	s_addc_u32 s9, s14, s17
	s_addc_u32 s14, s16, 0
	s_mul_i32 s8, s7, s8
	s_add_u32 s8, s9, s8
	s_addc_u32 s9, 0, s14
	s_mul_i32 s9, s0, s9
	s_mul_hi_u32 s14, s0, s8
	s_add_i32 s9, s14, s9
	s_mul_i32 s14, s1, s8
	s_add_i32 s16, s9, s14
	s_sub_i32 s14, s7, s16
	s_mul_i32 s8, s0, s8
	s_sub_u32 s6, s6, s8
	s_cselect_b64 s[8:9], -1, 0
	s_cmp_lg_u64 s[8:9], 0
	s_subb_u32 s17, s14, s1
	s_sub_u32 s18, s6, s0
	s_cselect_b64 s[14:15], -1, 0
	s_cmp_lg_u64 s[14:15], 0
	s_subb_u32 s19, s17, 0
	s_cmp_ge_u32 s19, s1
	s_cselect_b32 s20, -1, 0
	s_cmp_ge_u32 s18, s0
	s_cselect_b32 s21, -1, 0
	s_cmp_eq_u32 s19, s1
	s_cselect_b32 s20, s21, s20
	s_cmp_lg_u64 s[14:15], 0
	s_subb_u32 s17, s17, s1
	s_sub_u32 s21, s18, s0
	s_cselect_b64 s[14:15], -1, 0
	s_cmp_lg_u64 s[14:15], 0
	s_subb_u32 s14, s17, 0
	s_cmp_lg_u32 s20, 0
	s_cselect_b32 s15, s21, s18
	s_cselect_b32 s14, s14, s19
	s_cmp_lg_u64 s[8:9], 0
	s_subb_u32 s7, s7, s16
	s_cmp_ge_u32 s7, s1
	s_cselect_b32 s8, -1, 0
	s_cmp_ge_u32 s6, s0
	s_cselect_b32 s0, -1, 0
	s_cmp_eq_u32 s7, s1
	s_cselect_b32 s0, s0, s8
	s_cmp_lg_u32 s0, 0
	s_cselect_b32 s1, s14, s7
	s_cselect_b32 s0, s15, s6
	s_xor_b64 s[0:1], s[0:1], s[2:3]
	s_sub_u32 s0, s0, s2
	s_subb_u32 s1, s1, s2
	s_cbranch_execnz .LBB15_72
.LBB15_71:                              ;   in Loop: Header=BB15_32 Depth=1
	v_cvt_f32_u32_e32 v2, s80
	s_sub_i32 s0, 0, s80
	v_rcp_iflag_f32_e32 v2, v2
	s_nop 0
	v_mul_f32_e32 v2, 0x4f7ffffe, v2
	v_cvt_u32_f32_e32 v2, v2
	s_nop 0
	v_readfirstlane_b32 s1, v2
	s_mul_i32 s0, s0, s1
	s_mul_hi_u32 s0, s1, s0
	s_add_i32 s1, s1, s0
	s_mul_hi_u32 s0, s56, s1
	s_mul_i32 s0, s0, s80
	s_sub_i32 s0, s56, s0
	s_sub_i32 s1, s0, s80
	s_cmp_ge_u32 s0, s80
	s_cselect_b32 s0, s1, s0
	s_sub_i32 s1, s0, s80
	s_cmp_ge_u32 s0, s80
	s_cselect_b32 s0, s1, s0
	s_mov_b32 s1, s81
.LBB15_72:                              ;   in Loop: Header=BB15_32 Depth=1
	s_sub_u32 s8, s56, s0
	s_subb_u32 s9, s57, s1
	s_mov_b32 s31, s81
	v_cmp_gt_i64_e32 vcc, s[8:9], v[16:17]
	v_mov_b64_e32 v[4:5], 0
	v_mov_b64_e32 v[6:7], 0
	;; [unrolled: 1-line block ×4, first 2 shown]
	s_and_saveexec_b64 s[88:89], vcc
	s_cbranch_execz .LBB15_76
; %bb.73:                               ;   in Loop: Header=BB15_32 Depth=1
	s_mul_i32 s2, s73, s30
	s_mul_hi_u32 s3, s72, s30
	v_readlane_b32 s82, v66, 16
	s_mov_b32 s12, s64
	s_mov_b32 s13, s53
	;; [unrolled: 1-line block ×3, first 2 shown]
	s_add_i32 s97, s3, s2
	s_mov_b64 s[98:99], 0
	v_readlane_b32 s83, v66, 17
	s_mov_b64 s[6:7], 0
	s_mov_b64 s[92:93], 0
	;; [unrolled: 1-line block ×4, first 2 shown]
	v_mov_b64_e32 v[36:37], v[16:17]
.LBB15_74:                              ;   Parent Loop BB15_32 Depth=1
                                        ; =>  This Inner Loop Header: Depth=2
	v_lshl_add_u64 v[4:5], s[82:83], 0, v[30:31]
	v_lshl_add_u64 v[6:7], s[82:83], 0, v[28:29]
	;; [unrolled: 1-line block ×4, first 2 shown]
	global_load_sbyte v2, v[4:5], off
	s_nop 0
	global_load_sbyte v4, v[6:7], off
	global_load_sbyte v5, v[8:9], off
	s_nop 0
	global_load_sbyte v6, v[10:11], off
	s_mul_i32 s64, s72, s30
	v_lshl_add_u64 v[36:37], v[36:37], 0, s[80:81]
	v_cmp_le_i64_e32 vcc, s[8:9], v[36:37]
	s_waitcnt vmcnt(3)
	v_add_u32_e32 v2, 0x80, v2
	s_waitcnt vmcnt(2)
	v_add_u32_e32 v4, 0x80, v4
	v_and_b32_e32 v7, v2, v46
	v_bfe_u32 v2, v2, s84, 2
	s_waitcnt vmcnt(1)
	v_add_u32_e32 v5, 0x80, v5
	v_and_b32_e32 v8, v4, v46
	v_bfe_u32 v4, v4, s84, 2
	v_cmp_eq_u32_e64 s[2:3], v7, v44
	v_cmp_eq_u32_e64 s[20:21], 0, v2
	s_waitcnt vmcnt(0)
	v_add_u32_e32 v6, 0x80, v6
	v_and_b32_e32 v9, v5, v46
	v_bfe_u32 v5, v5, s84, 2
	v_cmp_eq_u32_e64 s[14:15], v8, v44
	v_cmp_eq_u32_e64 s[22:23], 0, v4
	s_and_b64 s[20:21], s[2:3], s[20:21]
	v_and_b32_e32 v10, v6, v46
	v_bfe_u32 v6, v6, s84, 2
	v_cmp_eq_u32_e64 s[16:17], v9, v44
	v_cmp_eq_u32_e64 s[24:25], 0, v5
	;; [unrolled: 1-line block ×5, first 2 shown]
	v_cndmask_b32_e64 v2, 0, 1, s[20:21]
	s_and_b64 s[20:21], s[14:15], s[22:23]
	v_cmp_eq_u32_e64 s[18:19], v10, v44
	v_cmp_eq_u32_e64 s[26:27], 0, v6
	;; [unrolled: 1-line block ×5, first 2 shown]
	v_cndmask_b32_e64 v4, 0, 1, s[20:21]
	s_and_b64 s[20:21], s[16:17], s[24:25]
	v_cmp_eq_u32_e64 s[36:37], 1, v5
	v_cmp_eq_u32_e64 s[44:45], 2, v5
	;; [unrolled: 1-line block ×3, first 2 shown]
	v_cndmask_b32_e64 v5, 0, 1, s[20:21]
	s_and_b64 s[20:21], s[18:19], s[26:27]
	v_cmp_eq_u32_e64 s[38:39], 1, v6
	v_cmp_eq_u32_e64 s[46:47], 2, v6
	v_cmp_eq_u32_e64 s[54:55], 3, v6
	v_cndmask_b32_e64 v6, 0, 1, s[20:21]
	v_cmp_ne_u32_e64 s[20:21], 0, v2
	v_cmp_ne_u32_e64 s[22:23], 0, v4
	v_cmp_ne_u32_e64 s[24:25], 0, v5
	v_cmp_ne_u32_e64 s[26:27], 0, v6
	s_bcnt1_i32_b64 s20, s[20:21]
	s_bcnt1_i32_b64 s21, s[22:23]
	s_bcnt1_i32_b64 s22, s[24:25]
	s_bcnt1_i32_b64 s23, s[26:27]
	s_add_u32 s20, s20, s90
	s_addc_u32 s24, 0, s91
	s_add_u32 s20, s20, s21
	s_addc_u32 s21, s24, 0
	s_add_u32 s20, s20, s22
	s_addc_u32 s21, s21, 0
	s_add_u32 s90, s20, s23
	s_addc_u32 s91, s21, 0
	s_and_b64 s[20:21], s[2:3], s[28:29]
	v_cndmask_b32_e64 v2, 0, 1, s[20:21]
	s_and_b64 s[20:21], s[14:15], s[34:35]
	v_cndmask_b32_e64 v6, 0, 1, s[20:21]
	s_and_b64 s[20:21], s[16:17], s[36:37]
	v_cndmask_b32_e64 v7, 0, 1, s[20:21]
	s_and_b64 s[20:21], s[18:19], s[38:39]
	v_cndmask_b32_e64 v8, 0, 1, s[20:21]
	v_cmp_ne_u32_e64 s[20:21], 0, v2
	v_cmp_ne_u32_e64 s[22:23], 0, v6
	v_cmp_ne_u32_e64 s[24:25], 0, v7
	v_cmp_ne_u32_e64 s[26:27], 0, v8
	s_bcnt1_i32_b64 s20, s[20:21]
	s_bcnt1_i32_b64 s21, s[22:23]
	s_bcnt1_i32_b64 s22, s[24:25]
	s_bcnt1_i32_b64 s23, s[26:27]
	s_add_u32 s20, s20, s86
	s_addc_u32 s24, 0, s87
	s_add_u32 s20, s20, s21
	s_addc_u32 s21, s24, 0
	s_add_u32 s20, s20, s22
	s_addc_u32 s21, s21, 0
	s_add_u32 s86, s20, s23
	s_addc_u32 s87, s21, 0
	s_and_b64 s[20:21], s[2:3], s[40:41]
	v_cndmask_b32_e64 v2, 0, 1, s[20:21]
	s_and_b64 s[20:21], s[14:15], s[42:43]
	v_cndmask_b32_e64 v8, 0, 1, s[20:21]
	s_and_b64 s[20:21], s[16:17], s[44:45]
	v_cndmask_b32_e64 v9, 0, 1, s[20:21]
	s_and_b64 s[20:21], s[18:19], s[46:47]
	;; [unrolled: 24-line block ×3, first 2 shown]
	v_cndmask_b32_e64 v38, 0, 1, s[2:3]
	v_cmp_ne_u32_e64 s[2:3], 0, v2
	v_cmp_ne_u32_e64 s[14:15], 0, v10
	;; [unrolled: 1-line block ×4, first 2 shown]
	s_bcnt1_i32_b64 s2, s[2:3]
	s_bcnt1_i32_b64 s3, s[14:15]
	;; [unrolled: 1-line block ×4, first 2 shown]
	s_add_u32 s2, s2, s6
	s_addc_u32 s6, 0, s7
	s_add_u32 s2, s2, s3
	s_addc_u32 s3, s6, 0
	;; [unrolled: 2-line block ×5, first 2 shown]
	v_mov_b64_e32 v[4:5], s[90:91]
	v_mov_b64_e32 v[6:7], s[86:87]
	;; [unrolled: 1-line block ×3, first 2 shown]
	s_or_b64 s[98:99], vcc, s[98:99]
	v_mov_b64_e32 v[10:11], s[6:7]
	s_andn2_b64 exec, exec, s[98:99]
	s_cbranch_execnz .LBB15_74
; %bb.75:                               ;   in Loop: Header=BB15_32 Depth=1
	s_or_b64 exec, exec, s[98:99]
	v_readlane_b32 s86, v66, 36
	v_readlane_b32 s90, v66, 38
	;; [unrolled: 1-line block ×7, first 2 shown]
	s_mov_b32 s93, s65
	s_mov_b32 s53, s13
	v_readlane_b32 s49, v66, 43
	s_mov_b32 s64, s12
	v_readlane_b32 s83, v66, 44
	v_readlane_b32 s92, v66, 45
	;; [unrolled: 1-line block ×3, first 2 shown]
	s_mov_b32 s97, s10
.LBB15_76:                              ;   in Loop: Header=BB15_32 Depth=1
	s_or_b64 exec, exec, s[88:89]
	v_lshl_add_u64 v[36:37], s[8:9], 0, v[0:1]
	v_cmp_gt_i64_e32 vcc, s[56:57], v[36:37]
	s_and_saveexec_b64 s[6:7], vcc
	s_cbranch_execz .LBB15_82
; %bb.77:                               ;   in Loop: Header=BB15_32 Depth=1
	v_readlane_b32 s2, v66, 16
	v_readlane_b32 s3, v66, 17
	v_mul_lo_u32 v2, v36, s63
	v_mul_lo_u32 v48, v37, s62
	v_mov_b64_e32 v[38:39], s[2:3]
	v_mad_u64_u32 v[38:39], s[2:3], v36, s62, v[38:39]
	v_add3_u32 v39, v48, v39, v2
	global_load_ubyte v2, v[38:39], off
	v_lshl_add_u64 v[38:39], v[32:33], 0, s[30:31]
	v_mov_b32_e32 v48, s1
	v_subrev_co_u32_e32 v49, vcc, s0, v38
	v_readlane_b32 s0, v66, 33
	s_nop 0
	v_subb_co_u32_e32 v38, vcc, v39, v48, vcc
	v_readlane_b32 s1, v66, 34
	v_mul_lo_u32 v48, s62, v38
	v_mul_lo_u32 v52, s63, v49
	v_mov_b64_e32 v[38:39], s[0:1]
	v_mad_u64_u32 v[38:39], s[0:1], s62, v49, v[38:39]
	s_mul_i32 s0, s63, s30
	s_mul_hi_u32 s1, s62, s30
	v_add3_u32 v39, v52, v39, v48
	s_add_i32 s1, s1, s0
	s_mul_i32 s0, s62, s30
	s_mov_b64 s[8:9], 0
	s_branch .LBB15_79
.LBB15_78:                              ;   in Loop: Header=BB15_79 Depth=2
	s_or_b64 exec, exec, s[14:15]
	s_waitcnt vmcnt(0)
	v_add_u32_sdwa v2, sext(v2), s85 dst_sel:DWORD dst_unused:UNUSED_PAD src0_sel:BYTE_0 src1_sel:DWORD
	s_and_b64 s[2:3], exec, vcc
	v_and_b32_e32 v49, v2, v46
	v_bfe_u32 v2, v2, s84, 2
	s_or_b64 s[8:9], s[2:3], s[8:9]
	v_cmp_eq_u32_e32 vcc, v49, v44
	v_cmp_eq_u32_e64 s[2:3], 0, v2
	s_and_b64 s[2:3], vcc, s[2:3]
	v_lshl_add_u64 v[38:39], v[38:39], 0, s[0:1]
	v_cndmask_b32_e64 v49, 0, 1, s[2:3]
	v_cmp_ne_u32_e64 s[2:3], 0, v49
	s_bcnt1_i32_b64 s80, s[2:3]
	v_cmp_eq_u32_e64 s[2:3], 1, v2
	s_and_b64 s[2:3], vcc, s[2:3]
	v_lshl_add_u64 v[4:5], s[80:81], 0, v[4:5]
	v_cndmask_b32_e64 v49, 0, 1, s[2:3]
	v_cmp_ne_u32_e64 s[2:3], 0, v49
	s_bcnt1_i32_b64 s80, s[2:3]
	;; [unrolled: 6-line block ×3, first 2 shown]
	v_cmp_eq_u32_e64 s[2:3], 3, v2
	s_and_b64 s[2:3], vcc, s[2:3]
	v_lshl_add_u64 v[8:9], s[80:81], 0, v[8:9]
	v_cndmask_b32_e64 v2, 0, 1, s[2:3]
	v_cmp_ne_u32_e32 vcc, 0, v2
	s_bcnt1_i32_b64 s80, vcc
	v_lshl_add_u64 v[10:11], s[80:81], 0, v[10:11]
	v_mov_b32_e32 v2, v48
	s_andn2_b64 exec, exec, s[8:9]
	s_cbranch_execz .LBB15_81
.LBB15_79:                              ;   Parent Loop BB15_32 Depth=1
                                        ; =>  This Inner Loop Header: Depth=2
	v_lshl_add_u64 v[36:37], v[36:37], 0, s[30:31]
	v_cmp_gt_i64_e64 s[2:3], s[56:57], v[36:37]
	v_cmp_le_i64_e32 vcc, s[56:57], v[36:37]
	v_mov_b32_e32 v48, 0
	s_and_saveexec_b64 s[14:15], s[2:3]
	s_cbranch_execz .LBB15_78
; %bb.80:                               ;   in Loop: Header=BB15_79 Depth=2
	global_load_ubyte v48, v[38:39], off
	s_branch .LBB15_78
.LBB15_81:                              ;   in Loop: Header=BB15_32 Depth=1
	s_or_b64 exec, exec, s[8:9]
.LBB15_82:                              ;   in Loop: Header=BB15_32 Depth=1
	s_or_b64 exec, exec, s[6:7]
	s_mov_b64 s[0:1], 0
.LBB15_83:                              ;   in Loop: Header=BB15_32 Depth=1
	s_and_b64 vcc, exec, s[0:1]
	s_cbranch_vccz .LBB15_93
; %bb.84:                               ;   in Loop: Header=BB15_32 Depth=1
	global_load_ushort v2, v3, s[48:49]
	v_mov_b64_e32 v[8:9], 0
	s_waitcnt vmcnt(0)
	v_readfirstlane_b32 s0, v2
	s_and_b32 s92, 0xffff, s0
	s_lshl_b32 s80, s92, 2
	v_cvt_f32_u32_e32 v4, s80
	s_sub_i32 s0, 0, s80
	v_rcp_iflag_f32_e32 v6, v4
	v_mov_b64_e32 v[4:5], 0
	v_mul_f32_e32 v6, 0x4f7ffffe, v6
	v_cvt_u32_f32_e32 v10, v6
	v_mov_b64_e32 v[6:7], 0
	v_readfirstlane_b32 s1, v10
	s_mul_i32 s0, s0, s1
	s_mul_hi_u32 s0, s1, s0
	s_add_i32 s1, s1, s0
	s_mul_hi_u32 s0, s96, s1
	s_mul_i32 s1, s0, s80
	s_sub_i32 s1, s96, s1
	s_add_i32 s2, s0, 1
	s_sub_i32 s3, s1, s80
	s_cmp_ge_u32 s1, s80
	s_cselect_b32 s0, s2, s0
	s_cselect_b32 s1, s3, s1
	s_add_i32 s2, s0, 1
	s_cmp_ge_u32 s1, s80
	s_cselect_b32 s0, s2, s0
	s_mul_hi_u32 s1, s92, s0
	s_mul_i32 s0, s92, s0
	s_lshl_b64 s[6:7], s[0:1], 2
	v_cmp_gt_u64_e32 vcc, s[6:7], v[16:17]
	v_mov_b64_e32 v[10:11], 0
	s_and_saveexec_b64 s[8:9], vcc
	s_cbranch_execz .LBB15_88
; %bb.85:                               ;   in Loop: Header=BB15_32 Depth=1
	s_mov_b32 s13, s53
	s_mov_b64 s[30:31], 0
	v_mov_b32_e32 v38, v16
	s_mov_b64 s[82:83], 0
	s_mov_b64 s[86:87], 0
	;; [unrolled: 1-line block ×4, first 2 shown]
	v_mov_b64_e32 v[36:37], v[16:17]
.LBB15_86:                              ;   Parent Loop BB15_32 Depth=1
                                        ; =>  This Inner Loop Header: Depth=2
	ds_read_b32 v4, v38
	v_lshl_add_u64 v[36:37], v[36:37], 0, s[80:81]
	v_cmp_le_u64_e32 vcc, s[6:7], v[36:37]
	v_add_u32_e32 v38, s80, v38
	s_waitcnt lgkmcnt(0)
	v_add_u32_sdwa v5, sext(v4), s85 dst_sel:DWORD dst_unused:UNUSED_PAD src0_sel:BYTE_0 src1_sel:DWORD
	v_add_u32_sdwa v6, sext(v4), s85 dst_sel:DWORD dst_unused:UNUSED_PAD src0_sel:BYTE_1 src1_sel:DWORD
	v_and_b32_e32 v8, v5, v46
	v_bfe_u32 v5, v5, s84, 2
	v_add_u32_sdwa v7, sext(v4), s85 dst_sel:DWORD dst_unused:UNUSED_PAD src0_sel:BYTE_2 src1_sel:DWORD
	v_add_u32_sdwa v4, sext(v4), s85 dst_sel:DWORD dst_unused:UNUSED_PAD src0_sel:BYTE_3 src1_sel:DWORD
	v_and_b32_e32 v9, v6, v46
	v_bfe_u32 v6, v6, s84, 2
	v_cmp_eq_u32_e64 s[20:21], v8, v44
	v_cmp_eq_u32_e64 s[2:3], 0, v5
	v_and_b32_e32 v10, v7, v46
	v_and_b32_e32 v11, v4, v46
	v_bfe_u32 v7, v7, s84, 2
	v_bfe_u32 v4, v4, s84, 2
	v_cmp_eq_u32_e64 s[18:19], v9, v44
	v_cmp_eq_u32_e64 s[34:35], 0, v6
	s_and_b64 s[2:3], s[20:21], s[2:3]
	v_cmp_eq_u32_e64 s[16:17], v10, v44
	v_cmp_eq_u32_e64 s[36:37], 0, v7
	;; [unrolled: 1-line block ×6, first 2 shown]
	v_cndmask_b32_e64 v4, 0, 1, s[2:3]
	s_and_b64 s[2:3], s[18:19], s[34:35]
	v_cmp_eq_u32_e64 s[14:15], v11, v44
	v_cmp_eq_u32_e64 s[40:41], 1, v5
	;; [unrolled: 1-line block ×4, first 2 shown]
	v_cndmask_b32_e64 v5, 0, 1, s[2:3]
	s_and_b64 s[2:3], s[16:17], s[36:37]
	v_cmp_eq_u32_e64 s[42:43], 1, v6
	v_cmp_eq_u32_e64 s[50:51], 2, v6
	;; [unrolled: 1-line block ×3, first 2 shown]
	v_cndmask_b32_e64 v6, 0, 1, s[2:3]
	s_and_b64 s[2:3], s[14:15], s[38:39]
	v_cmp_eq_u32_e64 s[44:45], 1, v7
	v_cmp_eq_u32_e64 s[52:53], 2, v7
	;; [unrolled: 1-line block ×3, first 2 shown]
	v_cndmask_b32_e64 v7, 0, 1, s[2:3]
	v_cmp_ne_u32_e64 s[2:3], 0, v4
	v_cmp_ne_u32_e64 s[34:35], 0, v5
	v_cmp_ne_u32_e64 s[36:37], 0, v6
	v_cmp_ne_u32_e64 s[38:39], 0, v7
	s_bcnt1_i32_b64 s1, s[2:3]
	s_bcnt1_i32_b64 s2, s[34:35]
	s_bcnt1_i32_b64 s3, s[36:37]
	s_bcnt1_i32_b64 s34, s[38:39]
	s_add_u32 s1, s1, s90
	s_addc_u32 s35, 0, s91
	s_add_u32 s1, s1, s2
	s_addc_u32 s2, s35, 0
	s_add_u32 s1, s1, s3
	s_addc_u32 s2, s2, 0
	s_add_u32 s90, s1, s34
	s_addc_u32 s91, s2, 0
	s_and_b64 s[2:3], s[20:21], s[40:41]
	v_cndmask_b32_e64 v6, 0, 1, s[2:3]
	s_and_b64 s[2:3], s[18:19], s[42:43]
	v_cndmask_b32_e64 v7, 0, 1, s[2:3]
	s_and_b64 s[2:3], s[16:17], s[44:45]
	v_cndmask_b32_e64 v8, 0, 1, s[2:3]
	s_and_b64 s[2:3], s[14:15], s[46:47]
	v_cndmask_b32_e64 v9, 0, 1, s[2:3]
	v_cmp_ne_u32_e64 s[2:3], 0, v6
	v_cmp_ne_u32_e64 s[34:35], 0, v7
	v_cmp_ne_u32_e64 s[36:37], 0, v8
	v_cmp_ne_u32_e64 s[38:39], 0, v9
	s_bcnt1_i32_b64 s1, s[2:3]
	s_bcnt1_i32_b64 s2, s[34:35]
	s_bcnt1_i32_b64 s3, s[36:37]
	s_bcnt1_i32_b64 s34, s[38:39]
	s_add_u32 s1, s1, s88
	s_addc_u32 s35, 0, s89
	s_add_u32 s1, s1, s2
	s_addc_u32 s2, s35, 0
	s_add_u32 s1, s1, s3
	s_addc_u32 s2, s2, 0
	s_add_u32 s88, s1, s34
	s_addc_u32 s89, s2, 0
	s_and_b64 s[2:3], s[20:21], s[48:49]
	v_cndmask_b32_e64 v8, 0, 1, s[2:3]
	s_and_b64 s[2:3], s[18:19], s[50:51]
	v_cndmask_b32_e64 v9, 0, 1, s[2:3]
	s_and_b64 s[2:3], s[16:17], s[52:53]
	v_cndmask_b32_e64 v10, 0, 1, s[2:3]
	s_and_b64 s[2:3], s[14:15], s[54:55]
	;; [unrolled: 24-line block ×3, first 2 shown]
	v_cndmask_b32_e64 v48, 0, 1, s[2:3]
	v_cmp_ne_u32_e64 s[2:3], 0, v10
	v_cmp_ne_u32_e64 s[14:15], 0, v11
	;; [unrolled: 1-line block ×4, first 2 shown]
	s_bcnt1_i32_b64 s1, s[2:3]
	s_bcnt1_i32_b64 s2, s[14:15]
	;; [unrolled: 1-line block ×4, first 2 shown]
	s_add_u32 s1, s1, s82
	s_addc_u32 s15, 0, s83
	s_add_u32 s1, s1, s2
	s_addc_u32 s2, s15, 0
	;; [unrolled: 2-line block ×4, first 2 shown]
	v_mov_b64_e32 v[4:5], s[90:91]
	v_mov_b64_e32 v[6:7], s[88:89]
	;; [unrolled: 1-line block ×3, first 2 shown]
	s_or_b64 s[30:31], vcc, s[30:31]
	v_mov_b64_e32 v[10:11], s[82:83]
	s_andn2_b64 exec, exec, s[30:31]
	s_cbranch_execnz .LBB15_86
; %bb.87:                               ;   in Loop: Header=BB15_32 Depth=1
	s_or_b64 exec, exec, s[30:31]
	v_readlane_b32 s86, v66, 36
	v_readlane_b32 s90, v66, 38
	;; [unrolled: 1-line block ×7, first 2 shown]
	s_mov_b32 s53, s13
	v_readlane_b32 s49, v66, 43
	v_readlane_b32 s83, v66, 44
	;; [unrolled: 1-line block ×3, first 2 shown]
.LBB15_88:                              ;   in Loop: Header=BB15_32 Depth=1
	s_or_b64 exec, exec, s[8:9]
	s_and_b32 s8, s96, 0x7fffffff
	s_mov_b32 s9, s81
	v_lshl_add_u64 v[36:37], s[6:7], 0, v[0:1]
	v_and_b32_e32 v2, 0xffff, v2
	v_cmp_gt_u64_e32 vcc, s[8:9], v[36:37]
	s_and_saveexec_b64 s[6:7], vcc
	s_cbranch_execz .LBB15_92
; %bb.89:                               ;   in Loop: Header=BB15_32 Depth=1
	v_lshl_add_u32 v38, s0, 2, v0
	s_mov_b64 s[0:1], 0
.LBB15_90:                              ;   Parent Loop BB15_32 Depth=1
                                        ; =>  This Inner Loop Header: Depth=2
	ds_read_i8 v39, v38
	v_lshl_add_u64 v[36:37], v[36:37], 0, v[2:3]
	v_cmp_le_u64_e32 vcc, s[8:9], v[36:37]
	v_add_u32_e32 v38, s92, v38
	s_waitcnt lgkmcnt(0)
	v_add_u32_e32 v39, 0x80, v39
	v_and_b32_e32 v48, v39, v46
	v_bfe_u32 v39, v39, s84, 2
	v_cmp_eq_u32_e64 s[2:3], v48, v44
	v_cmp_eq_u32_e64 s[14:15], 0, v39
	;; [unrolled: 1-line block ×3, first 2 shown]
	s_and_b64 s[14:15], s[2:3], s[14:15]
	v_cmp_eq_u32_e64 s[18:19], 2, v39
	v_cmp_eq_u32_e64 s[20:21], 3, v39
	v_cndmask_b32_e64 v39, 0, 1, s[14:15]
	s_and_b64 s[14:15], s[2:3], s[16:17]
	v_cndmask_b32_e64 v48, 0, 1, s[14:15]
	s_and_b64 s[14:15], s[2:3], s[18:19]
	s_and_b64 s[2:3], s[2:3], s[20:21]
	v_cndmask_b32_e64 v52, 0, 1, s[2:3]
	v_cmp_ne_u32_e64 s[2:3], 0, v39
	v_cndmask_b32_e64 v49, 0, 1, s[14:15]
	v_cmp_ne_u32_e64 s[14:15], 0, v48
	s_bcnt1_i32_b64 s80, s[2:3]
	v_cmp_ne_u32_e64 s[16:17], 0, v49
	v_lshl_add_u64 v[4:5], s[80:81], 0, v[4:5]
	s_bcnt1_i32_b64 s80, s[14:15]
	v_cmp_ne_u32_e64 s[18:19], 0, v52
	v_lshl_add_u64 v[6:7], s[80:81], 0, v[6:7]
	s_bcnt1_i32_b64 s80, s[16:17]
	v_lshl_add_u64 v[8:9], s[80:81], 0, v[8:9]
	s_bcnt1_i32_b64 s80, s[18:19]
	s_or_b64 s[0:1], vcc, s[0:1]
	v_lshl_add_u64 v[10:11], s[80:81], 0, v[10:11]
	s_andn2_b64 exec, exec, s[0:1]
	s_cbranch_execnz .LBB15_90
; %bb.91:                               ;   in Loop: Header=BB15_32 Depth=1
	s_or_b64 exec, exec, s[0:1]
.LBB15_92:                              ;   in Loop: Header=BB15_32 Depth=1
	s_or_b64 exec, exec, s[6:7]
	v_readlane_b32 s92, v66, 45
.LBB15_93:                              ;   in Loop: Header=BB15_32 Depth=1
	v_readlane_b32 s0, v66, 35
	s_lshl_b32 s2, s0, 6
	s_and_saveexec_b64 s[0:1], s[4:5]
	s_mov_b32 s88, s11
	s_cbranch_execz .LBB15_95
; %bb.94:                               ;   in Loop: Header=BB15_32 Depth=1
	v_lshl_add_u32 v2, s2, 3, v42
	ds_write_b128 v2, v[4:7]
	ds_write_b128 v2, v[8:11] offset:16
.LBB15_95:                              ;   in Loop: Header=BB15_32 Depth=1
	s_or_b64 exec, exec, s[0:1]
	s_waitcnt lgkmcnt(0)
	s_barrier
	s_and_saveexec_b64 s[0:1], s[54:55]
	s_cbranch_execz .LBB15_107
; %bb.96:                               ;   in Loop: Header=BB15_32 Depth=1
	v_readlane_b32 s6, v66, 20
	v_readlane_b32 s7, v66, 21
	s_andn2_b64 vcc, exec, s[6:7]
	v_mov_b64_e32 v[4:5], 0
	s_cbranch_vccnz .LBB15_106
; %bb.97:                               ;   in Loop: Header=BB15_32 Depth=1
	v_readlane_b32 s6, v66, 28
	v_readlane_b32 s7, v66, 29
	s_andn2_b64 vcc, exec, s[6:7]
	s_cbranch_vccnz .LBB15_102
; %bb.98:                               ;   in Loop: Header=BB15_32 Depth=1
	v_readlane_b32 s3, v66, 35
	v_mov_b64_e32 v[4:5], 0
	s_nop 0
	v_lshl_add_u32 v2, s3, 9, v43
	s_mov_b32 s3, 0
.LBB15_99:                              ;   Parent Loop BB15_32 Depth=1
                                        ; =>  This Inner Loop Header: Depth=2
	ds_read2_b64 v[6:9], v2 offset1:4
	ds_read2_b64 v[36:39], v2 offset0:8 offset1:12
	ds_read2_b64 v[52:55], v2 offset0:16 offset1:20
	;; [unrolled: 1-line block ×3, first 2 shown]
	s_add_i32 s3, s3, 8
	s_waitcnt lgkmcnt(3)
	v_lshl_add_u64 v[4:5], v[6:7], 0, v[4:5]
	v_lshl_add_u64 v[4:5], v[8:9], 0, v[4:5]
	s_waitcnt lgkmcnt(2)
	v_lshl_add_u64 v[4:5], v[36:37], 0, v[4:5]
	v_lshl_add_u64 v[4:5], v[38:39], 0, v[4:5]
	;; [unrolled: 3-line block ×3, first 2 shown]
	s_waitcnt lgkmcnt(0)
	v_lshl_add_u64 v[4:5], v[56:57], 0, v[4:5]
	v_add_u32_e32 v2, 0x100, v2
	s_cmp_eq_u32 s33, s3
	v_lshl_add_u64 v[4:5], v[58:59], 0, v[4:5]
	s_cbranch_scc0 .LBB15_99
; %bb.100:                              ;   in Loop: Header=BB15_32 Depth=1
	s_mov_b32 s3, s33
	s_branch .LBB15_103
.LBB15_101:                             ;   in Loop: Header=BB15_32 Depth=1
                                        ; implicit-def: $sgpr0_sgpr1
	s_branch .LBB15_71
.LBB15_102:                             ;   in Loop: Header=BB15_32 Depth=1
	s_mov_b32 s3, 0
	v_mov_b64_e32 v[4:5], 0
.LBB15_103:                             ;   in Loop: Header=BB15_32 Depth=1
	v_readlane_b32 s6, v66, 31
	v_readlane_b32 s7, v66, 32
	s_andn2_b64 vcc, exec, s[6:7]
	s_cbranch_vccnz .LBB15_106
; %bb.104:                              ;   in Loop: Header=BB15_32 Depth=1
	v_readlane_b32 s6, v66, 35
	s_lshl_b32 s6, s6, 9
	s_lshl_b32 s3, s3, 5
	s_add_i32 s6, s6, s3
	v_add_u32_e32 v2, s6, v43
	v_readlane_b32 s3, v66, 30
.LBB15_105:                             ;   Parent Loop BB15_32 Depth=1
                                        ; =>  This Inner Loop Header: Depth=2
	ds_read_b64 v[6:7], v2
	s_add_i32 s3, s3, -1
	v_add_u32_e32 v2, 32, v2
	s_cmp_lg_u32 s3, 0
	s_waitcnt lgkmcnt(0)
	v_lshl_add_u64 v[4:5], v[6:7], 0, v[4:5]
	s_cbranch_scc1 .LBB15_105
.LBB15_106:                             ;   in Loop: Header=BB15_32 Depth=1
	v_add_lshl_u32 v2, s2, v40, 3
	ds_write_b64 v2, v[4:5] offset:3072
.LBB15_107:                             ;   in Loop: Header=BB15_32 Depth=1
	s_or_b64 exec, exec, s[0:1]
	s_lshl_b32 s0, s2, 3
	v_mov_b32_e32 v2, s0
	s_waitcnt lgkmcnt(0)
	s_barrier
	ds_read_b128 v[8:11], v2 offset:3088
	ds_read_b128 v[4:7], v2 offset:3072
	s_lshl_b32 s82, 3, s84
	v_cmp_eq_u64_e64 s[2:3], 1, v[34:35]
	s_not_b32 s50, s82
	s_waitcnt lgkmcnt(1)
	v_readfirstlane_b32 s22, v8
	s_waitcnt lgkmcnt(0)
	v_cmp_eq_u64_e32 vcc, 1, v[4:5]
	v_readfirstlane_b32 s23, v9
	v_readfirstlane_b32 s14, v10
	v_readfirstlane_b32 s15, v11
	s_and_b64 s[18:19], vcc, s[2:3]
	s_mov_b64 s[2:3], -1
	s_mov_b64 s[8:9], -1
                                        ; implicit-def: $sgpr6_sgpr7
                                        ; implicit-def: $sgpr0_sgpr1
	s_and_saveexec_b64 s[16:17], s[18:19]
	s_cbranch_execz .LBB15_141
; %bb.108:                              ;   in Loop: Header=BB15_32 Depth=1
	ds_read_b64 v[8:9], v3 offset:5120
	s_waitcnt lgkmcnt(0)
	s_barrier
	v_readfirstlane_b32 s20, v8
	v_readfirstlane_b32 s21, v9
	s_mov_b64 s[0:1], exec
	v_readlane_b32 s6, v66, 12
	v_readlane_b32 s7, v66, 13
	s_and_b64 s[6:7], s[0:1], s[6:7]
	s_mov_b64 exec, s[6:7]
; %bb.109:                              ;   in Loop: Header=BB15_32 Depth=1
	ds_write_b8 v0, v3 offset:3072
; %bb.110:                              ;   in Loop: Header=BB15_32 Depth=1
	s_or_b64 exec, exec, s[0:1]
	v_cmp_lt_i64_e64 s[8:9], s[20:21], 1
	v_and_b32_e32 v44, s50, v44
	v_or_b32_e32 v46, s82, v46
	s_mov_b64 s[0:1], -1
	s_mov_b64 s[6:7], 0
	s_and_b64 vcc, exec, s[8:9]
	s_mov_b64 s[8:9], 0
	s_mov_b64 s[24:25], -1
	s_waitcnt lgkmcnt(0)
	s_barrier
                                        ; implicit-def: $vgpr47
	s_cbranch_vccz .LBB15_126
; %bb.111:                              ;   in Loop: Header=BB15_32 Depth=1
	s_mov_b32 s52, s81
	s_cmp_lg_u64 s[52:53], 0
	s_cbranch_scc0 .LBB15_113
; %bb.112:                              ;   in Loop: Header=BB15_32 Depth=1
	s_add_u32 s8, s78, 0
	s_addc_u32 s9, 0, 0
	s_xor_b64 s[8:9], s[8:9], 0
	v_cvt_f32_u32_e32 v2, s8
	v_cvt_f32_u32_e32 v8, s9
	s_sub_u32 s26, 0, s8
	s_subb_u32 s27, 0, s9
	v_fmac_f32_e32 v2, 0x4f800000, v8
	v_rcp_f32_e32 v2, v2
	s_nop 0
	v_mul_f32_e32 v2, 0x5f7ffffc, v2
	v_mul_f32_e32 v8, 0x2f800000, v2
	v_trunc_f32_e32 v8, v8
	v_fmac_f32_e32 v2, 0xcf800000, v8
	v_cvt_u32_f32_e32 v8, v8
	v_cvt_u32_f32_e32 v2, v2
	v_readfirstlane_b32 s28, v8
	v_readfirstlane_b32 s24, v2
	s_mul_i32 s25, s26, s28
	s_mul_hi_u32 s30, s26, s24
	s_mul_i32 s29, s27, s24
	s_add_i32 s25, s30, s25
	s_mul_i32 s31, s26, s24
	s_add_i32 s25, s25, s29
	s_mul_i32 s30, s24, s25
	s_mul_hi_u32 s34, s24, s31
	s_mul_hi_u32 s29, s24, s25
	s_add_u32 s30, s34, s30
	s_addc_u32 s29, 0, s29
	s_mul_hi_u32 s35, s28, s31
	s_mul_i32 s31, s28, s31
	s_add_u32 s30, s30, s31
	s_mul_hi_u32 s34, s28, s25
	s_addc_u32 s29, s29, s35
	s_addc_u32 s30, s34, 0
	s_mul_i32 s25, s28, s25
	s_add_u32 s25, s29, s25
	s_addc_u32 s29, 0, s30
	s_add_u32 s30, s24, s25
	s_cselect_b64 s[24:25], -1, 0
	s_cmp_lg_u64 s[24:25], 0
	s_addc_u32 s28, s28, s29
	s_mul_i32 s24, s26, s28
	s_mul_hi_u32 s25, s26, s30
	s_add_i32 s24, s25, s24
	s_mul_i32 s27, s27, s30
	s_add_i32 s24, s24, s27
	s_mul_i32 s26, s26, s30
	s_mul_hi_u32 s27, s28, s26
	s_mul_i32 s29, s28, s26
	s_mul_i32 s34, s30, s24
	s_mul_hi_u32 s26, s30, s26
	s_mul_hi_u32 s31, s30, s24
	s_add_u32 s26, s26, s34
	s_addc_u32 s31, 0, s31
	s_add_u32 s26, s26, s29
	s_mul_hi_u32 s25, s28, s24
	s_addc_u32 s26, s31, s27
	s_addc_u32 s25, s25, 0
	s_mul_i32 s24, s28, s24
	s_add_u32 s24, s26, s24
	s_addc_u32 s26, 0, s25
	s_add_u32 s29, s30, s24
	s_cselect_b64 s[24:25], -1, 0
	s_cmp_lg_u64 s[24:25], 0
	s_addc_u32 s28, s28, s26
	s_ashr_i32 s24, s53, 31
	s_add_u32 s26, s93, s24
	s_mov_b32 s25, s24
	s_addc_u32 s27, s53, s24
	s_xor_b64 s[26:27], s[26:27], s[24:25]
	s_mul_i32 s31, s26, s28
	s_mul_hi_u32 s34, s26, s29
	s_mul_hi_u32 s30, s26, s28
	s_add_u32 s31, s34, s31
	s_addc_u32 s30, 0, s30
	s_mul_hi_u32 s35, s27, s29
	s_mul_i32 s29, s27, s29
	s_add_u32 s29, s31, s29
	s_mul_hi_u32 s34, s27, s28
	s_addc_u32 s29, s30, s35
	s_addc_u32 s30, s34, 0
	s_mul_i32 s28, s27, s28
	s_add_u32 s28, s29, s28
	s_addc_u32 s29, 0, s30
	s_mul_i32 s29, s8, s29
	s_mul_hi_u32 s30, s8, s28
	s_add_i32 s29, s30, s29
	s_mul_i32 s30, s9, s28
	s_add_i32 s34, s29, s30
	s_sub_i32 s30, s27, s34
	s_mul_i32 s28, s8, s28
	s_sub_u32 s26, s26, s28
	s_cselect_b64 s[28:29], -1, 0
	s_cmp_lg_u64 s[28:29], 0
	s_subb_u32 s35, s30, s9
	s_sub_u32 s36, s26, s8
	s_cselect_b64 s[30:31], -1, 0
	s_cmp_lg_u64 s[30:31], 0
	s_subb_u32 s37, s35, 0
	s_cmp_ge_u32 s37, s9
	s_cselect_b32 s38, -1, 0
	s_cmp_ge_u32 s36, s8
	s_cselect_b32 s39, -1, 0
	s_cmp_eq_u32 s37, s9
	s_cselect_b32 s38, s39, s38
	s_cmp_lg_u64 s[30:31], 0
	s_subb_u32 s35, s35, s9
	s_sub_u32 s39, s36, s8
	s_cselect_b64 s[30:31], -1, 0
	s_cmp_lg_u64 s[30:31], 0
	s_subb_u32 s30, s35, 0
	s_cmp_lg_u32 s38, 0
	s_cselect_b32 s31, s39, s36
	s_cselect_b32 s30, s30, s37
	s_cmp_lg_u64 s[28:29], 0
	s_subb_u32 s27, s27, s34
	s_cmp_ge_u32 s27, s9
	s_cselect_b32 s28, -1, 0
	s_cmp_ge_u32 s26, s8
	s_cselect_b32 s8, -1, 0
	s_cmp_eq_u32 s27, s9
	s_cselect_b32 s8, s8, s28
	s_cmp_lg_u32 s8, 0
	s_cselect_b32 s9, s30, s27
	s_cselect_b32 s8, s31, s26
	s_xor_b64 s[8:9], s[8:9], s[24:25]
	s_sub_u32 s8, s8, s24
	s_subb_u32 s9, s9, s24
	s_mov_b64 s[24:25], 0
	s_branch .LBB15_114
.LBB15_113:                             ;   in Loop: Header=BB15_32 Depth=1
                                        ; implicit-def: $sgpr8_sgpr9
.LBB15_114:                             ;   in Loop: Header=BB15_32 Depth=1
	s_andn2_b64 vcc, exec, s[24:25]
	v_readlane_b32 s52, v66, 46
	s_cbranch_vccnz .LBB15_116
; %bb.115:                              ;   in Loop: Header=BB15_32 Depth=1
	v_cvt_f32_u32_e32 v2, s78
	s_sub_i32 s8, 0, s78
	v_rcp_iflag_f32_e32 v2, v2
	s_nop 0
	v_mul_f32_e32 v2, 0x4f7ffffe, v2
	v_cvt_u32_f32_e32 v2, v2
	s_nop 0
	v_readfirstlane_b32 s9, v2
	s_mul_i32 s8, s8, s9
	s_mul_hi_u32 s8, s9, s8
	s_add_i32 s9, s9, s8
	s_mul_hi_u32 s8, s93, s9
	s_mul_i32 s8, s8, s78
	s_sub_i32 s8, s93, s8
	s_sub_i32 s9, s8, s78
	s_cmp_ge_u32 s8, s78
	s_cselect_b32 s8, s9, s8
	s_sub_i32 s9, s8, s78
	s_cmp_ge_u32 s8, s78
	s_cselect_b32 s80, s9, s8
	s_mov_b64 s[8:9], s[80:81]
.LBB15_116:                             ;   in Loop: Header=BB15_32 Depth=1
	s_sub_u32 s28, s93, s8
	s_subb_u32 s29, s53, s9
	v_cmp_gt_i64_e32 vcc, s[28:29], v[0:1]
	s_mov_b64 s[24:25], 0
	s_mov_b64 s[8:9], 0
                                        ; implicit-def: $vgpr47
	s_and_saveexec_b64 s[26:27], vcc
	s_cbranch_execz .LBB15_125
; %bb.117:                              ;   in Loop: Header=BB15_32 Depth=1
	v_mov_b64_e32 v[8:9], v[12:13]
	v_mov_b64_e32 v[10:11], v[0:1]
                                        ; implicit-def: $sgpr30_sgpr31
	s_branch .LBB15_120
.LBB15_118:                             ;   in Loop: Header=BB15_120 Depth=2
	s_or_b64 exec, exec, s[34:35]
	s_waitcnt lgkmcnt(0)
	s_barrier
	ds_read_u16 v2, v3 offset:3072
	s_mov_b64 s[34:35], -1
	s_waitcnt lgkmcnt(0)
	s_barrier
	v_cmp_ne_u32_sdwa s[36:37], v2, v3 src0_sel:BYTE_0 src1_sel:DWORD
	s_and_b64 vcc, exec, s[36:37]
	s_mov_b64 s[36:37], -1
	s_cbranch_vccz .LBB15_123
.LBB15_119:                             ;   in Loop: Header=BB15_120 Depth=2
	s_and_b64 s[34:35], exec, s[34:35]
	s_or_b64 s[8:9], s[34:35], s[8:9]
	s_andn2_b64 s[30:31], s[30:31], exec
	s_and_b64 s[34:35], s[36:37], exec
	s_or_b64 s[30:31], s[30:31], s[34:35]
	s_andn2_b64 exec, exec, s[8:9]
	s_cbranch_execz .LBB15_124
.LBB15_120:                             ;   Parent Loop BB15_32 Depth=1
                                        ; =>  This Inner Loop Header: Depth=2
	v_cmp_gt_i64_e32 vcc, s[56:57], v[10:11]
	s_and_saveexec_b64 s[34:35], vcc
	s_cbranch_execz .LBB15_118
; %bb.121:                              ;   in Loop: Header=BB15_120 Depth=2
	global_load_ubyte v2, v[8:9], off
	s_waitcnt vmcnt(0)
	v_add_u32_sdwa v36, sext(v2), s85 dst_sel:DWORD dst_unused:UNUSED_PAD src0_sel:BYTE_0 src1_sel:DWORD
	v_and_b32_e32 v36, v36, v46
	v_cmp_eq_u32_e32 vcc, v36, v44
	s_and_b64 exec, exec, vcc
	s_cbranch_execz .LBB15_118
; %bb.122:                              ;   in Loop: Header=BB15_120 Depth=2
	v_lshlrev_b16_e32 v2, 8, v2
	v_or_b32_e32 v2, 1, v2
	ds_write_b16 v3, v2 offset:3072
	s_branch .LBB15_118
.LBB15_123:                             ;   in Loop: Header=BB15_120 Depth=2
	v_lshl_add_u64 v[10:11], v[10:11], 0, s[78:79]
	v_cmp_le_i64_e32 vcc, s[28:29], v[10:11]
	v_lshl_add_u64 v[8:9], v[8:9], 0, s[90:91]
	s_mov_b64 s[36:37], 0
	s_orn2_b64 s[34:35], vcc, exec
	s_branch .LBB15_119
.LBB15_124:                             ;   in Loop: Header=BB15_32 Depth=1
	s_or_b64 exec, exec, s[8:9]
	v_lshrrev_b32_sdwa v47, v45, v2 dst_sel:DWORD dst_unused:UNUSED_PAD src0_sel:DWORD src1_sel:WORD_0
	s_and_b64 s[8:9], s[30:31], exec
.LBB15_125:                             ;   in Loop: Header=BB15_32 Depth=1
	s_or_b64 exec, exec, s[26:27]
.LBB15_126:                             ;   in Loop: Header=BB15_32 Depth=1
	s_and_b64 vcc, exec, s[24:25]
	s_cbranch_vccz .LBB15_140
; %bb.127:                              ;   in Loop: Header=BB15_32 Depth=1
	v_readlane_b32 s0, v66, 22
	s_add_u32 s26, s20, s0
	v_readlane_b32 s0, v66, 23
	s_addc_u32 s1, s21, s0
	s_mov_b32 s0, s81
	s_cmp_lg_u64 s[0:1], 0
	s_cbranch_scc0 .LBB15_158
; %bb.128:                              ;   in Loop: Header=BB15_32 Depth=1
	s_add_u32 s6, s78, 0
	s_addc_u32 s7, 0, 0
	s_xor_b64 s[6:7], s[6:7], 0
	v_cvt_f32_u32_e32 v2, s6
	v_cvt_f32_u32_e32 v8, s7
	s_sub_u32 s0, 0, s6
	s_subb_u32 s27, 0, s7
	v_fmac_f32_e32 v2, 0x4f800000, v8
	v_rcp_f32_e32 v2, v2
	s_nop 0
	v_mul_f32_e32 v2, 0x5f7ffffc, v2
	v_mul_f32_e32 v8, 0x2f800000, v2
	v_trunc_f32_e32 v8, v8
	v_fmac_f32_e32 v2, 0xcf800000, v8
	v_cvt_u32_f32_e32 v8, v8
	v_cvt_u32_f32_e32 v2, v2
	v_readfirstlane_b32 s28, v8
	v_readfirstlane_b32 s24, v2
	s_mul_i32 s25, s0, s28
	s_mul_hi_u32 s30, s0, s24
	s_mul_i32 s29, s27, s24
	s_add_i32 s25, s30, s25
	s_mul_i32 s31, s0, s24
	s_add_i32 s25, s25, s29
	s_mul_i32 s30, s24, s25
	s_mul_hi_u32 s34, s24, s31
	s_mul_hi_u32 s29, s24, s25
	s_add_u32 s30, s34, s30
	s_addc_u32 s29, 0, s29
	s_mul_hi_u32 s35, s28, s31
	s_mul_i32 s31, s28, s31
	s_add_u32 s30, s30, s31
	s_mul_hi_u32 s34, s28, s25
	s_addc_u32 s29, s29, s35
	s_addc_u32 s30, s34, 0
	s_mul_i32 s25, s28, s25
	s_add_u32 s25, s29, s25
	s_addc_u32 s29, 0, s30
	s_add_u32 s30, s24, s25
	s_cselect_b64 s[24:25], -1, 0
	s_cmp_lg_u64 s[24:25], 0
	s_addc_u32 s28, s28, s29
	s_mul_i32 s24, s0, s28
	s_mul_hi_u32 s25, s0, s30
	s_add_i32 s24, s25, s24
	s_mul_i32 s27, s27, s30
	s_add_i32 s24, s24, s27
	s_mul_i32 s0, s0, s30
	s_mul_hi_u32 s27, s28, s0
	s_mul_i32 s29, s28, s0
	s_mul_i32 s34, s30, s24
	s_mul_hi_u32 s0, s30, s0
	s_mul_hi_u32 s31, s30, s24
	s_add_u32 s0, s0, s34
	s_addc_u32 s31, 0, s31
	s_add_u32 s0, s0, s29
	s_mul_hi_u32 s25, s28, s24
	s_addc_u32 s0, s31, s27
	s_addc_u32 s25, s25, 0
	s_mul_i32 s24, s28, s24
	s_add_u32 s0, s0, s24
	s_addc_u32 s27, 0, s25
	s_add_u32 s0, s30, s0
	s_cselect_b64 s[24:25], -1, 0
	s_cmp_lg_u64 s[24:25], 0
	s_addc_u32 s27, s28, s27
	s_ashr_i32 s24, s1, 31
	s_add_u32 s28, s26, s24
	s_mov_b32 s25, s24
	s_addc_u32 s29, s1, s24
	s_xor_b64 s[28:29], s[28:29], s[24:25]
	s_mul_i32 s31, s28, s27
	s_mul_hi_u32 s34, s28, s0
	s_mul_hi_u32 s30, s28, s27
	s_add_u32 s31, s34, s31
	s_addc_u32 s30, 0, s30
	s_mul_hi_u32 s35, s29, s0
	s_mul_i32 s0, s29, s0
	s_add_u32 s0, s31, s0
	s_mul_hi_u32 s34, s29, s27
	s_addc_u32 s0, s30, s35
	s_addc_u32 s30, s34, 0
	s_mul_i32 s27, s29, s27
	s_add_u32 s0, s0, s27
	s_addc_u32 s27, 0, s30
	s_mul_i32 s27, s6, s27
	s_mul_hi_u32 s30, s6, s0
	s_add_i32 s27, s30, s27
	s_mul_i32 s30, s7, s0
	s_add_i32 s27, s27, s30
	s_sub_i32 s34, s29, s27
	s_mul_i32 s0, s6, s0
	s_sub_u32 s0, s28, s0
	s_cselect_b64 s[30:31], -1, 0
	s_cmp_lg_u64 s[30:31], 0
	s_subb_u32 s28, s34, s7
	s_sub_u32 s36, s0, s6
	s_cselect_b64 s[34:35], -1, 0
	s_cmp_lg_u64 s[34:35], 0
	s_subb_u32 s37, s28, 0
	s_cmp_ge_u32 s37, s7
	s_cselect_b32 s38, -1, 0
	s_cmp_ge_u32 s36, s6
	s_cselect_b32 s39, -1, 0
	s_cmp_eq_u32 s37, s7
	s_cselect_b32 s38, s39, s38
	s_cmp_lg_u64 s[34:35], 0
	s_subb_u32 s28, s28, s7
	s_sub_u32 s39, s36, s6
	s_cselect_b64 s[34:35], -1, 0
	s_cmp_lg_u64 s[34:35], 0
	s_subb_u32 s28, s28, 0
	s_cmp_lg_u32 s38, 0
	s_cselect_b32 s34, s39, s36
	s_cselect_b32 s28, s28, s37
	s_cmp_lg_u64 s[30:31], 0
	s_subb_u32 s27, s29, s27
	s_cmp_ge_u32 s27, s7
	s_cselect_b32 s29, -1, 0
	s_cmp_ge_u32 s0, s6
	s_cselect_b32 s6, -1, 0
	s_cmp_eq_u32 s27, s7
	s_cselect_b32 s6, s6, s29
	s_cmp_lg_u32 s6, 0
	s_cselect_b32 s7, s28, s27
	s_cselect_b32 s6, s34, s0
	s_xor_b64 s[6:7], s[6:7], s[24:25]
	s_sub_u32 s6, s6, s24
	s_subb_u32 s7, s7, s24
	s_cbranch_execnz .LBB15_130
.LBB15_129:                             ;   in Loop: Header=BB15_32 Depth=1
	v_cvt_f32_u32_e32 v2, s78
	s_sub_i32 s0, 0, s78
	v_rcp_iflag_f32_e32 v2, v2
	s_nop 0
	v_mul_f32_e32 v2, 0x4f7ffffe, v2
	v_cvt_u32_f32_e32 v2, v2
	s_nop 0
	v_readfirstlane_b32 s6, v2
	s_mul_i32 s0, s0, s6
	s_mul_hi_u32 s0, s6, s0
	s_add_i32 s6, s6, s0
	s_mul_hi_u32 s0, s26, s6
	s_mul_i32 s0, s0, s78
	s_sub_i32 s0, s26, s0
	s_sub_i32 s6, s0, s78
	s_cmp_ge_u32 s0, s78
	s_cselect_b32 s0, s6, s0
	s_sub_i32 s6, s0, s78
	s_cmp_ge_u32 s0, s78
	s_cselect_b32 s80, s6, s0
	s_mov_b64 s[6:7], s[80:81]
.LBB15_130:                             ;   in Loop: Header=BB15_32 Depth=1
	s_sub_u32 s6, s26, s6
	s_subb_u32 s7, s1, s7
	v_cmp_gt_i64_e32 vcc, s[6:7], v[0:1]
                                        ; implicit-def: $vgpr47
	s_and_saveexec_b64 s[0:1], vcc
	s_cbranch_execz .LBB15_139
; %bb.131:                              ;   in Loop: Header=BB15_32 Depth=1
	s_mov_b64 s[24:25], 0
	v_mov_b32_e32 v2, v0
	v_mov_b64_e32 v[8:9], v[0:1]
                                        ; implicit-def: $sgpr26_sgpr27
	s_branch .LBB15_134
.LBB15_132:                             ;   in Loop: Header=BB15_134 Depth=2
	s_or_b64 exec, exec, s[28:29]
	s_waitcnt lgkmcnt(0)
	s_barrier
	ds_read_u16 v10, v3 offset:3072
	s_mov_b64 s[28:29], -1
	s_waitcnt lgkmcnt(0)
	s_barrier
	v_cmp_ne_u32_sdwa s[30:31], v10, v3 src0_sel:BYTE_0 src1_sel:DWORD
	s_and_b64 vcc, exec, s[30:31]
	s_mov_b64 s[30:31], -1
	s_cbranch_vccz .LBB15_137
.LBB15_133:                             ;   in Loop: Header=BB15_134 Depth=2
	s_and_b64 s[28:29], exec, s[28:29]
	s_or_b64 s[24:25], s[28:29], s[24:25]
	s_andn2_b64 s[26:27], s[26:27], exec
	s_and_b64 s[28:29], s[30:31], exec
	s_or_b64 s[26:27], s[26:27], s[28:29]
	s_andn2_b64 exec, exec, s[24:25]
	s_cbranch_execz .LBB15_138
.LBB15_134:                             ;   Parent Loop BB15_32 Depth=1
                                        ; =>  This Inner Loop Header: Depth=2
	v_cmp_gt_u64_e32 vcc, s[20:21], v[8:9]
	s_and_saveexec_b64 s[28:29], vcc
	s_cbranch_execz .LBB15_132
; %bb.135:                              ;   in Loop: Header=BB15_134 Depth=2
	ds_read_u8 v10, v2
	s_waitcnt lgkmcnt(0)
	v_add_u32_sdwa v11, sext(v10), s85 dst_sel:DWORD dst_unused:UNUSED_PAD src0_sel:BYTE_0 src1_sel:DWORD
	v_and_b32_e32 v11, v11, v46
	v_cmp_eq_u32_e32 vcc, v11, v44
	s_and_b64 exec, exec, vcc
	s_cbranch_execz .LBB15_132
; %bb.136:                              ;   in Loop: Header=BB15_134 Depth=2
	v_lshlrev_b16_e32 v10, 8, v10
	v_or_b32_e32 v10, 1, v10
	ds_write_b16 v3, v10 offset:3072
	s_branch .LBB15_132
.LBB15_137:                             ;   in Loop: Header=BB15_134 Depth=2
	v_lshl_add_u64 v[8:9], v[8:9], 0, s[78:79]
	v_cmp_le_i64_e32 vcc, s[6:7], v[8:9]
	v_add_u32_e32 v2, s78, v2
	s_mov_b64 s[30:31], 0
	s_orn2_b64 s[28:29], vcc, exec
	s_branch .LBB15_133
.LBB15_138:                             ;   in Loop: Header=BB15_32 Depth=1
	s_or_b64 exec, exec, s[24:25]
	s_andn2_b64 s[6:7], s[8:9], exec
	s_and_b64 s[8:9], s[26:27], exec
	v_lshrrev_b32_sdwa v47, v45, v10 dst_sel:DWORD dst_unused:UNUSED_PAD src0_sel:DWORD src1_sel:WORD_0
	s_or_b64 s[8:9], s[6:7], s[8:9]
.LBB15_139:                             ;   in Loop: Header=BB15_32 Depth=1
	s_or_b64 exec, exec, s[0:1]
	s_mov_b64 s[0:1], 0
	s_mov_b64 s[6:7], -1
.LBB15_140:                             ;   in Loop: Header=BB15_32 Depth=1
	s_orn2_b64 s[8:9], s[8:9], exec
.LBB15_141:                             ;   in Loop: Header=BB15_32 Depth=1
	s_or_b64 exec, exec, s[16:17]
	s_andn2_b64 s[10:11], s[76:77], exec
	s_and_b64 s[6:7], s[6:7], exec
	s_or_b64 s[98:99], s[10:11], s[6:7]
	s_andn2_b64 s[6:7], s[68:69], exec
	s_and_b64 s[0:1], s[0:1], exec
	s_andn2_b64 s[70:71], s[58:59], exec
	s_or_b64 s[10:11], s[6:7], s[0:1]
                                        ; implicit-def: $vgpr8_vgpr9
	s_and_saveexec_b64 s[16:17], s[8:9]
	s_cbranch_execz .LBB15_31
; %bb.142:                              ;   in Loop: Header=BB15_32 Depth=1
	s_xor_b64 s[2:3], s[18:19], -1
	v_mov_b32_e32 v2, 1
	s_mov_b64 s[6:7], 0
	v_mov_b64_e32 v[8:9], 1
	s_and_saveexec_b64 s[0:1], s[2:3]
	s_cbranch_execz .LBB15_151
; %bb.143:                              ;   in Loop: Header=BB15_32 Depth=1
	v_cmp_le_i64_e32 vcc, v[34:35], v[4:5]
	s_and_saveexec_b64 s[2:3], vcc
	s_xor_b64 s[2:3], exec, s[2:3]
	s_cbranch_execz .LBB15_148
; %bb.144:                              ;   in Loop: Header=BB15_32 Depth=1
	ds_read_b64 v[8:9], v3 offset:5120
	v_and_b32_e32 v44, s50, v44
	v_or_b32_e32 v46, s82, v46
	s_waitcnt lgkmcnt(0)
	v_cmp_ne_u64_e32 vcc, 0, v[8:9]
	s_cbranch_vccnz .LBB15_148
; %bb.145:                              ;   in Loop: Header=BB15_32 Depth=1
	s_mov_b64 s[6:7], exec
	v_readlane_b32 s8, v66, 10
	v_readlane_b32 s9, v66, 11
	s_and_b64 s[8:9], s[6:7], s[8:9]
	s_mov_b64 exec, s[8:9]
; %bb.146:                              ;   in Loop: Header=BB15_32 Depth=1
	ds_write_b64 v3, v[4:5] offset:5128
; %bb.147:                              ;   in Loop: Header=BB15_32 Depth=1
	s_or_b64 exec, exec, s[6:7]
	s_waitcnt lgkmcnt(0)
	s_barrier
.LBB15_148:                             ;   in Loop: Header=BB15_32 Depth=1
	s_or_saveexec_b64 s[2:3], s[2:3]
	s_mov_b64 s[6:7], 0
	v_mov_b32_e32 v2, 8
	s_xor_b64 exec, exec, s[2:3]
; %bb.149:                              ;   in Loop: Header=BB15_32 Depth=1
	v_sub_co_u32_e32 v34, vcc, v34, v4
	s_mov_b64 s[6:7], exec
	s_nop 0
	v_subb_co_u32_e32 v35, vcc, v35, v5, vcc
	v_mov_b32_e32 v2, 0
; %bb.150:                              ;   in Loop: Header=BB15_32 Depth=1
	s_or_b64 exec, exec, s[2:3]
	s_and_b64 s[6:7], s[6:7], exec
	v_mov_b64_e32 v[8:9], v[34:35]
.LBB15_151:                             ;   in Loop: Header=BB15_32 Depth=1
	s_or_b64 exec, exec, s[0:1]
	s_mov_b64 s[18:19], -1
	s_mov_b64 s[0:1], -1
                                        ; implicit-def: $sgpr2_sgpr3
                                        ; implicit-def: $sgpr24_sgpr25
	s_and_saveexec_b64 s[8:9], s[6:7]
	s_xor_b64 s[20:21], exec, s[8:9]
	s_cbranch_execz .LBB15_296
; %bb.152:                              ;   in Loop: Header=BB15_32 Depth=1
	v_cmp_eq_u64_e32 vcc, 1, v[6:7]
	v_cmp_eq_u64_e64 s[2:3], 1, v[8:9]
	s_and_b64 s[28:29], vcc, s[2:3]
                                        ; implicit-def: $sgpr24_sgpr25
                                        ; implicit-def: $sgpr2_sgpr3
	s_and_saveexec_b64 s[26:27], s[28:29]
	s_cbranch_execz .LBB15_187
; %bb.153:                              ;   in Loop: Header=BB15_32 Depth=1
	ds_read_b64 v[4:5], v3 offset:5120
	s_waitcnt lgkmcnt(0)
	s_barrier
	v_readfirstlane_b32 s30, v4
	v_readfirstlane_b32 s31, v5
	s_mov_b64 s[0:1], exec
	v_readlane_b32 s2, v66, 12
	v_readlane_b32 s3, v66, 13
	s_and_b64 s[2:3], s[0:1], s[2:3]
	s_mov_b64 exec, s[2:3]
; %bb.154:                              ;   in Loop: Header=BB15_32 Depth=1
	ds_write_b8 v0, v3 offset:3072
; %bb.155:                              ;   in Loop: Header=BB15_32 Depth=1
	s_or_b64 exec, exec, s[0:1]
	v_and_b32_e32 v4, s50, v44
	v_cmp_gt_i64_e64 s[0:1], s[30:31], 0
	v_lshl_or_b32 v44, 1, s84, v4
	v_or_b32_e32 v46, s82, v46
	s_mov_b64 s[2:3], -1
	s_mov_b64 s[24:25], 0
	s_and_b64 vcc, exec, s[0:1]
	s_mov_b64 s[0:1], 0
	s_mov_b64 s[6:7], -1
	s_waitcnt lgkmcnt(0)
	s_barrier
                                        ; implicit-def: $vgpr47
	s_cbranch_vccnz .LBB15_172
; %bb.156:                              ;   in Loop: Header=BB15_32 Depth=1
	s_mov_b32 s52, s81
	s_cmp_lg_u64 s[52:53], 0
	s_cbranch_scc0 .LBB15_159
; %bb.157:                              ;   in Loop: Header=BB15_32 Depth=1
	s_add_u32 s0, s78, 0
	s_addc_u32 s1, 0, 0
	s_xor_b64 s[0:1], s[0:1], 0
	v_cvt_f32_u32_e32 v4, s0
	v_cvt_f32_u32_e32 v5, s1
	s_sub_u32 s8, 0, s0
	s_subb_u32 s9, 0, s1
	v_fmac_f32_e32 v4, 0x4f800000, v5
	v_rcp_f32_e32 v4, v4
	s_nop 0
	v_mul_f32_e32 v4, 0x5f7ffffc, v4
	v_mul_f32_e32 v5, 0x2f800000, v4
	v_trunc_f32_e32 v5, v5
	v_fmac_f32_e32 v4, 0xcf800000, v5
	v_cvt_u32_f32_e32 v5, v5
	v_cvt_u32_f32_e32 v4, v4
	v_readfirstlane_b32 s34, v5
	v_readfirstlane_b32 s6, v4
	s_mul_i32 s7, s8, s34
	s_mul_hi_u32 s36, s8, s6
	s_mul_i32 s35, s9, s6
	s_add_i32 s7, s36, s7
	s_mul_i32 s37, s8, s6
	s_add_i32 s7, s7, s35
	s_mul_i32 s36, s6, s7
	s_mul_hi_u32 s38, s6, s37
	s_mul_hi_u32 s35, s6, s7
	s_add_u32 s36, s38, s36
	s_addc_u32 s35, 0, s35
	s_mul_hi_u32 s39, s34, s37
	s_mul_i32 s37, s34, s37
	s_add_u32 s36, s36, s37
	s_mul_hi_u32 s38, s34, s7
	s_addc_u32 s35, s35, s39
	s_addc_u32 s36, s38, 0
	s_mul_i32 s7, s34, s7
	s_add_u32 s7, s35, s7
	s_addc_u32 s35, 0, s36
	s_add_u32 s36, s6, s7
	s_cselect_b64 s[6:7], -1, 0
	s_cmp_lg_u64 s[6:7], 0
	s_addc_u32 s34, s34, s35
	s_mul_i32 s6, s8, s34
	s_mul_hi_u32 s7, s8, s36
	s_add_i32 s6, s7, s6
	s_mul_i32 s9, s9, s36
	s_add_i32 s6, s6, s9
	s_mul_i32 s8, s8, s36
	s_mul_hi_u32 s9, s34, s8
	s_mul_i32 s35, s34, s8
	s_mul_i32 s38, s36, s6
	s_mul_hi_u32 s8, s36, s8
	s_mul_hi_u32 s37, s36, s6
	s_add_u32 s8, s8, s38
	s_addc_u32 s37, 0, s37
	s_add_u32 s8, s8, s35
	s_mul_hi_u32 s7, s34, s6
	s_addc_u32 s8, s37, s9
	s_addc_u32 s7, s7, 0
	s_mul_i32 s6, s34, s6
	s_add_u32 s6, s8, s6
	s_addc_u32 s8, 0, s7
	s_add_u32 s35, s36, s6
	s_cselect_b64 s[6:7], -1, 0
	s_cmp_lg_u64 s[6:7], 0
	s_addc_u32 s34, s34, s8
	s_ashr_i32 s6, s53, 31
	s_add_u32 s8, s93, s6
	s_mov_b32 s7, s6
	s_addc_u32 s9, s53, s6
	s_xor_b64 s[8:9], s[8:9], s[6:7]
	s_mul_i32 s37, s8, s34
	s_mul_hi_u32 s38, s8, s35
	s_mul_hi_u32 s36, s8, s34
	s_add_u32 s37, s38, s37
	s_addc_u32 s36, 0, s36
	s_mul_hi_u32 s39, s9, s35
	s_mul_i32 s35, s9, s35
	s_add_u32 s35, s37, s35
	s_mul_hi_u32 s38, s9, s34
	s_addc_u32 s35, s36, s39
	s_addc_u32 s36, s38, 0
	s_mul_i32 s34, s9, s34
	s_add_u32 s34, s35, s34
	s_addc_u32 s35, 0, s36
	s_mul_i32 s35, s0, s35
	s_mul_hi_u32 s36, s0, s34
	s_add_i32 s35, s36, s35
	s_mul_i32 s36, s1, s34
	s_add_i32 s38, s35, s36
	s_sub_i32 s36, s9, s38
	s_mul_i32 s34, s0, s34
	s_sub_u32 s8, s8, s34
	s_cselect_b64 s[34:35], -1, 0
	s_cmp_lg_u64 s[34:35], 0
	s_subb_u32 s39, s36, s1
	s_sub_u32 s40, s8, s0
	s_cselect_b64 s[36:37], -1, 0
	s_cmp_lg_u64 s[36:37], 0
	s_subb_u32 s41, s39, 0
	s_cmp_ge_u32 s41, s1
	s_cselect_b32 s42, -1, 0
	s_cmp_ge_u32 s40, s0
	s_cselect_b32 s43, -1, 0
	s_cmp_eq_u32 s41, s1
	s_cselect_b32 s42, s43, s42
	s_cmp_lg_u64 s[36:37], 0
	s_subb_u32 s39, s39, s1
	s_sub_u32 s43, s40, s0
	s_cselect_b64 s[36:37], -1, 0
	s_cmp_lg_u64 s[36:37], 0
	s_subb_u32 s36, s39, 0
	s_cmp_lg_u32 s42, 0
	s_cselect_b32 s37, s43, s40
	s_cselect_b32 s36, s36, s41
	s_cmp_lg_u64 s[34:35], 0
	s_subb_u32 s9, s9, s38
	s_cmp_ge_u32 s9, s1
	s_cselect_b32 s34, -1, 0
	s_cmp_ge_u32 s8, s0
	s_cselect_b32 s0, -1, 0
	s_cmp_eq_u32 s9, s1
	s_cselect_b32 s0, s0, s34
	s_cmp_lg_u32 s0, 0
	s_cselect_b32 s1, s36, s9
	s_cselect_b32 s0, s37, s8
	s_xor_b64 s[0:1], s[0:1], s[6:7]
	s_sub_u32 s0, s0, s6
	s_subb_u32 s1, s1, s6
	s_mov_b64 s[6:7], 0
	s_branch .LBB15_160
.LBB15_158:                             ;   in Loop: Header=BB15_32 Depth=1
                                        ; implicit-def: $sgpr6_sgpr7
	s_branch .LBB15_129
.LBB15_159:                             ;   in Loop: Header=BB15_32 Depth=1
                                        ; implicit-def: $sgpr0_sgpr1
.LBB15_160:                             ;   in Loop: Header=BB15_32 Depth=1
	s_andn2_b64 vcc, exec, s[6:7]
	v_readlane_b32 s52, v66, 46
	s_cbranch_vccnz .LBB15_162
; %bb.161:                              ;   in Loop: Header=BB15_32 Depth=1
	v_cvt_f32_u32_e32 v4, s78
	s_sub_i32 s0, 0, s78
	v_rcp_iflag_f32_e32 v4, v4
	s_nop 0
	v_mul_f32_e32 v4, 0x4f7ffffe, v4
	v_cvt_u32_f32_e32 v4, v4
	s_nop 0
	v_readfirstlane_b32 s1, v4
	s_mul_i32 s0, s0, s1
	s_mul_hi_u32 s0, s1, s0
	s_add_i32 s1, s1, s0
	s_mul_hi_u32 s0, s93, s1
	s_mul_i32 s0, s0, s78
	s_sub_i32 s0, s93, s0
	s_sub_i32 s1, s0, s78
	s_cmp_ge_u32 s0, s78
	s_cselect_b32 s0, s1, s0
	s_sub_i32 s1, s0, s78
	s_cmp_ge_u32 s0, s78
	s_cselect_b32 s80, s1, s0
	s_mov_b64 s[0:1], s[80:81]
.LBB15_162:                             ;   in Loop: Header=BB15_32 Depth=1
	s_sub_u32 s34, s93, s0
	s_subb_u32 s35, s53, s1
	v_cmp_gt_i64_e32 vcc, s[34:35], v[0:1]
	s_mov_b64 s[6:7], 0
	s_mov_b64 s[0:1], 0
                                        ; implicit-def: $vgpr47
	s_and_saveexec_b64 s[8:9], vcc
	s_cbranch_execz .LBB15_171
; %bb.163:                              ;   in Loop: Header=BB15_32 Depth=1
	v_mov_b64_e32 v[4:5], v[12:13]
	v_mov_b64_e32 v[10:11], v[0:1]
                                        ; implicit-def: $sgpr36_sgpr37
	s_branch .LBB15_166
.LBB15_164:                             ;   in Loop: Header=BB15_166 Depth=2
	s_or_b64 exec, exec, s[38:39]
	s_waitcnt lgkmcnt(0)
	s_barrier
	ds_read_u16 v34, v3 offset:3072
	s_mov_b64 s[38:39], -1
	s_waitcnt lgkmcnt(0)
	s_barrier
	v_cmp_ne_u32_sdwa s[40:41], v34, v3 src0_sel:BYTE_0 src1_sel:DWORD
	s_and_b64 vcc, exec, s[40:41]
	s_mov_b64 s[40:41], -1
	s_cbranch_vccz .LBB15_169
.LBB15_165:                             ;   in Loop: Header=BB15_166 Depth=2
	s_and_b64 s[38:39], exec, s[38:39]
	s_or_b64 s[0:1], s[38:39], s[0:1]
	s_andn2_b64 s[36:37], s[36:37], exec
	s_and_b64 s[38:39], s[40:41], exec
	s_or_b64 s[36:37], s[36:37], s[38:39]
	s_andn2_b64 exec, exec, s[0:1]
	s_cbranch_execz .LBB15_170
.LBB15_166:                             ;   Parent Loop BB15_32 Depth=1
                                        ; =>  This Inner Loop Header: Depth=2
	v_cmp_gt_i64_e32 vcc, s[56:57], v[10:11]
	s_and_saveexec_b64 s[38:39], vcc
	s_cbranch_execz .LBB15_164
; %bb.167:                              ;   in Loop: Header=BB15_166 Depth=2
	global_load_ubyte v34, v[4:5], off
	s_waitcnt vmcnt(0)
	v_add_u32_sdwa v35, sext(v34), s85 dst_sel:DWORD dst_unused:UNUSED_PAD src0_sel:BYTE_0 src1_sel:DWORD
	v_and_b32_e32 v35, v35, v46
	v_cmp_eq_u32_e32 vcc, v35, v44
	s_and_b64 exec, exec, vcc
	s_cbranch_execz .LBB15_164
; %bb.168:                              ;   in Loop: Header=BB15_166 Depth=2
	v_lshlrev_b16_e32 v34, 8, v34
	v_or_b32_e32 v34, 1, v34
	ds_write_b16 v3, v34 offset:3072
	s_branch .LBB15_164
.LBB15_169:                             ;   in Loop: Header=BB15_166 Depth=2
	v_lshl_add_u64 v[10:11], v[10:11], 0, s[78:79]
	v_cmp_le_i64_e32 vcc, s[34:35], v[10:11]
	v_lshl_add_u64 v[4:5], v[4:5], 0, s[90:91]
	s_mov_b64 s[40:41], 0
	s_orn2_b64 s[38:39], vcc, exec
	s_branch .LBB15_165
.LBB15_170:                             ;   in Loop: Header=BB15_32 Depth=1
	s_or_b64 exec, exec, s[0:1]
	v_lshrrev_b32_sdwa v47, v45, v34 dst_sel:DWORD dst_unused:UNUSED_PAD src0_sel:DWORD src1_sel:WORD_0
	s_and_b64 s[0:1], s[36:37], exec
.LBB15_171:                             ;   in Loop: Header=BB15_32 Depth=1
	s_or_b64 exec, exec, s[8:9]
.LBB15_172:                             ;   in Loop: Header=BB15_32 Depth=1
	s_and_b64 vcc, exec, s[6:7]
	s_cbranch_vccz .LBB15_186
; %bb.173:                              ;   in Loop: Header=BB15_32 Depth=1
	v_readlane_b32 s2, v66, 22
	s_add_u32 s24, s30, s2
	v_readlane_b32 s2, v66, 23
	s_addc_u32 s3, s31, s2
	s_mov_b32 s2, s81
	s_cmp_lg_u64 s[2:3], 0
	s_cbranch_scc0 .LBB15_205
; %bb.174:                              ;   in Loop: Header=BB15_32 Depth=1
	s_add_u32 s6, s78, 0
	s_addc_u32 s7, 0, 0
	s_xor_b64 s[6:7], s[6:7], 0
	v_cvt_f32_u32_e32 v4, s6
	v_cvt_f32_u32_e32 v5, s7
	s_sub_u32 s2, 0, s6
	s_subb_u32 s25, 0, s7
	v_fmac_f32_e32 v4, 0x4f800000, v5
	v_rcp_f32_e32 v4, v4
	s_nop 0
	v_mul_f32_e32 v4, 0x5f7ffffc, v4
	v_mul_f32_e32 v5, 0x2f800000, v4
	v_trunc_f32_e32 v5, v5
	v_fmac_f32_e32 v4, 0xcf800000, v5
	v_cvt_u32_f32_e32 v5, v5
	v_cvt_u32_f32_e32 v4, v4
	v_readfirstlane_b32 s34, v5
	v_readfirstlane_b32 s8, v4
	s_mul_i32 s9, s2, s34
	s_mul_hi_u32 s36, s2, s8
	s_mul_i32 s35, s25, s8
	s_add_i32 s9, s36, s9
	s_mul_i32 s37, s2, s8
	s_add_i32 s9, s9, s35
	s_mul_i32 s36, s8, s9
	s_mul_hi_u32 s38, s8, s37
	s_mul_hi_u32 s35, s8, s9
	s_add_u32 s36, s38, s36
	s_addc_u32 s35, 0, s35
	s_mul_hi_u32 s39, s34, s37
	s_mul_i32 s37, s34, s37
	s_add_u32 s36, s36, s37
	s_mul_hi_u32 s38, s34, s9
	s_addc_u32 s35, s35, s39
	s_addc_u32 s36, s38, 0
	s_mul_i32 s9, s34, s9
	s_add_u32 s9, s35, s9
	s_addc_u32 s35, 0, s36
	s_add_u32 s36, s8, s9
	s_cselect_b64 s[8:9], -1, 0
	s_cmp_lg_u64 s[8:9], 0
	s_addc_u32 s34, s34, s35
	s_mul_i32 s8, s2, s34
	s_mul_hi_u32 s9, s2, s36
	s_add_i32 s8, s9, s8
	s_mul_i32 s25, s25, s36
	s_add_i32 s8, s8, s25
	s_mul_i32 s2, s2, s36
	s_mul_hi_u32 s25, s34, s2
	s_mul_i32 s35, s34, s2
	s_mul_i32 s38, s36, s8
	s_mul_hi_u32 s2, s36, s2
	s_mul_hi_u32 s37, s36, s8
	s_add_u32 s2, s2, s38
	s_addc_u32 s37, 0, s37
	s_add_u32 s2, s2, s35
	s_mul_hi_u32 s9, s34, s8
	s_addc_u32 s2, s37, s25
	s_addc_u32 s9, s9, 0
	s_mul_i32 s8, s34, s8
	s_add_u32 s2, s2, s8
	s_addc_u32 s25, 0, s9
	s_add_u32 s2, s36, s2
	s_cselect_b64 s[8:9], -1, 0
	s_cmp_lg_u64 s[8:9], 0
	s_addc_u32 s25, s34, s25
	s_ashr_i32 s8, s3, 31
	s_add_u32 s34, s24, s8
	s_mov_b32 s9, s8
	s_addc_u32 s35, s3, s8
	s_xor_b64 s[34:35], s[34:35], s[8:9]
	s_mul_i32 s37, s34, s25
	s_mul_hi_u32 s38, s34, s2
	s_mul_hi_u32 s36, s34, s25
	s_add_u32 s37, s38, s37
	s_addc_u32 s36, 0, s36
	s_mul_hi_u32 s39, s35, s2
	s_mul_i32 s2, s35, s2
	s_add_u32 s2, s37, s2
	s_mul_hi_u32 s38, s35, s25
	s_addc_u32 s2, s36, s39
	s_addc_u32 s36, s38, 0
	s_mul_i32 s25, s35, s25
	s_add_u32 s2, s2, s25
	s_addc_u32 s25, 0, s36
	s_mul_i32 s25, s6, s25
	s_mul_hi_u32 s36, s6, s2
	s_add_i32 s25, s36, s25
	s_mul_i32 s36, s7, s2
	s_add_i32 s25, s25, s36
	s_sub_i32 s38, s35, s25
	s_mul_i32 s2, s6, s2
	s_sub_u32 s2, s34, s2
	s_cselect_b64 s[36:37], -1, 0
	s_cmp_lg_u64 s[36:37], 0
	s_subb_u32 s34, s38, s7
	s_sub_u32 s40, s2, s6
	s_cselect_b64 s[38:39], -1, 0
	s_cmp_lg_u64 s[38:39], 0
	s_subb_u32 s41, s34, 0
	s_cmp_ge_u32 s41, s7
	s_cselect_b32 s42, -1, 0
	s_cmp_ge_u32 s40, s6
	s_cselect_b32 s43, -1, 0
	s_cmp_eq_u32 s41, s7
	s_cselect_b32 s42, s43, s42
	s_cmp_lg_u64 s[38:39], 0
	s_subb_u32 s34, s34, s7
	s_sub_u32 s43, s40, s6
	s_cselect_b64 s[38:39], -1, 0
	s_cmp_lg_u64 s[38:39], 0
	s_subb_u32 s34, s34, 0
	s_cmp_lg_u32 s42, 0
	s_cselect_b32 s38, s43, s40
	s_cselect_b32 s34, s34, s41
	s_cmp_lg_u64 s[36:37], 0
	s_subb_u32 s25, s35, s25
	s_cmp_ge_u32 s25, s7
	s_cselect_b32 s35, -1, 0
	s_cmp_ge_u32 s2, s6
	s_cselect_b32 s6, -1, 0
	s_cmp_eq_u32 s25, s7
	s_cselect_b32 s6, s6, s35
	s_cmp_lg_u32 s6, 0
	s_cselect_b32 s7, s34, s25
	s_cselect_b32 s6, s38, s2
	s_xor_b64 s[6:7], s[6:7], s[8:9]
	s_sub_u32 s6, s6, s8
	s_subb_u32 s7, s7, s8
	s_cbranch_execnz .LBB15_176
.LBB15_175:                             ;   in Loop: Header=BB15_32 Depth=1
	v_cvt_f32_u32_e32 v4, s78
	s_sub_i32 s2, 0, s78
	v_rcp_iflag_f32_e32 v4, v4
	s_nop 0
	v_mul_f32_e32 v4, 0x4f7ffffe, v4
	v_cvt_u32_f32_e32 v4, v4
	s_nop 0
	v_readfirstlane_b32 s6, v4
	s_mul_i32 s2, s2, s6
	s_mul_hi_u32 s2, s6, s2
	s_add_i32 s6, s6, s2
	s_mul_hi_u32 s2, s24, s6
	s_mul_i32 s2, s2, s78
	s_sub_i32 s2, s24, s2
	s_sub_i32 s6, s2, s78
	s_cmp_ge_u32 s2, s78
	s_cselect_b32 s2, s6, s2
	s_sub_i32 s6, s2, s78
	s_cmp_ge_u32 s2, s78
	s_cselect_b32 s80, s6, s2
	s_mov_b64 s[6:7], s[80:81]
.LBB15_176:                             ;   in Loop: Header=BB15_32 Depth=1
	s_sub_u32 s6, s24, s6
	s_subb_u32 s7, s3, s7
	v_cmp_gt_i64_e32 vcc, s[6:7], v[0:1]
                                        ; implicit-def: $vgpr47
	s_and_saveexec_b64 s[2:3], vcc
	s_cbranch_execz .LBB15_185
; %bb.177:                              ;   in Loop: Header=BB15_32 Depth=1
	s_mov_b64 s[8:9], 0
	v_mov_b32_e32 v10, v0
	v_mov_b64_e32 v[4:5], v[0:1]
                                        ; implicit-def: $sgpr24_sgpr25
	s_branch .LBB15_180
.LBB15_178:                             ;   in Loop: Header=BB15_180 Depth=2
	s_or_b64 exec, exec, s[34:35]
	s_waitcnt lgkmcnt(0)
	s_barrier
	ds_read_u16 v11, v3 offset:3072
	s_mov_b64 s[34:35], -1
	s_waitcnt lgkmcnt(0)
	s_barrier
	v_cmp_eq_u32_sdwa s[36:37], v11, v3 src0_sel:BYTE_0 src1_sel:DWORD
	s_and_b64 vcc, exec, s[36:37]
	s_mov_b64 s[36:37], -1
	s_cbranch_vccnz .LBB15_183
.LBB15_179:                             ;   in Loop: Header=BB15_180 Depth=2
	s_and_b64 s[34:35], exec, s[34:35]
	s_or_b64 s[8:9], s[34:35], s[8:9]
	s_andn2_b64 s[24:25], s[24:25], exec
	s_and_b64 s[34:35], s[36:37], exec
	s_or_b64 s[24:25], s[24:25], s[34:35]
	s_andn2_b64 exec, exec, s[8:9]
	s_cbranch_execz .LBB15_184
.LBB15_180:                             ;   Parent Loop BB15_32 Depth=1
                                        ; =>  This Inner Loop Header: Depth=2
	v_cmp_gt_u64_e32 vcc, s[30:31], v[4:5]
	s_and_saveexec_b64 s[34:35], vcc
	s_cbranch_execz .LBB15_178
; %bb.181:                              ;   in Loop: Header=BB15_180 Depth=2
	ds_read_u8 v11, v10
	s_waitcnt lgkmcnt(0)
	v_add_u32_sdwa v34, sext(v11), s85 dst_sel:DWORD dst_unused:UNUSED_PAD src0_sel:BYTE_0 src1_sel:DWORD
	v_and_b32_e32 v34, v34, v46
	v_cmp_eq_u32_e32 vcc, v34, v44
	s_and_b64 exec, exec, vcc
	s_cbranch_execz .LBB15_178
; %bb.182:                              ;   in Loop: Header=BB15_180 Depth=2
	v_lshlrev_b16_e32 v11, 8, v11
	v_or_b32_e32 v11, 1, v11
	ds_write_b16 v3, v11 offset:3072
	s_branch .LBB15_178
.LBB15_183:                             ;   in Loop: Header=BB15_180 Depth=2
	v_lshl_add_u64 v[4:5], v[4:5], 0, s[78:79]
	v_cmp_le_i64_e32 vcc, s[6:7], v[4:5]
	v_add_u32_e32 v10, s78, v10
	s_mov_b64 s[36:37], 0
	s_orn2_b64 s[34:35], vcc, exec
	s_branch .LBB15_179
.LBB15_184:                             ;   in Loop: Header=BB15_32 Depth=1
	s_or_b64 exec, exec, s[8:9]
	s_andn2_b64 s[0:1], s[0:1], exec
	s_and_b64 s[6:7], s[24:25], exec
	v_lshrrev_b32_sdwa v47, v45, v11 dst_sel:DWORD dst_unused:UNUSED_PAD src0_sel:DWORD src1_sel:WORD_0
	s_or_b64 s[0:1], s[0:1], s[6:7]
.LBB15_185:                             ;   in Loop: Header=BB15_32 Depth=1
	s_or_b64 exec, exec, s[2:3]
	s_mov_b64 s[2:3], 0
	s_mov_b64 s[24:25], -1
.LBB15_186:                             ;   in Loop: Header=BB15_32 Depth=1
	s_orn2_b64 s[0:1], s[0:1], exec
.LBB15_187:                             ;   in Loop: Header=BB15_32 Depth=1
	s_or_b64 exec, exec, s[26:27]
	s_mov_b64 s[6:7], 0
	s_and_saveexec_b64 s[26:27], s[0:1]
	s_cbranch_execz .LBB15_295
; %bb.188:                              ;   in Loop: Header=BB15_32 Depth=1
	s_xor_b64 s[8:9], s[28:29], -1
	v_mov_b32_e32 v2, 1
	v_mov_b64_e32 v[4:5], 1
	s_and_saveexec_b64 s[0:1], s[8:9]
	s_cbranch_execz .LBB15_198
; %bb.189:                              ;   in Loop: Header=BB15_32 Depth=1
	v_cmp_le_i64_e32 vcc, v[8:9], v[6:7]
	s_and_saveexec_b64 s[6:7], vcc
	s_xor_b64 s[6:7], exec, s[6:7]
	s_cbranch_execz .LBB15_195
; %bb.190:                              ;   in Loop: Header=BB15_32 Depth=1
	ds_read_b64 v[4:5], v3 offset:5120
	v_and_b32_e32 v2, s50, v44
	v_lshl_or_b32 v44, 1, s84, v2
	v_or_b32_e32 v46, s82, v46
	s_waitcnt lgkmcnt(0)
	v_cmp_ne_u64_e32 vcc, 0, v[4:5]
	s_cbranch_vccnz .LBB15_194
; %bb.191:                              ;   in Loop: Header=BB15_32 Depth=1
	s_mov_b64 s[8:9], exec
	v_readlane_b32 s28, v66, 10
	v_readlane_b32 s29, v66, 11
	s_and_b64 s[28:29], s[8:9], s[28:29]
	s_mov_b64 exec, s[28:29]
; %bb.192:                              ;   in Loop: Header=BB15_32 Depth=1
	ds_write_b64 v3, v[6:7] offset:5128
; %bb.193:                              ;   in Loop: Header=BB15_32 Depth=1
	s_or_b64 exec, exec, s[8:9]
	s_waitcnt lgkmcnt(0)
	s_barrier
.LBB15_194:                             ;   in Loop: Header=BB15_32 Depth=1
                                        ; implicit-def: $vgpr4_vgpr5_vgpr6_vgpr7
.LBB15_195:                             ;   in Loop: Header=BB15_32 Depth=1
	s_or_saveexec_b64 s[6:7], s[6:7]
	s_mov_b64 s[8:9], 0
	v_mov_b32_e32 v2, 8
	s_xor_b64 exec, exec, s[6:7]
; %bb.196:                              ;   in Loop: Header=BB15_32 Depth=1
	v_sub_co_u32_e32 v8, vcc, v8, v6
	s_mov_b64 s[8:9], exec
	s_nop 0
	v_subb_co_u32_e32 v9, vcc, v9, v7, vcc
	v_mov_b32_e32 v2, 0
; %bb.197:                              ;   in Loop: Header=BB15_32 Depth=1
	s_or_b64 exec, exec, s[6:7]
	s_and_b64 s[6:7], s[8:9], exec
	v_mov_b64_e32 v[4:5], v[8:9]
.LBB15_198:                             ;   in Loop: Header=BB15_32 Depth=1
	s_or_b64 exec, exec, s[0:1]
	s_mov_b64 s[0:1], -1
                                        ; implicit-def: $sgpr34_sgpr35
                                        ; implicit-def: $sgpr36_sgpr37
	s_and_saveexec_b64 s[28:29], s[6:7]
	s_cbranch_execz .LBB15_294
; %bb.199:                              ;   in Loop: Header=BB15_32 Depth=1
	s_cmp_eq_u64 s[22:23], 1
	s_cselect_b64 s[0:1], -1, 0
	v_cmp_eq_u64_e32 vcc, 1, v[4:5]
	s_and_b64 s[30:31], s[0:1], vcc
	s_mov_b64 s[0:1], -1
                                        ; implicit-def: $sgpr36_sgpr37
                                        ; implicit-def: $sgpr34_sgpr35
	s_and_saveexec_b64 s[38:39], s[30:31]
	s_cbranch_execz .LBB15_234
; %bb.200:                              ;   in Loop: Header=BB15_32 Depth=1
	ds_read_b64 v[6:7], v3 offset:5120
	s_waitcnt lgkmcnt(0)
	s_barrier
	v_readfirstlane_b32 s40, v6
	v_readfirstlane_b32 s41, v7
	s_mov_b64 s[0:1], exec
	v_readlane_b32 s6, v66, 12
	v_readlane_b32 s7, v66, 13
	s_and_b64 s[6:7], s[0:1], s[6:7]
	s_mov_b64 exec, s[6:7]
; %bb.201:                              ;   in Loop: Header=BB15_32 Depth=1
	ds_write_b8 v0, v3 offset:3072
; %bb.202:                              ;   in Loop: Header=BB15_32 Depth=1
	s_or_b64 exec, exec, s[0:1]
	v_and_b32_e32 v6, s50, v44
	v_cmp_gt_i64_e64 s[0:1], s[40:41], 0
	v_lshl_or_b32 v44, 2, s84, v6
	v_or_b32_e32 v46, s82, v46
	s_mov_b64 s[34:35], -1
	s_mov_b64 s[36:37], 0
	s_and_b64 vcc, exec, s[0:1]
	s_mov_b64 s[0:1], 0
	s_mov_b64 s[6:7], -1
	s_waitcnt lgkmcnt(0)
	s_barrier
                                        ; implicit-def: $vgpr47
	s_cbranch_vccnz .LBB15_219
; %bb.203:                              ;   in Loop: Header=BB15_32 Depth=1
	s_mov_b32 s52, s81
	s_cmp_lg_u64 s[52:53], 0
	s_cbranch_scc0 .LBB15_206
; %bb.204:                              ;   in Loop: Header=BB15_32 Depth=1
	s_add_u32 s0, s78, 0
	s_addc_u32 s1, 0, 0
	s_xor_b64 s[0:1], s[0:1], 0
	v_cvt_f32_u32_e32 v6, s0
	v_cvt_f32_u32_e32 v7, s1
	s_sub_u32 s8, 0, s0
	s_subb_u32 s9, 0, s1
	s_mov_b32 s13, s53
	v_fmac_f32_e32 v6, 0x4f800000, v7
	v_rcp_f32_e32 v6, v6
	s_nop 0
	v_mul_f32_e32 v6, 0x5f7ffffc, v6
	v_mul_f32_e32 v7, 0x2f800000, v6
	v_trunc_f32_e32 v7, v7
	v_fmac_f32_e32 v6, 0xcf800000, v7
	v_cvt_u32_f32_e32 v7, v7
	v_cvt_u32_f32_e32 v6, v6
	v_readfirstlane_b32 s42, v7
	v_readfirstlane_b32 s6, v6
	s_mul_i32 s7, s8, s42
	s_mul_hi_u32 s44, s8, s6
	s_mul_i32 s43, s9, s6
	s_add_i32 s7, s44, s7
	s_mul_i32 s45, s8, s6
	s_add_i32 s7, s7, s43
	s_mul_i32 s44, s6, s7
	s_mul_hi_u32 s46, s6, s45
	s_mul_hi_u32 s43, s6, s7
	s_add_u32 s44, s46, s44
	s_addc_u32 s43, 0, s43
	s_mul_hi_u32 s47, s42, s45
	s_mul_i32 s45, s42, s45
	s_add_u32 s44, s44, s45
	s_mul_hi_u32 s46, s42, s7
	s_addc_u32 s43, s43, s47
	s_addc_u32 s44, s46, 0
	s_mul_i32 s7, s42, s7
	s_add_u32 s7, s43, s7
	s_addc_u32 s43, 0, s44
	s_add_u32 s44, s6, s7
	s_cselect_b64 s[6:7], -1, 0
	s_cmp_lg_u64 s[6:7], 0
	s_addc_u32 s42, s42, s43
	s_mul_i32 s6, s8, s42
	s_mul_hi_u32 s7, s8, s44
	s_add_i32 s6, s7, s6
	s_mul_i32 s9, s9, s44
	s_add_i32 s6, s6, s9
	s_mul_i32 s8, s8, s44
	s_mul_hi_u32 s9, s42, s8
	s_mul_i32 s43, s42, s8
	s_mul_i32 s46, s44, s6
	s_mul_hi_u32 s8, s44, s8
	s_mul_hi_u32 s45, s44, s6
	s_add_u32 s8, s8, s46
	s_addc_u32 s45, 0, s45
	s_add_u32 s8, s8, s43
	s_mul_hi_u32 s7, s42, s6
	s_addc_u32 s8, s45, s9
	s_addc_u32 s7, s7, 0
	s_mul_i32 s6, s42, s6
	s_add_u32 s6, s8, s6
	s_addc_u32 s8, 0, s7
	s_add_u32 s43, s44, s6
	s_cselect_b64 s[6:7], -1, 0
	s_cmp_lg_u64 s[6:7], 0
	s_addc_u32 s42, s42, s8
	s_ashr_i32 s6, s53, 31
	s_add_u32 s8, s93, s6
	s_mov_b32 s7, s6
	s_addc_u32 s9, s53, s6
	s_xor_b64 s[8:9], s[8:9], s[6:7]
	s_mul_i32 s45, s8, s42
	s_mul_hi_u32 s46, s8, s43
	s_mul_hi_u32 s44, s8, s42
	s_add_u32 s45, s46, s45
	s_addc_u32 s44, 0, s44
	s_mul_hi_u32 s47, s9, s43
	s_mul_i32 s43, s9, s43
	s_add_u32 s43, s45, s43
	s_mul_hi_u32 s46, s9, s42
	s_addc_u32 s43, s44, s47
	s_addc_u32 s44, s46, 0
	s_mul_i32 s42, s9, s42
	s_add_u32 s42, s43, s42
	s_addc_u32 s43, 0, s44
	s_mul_i32 s43, s0, s43
	s_mul_hi_u32 s44, s0, s42
	s_add_i32 s43, s44, s43
	s_mul_i32 s44, s1, s42
	s_add_i32 s46, s43, s44
	s_sub_i32 s44, s9, s46
	s_mul_i32 s42, s0, s42
	s_sub_u32 s8, s8, s42
	s_cselect_b64 s[42:43], -1, 0
	s_cmp_lg_u64 s[42:43], 0
	s_subb_u32 s47, s44, s1
	s_sub_u32 s48, s8, s0
	s_cselect_b64 s[44:45], -1, 0
	s_cmp_lg_u64 s[44:45], 0
	s_subb_u32 s49, s47, 0
	s_cmp_ge_u32 s49, s1
	s_cselect_b32 s51, -1, 0
	s_cmp_ge_u32 s48, s0
	s_cselect_b32 s52, -1, 0
	s_cmp_eq_u32 s49, s1
	s_cselect_b32 s51, s52, s51
	s_cmp_lg_u64 s[44:45], 0
	s_subb_u32 s47, s47, s1
	s_sub_u32 s52, s48, s0
	s_cselect_b64 s[44:45], -1, 0
	s_cmp_lg_u64 s[44:45], 0
	s_subb_u32 s44, s47, 0
	s_cmp_lg_u32 s51, 0
	s_cselect_b32 s45, s52, s48
	s_cselect_b32 s44, s44, s49
	s_cmp_lg_u64 s[42:43], 0
	s_subb_u32 s9, s9, s46
	s_cmp_ge_u32 s9, s1
	s_cselect_b32 s42, -1, 0
	s_cmp_ge_u32 s8, s0
	s_cselect_b32 s0, -1, 0
	s_cmp_eq_u32 s9, s1
	s_cselect_b32 s0, s0, s42
	s_cmp_lg_u32 s0, 0
	s_cselect_b32 s1, s44, s9
	s_cselect_b32 s0, s45, s8
	s_xor_b64 s[0:1], s[0:1], s[6:7]
	s_sub_u32 s0, s0, s6
	s_subb_u32 s1, s1, s6
	s_mov_b64 s[6:7], 0
	s_branch .LBB15_207
.LBB15_205:                             ;   in Loop: Header=BB15_32 Depth=1
                                        ; implicit-def: $sgpr6_sgpr7
	s_branch .LBB15_175
.LBB15_206:                             ;   in Loop: Header=BB15_32 Depth=1
	s_mov_b32 s13, s53
                                        ; implicit-def: $sgpr0_sgpr1
.LBB15_207:                             ;   in Loop: Header=BB15_32 Depth=1
	s_andn2_b64 vcc, exec, s[6:7]
	v_readlane_b32 s52, v66, 46
	s_cbranch_vccnz .LBB15_209
; %bb.208:                              ;   in Loop: Header=BB15_32 Depth=1
	v_cvt_f32_u32_e32 v6, s78
	s_sub_i32 s0, 0, s78
	v_rcp_iflag_f32_e32 v6, v6
	s_nop 0
	v_mul_f32_e32 v6, 0x4f7ffffe, v6
	v_cvt_u32_f32_e32 v6, v6
	s_nop 0
	v_readfirstlane_b32 s1, v6
	s_mul_i32 s0, s0, s1
	s_mul_hi_u32 s0, s1, s0
	s_add_i32 s1, s1, s0
	s_mul_hi_u32 s0, s93, s1
	s_mul_i32 s0, s0, s78
	s_sub_i32 s0, s93, s0
	s_sub_i32 s1, s0, s78
	s_cmp_ge_u32 s0, s78
	s_cselect_b32 s0, s1, s0
	s_sub_i32 s1, s0, s78
	s_cmp_ge_u32 s0, s78
	s_cselect_b32 s80, s1, s0
	s_mov_b64 s[0:1], s[80:81]
.LBB15_209:                             ;   in Loop: Header=BB15_32 Depth=1
	s_sub_u32 s42, s93, s0
	s_subb_u32 s43, s13, s1
	s_mov_b32 s53, s13
	v_cmp_gt_i64_e32 vcc, s[42:43], v[0:1]
	s_mov_b64 s[6:7], 0
	s_mov_b64 s[0:1], 0
                                        ; implicit-def: $vgpr47
	s_and_saveexec_b64 s[8:9], vcc
	s_cbranch_execz .LBB15_218
; %bb.210:                              ;   in Loop: Header=BB15_32 Depth=1
	v_mov_b64_e32 v[6:7], v[12:13]
	v_mov_b64_e32 v[8:9], v[0:1]
                                        ; implicit-def: $sgpr44_sgpr45
	s_branch .LBB15_213
.LBB15_211:                             ;   in Loop: Header=BB15_213 Depth=2
	s_or_b64 exec, exec, s[46:47]
	s_waitcnt lgkmcnt(0)
	s_barrier
	ds_read_u16 v10, v3 offset:3072
	s_mov_b64 s[46:47], -1
	s_waitcnt lgkmcnt(0)
	s_barrier
	v_cmp_ne_u32_sdwa s[48:49], v10, v3 src0_sel:BYTE_0 src1_sel:DWORD
	s_and_b64 vcc, exec, s[48:49]
	s_mov_b64 s[48:49], -1
	s_cbranch_vccz .LBB15_216
.LBB15_212:                             ;   in Loop: Header=BB15_213 Depth=2
	s_and_b64 s[46:47], exec, s[46:47]
	s_or_b64 s[0:1], s[46:47], s[0:1]
	s_andn2_b64 s[44:45], s[44:45], exec
	s_and_b64 s[46:47], s[48:49], exec
	s_or_b64 s[44:45], s[44:45], s[46:47]
	s_andn2_b64 exec, exec, s[0:1]
	s_cbranch_execz .LBB15_217
.LBB15_213:                             ;   Parent Loop BB15_32 Depth=1
                                        ; =>  This Inner Loop Header: Depth=2
	v_cmp_gt_i64_e32 vcc, s[56:57], v[8:9]
	s_and_saveexec_b64 s[46:47], vcc
	s_cbranch_execz .LBB15_211
; %bb.214:                              ;   in Loop: Header=BB15_213 Depth=2
	global_load_ubyte v10, v[6:7], off
	s_waitcnt vmcnt(0)
	v_add_u32_sdwa v11, sext(v10), s85 dst_sel:DWORD dst_unused:UNUSED_PAD src0_sel:BYTE_0 src1_sel:DWORD
	v_and_b32_e32 v11, v11, v46
	v_cmp_eq_u32_e32 vcc, v11, v44
	s_and_b64 exec, exec, vcc
	s_cbranch_execz .LBB15_211
; %bb.215:                              ;   in Loop: Header=BB15_213 Depth=2
	v_lshlrev_b16_e32 v10, 8, v10
	v_or_b32_e32 v10, 1, v10
	ds_write_b16 v3, v10 offset:3072
	s_branch .LBB15_211
.LBB15_216:                             ;   in Loop: Header=BB15_213 Depth=2
	v_lshl_add_u64 v[8:9], v[8:9], 0, s[78:79]
	v_cmp_le_i64_e32 vcc, s[42:43], v[8:9]
	v_lshl_add_u64 v[6:7], v[6:7], 0, s[90:91]
	s_mov_b64 s[48:49], 0
	s_orn2_b64 s[46:47], vcc, exec
	s_branch .LBB15_212
.LBB15_217:                             ;   in Loop: Header=BB15_32 Depth=1
	s_or_b64 exec, exec, s[0:1]
	v_lshrrev_b32_sdwa v47, v45, v10 dst_sel:DWORD dst_unused:UNUSED_PAD src0_sel:DWORD src1_sel:WORD_0
	s_and_b64 s[0:1], s[44:45], exec
.LBB15_218:                             ;   in Loop: Header=BB15_32 Depth=1
	s_or_b64 exec, exec, s[8:9]
	v_readlane_b32 s48, v66, 42
	v_readlane_b32 s49, v66, 43
.LBB15_219:                             ;   in Loop: Header=BB15_32 Depth=1
	s_and_b64 vcc, exec, s[6:7]
	s_cbranch_vccz .LBB15_233
; %bb.220:                              ;   in Loop: Header=BB15_32 Depth=1
	v_readlane_b32 s6, v66, 22
	s_add_u32 s36, s40, s6
	v_readlane_b32 s6, v66, 23
	s_addc_u32 s7, s41, s6
	s_mov_b32 s6, s81
	s_cmp_lg_u64 s[6:7], 0
	s_cbranch_scc0 .LBB15_251
; %bb.221:                              ;   in Loop: Header=BB15_32 Depth=1
	s_add_u32 s8, s78, 0
	s_addc_u32 s9, 0, 0
	s_xor_b64 s[8:9], s[8:9], 0
	v_cvt_f32_u32_e32 v6, s8
	v_cvt_f32_u32_e32 v7, s9
	s_sub_u32 s6, 0, s8
	s_subb_u32 s37, 0, s9
	v_fmac_f32_e32 v6, 0x4f800000, v7
	v_rcp_f32_e32 v6, v6
	s_nop 0
	v_mul_f32_e32 v6, 0x5f7ffffc, v6
	v_mul_f32_e32 v7, 0x2f800000, v6
	v_trunc_f32_e32 v7, v7
	v_fmac_f32_e32 v6, 0xcf800000, v7
	v_cvt_u32_f32_e32 v7, v7
	v_cvt_u32_f32_e32 v6, v6
	v_readfirstlane_b32 s42, v7
	v_readfirstlane_b32 s34, v6
	s_mul_i32 s35, s6, s42
	s_mul_hi_u32 s44, s6, s34
	s_mul_i32 s43, s37, s34
	s_add_i32 s35, s44, s35
	s_mul_i32 s45, s6, s34
	s_add_i32 s35, s35, s43
	s_mul_i32 s44, s34, s35
	s_mul_hi_u32 s46, s34, s45
	s_mul_hi_u32 s43, s34, s35
	s_add_u32 s44, s46, s44
	s_addc_u32 s43, 0, s43
	s_mul_hi_u32 s47, s42, s45
	s_mul_i32 s45, s42, s45
	s_add_u32 s44, s44, s45
	s_mul_hi_u32 s46, s42, s35
	s_addc_u32 s43, s43, s47
	s_addc_u32 s44, s46, 0
	s_mul_i32 s35, s42, s35
	s_add_u32 s35, s43, s35
	s_addc_u32 s43, 0, s44
	s_add_u32 s44, s34, s35
	s_cselect_b64 s[34:35], -1, 0
	s_cmp_lg_u64 s[34:35], 0
	s_addc_u32 s42, s42, s43
	s_mul_i32 s34, s6, s42
	s_mul_hi_u32 s35, s6, s44
	s_add_i32 s34, s35, s34
	s_mul_i32 s37, s37, s44
	s_add_i32 s34, s34, s37
	s_mul_i32 s6, s6, s44
	s_mul_hi_u32 s37, s42, s6
	s_mul_i32 s43, s42, s6
	s_mul_i32 s46, s44, s34
	s_mul_hi_u32 s6, s44, s6
	s_mul_hi_u32 s45, s44, s34
	s_add_u32 s6, s6, s46
	s_addc_u32 s45, 0, s45
	s_add_u32 s6, s6, s43
	s_mul_hi_u32 s35, s42, s34
	s_addc_u32 s6, s45, s37
	s_addc_u32 s35, s35, 0
	s_mul_i32 s34, s42, s34
	s_add_u32 s6, s6, s34
	s_addc_u32 s37, 0, s35
	s_add_u32 s6, s44, s6
	s_cselect_b64 s[34:35], -1, 0
	s_cmp_lg_u64 s[34:35], 0
	s_addc_u32 s37, s42, s37
	s_ashr_i32 s34, s7, 31
	s_add_u32 s42, s36, s34
	s_mov_b32 s35, s34
	s_addc_u32 s43, s7, s34
	s_xor_b64 s[42:43], s[42:43], s[34:35]
	s_mul_i32 s45, s42, s37
	s_mul_hi_u32 s46, s42, s6
	s_mul_hi_u32 s44, s42, s37
	s_add_u32 s45, s46, s45
	s_addc_u32 s44, 0, s44
	s_mul_hi_u32 s47, s43, s6
	s_mul_i32 s6, s43, s6
	s_add_u32 s6, s45, s6
	s_mul_hi_u32 s46, s43, s37
	s_addc_u32 s6, s44, s47
	s_addc_u32 s44, s46, 0
	s_mul_i32 s37, s43, s37
	s_add_u32 s6, s6, s37
	s_addc_u32 s37, 0, s44
	s_mul_i32 s37, s8, s37
	s_mul_hi_u32 s44, s8, s6
	s_add_i32 s37, s44, s37
	s_mul_i32 s44, s9, s6
	s_add_i32 s37, s37, s44
	s_sub_i32 s46, s43, s37
	s_mul_i32 s6, s8, s6
	s_sub_u32 s6, s42, s6
	s_cselect_b64 s[44:45], -1, 0
	s_cmp_lg_u64 s[44:45], 0
	s_subb_u32 s42, s46, s9
	s_sub_u32 s48, s6, s8
	s_cselect_b64 s[46:47], -1, 0
	s_cmp_lg_u64 s[46:47], 0
	s_subb_u32 s49, s42, 0
	s_cmp_ge_u32 s49, s9
	s_cselect_b32 s51, -1, 0
	s_cmp_ge_u32 s48, s8
	s_cselect_b32 s52, -1, 0
	s_cmp_eq_u32 s49, s9
	s_cselect_b32 s51, s52, s51
	s_cmp_lg_u64 s[46:47], 0
	s_subb_u32 s42, s42, s9
	s_sub_u32 s52, s48, s8
	s_cselect_b64 s[46:47], -1, 0
	s_cmp_lg_u64 s[46:47], 0
	s_subb_u32 s42, s42, 0
	s_cmp_lg_u32 s51, 0
	s_cselect_b32 s46, s52, s48
	s_cselect_b32 s42, s42, s49
	s_cmp_lg_u64 s[44:45], 0
	s_subb_u32 s37, s43, s37
	s_cmp_ge_u32 s37, s9
	s_cselect_b32 s43, -1, 0
	s_cmp_ge_u32 s6, s8
	s_cselect_b32 s8, -1, 0
	s_cmp_eq_u32 s37, s9
	s_cselect_b32 s8, s8, s43
	s_cmp_lg_u32 s8, 0
	s_cselect_b32 s9, s42, s37
	s_cselect_b32 s8, s46, s6
	s_xor_b64 s[8:9], s[8:9], s[34:35]
	v_readlane_b32 s48, v66, 42
	s_sub_u32 s8, s8, s34
	v_readlane_b32 s52, v66, 46
	v_readlane_b32 s49, v66, 43
	s_subb_u32 s9, s9, s34
	s_cbranch_execnz .LBB15_223
.LBB15_222:                             ;   in Loop: Header=BB15_32 Depth=1
	v_cvt_f32_u32_e32 v6, s78
	s_sub_i32 s6, 0, s78
	v_rcp_iflag_f32_e32 v6, v6
	s_nop 0
	v_mul_f32_e32 v6, 0x4f7ffffe, v6
	v_cvt_u32_f32_e32 v6, v6
	s_nop 0
	v_readfirstlane_b32 s8, v6
	s_mul_i32 s6, s6, s8
	s_mul_hi_u32 s6, s8, s6
	s_add_i32 s8, s8, s6
	s_mul_hi_u32 s6, s36, s8
	s_mul_i32 s6, s6, s78
	s_sub_i32 s6, s36, s6
	s_sub_i32 s8, s6, s78
	s_cmp_ge_u32 s6, s78
	s_cselect_b32 s6, s8, s6
	s_sub_i32 s8, s6, s78
	s_cmp_ge_u32 s6, s78
	s_cselect_b32 s80, s8, s6
	s_mov_b64 s[8:9], s[80:81]
.LBB15_223:                             ;   in Loop: Header=BB15_32 Depth=1
	s_sub_u32 s8, s36, s8
	s_subb_u32 s9, s7, s9
	v_cmp_gt_i64_e32 vcc, s[8:9], v[0:1]
                                        ; implicit-def: $vgpr47
	s_and_saveexec_b64 s[6:7], vcc
	s_cbranch_execz .LBB15_232
; %bb.224:                              ;   in Loop: Header=BB15_32 Depth=1
	s_mov_b64 s[34:35], 0
	v_mov_b32_e32 v8, v0
	v_mov_b64_e32 v[6:7], v[0:1]
                                        ; implicit-def: $sgpr36_sgpr37
	s_branch .LBB15_227
.LBB15_225:                             ;   in Loop: Header=BB15_227 Depth=2
	s_or_b64 exec, exec, s[42:43]
	s_waitcnt lgkmcnt(0)
	s_barrier
	ds_read_u16 v9, v3 offset:3072
	s_mov_b64 s[42:43], -1
	s_waitcnt lgkmcnt(0)
	s_barrier
	v_cmp_eq_u32_sdwa s[44:45], v9, v3 src0_sel:BYTE_0 src1_sel:DWORD
	s_and_b64 vcc, exec, s[44:45]
	s_mov_b64 s[44:45], -1
	s_cbranch_vccnz .LBB15_230
.LBB15_226:                             ;   in Loop: Header=BB15_227 Depth=2
	s_and_b64 s[42:43], exec, s[42:43]
	s_or_b64 s[34:35], s[42:43], s[34:35]
	s_andn2_b64 s[36:37], s[36:37], exec
	s_and_b64 s[42:43], s[44:45], exec
	s_or_b64 s[36:37], s[36:37], s[42:43]
	s_andn2_b64 exec, exec, s[34:35]
	s_cbranch_execz .LBB15_231
.LBB15_227:                             ;   Parent Loop BB15_32 Depth=1
                                        ; =>  This Inner Loop Header: Depth=2
	v_cmp_gt_u64_e32 vcc, s[40:41], v[6:7]
	s_and_saveexec_b64 s[42:43], vcc
	s_cbranch_execz .LBB15_225
; %bb.228:                              ;   in Loop: Header=BB15_227 Depth=2
	ds_read_u8 v9, v8
	s_waitcnt lgkmcnt(0)
	v_add_u32_sdwa v10, sext(v9), s85 dst_sel:DWORD dst_unused:UNUSED_PAD src0_sel:BYTE_0 src1_sel:DWORD
	v_and_b32_e32 v10, v10, v46
	v_cmp_eq_u32_e32 vcc, v10, v44
	s_and_b64 exec, exec, vcc
	s_cbranch_execz .LBB15_225
; %bb.229:                              ;   in Loop: Header=BB15_227 Depth=2
	v_lshlrev_b16_e32 v9, 8, v9
	v_or_b32_e32 v9, 1, v9
	ds_write_b16 v3, v9 offset:3072
	s_branch .LBB15_225
.LBB15_230:                             ;   in Loop: Header=BB15_227 Depth=2
	v_lshl_add_u64 v[6:7], v[6:7], 0, s[78:79]
	v_cmp_le_i64_e32 vcc, s[8:9], v[6:7]
	v_add_u32_e32 v8, s78, v8
	s_mov_b64 s[44:45], 0
	s_orn2_b64 s[42:43], vcc, exec
	s_branch .LBB15_226
.LBB15_231:                             ;   in Loop: Header=BB15_32 Depth=1
	s_or_b64 exec, exec, s[34:35]
	s_andn2_b64 s[0:1], s[0:1], exec
	s_and_b64 s[8:9], s[36:37], exec
	v_lshrrev_b32_sdwa v47, v45, v9 dst_sel:DWORD dst_unused:UNUSED_PAD src0_sel:DWORD src1_sel:WORD_0
	s_or_b64 s[0:1], s[0:1], s[8:9]
.LBB15_232:                             ;   in Loop: Header=BB15_32 Depth=1
	s_or_b64 exec, exec, s[6:7]
	s_mov_b64 s[34:35], 0
	s_mov_b64 s[36:37], -1
.LBB15_233:                             ;   in Loop: Header=BB15_32 Depth=1
	s_orn2_b64 s[0:1], s[0:1], exec
.LBB15_234:                             ;   in Loop: Header=BB15_32 Depth=1
	s_or_b64 exec, exec, s[38:39]
	s_mov_b64 s[6:7], 0
	s_and_saveexec_b64 s[38:39], s[0:1]
	s_cbranch_execz .LBB15_293
; %bb.235:                              ;   in Loop: Header=BB15_32 Depth=1
	s_xor_b64 s[6:7], s[30:31], -1
	v_mov_b32_e32 v2, 1
	s_mov_b64 s[30:31], 0
	v_mov_b64_e32 v[6:7], 1
	s_and_saveexec_b64 s[0:1], s[6:7]
	s_cbranch_execz .LBB15_244
; %bb.236:                              ;   in Loop: Header=BB15_32 Depth=1
	v_cmp_ge_i64_e32 vcc, s[22:23], v[4:5]
	s_and_saveexec_b64 s[6:7], vcc
	s_xor_b64 s[6:7], exec, s[6:7]
	s_cbranch_execz .LBB15_241
; %bb.237:                              ;   in Loop: Header=BB15_32 Depth=1
	ds_read_b64 v[6:7], v3 offset:5120
	v_and_b32_e32 v2, s50, v44
	v_lshl_or_b32 v44, 2, s84, v2
	v_or_b32_e32 v46, s82, v46
	s_waitcnt lgkmcnt(0)
	v_cmp_ne_u64_e32 vcc, 0, v[6:7]
	s_cbranch_vccnz .LBB15_241
; %bb.238:                              ;   in Loop: Header=BB15_32 Depth=1
	s_mov_b64 s[8:9], exec
	v_readlane_b32 s30, v66, 10
	v_readlane_b32 s31, v66, 11
	s_and_b64 s[30:31], s[8:9], s[30:31]
	s_mov_b64 exec, s[30:31]
; %bb.239:                              ;   in Loop: Header=BB15_32 Depth=1
	v_mov_b64_e32 v[6:7], s[22:23]
	ds_write_b64 v3, v[6:7] offset:5128
; %bb.240:                              ;   in Loop: Header=BB15_32 Depth=1
	s_or_b64 exec, exec, s[8:9]
	s_waitcnt lgkmcnt(0)
	s_barrier
.LBB15_241:                             ;   in Loop: Header=BB15_32 Depth=1
	s_or_saveexec_b64 s[6:7], s[6:7]
	s_mov_b64 s[8:9], 0
	v_mov_b32_e32 v2, 8
	s_xor_b64 exec, exec, s[6:7]
; %bb.242:                              ;   in Loop: Header=BB15_32 Depth=1
	v_mov_b32_e32 v2, s23
	v_subrev_co_u32_e32 v4, vcc, s22, v4
	s_mov_b64 s[8:9], exec
	s_nop 0
	v_subb_co_u32_e32 v5, vcc, v5, v2, vcc
	v_mov_b32_e32 v2, 0
; %bb.243:                              ;   in Loop: Header=BB15_32 Depth=1
	s_or_b64 exec, exec, s[6:7]
	s_and_b64 s[30:31], s[8:9], exec
	v_mov_b64_e32 v[6:7], v[4:5]
.LBB15_244:                             ;   in Loop: Header=BB15_32 Depth=1
	s_or_b64 exec, exec, s[0:1]
	s_mov_b64 s[6:7], -1
                                        ; implicit-def: $sgpr8_sgpr9
                                        ; implicit-def: $sgpr0_sgpr1
	s_and_saveexec_b64 s[22:23], s[30:31]
	s_cbranch_execz .LBB15_292
; %bb.245:                              ;   in Loop: Header=BB15_32 Depth=1
	s_cmp_eq_u64 s[14:15], 1
	s_cselect_b64 s[0:1], -1, 0
	v_cmp_eq_u64_e32 vcc, 1, v[6:7]
	s_and_b64 s[30:31], s[0:1], vcc
	s_mov_b64 s[42:43], -1
                                        ; implicit-def: $sgpr8_sgpr9
                                        ; implicit-def: $sgpr0_sgpr1
	s_and_saveexec_b64 s[40:41], s[30:31]
	s_cbranch_execz .LBB15_280
; %bb.246:                              ;   in Loop: Header=BB15_32 Depth=1
	ds_read_b64 v[4:5], v3 offset:5120
	s_waitcnt lgkmcnt(0)
	s_barrier
	v_readfirstlane_b32 s42, v4
	v_readfirstlane_b32 s43, v5
	s_mov_b64 s[0:1], exec
	v_readlane_b32 s6, v66, 12
	v_readlane_b32 s7, v66, 13
	s_and_b64 s[6:7], s[0:1], s[6:7]
	s_mov_b64 exec, s[6:7]
; %bb.247:                              ;   in Loop: Header=BB15_32 Depth=1
	ds_write_b8 v0, v3 offset:3072
; %bb.248:                              ;   in Loop: Header=BB15_32 Depth=1
	s_or_b64 exec, exec, s[0:1]
	v_cmp_gt_i64_e64 s[6:7], s[42:43], 0
	v_or_b32_e32 v44, s82, v44
	v_or_b32_e32 v46, s82, v46
	s_mov_b64 s[0:1], -1
	s_mov_b64 s[8:9], 0
	s_and_b64 vcc, exec, s[6:7]
	s_mov_b64 s[6:7], 0
	s_mov_b64 s[44:45], -1
	s_waitcnt lgkmcnt(0)
	s_barrier
                                        ; implicit-def: $vgpr47
	s_cbranch_vccnz .LBB15_265
; %bb.249:                              ;   in Loop: Header=BB15_32 Depth=1
	s_mov_b32 s52, s81
	s_mov_b32 s12, s64
	v_readlane_b32 s6, v66, 16
	s_cmp_lg_u64 s[52:53], 0
	s_mov_b32 s55, s53
	v_readlane_b32 s7, v66, 17
	s_cbranch_scc0 .LBB15_252
; %bb.250:                              ;   in Loop: Header=BB15_32 Depth=1
	s_add_u32 s6, s78, 0
	s_addc_u32 s7, 0, 0
	s_xor_b64 s[6:7], s[6:7], 0
	v_cvt_f32_u32_e32 v4, s6
	v_cvt_f32_u32_e32 v5, s7
	s_sub_u32 s46, 0, s6
	s_subb_u32 s47, 0, s7
	s_mov_b32 s13, s55
	v_fmac_f32_e32 v4, 0x4f800000, v5
	v_rcp_f32_e32 v4, v4
	s_nop 0
	v_mul_f32_e32 v4, 0x5f7ffffc, v4
	v_mul_f32_e32 v5, 0x2f800000, v4
	v_trunc_f32_e32 v5, v5
	v_fmac_f32_e32 v4, 0xcf800000, v5
	v_cvt_u32_f32_e32 v5, v5
	v_cvt_u32_f32_e32 v4, v4
	v_readfirstlane_b32 s48, v5
	v_readfirstlane_b32 s44, v4
	s_mul_i32 s45, s46, s48
	s_mul_hi_u32 s50, s46, s44
	s_mul_i32 s49, s47, s44
	s_add_i32 s45, s50, s45
	s_mul_i32 s51, s46, s44
	s_add_i32 s45, s45, s49
	s_mul_i32 s50, s44, s45
	s_mul_hi_u32 s52, s44, s51
	s_mul_hi_u32 s49, s44, s45
	s_add_u32 s50, s52, s50
	s_addc_u32 s49, 0, s49
	s_mul_hi_u32 s53, s48, s51
	s_mul_i32 s51, s48, s51
	s_add_u32 s50, s50, s51
	s_mul_hi_u32 s52, s48, s45
	s_addc_u32 s49, s49, s53
	s_addc_u32 s50, s52, 0
	s_mul_i32 s45, s48, s45
	s_add_u32 s45, s49, s45
	s_addc_u32 s49, 0, s50
	s_add_u32 s50, s44, s45
	s_cselect_b64 s[44:45], -1, 0
	s_cmp_lg_u64 s[44:45], 0
	s_addc_u32 s48, s48, s49
	s_mul_i32 s44, s46, s48
	s_mul_hi_u32 s45, s46, s50
	s_add_i32 s44, s45, s44
	s_mul_i32 s47, s47, s50
	s_add_i32 s44, s44, s47
	s_mul_i32 s46, s46, s50
	s_mul_hi_u32 s47, s48, s46
	s_mul_i32 s49, s48, s46
	s_mul_i32 s52, s50, s44
	s_mul_hi_u32 s46, s50, s46
	s_mul_hi_u32 s51, s50, s44
	s_add_u32 s46, s46, s52
	s_addc_u32 s51, 0, s51
	s_add_u32 s46, s46, s49
	s_mul_hi_u32 s45, s48, s44
	s_addc_u32 s46, s51, s47
	s_addc_u32 s45, s45, 0
	s_mul_i32 s44, s48, s44
	s_add_u32 s44, s46, s44
	s_addc_u32 s46, 0, s45
	s_add_u32 s49, s50, s44
	s_cselect_b64 s[44:45], -1, 0
	s_cmp_lg_u64 s[44:45], 0
	s_addc_u32 s48, s48, s46
	s_ashr_i32 s44, s55, 31
	s_add_u32 s46, s93, s44
	s_mov_b32 s45, s44
	s_addc_u32 s47, s55, s44
	s_xor_b64 s[46:47], s[46:47], s[44:45]
	s_mul_i32 s51, s46, s48
	s_mul_hi_u32 s52, s46, s49
	s_mul_hi_u32 s50, s46, s48
	s_add_u32 s51, s52, s51
	s_addc_u32 s50, 0, s50
	s_mul_hi_u32 s53, s47, s49
	s_mul_i32 s49, s47, s49
	s_add_u32 s49, s51, s49
	s_mul_hi_u32 s52, s47, s48
	s_addc_u32 s49, s50, s53
	s_addc_u32 s50, s52, 0
	s_mul_i32 s48, s47, s48
	s_add_u32 s48, s49, s48
	s_addc_u32 s49, 0, s50
	s_mul_i32 s49, s6, s49
	s_mul_hi_u32 s50, s6, s48
	s_add_i32 s49, s50, s49
	s_mul_i32 s50, s7, s48
	s_add_i32 s52, s49, s50
	s_sub_i32 s50, s47, s52
	s_mul_i32 s48, s6, s48
	s_sub_u32 s46, s46, s48
	s_cselect_b64 s[48:49], -1, 0
	s_cmp_lg_u64 s[48:49], 0
	s_subb_u32 s53, s50, s7
	s_sub_u32 s54, s46, s6
	s_cselect_b64 s[50:51], -1, 0
	s_cmp_lg_u64 s[50:51], 0
	s_subb_u32 s55, s53, 0
	s_cmp_ge_u32 s55, s7
	s_cselect_b32 s64, -1, 0
	s_cmp_ge_u32 s54, s6
	s_cselect_b32 s65, -1, 0
	s_cmp_eq_u32 s55, s7
	s_cselect_b32 s64, s65, s64
	s_cmp_lg_u64 s[50:51], 0
	s_subb_u32 s53, s53, s7
	s_sub_u32 s65, s54, s6
	s_cselect_b64 s[50:51], -1, 0
	s_cmp_lg_u64 s[50:51], 0
	s_subb_u32 s50, s53, 0
	s_cmp_lg_u32 s64, 0
	s_cselect_b32 s51, s65, s54
	s_cselect_b32 s50, s50, s55
	s_cmp_lg_u64 s[48:49], 0
	s_subb_u32 s47, s47, s52
	s_cmp_ge_u32 s47, s7
	s_cselect_b32 s48, -1, 0
	s_cmp_ge_u32 s46, s6
	s_cselect_b32 s6, -1, 0
	s_cmp_eq_u32 s47, s7
	s_cselect_b32 s6, s6, s48
	s_cmp_lg_u32 s6, 0
	s_cselect_b32 s7, s50, s47
	s_cselect_b32 s6, s51, s46
	s_xor_b64 s[6:7], s[6:7], s[44:45]
	s_sub_u32 s6, s6, s44
	s_subb_u32 s7, s7, s44
	s_mov_b64 s[44:45], 0
	s_branch .LBB15_253
.LBB15_251:                             ;   in Loop: Header=BB15_32 Depth=1
                                        ; implicit-def: $sgpr8_sgpr9
	s_branch .LBB15_222
.LBB15_252:                             ;   in Loop: Header=BB15_32 Depth=1
	s_mov_b32 s13, s55
                                        ; implicit-def: $sgpr6_sgpr7
.LBB15_253:                             ;   in Loop: Header=BB15_32 Depth=1
	s_andn2_b64 vcc, exec, s[44:45]
	v_readlane_b32 s52, v66, 46
	s_cbranch_vccnz .LBB15_255
; %bb.254:                              ;   in Loop: Header=BB15_32 Depth=1
	v_cvt_f32_u32_e32 v4, s78
	s_sub_i32 s6, 0, s78
	v_rcp_iflag_f32_e32 v4, v4
	s_nop 0
	v_mul_f32_e32 v4, 0x4f7ffffe, v4
	v_cvt_u32_f32_e32 v4, v4
	s_nop 0
	v_readfirstlane_b32 s7, v4
	s_mul_i32 s6, s6, s7
	s_mul_hi_u32 s6, s7, s6
	s_add_i32 s7, s7, s6
	s_mul_hi_u32 s6, s93, s7
	s_mul_i32 s6, s6, s78
	s_sub_i32 s6, s93, s6
	s_sub_i32 s7, s6, s78
	s_cmp_ge_u32 s6, s78
	s_cselect_b32 s6, s7, s6
	s_sub_i32 s7, s6, s78
	s_cmp_ge_u32 s6, s78
	s_cselect_b32 s80, s7, s6
	s_mov_b64 s[6:7], s[80:81]
.LBB15_255:                             ;   in Loop: Header=BB15_32 Depth=1
	s_sub_u32 s48, s93, s6
	s_subb_u32 s49, s13, s7
	s_mov_b32 s53, s13
	v_cmp_gt_i64_e32 vcc, s[48:49], v[0:1]
	s_mov_b64 s[44:45], 0
	s_mov_b64 s[6:7], 0
                                        ; implicit-def: $vgpr47
	s_and_saveexec_b64 s[46:47], vcc
	s_mov_b32 s64, s12
	s_cbranch_execz .LBB15_264
; %bb.256:                              ;   in Loop: Header=BB15_32 Depth=1
	s_mov_b32 s13, s53
	v_mov_b64_e32 v[4:5], v[12:13]
	v_mov_b64_e32 v[8:9], v[0:1]
                                        ; implicit-def: $sgpr50_sgpr51
	s_branch .LBB15_259
.LBB15_257:                             ;   in Loop: Header=BB15_259 Depth=2
	s_or_b64 exec, exec, s[52:53]
	s_waitcnt lgkmcnt(0)
	s_barrier
	ds_read_u16 v10, v3 offset:3072
	s_mov_b64 s[52:53], -1
	s_waitcnt lgkmcnt(0)
	s_barrier
	v_cmp_ne_u32_sdwa s[54:55], v10, v3 src0_sel:BYTE_0 src1_sel:DWORD
	s_and_b64 vcc, exec, s[54:55]
	s_mov_b64 s[54:55], -1
	s_cbranch_vccz .LBB15_262
.LBB15_258:                             ;   in Loop: Header=BB15_259 Depth=2
	s_and_b64 s[52:53], exec, s[52:53]
	s_or_b64 s[6:7], s[52:53], s[6:7]
	s_andn2_b64 s[50:51], s[50:51], exec
	s_and_b64 s[52:53], s[54:55], exec
	s_or_b64 s[50:51], s[50:51], s[52:53]
	s_andn2_b64 exec, exec, s[6:7]
	s_cbranch_execz .LBB15_263
.LBB15_259:                             ;   Parent Loop BB15_32 Depth=1
                                        ; =>  This Inner Loop Header: Depth=2
	v_cmp_gt_i64_e32 vcc, s[56:57], v[8:9]
	s_and_saveexec_b64 s[52:53], vcc
	s_cbranch_execz .LBB15_257
; %bb.260:                              ;   in Loop: Header=BB15_259 Depth=2
	global_load_ubyte v10, v[4:5], off
	s_waitcnt vmcnt(0)
	v_add_u32_sdwa v11, sext(v10), s85 dst_sel:DWORD dst_unused:UNUSED_PAD src0_sel:BYTE_0 src1_sel:DWORD
	v_and_b32_e32 v11, v11, v46
	v_cmp_eq_u32_e32 vcc, v11, v44
	s_and_b64 exec, exec, vcc
	s_cbranch_execz .LBB15_257
; %bb.261:                              ;   in Loop: Header=BB15_259 Depth=2
	v_lshlrev_b16_e32 v10, 8, v10
	v_or_b32_e32 v10, 1, v10
	ds_write_b16 v3, v10 offset:3072
	s_branch .LBB15_257
.LBB15_262:                             ;   in Loop: Header=BB15_259 Depth=2
	v_lshl_add_u64 v[8:9], v[8:9], 0, s[78:79]
	v_cmp_le_i64_e32 vcc, s[48:49], v[8:9]
	v_lshl_add_u64 v[4:5], v[4:5], 0, s[90:91]
	s_mov_b64 s[54:55], 0
	s_orn2_b64 s[52:53], vcc, exec
	s_branch .LBB15_258
.LBB15_263:                             ;   in Loop: Header=BB15_32 Depth=1
	s_or_b64 exec, exec, s[6:7]
	v_lshrrev_b32_sdwa v47, v45, v10 dst_sel:DWORD dst_unused:UNUSED_PAD src0_sel:DWORD src1_sel:WORD_0
	s_and_b64 s[6:7], s[50:51], exec
	s_mov_b32 s53, s13
	v_readlane_b32 s52, v66, 46
.LBB15_264:                             ;   in Loop: Header=BB15_32 Depth=1
	s_or_b64 exec, exec, s[46:47]
	v_readlane_b32 s54, v66, 40
	v_readlane_b32 s48, v66, 42
	;; [unrolled: 1-line block ×4, first 2 shown]
.LBB15_265:                             ;   in Loop: Header=BB15_32 Depth=1
	s_and_b64 vcc, exec, s[44:45]
	s_cbranch_vccz .LBB15_279
; %bb.266:                              ;   in Loop: Header=BB15_32 Depth=1
	v_readlane_b32 s0, v66, 22
	s_add_u32 s46, s42, s0
	v_readlane_b32 s0, v66, 23
	s_addc_u32 s1, s43, s0
	s_mov_b32 s0, s81
	s_mov_b32 s13, s53
	s_cmp_lg_u64 s[0:1], 0
	s_cbranch_scc0 .LBB15_299
; %bb.267:                              ;   in Loop: Header=BB15_32 Depth=1
	s_add_u32 s8, s78, 0
	s_addc_u32 s9, 0, 0
	s_xor_b64 s[8:9], s[8:9], 0
	v_cvt_f32_u32_e32 v4, s8
	v_cvt_f32_u32_e32 v5, s9
	s_sub_u32 s0, 0, s8
	s_subb_u32 s47, 0, s9
	s_mov_b32 s12, s64
	v_fmac_f32_e32 v4, 0x4f800000, v5
	v_rcp_f32_e32 v4, v4
	s_nop 0
	v_mul_f32_e32 v4, 0x5f7ffffc, v4
	v_mul_f32_e32 v5, 0x2f800000, v4
	v_trunc_f32_e32 v5, v5
	v_fmac_f32_e32 v4, 0xcf800000, v5
	v_cvt_u32_f32_e32 v5, v5
	v_cvt_u32_f32_e32 v4, v4
	v_readfirstlane_b32 s48, v5
	v_readfirstlane_b32 s44, v4
	s_mul_i32 s45, s0, s48
	s_mul_hi_u32 s50, s0, s44
	s_mul_i32 s49, s47, s44
	s_add_i32 s45, s50, s45
	s_mul_i32 s51, s0, s44
	s_add_i32 s45, s45, s49
	s_mul_i32 s50, s44, s45
	s_mul_hi_u32 s52, s44, s51
	s_mul_hi_u32 s49, s44, s45
	s_add_u32 s50, s52, s50
	s_addc_u32 s49, 0, s49
	s_mul_hi_u32 s53, s48, s51
	s_mul_i32 s51, s48, s51
	s_add_u32 s50, s50, s51
	s_mul_hi_u32 s52, s48, s45
	s_addc_u32 s49, s49, s53
	s_addc_u32 s50, s52, 0
	s_mul_i32 s45, s48, s45
	s_add_u32 s45, s49, s45
	s_addc_u32 s49, 0, s50
	s_add_u32 s50, s44, s45
	s_cselect_b64 s[44:45], -1, 0
	s_cmp_lg_u64 s[44:45], 0
	s_addc_u32 s48, s48, s49
	s_mul_i32 s44, s0, s48
	s_mul_hi_u32 s45, s0, s50
	s_add_i32 s44, s45, s44
	s_mul_i32 s47, s47, s50
	s_add_i32 s44, s44, s47
	s_mul_i32 s0, s0, s50
	s_mul_hi_u32 s47, s48, s0
	s_mul_i32 s49, s48, s0
	s_mul_i32 s52, s50, s44
	s_mul_hi_u32 s0, s50, s0
	s_mul_hi_u32 s51, s50, s44
	s_add_u32 s0, s0, s52
	s_addc_u32 s51, 0, s51
	s_add_u32 s0, s0, s49
	s_mul_hi_u32 s45, s48, s44
	s_addc_u32 s0, s51, s47
	s_addc_u32 s45, s45, 0
	s_mul_i32 s44, s48, s44
	s_add_u32 s0, s0, s44
	s_addc_u32 s47, 0, s45
	s_add_u32 s0, s50, s0
	s_cselect_b64 s[44:45], -1, 0
	s_cmp_lg_u64 s[44:45], 0
	s_addc_u32 s47, s48, s47
	s_ashr_i32 s44, s1, 31
	s_add_u32 s48, s46, s44
	s_mov_b32 s45, s44
	s_addc_u32 s49, s1, s44
	s_xor_b64 s[48:49], s[48:49], s[44:45]
	s_mul_i32 s51, s48, s47
	s_mul_hi_u32 s52, s48, s0
	s_mul_hi_u32 s50, s48, s47
	s_add_u32 s51, s52, s51
	s_addc_u32 s50, 0, s50
	s_mul_hi_u32 s53, s49, s0
	s_mul_i32 s0, s49, s0
	s_add_u32 s0, s51, s0
	s_mul_hi_u32 s52, s49, s47
	s_addc_u32 s0, s50, s53
	s_addc_u32 s50, s52, 0
	s_mul_i32 s47, s49, s47
	s_add_u32 s0, s0, s47
	s_addc_u32 s47, 0, s50
	s_mul_i32 s47, s8, s47
	s_mul_hi_u32 s50, s8, s0
	s_add_i32 s47, s50, s47
	s_mul_i32 s50, s9, s0
	s_add_i32 s47, s47, s50
	s_sub_i32 s52, s49, s47
	s_mul_i32 s0, s8, s0
	s_sub_u32 s0, s48, s0
	s_cselect_b64 s[50:51], -1, 0
	s_cmp_lg_u64 s[50:51], 0
	s_subb_u32 s48, s52, s9
	s_sub_u32 s54, s0, s8
	s_cselect_b64 s[52:53], -1, 0
	s_cmp_lg_u64 s[52:53], 0
	s_subb_u32 s55, s48, 0
	s_cmp_ge_u32 s55, s9
	s_cselect_b32 s64, -1, 0
	s_cmp_ge_u32 s54, s8
	s_cselect_b32 s65, -1, 0
	s_cmp_eq_u32 s55, s9
	s_cselect_b32 s64, s65, s64
	s_cmp_lg_u64 s[52:53], 0
	s_subb_u32 s48, s48, s9
	s_sub_u32 s65, s54, s8
	s_cselect_b64 s[52:53], -1, 0
	s_cmp_lg_u64 s[52:53], 0
	s_subb_u32 s48, s48, 0
	s_cmp_lg_u32 s64, 0
	s_cselect_b32 s52, s65, s54
	s_cselect_b32 s48, s48, s55
	s_cmp_lg_u64 s[50:51], 0
	s_subb_u32 s47, s49, s47
	s_cmp_ge_u32 s47, s9
	s_cselect_b32 s49, -1, 0
	s_cmp_ge_u32 s0, s8
	s_cselect_b32 s8, -1, 0
	s_cmp_eq_u32 s47, s9
	s_cselect_b32 s8, s8, s49
	s_cmp_lg_u32 s8, 0
	s_cselect_b32 s9, s48, s47
	s_cselect_b32 s8, s52, s0
	s_xor_b64 s[8:9], s[8:9], s[44:45]
	v_readlane_b32 s54, v66, 40
	v_readlane_b32 s48, v66, 42
	s_sub_u32 s8, s8, s44
	s_mov_b32 s64, s12
	v_readlane_b32 s55, v66, 41
	v_readlane_b32 s49, v66, 43
	;; [unrolled: 1-line block ×3, first 2 shown]
	s_subb_u32 s9, s9, s44
	s_cbranch_execnz .LBB15_269
.LBB15_268:                             ;   in Loop: Header=BB15_32 Depth=1
	v_cvt_f32_u32_e32 v4, s78
	s_sub_i32 s0, 0, s78
	v_rcp_iflag_f32_e32 v4, v4
	s_nop 0
	v_mul_f32_e32 v4, 0x4f7ffffe, v4
	v_cvt_u32_f32_e32 v4, v4
	s_nop 0
	v_readfirstlane_b32 s8, v4
	s_mul_i32 s0, s0, s8
	s_mul_hi_u32 s0, s8, s0
	s_add_i32 s8, s8, s0
	s_mul_hi_u32 s0, s46, s8
	s_mul_i32 s0, s0, s78
	s_sub_i32 s0, s46, s0
	s_sub_i32 s8, s0, s78
	s_cmp_ge_u32 s0, s78
	s_cselect_b32 s0, s8, s0
	s_sub_i32 s8, s0, s78
	s_cmp_ge_u32 s0, s78
	s_cselect_b32 s80, s8, s0
	s_mov_b64 s[8:9], s[80:81]
.LBB15_269:                             ;   in Loop: Header=BB15_32 Depth=1
	s_sub_u32 s8, s46, s8
	s_subb_u32 s9, s1, s9
	v_cmp_gt_i64_e32 vcc, s[8:9], v[0:1]
                                        ; implicit-def: $vgpr47
	s_and_saveexec_b64 s[0:1], vcc
	s_mov_b32 s53, s13
	s_cbranch_execz .LBB15_278
; %bb.270:                              ;   in Loop: Header=BB15_32 Depth=1
	s_mov_b64 s[44:45], 0
	v_mov_b32_e32 v8, v0
	v_mov_b64_e32 v[4:5], v[0:1]
                                        ; implicit-def: $sgpr46_sgpr47
	s_branch .LBB15_273
.LBB15_271:                             ;   in Loop: Header=BB15_273 Depth=2
	s_or_b64 exec, exec, s[48:49]
	s_waitcnt lgkmcnt(0)
	s_barrier
	ds_read_u16 v9, v3 offset:3072
	s_mov_b64 s[48:49], -1
	s_waitcnt lgkmcnt(0)
	s_barrier
	v_cmp_eq_u32_sdwa s[50:51], v9, v3 src0_sel:BYTE_0 src1_sel:DWORD
	s_and_b64 vcc, exec, s[50:51]
	s_mov_b64 s[50:51], -1
	s_cbranch_vccnz .LBB15_276
.LBB15_272:                             ;   in Loop: Header=BB15_273 Depth=2
	s_and_b64 s[48:49], exec, s[48:49]
	s_or_b64 s[44:45], s[48:49], s[44:45]
	s_andn2_b64 s[46:47], s[46:47], exec
	s_and_b64 s[48:49], s[50:51], exec
	s_or_b64 s[46:47], s[46:47], s[48:49]
	s_andn2_b64 exec, exec, s[44:45]
	s_cbranch_execz .LBB15_277
.LBB15_273:                             ;   Parent Loop BB15_32 Depth=1
                                        ; =>  This Inner Loop Header: Depth=2
	v_cmp_gt_u64_e32 vcc, s[42:43], v[4:5]
	s_and_saveexec_b64 s[48:49], vcc
	s_cbranch_execz .LBB15_271
; %bb.274:                              ;   in Loop: Header=BB15_273 Depth=2
	ds_read_u8 v9, v8
	s_waitcnt lgkmcnt(0)
	v_add_u32_sdwa v10, sext(v9), s85 dst_sel:DWORD dst_unused:UNUSED_PAD src0_sel:BYTE_0 src1_sel:DWORD
	v_and_b32_e32 v10, v10, v46
	v_cmp_eq_u32_e32 vcc, v10, v44
	s_and_b64 exec, exec, vcc
	s_cbranch_execz .LBB15_271
; %bb.275:                              ;   in Loop: Header=BB15_273 Depth=2
	v_lshlrev_b16_e32 v9, 8, v9
	v_or_b32_e32 v9, 1, v9
	ds_write_b16 v3, v9 offset:3072
	s_branch .LBB15_271
.LBB15_276:                             ;   in Loop: Header=BB15_273 Depth=2
	v_lshl_add_u64 v[4:5], v[4:5], 0, s[78:79]
	v_cmp_le_i64_e32 vcc, s[8:9], v[4:5]
	v_add_u32_e32 v8, s78, v8
	s_mov_b64 s[50:51], 0
	s_orn2_b64 s[48:49], vcc, exec
	s_branch .LBB15_272
.LBB15_277:                             ;   in Loop: Header=BB15_32 Depth=1
	s_or_b64 exec, exec, s[44:45]
	s_andn2_b64 s[6:7], s[6:7], exec
	s_and_b64 s[8:9], s[46:47], exec
	v_readlane_b32 s48, v66, 42
	v_lshrrev_b32_sdwa v47, v45, v9 dst_sel:DWORD dst_unused:UNUSED_PAD src0_sel:DWORD src1_sel:WORD_0
	s_or_b64 s[6:7], s[6:7], s[8:9]
	v_readlane_b32 s49, v66, 43
.LBB15_278:                             ;   in Loop: Header=BB15_32 Depth=1
	s_or_b64 exec, exec, s[0:1]
	s_mov_b64 s[0:1], 0
	s_mov_b64 s[8:9], -1
.LBB15_279:                             ;   in Loop: Header=BB15_32 Depth=1
	s_orn2_b64 s[42:43], s[6:7], exec
.LBB15_280:                             ;   in Loop: Header=BB15_32 Depth=1
	s_or_b64 exec, exec, s[40:41]
	s_mov_b64 s[40:41], 0
	s_and_saveexec_b64 s[6:7], s[42:43]
	s_cbranch_execz .LBB15_291
; %bb.281:                              ;   in Loop: Header=BB15_32 Depth=1
	s_xor_b64 s[40:41], s[30:31], -1
	v_mov_b64_e32 v[4:5], 1
	v_mov_b32_e32 v2, 1
	s_and_saveexec_b64 s[30:31], s[40:41]
	s_cbranch_execz .LBB15_290
; %bb.282:                              ;   in Loop: Header=BB15_32 Depth=1
	v_cmp_ge_i64_e32 vcc, s[14:15], v[6:7]
	s_and_saveexec_b64 s[40:41], vcc
	s_xor_b64 s[40:41], exec, s[40:41]
	s_cbranch_execz .LBB15_287
; %bb.283:                              ;   in Loop: Header=BB15_32 Depth=1
	ds_read_b64 v[4:5], v3 offset:5120
	v_or_b32_e32 v44, s82, v44
	v_or_b32_e32 v46, s82, v46
	s_waitcnt lgkmcnt(0)
	v_cmp_ne_u64_e32 vcc, 0, v[4:5]
	s_cbranch_vccnz .LBB15_287
; %bb.284:                              ;   in Loop: Header=BB15_32 Depth=1
	s_mov_b64 s[42:43], exec
	v_readlane_b32 s44, v66, 10
	v_readlane_b32 s45, v66, 11
	s_and_b64 s[44:45], s[42:43], s[44:45]
	s_mov_b64 exec, s[44:45]
; %bb.285:                              ;   in Loop: Header=BB15_32 Depth=1
	v_mov_b64_e32 v[4:5], s[14:15]
	ds_write_b64 v3, v[4:5] offset:5128
; %bb.286:                              ;   in Loop: Header=BB15_32 Depth=1
	s_or_b64 exec, exec, s[42:43]
	s_waitcnt lgkmcnt(0)
	s_barrier
.LBB15_287:                             ;   in Loop: Header=BB15_32 Depth=1
	s_andn2_saveexec_b64 s[40:41], s[40:41]
; %bb.288:                              ;   in Loop: Header=BB15_32 Depth=1
	v_mov_b32_e32 v2, s15
	v_subrev_co_u32_e32 v6, vcc, s14, v6
	s_nop 1
	v_subb_co_u32_e32 v7, vcc, v7, v2, vcc
; %bb.289:                              ;   in Loop: Header=BB15_32 Depth=1
	s_or_b64 exec, exec, s[40:41]
	v_mov_b32_e32 v2, 8
	v_mov_b64_e32 v[4:5], v[6:7]
.LBB15_290:                             ;   in Loop: Header=BB15_32 Depth=1
	s_or_b64 exec, exec, s[30:31]
	s_mov_b64 s[40:41], exec
	v_mov_b64_e32 v[6:7], v[4:5]
.LBB15_291:                             ;   in Loop: Header=BB15_32 Depth=1
	s_or_b64 exec, exec, s[6:7]
	s_orn2_b64 s[6:7], s[40:41], exec
.LBB15_292:                             ;   in Loop: Header=BB15_32 Depth=1
	s_or_b64 exec, exec, s[22:23]
	s_andn2_b64 s[14:15], s[36:37], exec
	s_and_b64 s[8:9], s[8:9], exec
	s_or_b64 s[36:37], s[14:15], s[8:9]
	s_andn2_b64 s[8:9], s[34:35], exec
	s_and_b64 s[0:1], s[0:1], exec
	s_or_b64 s[34:35], s[8:9], s[0:1]
	s_and_b64 s[6:7], s[6:7], exec
	v_mov_b64_e32 v[4:5], v[6:7]
.LBB15_293:                             ;   in Loop: Header=BB15_32 Depth=1
	s_or_b64 exec, exec, s[38:39]
	s_orn2_b64 s[0:1], s[6:7], exec
.LBB15_294:                             ;   in Loop: Header=BB15_32 Depth=1
	s_or_b64 exec, exec, s[28:29]
	s_andn2_b64 s[6:7], s[24:25], exec
	s_and_b64 s[8:9], s[36:37], exec
	s_or_b64 s[24:25], s[6:7], s[8:9]
	s_andn2_b64 s[2:3], s[2:3], exec
	s_and_b64 s[6:7], s[34:35], exec
	s_or_b64 s[2:3], s[2:3], s[6:7]
	s_and_b64 s[6:7], s[0:1], exec
	v_mov_b64_e32 v[8:9], v[4:5]
.LBB15_295:                             ;   in Loop: Header=BB15_32 Depth=1
	s_or_b64 exec, exec, s[26:27]
	s_orn2_b64 s[0:1], s[6:7], exec
.LBB15_296:                             ;   in Loop: Header=BB15_32 Depth=1
	s_or_b64 exec, exec, s[20:21]
	s_mov_b64 s[6:7], 0
	s_and_saveexec_b64 s[8:9], s[0:1]
	s_xor_b64 s[0:1], exec, s[8:9]
	s_cbranch_execz .LBB15_30
; %bb.297:                              ;   in Loop: Header=BB15_32 Depth=1
	v_and_b32_e32 v2, 7, v2
	v_cmp_eq_u32_e32 vcc, 0, v2
	s_mov_b64 s[8:9], -1
	s_mov_b64 s[6:7], -1
	s_and_saveexec_b64 s[14:15], vcc
	s_cbranch_execz .LBB15_29
; %bb.298:                              ;   in Loop: Header=BB15_32 Depth=1
	v_readlane_b32 s6, v66, 35
	s_xor_b32 s6, s6, 1
	s_add_i32 s18, s84, -2
	s_cmp_eq_u32 s84, 0
	s_cselect_b64 s[8:9], -1, 0
	v_writelane_b32 v66, s6, 35
	s_xor_b64 s[6:7], exec, -1
	s_orn2_b64 s[8:9], s[8:9], exec
	s_mov_b32 s84, s18
	s_branch .LBB15_29
.LBB15_299:                             ;   in Loop: Header=BB15_32 Depth=1
                                        ; implicit-def: $sgpr8_sgpr9
	s_branch .LBB15_268
.LBB15_300:
	s_or_b64 exec, exec, s[74:75]
	v_readlane_b32 s2, v66, 51
	v_readlane_b32 s3, v66, 52
	s_xor_b64 s[6:7], s[2:3], -1
	v_readlane_b32 s2, v66, 49
	v_readlane_b32 s3, v66, 50
	s_xor_b64 s[0:1], s[0:1], -1
	s_xor_b64 s[4:5], s[2:3], -1
	s_mov_b64 s[2:3], 0
	s_and_saveexec_b64 s[8:9], s[0:1]
	s_xor_b64 s[0:1], exec, s[8:9]
	s_cbranch_execz .LBB15_313
; %bb.301:
	s_and_saveexec_b64 s[2:3], s[6:7]
	s_xor_b64 s[2:3], exec, s[2:3]
	s_cbranch_execz .LBB15_325
; %bb.302:
	s_and_saveexec_b64 s[6:7], s[4:5]
	s_xor_b64 s[4:5], exec, s[6:7]
; %bb.303:
	v_xor_b32_e32 v47, 0xffffff80, v44
; %bb.304:
	s_or_b64 exec, exec, s[4:5]
	s_mov_b64 s[4:5], exec
	v_readlane_b32 s6, v66, 10
	v_readlane_b32 s7, v66, 11
	s_and_b64 s[6:7], s[4:5], s[6:7]
	s_mov_b64 exec, s[6:7]
; %bb.305:
	v_mov_b32_e32 v2, 0
	v_mov_b32_e32 v3, s56
	ds_write_b32 v2, v3 offset:5140
; %bb.306:
	s_or_b64 exec, exec, s[4:5]
	s_waitcnt lgkmcnt(0)
	s_barrier
	s_mov_b64 s[4:5], exec
	v_readlane_b32 s6, v66, 18
	v_readlane_b32 s7, v66, 19
	s_and_b64 s[6:7], s[4:5], s[6:7]
	s_mov_b64 exec, s[6:7]
	s_cbranch_execz .LBB15_322
; %bb.307:
	v_mov_b32_e32 v2, 0
	ds_read_b32 v4, v2 offset:5140
	s_mov_b64 s[6:7], 0
                                        ; implicit-def: $sgpr8_sgpr9
                                        ; implicit-def: $sgpr10_sgpr11
                                        ; implicit-def: $sgpr12_sgpr13
	s_waitcnt lgkmcnt(0)
	v_ashrrev_i32_e32 v5, 31, v4
	s_branch .LBB15_310
.LBB15_308:                             ;   in Loop: Header=BB15_310 Depth=1
	s_or_b64 exec, exec, s[20:21]
	s_andn2_b64 s[12:13], s[12:13], exec
	s_and_b64 s[18:19], s[18:19], exec
	s_andn2_b64 s[10:11], s[10:11], exec
	s_and_b64 s[16:17], s[16:17], exec
	s_or_b64 s[12:13], s[12:13], s[18:19]
	s_or_b64 s[10:11], s[10:11], s[16:17]
.LBB15_309:                             ;   in Loop: Header=BB15_310 Depth=1
	s_or_b64 exec, exec, s[14:15]
	s_and_b64 s[14:15], exec, s[10:11]
	s_or_b64 s[6:7], s[14:15], s[6:7]
	s_andn2_b64 s[8:9], s[8:9], exec
	s_and_b64 s[14:15], s[12:13], exec
	s_or_b64 s[8:9], s[8:9], s[14:15]
	s_andn2_b64 exec, exec, s[6:7]
	s_cbranch_execz .LBB15_317
.LBB15_310:                             ; =>This Inner Loop Header: Depth=1
	v_mov_b64_e32 v[2:3], v[0:1]
	v_cmp_lt_i64_e32 vcc, v[2:3], v[4:5]
	s_or_b64 s[12:13], s[12:13], exec
	s_or_b64 s[10:11], s[10:11], exec
                                        ; implicit-def: $vgpr0_vgpr1
	s_and_saveexec_b64 s[14:15], vcc
	s_cbranch_execz .LBB15_309
; %bb.311:                              ;   in Loop: Header=BB15_310 Depth=1
	global_load_ubyte v0, v[12:13], off
	s_mov_b64 s[16:17], -1
	s_mov_b64 s[18:19], 0
	s_waitcnt vmcnt(0)
	v_cmp_ne_u16_sdwa s[22:23], v0, v47 src0_sel:DWORD src1_sel:BYTE_0
                                        ; implicit-def: $vgpr0_vgpr1
	s_and_saveexec_b64 s[20:21], s[22:23]
	s_cbranch_execz .LBB15_308
; %bb.312:                              ;   in Loop: Header=BB15_310 Depth=1
	v_lshl_add_u64 v[0:1], v[2:3], 0, s[78:79]
	v_cmp_le_i64_e32 vcc, s[56:57], v[0:1]
	s_mov_b64 s[18:19], exec
	v_lshl_add_u64 v[12:13], v[12:13], 0, s[90:91]
	s_orn2_b64 s[16:17], vcc, exec
	s_branch .LBB15_308
.LBB15_313:
	s_andn2_saveexec_b64 s[0:1], s[0:1]
	s_cbranch_execnz .LBB15_327
.LBB15_314:
	s_or_b64 exec, exec, s[0:1]
	s_and_saveexec_b64 s[0:1], s[2:3]
.LBB15_315:
	; divergent unreachable
.LBB15_316:
	s_endpgm
.LBB15_317:
	s_or_b64 exec, exec, s[6:7]
	s_xor_b64 s[6:7], s[8:9], -1
	s_and_saveexec_b64 s[8:9], s[6:7]
	s_xor_b64 s[8:9], exec, s[8:9]
	s_cbranch_execz .LBB15_322
; %bb.318:
	s_mov_b64 s[6:7], exec
	s_brev_b32 s8, -2
.LBB15_319:                             ; =>This Inner Loop Header: Depth=1
	s_ff1_i32_b64 s9, s[6:7]
	v_readlane_b32 s12, v2, s9
	s_lshl_b64 s[10:11], 1, s9
	s_min_i32 s8, s8, s12
	s_andn2_b64 s[6:7], s[6:7], s[10:11]
	s_cmp_lg_u64 s[6:7], 0
	s_cbranch_scc1 .LBB15_319
; %bb.320:
	v_mbcnt_lo_u32_b32 v0, exec_lo, 0
	v_mbcnt_hi_u32_b32 v0, exec_hi, v0
	v_cmp_eq_u32_e32 vcc, 0, v0
	s_and_saveexec_b64 s[6:7], vcc
	s_xor_b64 s[6:7], exec, s[6:7]
; %bb.321:
	v_mov_b32_e32 v0, 0
	v_mov_b32_e32 v1, s8
	ds_min_i32 v0, v1 offset:5140
.LBB15_322:
	s_or_b64 exec, exec, s[4:5]
	s_waitcnt lgkmcnt(0)
	s_barrier
	s_mov_b64 s[4:5], exec
	v_readlane_b32 s6, v66, 10
	v_readlane_b32 s7, v66, 11
	s_and_b64 s[6:7], s[4:5], s[6:7]
	s_mov_b64 exec, s[6:7]
	s_cbranch_execz .LBB15_324
; %bb.323:
	v_readlane_b32 s10, v66, 0
	v_readlane_b32 s11, v66, 1
	;; [unrolled: 1-line block ×4, first 2 shown]
	s_mul_i32 s6, s12, s11
	s_mul_hi_u32 s7, s12, s10
	s_add_i32 s6, s7, s6
	s_mul_i32 s7, s13, s10
	s_mul_i32 s9, s12, s10
	v_readlane_b32 s10, v66, 4
	s_add_i32 s8, s6, s7
	v_readlane_b32 s11, v66, 5
	s_mul_i32 s6, s10, s87
	s_mul_hi_u32 s7, s10, s86
	s_add_i32 s6, s7, s6
	s_mul_i32 s7, s11, s86
	s_add_i32 s7, s6, s7
	s_mul_i32 s6, s10, s86
	v_readlane_b32 s10, v66, 6
	v_readlane_b32 s11, v66, 7
	s_add_u32 s9, s10, s9
	s_addc_u32 s10, s11, s8
	v_mov_b32_e32 v2, 0
	s_add_u32 s8, s9, s60
	ds_read_b32 v0, v2 offset:5140
	s_addc_u32 s9, s10, s61
	s_lshl_b64 s[6:7], s[6:7], 3
	v_readlane_b32 s10, v66, 8
	v_readlane_b32 s11, v66, 9
	s_add_u32 s10, s10, s6
	s_addc_u32 s11, s11, s7
	s_lshl_b64 s[6:7], s[66:67], 3
	s_add_u32 s6, s10, s6
	s_addc_u32 s7, s11, s7
	s_waitcnt lgkmcnt(0)
	v_ashrrev_i32_e32 v1, 31, v0
	global_store_dwordx2 v2, v[0:1], s[6:7]
	global_store_byte v2, v47, s[8:9]
.LBB15_324:
	s_or_b64 exec, exec, s[4:5]
.LBB15_325:
	s_or_saveexec_b64 s[2:3], s[2:3]
	s_mov_b64 s[4:5], 0
	s_xor_b64 exec, exec, s[2:3]
	s_cbranch_execnz .LBB15_328
; %bb.326:
	s_or_b64 exec, exec, s[2:3]
	s_and_b64 s[2:3], s[4:5], exec
	s_andn2_saveexec_b64 s[0:1], s[0:1]
	s_cbranch_execz .LBB15_314
.LBB15_327:
	s_or_b64 s[2:3], s[2:3], exec
	s_trap 2
	s_or_b64 exec, exec, s[0:1]
	s_and_saveexec_b64 s[0:1], s[2:3]
	s_cbranch_execnz .LBB15_315
	s_branch .LBB15_316
.LBB15_328:
	s_mov_b64 s[4:5], exec
	s_trap 2
	s_or_b64 exec, exec, s[2:3]
	s_and_b64 s[2:3], s[4:5], exec
	s_andn2_saveexec_b64 s[0:1], s[0:1]
	s_cbranch_execz .LBB15_314
	s_branch .LBB15_327
	.section	.rodata,"a",@progbits
	.p2align	6, 0x0
	.amdhsa_kernel _ZN2at6native12_GLOBAL__N_114gatherKthValueIalLin1EEEvNS_4cuda6detail10TensorInfoIKT_T0_EES8_S8_S8_S8_NS5_IS6_S8_EENS5_IlS8_EE
		.amdhsa_group_segment_fixed_size 5144
		.amdhsa_private_segment_fixed_size 0
		.amdhsa_kernarg_size 1536
		.amdhsa_user_sgpr_count 2
		.amdhsa_user_sgpr_dispatch_ptr 0
		.amdhsa_user_sgpr_queue_ptr 0
		.amdhsa_user_sgpr_kernarg_segment_ptr 1
		.amdhsa_user_sgpr_dispatch_id 0
		.amdhsa_user_sgpr_kernarg_preload_length 0
		.amdhsa_user_sgpr_kernarg_preload_offset 0
		.amdhsa_user_sgpr_private_segment_size 0
		.amdhsa_uses_dynamic_stack 0
		.amdhsa_enable_private_segment 0
		.amdhsa_system_sgpr_workgroup_id_x 1
		.amdhsa_system_sgpr_workgroup_id_y 1
		.amdhsa_system_sgpr_workgroup_id_z 1
		.amdhsa_system_sgpr_workgroup_info 0
		.amdhsa_system_vgpr_workitem_id 0
		.amdhsa_next_free_vgpr 67
		.amdhsa_next_free_sgpr 100
		.amdhsa_accum_offset 68
		.amdhsa_reserve_vcc 1
		.amdhsa_float_round_mode_32 0
		.amdhsa_float_round_mode_16_64 0
		.amdhsa_float_denorm_mode_32 3
		.amdhsa_float_denorm_mode_16_64 3
		.amdhsa_dx10_clamp 1
		.amdhsa_ieee_mode 1
		.amdhsa_fp16_overflow 0
		.amdhsa_tg_split 0
		.amdhsa_exception_fp_ieee_invalid_op 0
		.amdhsa_exception_fp_denorm_src 0
		.amdhsa_exception_fp_ieee_div_zero 0
		.amdhsa_exception_fp_ieee_overflow 0
		.amdhsa_exception_fp_ieee_underflow 0
		.amdhsa_exception_fp_ieee_inexact 0
		.amdhsa_exception_int_div_zero 0
	.end_amdhsa_kernel
	.section	.text._ZN2at6native12_GLOBAL__N_114gatherKthValueIalLin1EEEvNS_4cuda6detail10TensorInfoIKT_T0_EES8_S8_S8_S8_NS5_IS6_S8_EENS5_IlS8_EE,"axG",@progbits,_ZN2at6native12_GLOBAL__N_114gatherKthValueIalLin1EEEvNS_4cuda6detail10TensorInfoIKT_T0_EES8_S8_S8_S8_NS5_IS6_S8_EENS5_IlS8_EE,comdat
.Lfunc_end15:
	.size	_ZN2at6native12_GLOBAL__N_114gatherKthValueIalLin1EEEvNS_4cuda6detail10TensorInfoIKT_T0_EES8_S8_S8_S8_NS5_IS6_S8_EENS5_IlS8_EE, .Lfunc_end15-_ZN2at6native12_GLOBAL__N_114gatherKthValueIalLin1EEEvNS_4cuda6detail10TensorInfoIKT_T0_EES8_S8_S8_S8_NS5_IS6_S8_EENS5_IlS8_EE
                                        ; -- End function
	.set _ZN2at6native12_GLOBAL__N_114gatherKthValueIalLin1EEEvNS_4cuda6detail10TensorInfoIKT_T0_EES8_S8_S8_S8_NS5_IS6_S8_EENS5_IlS8_EE.num_vgpr, 67
	.set _ZN2at6native12_GLOBAL__N_114gatherKthValueIalLin1EEEvNS_4cuda6detail10TensorInfoIKT_T0_EES8_S8_S8_S8_NS5_IS6_S8_EENS5_IlS8_EE.num_agpr, 0
	.set _ZN2at6native12_GLOBAL__N_114gatherKthValueIalLin1EEEvNS_4cuda6detail10TensorInfoIKT_T0_EES8_S8_S8_S8_NS5_IS6_S8_EENS5_IlS8_EE.numbered_sgpr, 100
	.set _ZN2at6native12_GLOBAL__N_114gatherKthValueIalLin1EEEvNS_4cuda6detail10TensorInfoIKT_T0_EES8_S8_S8_S8_NS5_IS6_S8_EENS5_IlS8_EE.num_named_barrier, 0
	.set _ZN2at6native12_GLOBAL__N_114gatherKthValueIalLin1EEEvNS_4cuda6detail10TensorInfoIKT_T0_EES8_S8_S8_S8_NS5_IS6_S8_EENS5_IlS8_EE.private_seg_size, 0
	.set _ZN2at6native12_GLOBAL__N_114gatherKthValueIalLin1EEEvNS_4cuda6detail10TensorInfoIKT_T0_EES8_S8_S8_S8_NS5_IS6_S8_EENS5_IlS8_EE.uses_vcc, 1
	.set _ZN2at6native12_GLOBAL__N_114gatherKthValueIalLin1EEEvNS_4cuda6detail10TensorInfoIKT_T0_EES8_S8_S8_S8_NS5_IS6_S8_EENS5_IlS8_EE.uses_flat_scratch, 0
	.set _ZN2at6native12_GLOBAL__N_114gatherKthValueIalLin1EEEvNS_4cuda6detail10TensorInfoIKT_T0_EES8_S8_S8_S8_NS5_IS6_S8_EENS5_IlS8_EE.has_dyn_sized_stack, 0
	.set _ZN2at6native12_GLOBAL__N_114gatherKthValueIalLin1EEEvNS_4cuda6detail10TensorInfoIKT_T0_EES8_S8_S8_S8_NS5_IS6_S8_EENS5_IlS8_EE.has_recursion, 0
	.set _ZN2at6native12_GLOBAL__N_114gatherKthValueIalLin1EEEvNS_4cuda6detail10TensorInfoIKT_T0_EES8_S8_S8_S8_NS5_IS6_S8_EENS5_IlS8_EE.has_indirect_call, 0
	.section	.AMDGPU.csdata,"",@progbits
; Kernel info:
; codeLenInByte = 19512
; TotalNumSgprs: 106
; NumVgprs: 67
; NumAgprs: 0
; TotalNumVgprs: 67
; ScratchSize: 0
; MemoryBound: 0
; FloatMode: 240
; IeeeMode: 1
; LDSByteSize: 5144 bytes/workgroup (compile time only)
; SGPRBlocks: 13
; VGPRBlocks: 8
; NumSGPRsForWavesPerEU: 106
; NumVGPRsForWavesPerEU: 67
; AccumOffset: 68
; Occupancy: 7
; WaveLimiterHint : 1
; COMPUTE_PGM_RSRC2:SCRATCH_EN: 0
; COMPUTE_PGM_RSRC2:USER_SGPR: 2
; COMPUTE_PGM_RSRC2:TRAP_HANDLER: 0
; COMPUTE_PGM_RSRC2:TGID_X_EN: 1
; COMPUTE_PGM_RSRC2:TGID_Y_EN: 1
; COMPUTE_PGM_RSRC2:TGID_Z_EN: 1
; COMPUTE_PGM_RSRC2:TIDIG_COMP_CNT: 0
; COMPUTE_PGM_RSRC3_GFX90A:ACCUM_OFFSET: 16
; COMPUTE_PGM_RSRC3_GFX90A:TG_SPLIT: 0
	.section	.text._ZN2at6native12_GLOBAL__N_114gatherKthValueIiiLi1EEEvNS_4cuda6detail10TensorInfoIKT_T0_EES8_S8_S8_S8_NS5_IS6_S8_EENS5_IlS8_EE,"axG",@progbits,_ZN2at6native12_GLOBAL__N_114gatherKthValueIiiLi1EEEvNS_4cuda6detail10TensorInfoIKT_T0_EES8_S8_S8_S8_NS5_IS6_S8_EENS5_IlS8_EE,comdat
	.globl	_ZN2at6native12_GLOBAL__N_114gatherKthValueIiiLi1EEEvNS_4cuda6detail10TensorInfoIKT_T0_EES8_S8_S8_S8_NS5_IS6_S8_EENS5_IlS8_EE ; -- Begin function _ZN2at6native12_GLOBAL__N_114gatherKthValueIiiLi1EEEvNS_4cuda6detail10TensorInfoIKT_T0_EES8_S8_S8_S8_NS5_IS6_S8_EENS5_IlS8_EE
	.p2align	8
	.type	_ZN2at6native12_GLOBAL__N_114gatherKthValueIiiLi1EEEvNS_4cuda6detail10TensorInfoIKT_T0_EES8_S8_S8_S8_NS5_IS6_S8_EENS5_IlS8_EE,@function
_ZN2at6native12_GLOBAL__N_114gatherKthValueIiiLi1EEEvNS_4cuda6detail10TensorInfoIKT_T0_EES8_S8_S8_S8_NS5_IS6_S8_EENS5_IlS8_EE: ; @_ZN2at6native12_GLOBAL__N_114gatherKthValueIiiLi1EEEvNS_4cuda6detail10TensorInfoIKT_T0_EES8_S8_S8_S8_NS5_IS6_S8_EENS5_IlS8_EE
; %bb.0:
	s_load_dwordx2 s[12:13], s[0:1], 0x298
	s_load_dwordx4 s[60:63], s[0:1], 0xd8
	s_add_u32 s10, s0, 0x298
	s_addc_u32 s11, s1, 0
	s_waitcnt lgkmcnt(0)
	s_mul_i32 s4, s13, s4
	s_add_i32 s3, s4, s3
	s_mul_i32 s3, s3, s12
	s_add_i32 s13, s3, s2
	s_cmp_ge_i32 s13, s62
	s_cbranch_scc1 .LBB16_238
; %bb.1:
	s_load_dwordx2 s[4:5], s[0:1], 0x1c0
                                        ; implicit-def: $vgpr56 : SGPR spill to VGPR lane
	s_mov_b32 s6, 0
	v_cmp_eq_u32_e64 s[18:19], 0, v0
	s_waitcnt lgkmcnt(0)
	v_writelane_b32 v56, s4, 0
	s_nop 1
	v_writelane_b32 v56, s5, 1
	s_load_dwordx2 s[4:5], s[0:1], 0xe8
	s_waitcnt lgkmcnt(0)
	v_writelane_b32 v56, s4, 2
	s_nop 1
	v_writelane_b32 v56, s5, 3
	s_load_dword s3, s[0:1], 0x6c
	s_load_dwordx2 s[4:5], s[0:1], 0x0
	v_writelane_b32 v56, s6, 4
	s_nop 1
	v_writelane_b32 v56, s7, 5
	s_and_saveexec_b64 s[6:7], s[18:19]
; %bb.2:
	v_mov_b32_e32 v2, 0
	v_mov_b32_e32 v3, s60
	;; [unrolled: 1-line block ×3, first 2 shown]
	ds_write_b96 v2, v[2:4] offset:4096
; %bb.3:
	s_or_b64 exec, exec, s[6:7]
	s_load_dword s6, s[0:1], 0x22c
                                        ; kill: killed $sgpr0 killed $sgpr1
	s_waitcnt lgkmcnt(0)
	s_barrier
	v_mbcnt_lo_u32_b32 v1, -1, 0
	v_writelane_b32 v56, s6, 6
	s_load_dword s6, s[0:1], 0x154
	s_mul_i32 s0, s3, s13
	s_load_dword s3, s[10:11], 0xc
	s_ashr_i32 s1, s0, 31
	s_lshl_b64 s[0:1], s[0:1], 2
	s_add_u32 s68, s4, s0
	s_addc_u32 s69, s5, s1
	s_waitcnt lgkmcnt(0)
	s_and_b32 s62, s3, 0xffff
	v_mbcnt_hi_u32_b32 v26, -1, v1
	v_cmp_gt_u32_e32 vcc, 64, v0
	v_cmp_gt_i32_e64 s[4:5], 4, v26
	s_add_i32 s83, s62, -1
	s_lshl_b32 s33, s62, 2
	s_and_b64 s[72:73], vcc, s[4:5]
	s_add_i32 s84, s83, s60
	s_cmpk_gt_i32 s60, 0x300
	v_writelane_b32 v56, s6, 7
	s_cselect_b64 s[74:75], -1, 0
	s_cmp_gt_u32 s62, 63
	v_writelane_b32 v56, s13, 8
	v_cmp_gt_i32_e64 s[8:9], s60, v0
	s_cselect_b64 s[76:77], -1, 0
	s_cmp_lt_u32 s2, s12
	v_writelane_b32 v56, s8, 9
	s_cselect_b32 s2, 12, 18
	v_lshlrev_b64 v[2:3], v26, -1
	v_writelane_b32 v56, s9, 10
	s_add_u32 s8, s10, s2
	s_addc_u32 s9, s11, 0
	v_writelane_b32 v56, s8, 11
	s_bfe_u32 s10, s3, 0xa0006
	s_add_i32 s2, s10, -2
	v_writelane_b32 v56, s9, 12
	s_lshr_b32 s3, s2, 1
	v_readlane_b32 s8, v56, 4
	v_readlane_b32 s9, v56, 5
	s_mov_b32 s9, 1
	s_add_i32 s3, s3, 1
	v_not_b32_e32 v14, v2
	v_lshrrev_b32_e32 v2, 2, v0
	v_writelane_b32 v56, s8, 4
	s_cmpk_gt_u32 s62, 0x7f
	v_and_b32_e32 v2, 0xf0, v2
	v_writelane_b32 v56, s9, 5
	s_cselect_b64 s[8:9], -1, 0
	v_or_b32_e32 v28, 0xc00, v2
	v_writelane_b32 v56, s8, 13
	v_cvt_f32_u32_e32 v2, s33
	v_not_b32_e32 v1, v3
	v_writelane_b32 v56, s9, 14
	s_and_b32 s8, s10, 0x3fe
	s_and_b32 s9, s3, 7
	s_cmp_gt_u32 s2, 13
	s_cselect_b64 s[12:13], -1, 0
	v_writelane_b32 v56, s12, 15
	v_rcp_iflag_f32_e32 v2, v2
	s_and_b32 s2, s3, -8
	v_writelane_b32 v56, s13, 16
	v_writelane_b32 v56, s2, 17
	s_cmp_lg_u32 s9, 0
	v_writelane_b32 v56, s9, 18
	s_cselect_b64 s[2:3], -1, 0
	v_writelane_b32 v56, s2, 19
	v_mul_f32_e32 v2, 0x4f7ffffe, v2
	v_cvt_u32_f32_e32 v2, v2
	v_writelane_b32 v56, s3, 20
	v_writelane_b32 v56, s10, 21
	s_cmp_lg_u32 s8, s10
	v_writelane_b32 v56, s8, 22
	s_cselect_b64 s[2:3], -1, 0
	v_writelane_b32 v56, s2, 23
	v_cvt_f32_u32_e32 v3, s62
	v_lshlrev_b32_e32 v15, 2, v0
	v_writelane_b32 v56, s3, 24
	s_sub_i32 s2, 0, s33
	v_readfirstlane_b32 s3, v2
	s_mul_i32 s2, s2, s3
	s_mul_hi_u32 s2, s3, s2
	s_add_i32 s87, s3, s2
	s_mul_hi_u32 s2, s60, s87
	s_mul_i32 s2, s2, s33
	s_sub_i32 s2, s60, s2
	s_sub_i32 s3, s2, s33
	s_cmp_ge_u32 s2, s33
	s_cselect_b32 s2, s3, s2
	s_sub_i32 s3, s2, s33
	s_cmp_ge_u32 s2, s33
	s_cselect_b32 s2, s3, s2
	s_sub_i32 s85, s60, s2
	v_rcp_iflag_f32_e32 v5, v3
	v_add_u32_e32 v29, s85, v0
	v_mul_lo_u32 v2, v29, s63
	v_ashrrev_i32_e32 v3, 31, v2
	v_lshl_add_u64 v[16:17], v[2:3], 2, s[68:69]
	v_mul_f32_e32 v2, 0x4f7ffffe, v5
	v_cvt_u32_f32_e32 v2, v2
	s_sub_i32 s9, 0, s62
	s_abs_i32 s8, s84
	s_ashr_i32 s3, s84, 31
	v_readfirstlane_b32 s16, v2
	s_mul_i32 s9, s9, s16
	s_mul_hi_u32 s9, s16, s9
	s_add_i32 s86, s16, s9
	s_mul_hi_u32 s9, s8, s86
	s_mul_i32 s9, s9, s62
	s_sub_i32 s8, s8, s9
	s_sub_i32 s9, s8, s62
	s_cmp_ge_u32 s8, s62
	s_cselect_b32 s8, s9, s8
	s_sub_i32 s9, s8, s62
	s_cmp_ge_u32 s8, s62
	s_cselect_b32 s8, s9, s8
	s_xor_b32 s8, s8, s3
	v_mul_lo_u32 v2, s63, v15
	s_sub_i32 s3, s3, s8
	v_add_u32_e32 v30, s63, v2
	v_or_b32_e32 v2, 2, v15
	s_add_i32 s84, s84, s3
	v_mul_lo_u32 v31, s63, v2
	v_or_b32_e32 v2, 3, v15
	s_add_i32 s3, s62, s60
	v_mov_b32_e32 v11, 0
	v_cmp_gt_i32_e64 s[8:9], s84, v0
	v_mul_lo_u32 v32, s63, v2
	v_add_u32_e32 v2, s3, v0
	v_mov_b32_e32 v8, 0
	v_mul_lo_u32 v6, s63, v0
	v_mov_b32_e32 v7, v11
	v_lshlrev_b32_e32 v4, 2, v26
	v_writelane_b32 v56, s8, 25
	s_mul_i32 s82, s63, s62
	v_subrev_u32_e32 v2, s2, v2
	v_cmp_eq_u32_e64 s[0:1], 0, v26
	v_cmp_gt_u32_e64 s[4:5], 2, v0
	v_add_u32_e32 v27, 0xc00, v15
	v_cmp_gt_u32_e64 s[6:7], s60, v0
	v_lshl_add_u64 v[12:13], v[6:7], 2, s[68:69]
	v_and_b32_e32 v7, 0x100, v4
	v_cmp_gt_i32_e64 s[10:11], s85, v15
	v_cmp_gt_u32_e64 s[12:13], s60, v29
	v_cmp_gt_i32_e64 s[14:15], s60, v29
	v_writelane_b32 v56, s9, 26
	s_lshl_b32 s8, s82, 2
	v_lshlrev_b32_e32 v33, 2, v6
	v_mul_lo_u32 v35, s63, v2
	v_lshlrev_b32_e32 v36, 4, v0
	s_lshl_b32 s9, s62, 4
	v_or_b32_e32 v37, 0xc00, v4
	s_mov_b64 s[88:89], 0
	v_mov_b32_e32 v38, 30
	v_mov_b32_e32 v42, s61
	s_brev_b32 s61, 1
	v_mov_b32_e32 v43, s60
	v_mov_b32_e32 v18, 1
	;; [unrolled: 1-line block ×7, first 2 shown]
                                        ; implicit-def: $sgpr90_sgpr91
                                        ; implicit-def: $sgpr94_sgpr95
                                        ; implicit-def: $sgpr92_sgpr93
                                        ; implicit-def: $sgpr98_sgpr99
                                        ; implicit-def: $sgpr64_sgpr65
                                        ; implicit-def: $sgpr96_sgpr97
	s_branch .LBB16_7
.LBB16_4:                               ;   in Loop: Header=BB16_7 Depth=1
	s_or_b64 exec, exec, s[30:31]
	s_and_b64 s[30:31], s[28:29], exec
	s_andn2_b64 s[26:27], s[26:27], exec
	s_andn2_b64 s[24:25], s[24:25], exec
	s_orn2_b64 s[20:21], s[20:21], exec
.LBB16_5:                               ;   in Loop: Header=BB16_7 Depth=1
	s_or_b64 exec, exec, s[22:23]
	s_andn2_b64 s[16:17], s[96:97], exec
	s_and_b64 s[22:23], s[30:31], exec
	s_or_b64 s[96:97], s[16:17], s[22:23]
	s_andn2_b64 s[16:17], s[64:65], exec
	s_and_b64 s[22:23], s[26:27], exec
	s_or_b64 s[64:65], s[16:17], s[22:23]
	;; [unrolled: 3-line block ×3, first 2 shown]
	s_orn2_b64 s[20:21], s[20:21], exec
.LBB16_6:                               ;   in Loop: Header=BB16_7 Depth=1
	s_or_b64 exec, exec, s[2:3]
	s_and_b64 s[2:3], exec, s[20:21]
	s_or_b64 s[88:89], s[2:3], s[88:89]
	s_andn2_b64 s[2:3], s[92:93], exec
	s_and_b64 s[16:17], s[96:97], exec
	s_or_b64 s[92:93], s[2:3], s[16:17]
	s_andn2_b64 s[2:3], s[94:95], exec
	s_and_b64 s[16:17], s[64:65], exec
	;; [unrolled: 3-line block ×3, first 2 shown]
	s_or_b64 s[90:91], s[2:3], s[16:17]
	v_mov_b32_e32 v42, v10
	s_andn2_b64 exec, exec, s[88:89]
	s_cbranch_execz .LBB16_234
.LBB16_7:                               ; =>This Loop Header: Depth=1
                                        ;     Child Loop BB16_13 Depth 2
                                        ;     Child Loop BB16_28 Depth 2
	;; [unrolled: 1-line block ×17, first 2 shown]
	ds_read_b64 v[2:3], v11 offset:4096
	s_waitcnt lgkmcnt(0)
	v_readfirstlane_b32 s78, v2
	s_cmp_gt_i32 s78, 0
	s_cbranch_scc1 .LBB16_35
; %bb.8:                                ;   in Loop: Header=BB16_7 Depth=1
	s_and_b64 vcc, exec, s[74:75]
	s_cbranch_vccz .LBB16_21
; %bb.9:                                ;   in Loop: Header=BB16_7 Depth=1
	s_movk_i32 s2, 0x301
	v_cmp_gt_i32_e32 vcc, s2, v3
	s_mov_b64 s[20:21], 0
	s_mov_b64 s[2:3], 0
	s_cbranch_vccz .LBB16_22
; %bb.10:                               ;   in Loop: Header=BB16_7 Depth=1
	s_and_saveexec_b64 s[22:23], s[6:7]
	s_cbranch_execz .LBB16_67
; %bb.11:                               ;   in Loop: Header=BB16_7 Depth=1
	v_readlane_b32 s2, v56, 11
	v_readlane_b32 s3, v56, 12
	s_nop 4
	global_load_ushort v2, v11, s[2:3]
	global_load_dword v4, v[12:13], off
	s_mov_b64 s[24:25], 0
	s_waitcnt vmcnt(1)
	v_add_u32_e32 v5, v0, v2
	v_mul_lo_u32 v3, s63, v2
	v_mul_lo_u32 v10, s63, v5
	v_mov_b32_e32 v5, v0
	s_branch .LBB16_13
.LBB16_12:                              ;   in Loop: Header=BB16_13 Depth=2
	s_or_b64 exec, exec, s[2:3]
	v_cmp_le_i32_e32 vcc, s60, v5
	v_add_u32_e32 v10, v10, v3
	s_or_b64 s[24:25], vcc, s[24:25]
	v_mov_b32_e32 v4, v9
	s_andn2_b64 exec, exec, s[24:25]
	s_cbranch_execz .LBB16_67
.LBB16_13:                              ;   Parent Loop BB16_7 Depth=1
                                        ; =>  This Inner Loop Header: Depth=2
	v_add_u32_e32 v5, v5, v2
	v_cmp_gt_u32_e32 vcc, s60, v5
	s_waitcnt lgkmcnt(0)
	v_mov_b32_e32 v19, 0
	v_mov_b32_e32 v9, 0
	s_and_saveexec_b64 s[2:3], vcc
	s_cbranch_execz .LBB16_15
; %bb.14:                               ;   in Loop: Header=BB16_13 Depth=2
	v_lshl_add_u64 v[22:23], v[10:11], 2, s[68:69]
	global_load_dword v9, v[22:23], off
.LBB16_15:                              ;   in Loop: Header=BB16_13 Depth=2
	s_or_b64 exec, exec, s[2:3]
	s_waitcnt vmcnt(0)
	v_bitop3_b32 v20, v4, v41, s61 bitop3:0x48
	v_cmp_eq_u32_e32 vcc, v20, v34
	s_cmp_lg_u64 vcc, 0
	s_cselect_b64 s[2:3], -1, 0
	s_and_b64 s[2:3], s[0:1], s[2:3]
	s_and_saveexec_b64 s[26:27], s[2:3]
	s_cbranch_execz .LBB16_19
; %bb.16:                               ;   in Loop: Header=BB16_13 Depth=2
	s_mov_b64 s[30:31], exec
	v_mbcnt_lo_u32_b32 v19, s30, 0
	v_mbcnt_hi_u32_b32 v19, s31, v19
	s_bcnt1_i32_b64 s16, vcc
	v_cmp_eq_u32_e64 s[2:3], 0, v19
                                        ; implicit-def: $vgpr20
	s_and_saveexec_b64 s[28:29], s[2:3]
; %bb.17:                               ;   in Loop: Header=BB16_13 Depth=2
	s_bcnt1_i32_b64 s2, s[30:31]
	s_mul_i32 s2, s16, s2
	v_mov_b32_e32 v20, s2
	ds_add_rtn_u32 v20, v11, v20 offset:4104
; %bb.18:                               ;   in Loop: Header=BB16_13 Depth=2
	s_or_b64 exec, exec, s[28:29]
	s_waitcnt lgkmcnt(0)
	v_readfirstlane_b32 s2, v20
	s_nop 1
	v_mov_b32_e32 v20, s2
	v_mad_u32_u24 v19, s16, v19, v20
.LBB16_19:                              ;   in Loop: Header=BB16_13 Depth=2
	s_or_b64 exec, exec, s[26:27]
	ds_bpermute_b32 v19, v7, v19
	s_and_saveexec_b64 s[2:3], vcc
	s_cbranch_execz .LBB16_12
; %bb.20:                               ;   in Loop: Header=BB16_13 Depth=2
	v_and_b32_e32 v22, vcc_lo, v14
	v_and_b32_e32 v20, vcc_hi, v1
	v_bcnt_u32_b32 v22, v22, 0
	v_bcnt_u32_b32 v20, v20, v22
	v_lshlrev_b32_e32 v20, 2, v20
	s_waitcnt lgkmcnt(0)
	v_lshl_add_u32 v19, v19, 2, v20
	ds_write_b32 v19, v4
	s_branch .LBB16_12
.LBB16_21:                              ;   in Loop: Header=BB16_7 Depth=1
	s_mov_b64 s[20:21], -1
	s_mov_b64 s[2:3], 0
.LBB16_22:                              ;   in Loop: Header=BB16_7 Depth=1
	s_and_b64 vcc, exec, s[20:21]
	s_cbranch_vccz .LBB16_33
.LBB16_23:                              ;   in Loop: Header=BB16_7 Depth=1
	v_mov_b32_e32 v2, 0
	s_and_saveexec_b64 s[2:3], s[6:7]
	s_cbranch_execz .LBB16_25
; %bb.24:                               ;   in Loop: Header=BB16_7 Depth=1
	global_load_dword v2, v[12:13], off
.LBB16_25:                              ;   in Loop: Header=BB16_7 Depth=1
	s_or_b64 exec, exec, s[2:3]
	s_mov_b64 s[2:3], exec
	v_readlane_b32 s16, v56, 9
	v_readlane_b32 s17, v56, 10
	s_and_b64 s[16:17], s[2:3], s[16:17]
	s_mov_b64 exec, s[16:17]
	s_cbranch_execz .LBB16_30
; %bb.26:                               ;   in Loop: Header=BB16_7 Depth=1
	v_readlane_b32 s16, v56, 11
	v_readlane_b32 s17, v56, 12
	s_mov_b64 s[20:21], 0
	v_mov_b32_e32 v4, v15
	v_mov_b32_e32 v19, v0
	s_nop 1
	global_load_ushort v3, v11, s[16:17]
	s_waitcnt vmcnt(0)
	v_add_u32_e32 v10, v0, v3
	v_lshlrev_b32_e32 v5, 2, v3
	v_mul_lo_u32 v9, s63, v3
	v_mul_lo_u32 v10, s63, v10
	s_branch .LBB16_28
.LBB16_27:                              ;   in Loop: Header=BB16_28 Depth=2
	s_or_b64 exec, exec, s[22:23]
	v_cmp_le_i32_e32 vcc, s60, v19
	ds_write_b32 v4, v2
	v_add_u32_e32 v4, v4, v5
	v_add_u32_e32 v10, v10, v9
	s_or_b64 s[20:21], vcc, s[20:21]
	s_waitcnt vmcnt(0)
	v_mov_b32_e32 v2, v20
	s_andn2_b64 exec, exec, s[20:21]
	s_cbranch_execz .LBB16_30
.LBB16_28:                              ;   Parent Loop BB16_7 Depth=1
                                        ; =>  This Inner Loop Header: Depth=2
	v_add_u32_e32 v19, v19, v3
	v_cmp_gt_u32_e32 vcc, s60, v19
	v_mov_b32_e32 v20, 0
	s_and_saveexec_b64 s[22:23], vcc
	s_cbranch_execz .LBB16_27
; %bb.29:                               ;   in Loop: Header=BB16_28 Depth=2
	v_lshl_add_u64 v[22:23], v[10:11], 2, s[68:69]
	global_load_dword v20, v[22:23], off
	s_branch .LBB16_27
.LBB16_30:                              ;   in Loop: Header=BB16_7 Depth=1
	s_or_b64 exec, exec, s[2:3]
	s_waitcnt lgkmcnt(0)
	s_barrier
	s_and_saveexec_b64 s[2:3], s[18:19]
; %bb.31:                               ;   in Loop: Header=BB16_7 Depth=1
	ds_write_b32 v11, v43 offset:4096
; %bb.32:                               ;   in Loop: Header=BB16_7 Depth=1
	s_or_b64 exec, exec, s[2:3]
	s_mov_b64 s[2:3], -1
	s_waitcnt lgkmcnt(0)
	s_barrier
.LBB16_33:                              ;   in Loop: Header=BB16_7 Depth=1
	s_and_b64 vcc, exec, s[2:3]
	s_cbranch_vccz .LBB16_35
; %bb.34:                               ;   in Loop: Header=BB16_7 Depth=1
	s_waitcnt vmcnt(0)
	ds_read_b32 v2, v11 offset:4096
	s_waitcnt lgkmcnt(0)
	v_readfirstlane_b32 s78, v2
.LBB16_35:                              ;   in Loop: Header=BB16_7 Depth=1
	s_cmp_lt_i32 s78, 1
	s_mov_b64 s[2:3], -1
                                        ; implicit-def: $vgpr5
	s_cbranch_scc1 .LBB16_45
; %bb.36:                               ;   in Loop: Header=BB16_7 Depth=1
	s_and_b64 vcc, exec, s[2:3]
	s_cbranch_vccnz .LBB16_58
.LBB16_37:                              ;   in Loop: Header=BB16_7 Depth=1
	s_waitcnt vmcnt(0)
	v_lshlrev_b32_e32 v10, 6, v40
	s_and_saveexec_b64 s[2:3], s[0:1]
.LBB16_38:                              ;   in Loop: Header=BB16_7 Depth=1
	v_lshl_add_u32 v9, v10, 2, v28
	ds_write_b128 v9, v[2:5]
.LBB16_39:                              ;   in Loop: Header=BB16_7 Depth=1
	s_or_b64 exec, exec, s[2:3]
	s_waitcnt lgkmcnt(0)
	s_barrier
	s_and_saveexec_b64 s[2:3], s[72:73]
	s_cbranch_execz .LBB16_78
; %bb.40:                               ;   in Loop: Header=BB16_7 Depth=1
	v_add_u32_e32 v4, v10, v26
	s_andn2_b64 vcc, exec, s[76:77]
	v_mov_b32_e32 v2, 0
	s_cbranch_vccnz .LBB16_77
; %bb.41:                               ;   in Loop: Header=BB16_7 Depth=1
	v_readlane_b32 s16, v56, 13
	v_readlane_b32 s17, v56, 14
	s_andn2_b64 vcc, exec, s[16:17]
	s_cbranch_vccnz .LBB16_70
; %bb.42:                               ;   in Loop: Header=BB16_7 Depth=1
	v_readlane_b32 s16, v56, 15
	v_readlane_b32 s17, v56, 16
	s_andn2_b64 vcc, exec, s[16:17]
	v_lshl_add_u32 v5, v4, 2, v39
	s_cbranch_vccnz .LBB16_71
; %bb.43:                               ;   in Loop: Header=BB16_7 Depth=1
	s_mov_b32 s21, 1
	s_mov_b32 s20, 0
	v_mov_b32_e32 v2, 0
	v_mov_b32_e32 v3, 0
	v_readlane_b32 s16, v56, 17
.LBB16_44:                              ;   Parent Loop BB16_7 Depth=1
                                        ; =>  This Inner Loop Header: Depth=2
	v_lshl_add_u32 v9, s20, 4, v5
	v_lshl_add_u32 v19, s21, 4, v5
	ds_read2_b32 v[22:23], v9 offset1:8
	ds_read2_b32 v[24:25], v19 offset1:8
	ds_read2_b32 v[44:45], v9 offset0:16 offset1:24
	ds_read2_b32 v[46:47], v19 offset0:16 offset1:24
	;; [unrolled: 1-line block ×6, first 2 shown]
	s_waitcnt lgkmcnt(7)
	v_add3_u32 v2, v22, v2, v23
	s_waitcnt lgkmcnt(6)
	v_add3_u32 v3, v24, v3, v25
	;; [unrolled: 2-line block ×3, first 2 shown]
	v_add3_u32 v2, v44, v2, v45
	s_add_i32 s21, s21, 16
	s_add_i32 s20, s20, 16
	s_add_i32 s16, s16, -8
	s_waitcnt lgkmcnt(3)
	v_add3_u32 v2, v48, v2, v49
	s_waitcnt lgkmcnt(2)
	v_add3_u32 v3, v50, v3, v51
	s_cmp_lg_u32 s16, 0
	s_waitcnt lgkmcnt(0)
	v_add3_u32 v3, v54, v3, v55
	v_add3_u32 v2, v52, v2, v53
	s_cbranch_scc1 .LBB16_44
	s_branch .LBB16_72
.LBB16_45:                              ;   in Loop: Header=BB16_7 Depth=1
	s_waitcnt vmcnt(0)
	v_mov_b32_e32 v2, 0
	v_mov_b32_e32 v3, 0
	;; [unrolled: 1-line block ×4, first 2 shown]
	s_and_saveexec_b64 s[66:67], s[10:11]
	s_cbranch_execnz .LBB16_48
; %bb.46:                               ;   in Loop: Header=BB16_7 Depth=1
	s_or_b64 exec, exec, s[66:67]
	v_mov_b32_e32 v10, 0
	s_and_saveexec_b64 s[2:3], s[12:13]
	s_cbranch_execnz .LBB16_51
.LBB16_47:                              ;   in Loop: Header=BB16_7 Depth=1
	s_or_b64 exec, exec, s[2:3]
	s_and_saveexec_b64 s[20:21], s[14:15]
	s_cbranch_execnz .LBB16_52
	s_branch .LBB16_57
.LBB16_48:                              ;   in Loop: Header=BB16_7 Depth=1
	s_mov_b32 s79, 0
	s_mov_b64 s[70:71], 0
	s_mov_b32 s80, 0
	s_mov_b32 s81, 0
	;; [unrolled: 1-line block ×4, first 2 shown]
	v_mov_b32_e32 v9, v15
.LBB16_49:                              ;   Parent Loop BB16_7 Depth=1
                                        ; =>  This Inner Loop Header: Depth=2
	v_add_u32_e32 v2, s79, v33
	v_add_u32_e32 v4, s79, v30
	;; [unrolled: 1-line block ×4, first 2 shown]
	v_ashrrev_i32_e32 v3, 31, v2
	v_ashrrev_i32_e32 v5, 31, v4
	v_ashrrev_i32_e32 v23, 31, v22
	v_ashrrev_i32_e32 v25, 31, v24
	v_lshl_add_u64 v[2:3], v[2:3], 2, s[68:69]
	v_lshl_add_u64 v[4:5], v[4:5], 2, s[68:69]
	;; [unrolled: 1-line block ×4, first 2 shown]
	global_load_dword v2, v[2:3], off
	s_nop 0
	global_load_dword v3, v[4:5], off
	s_nop 0
	global_load_dword v4, v[22:23], off
	global_load_dword v5, v[24:25], off
	v_add_u32_e32 v9, s33, v9
	s_add_i32 s79, s79, s8
	v_cmp_le_i32_e32 vcc, s85, v9
	s_waitcnt vmcnt(3)
	v_xor_b32_e32 v10, 0x80000000, v2
	v_bitop3_b32 v2, v2, v41, s61 bitop3:0x48
	s_waitcnt vmcnt(2)
	v_xor_b32_e32 v19, 0x80000000, v3
	v_bitop3_b32 v3, v3, v41, s61 bitop3:0x48
	v_cmp_eq_u32_e64 s[2:3], v2, v34
	v_bfe_u32 v2, v10, v38, 2
	s_waitcnt vmcnt(1)
	v_xor_b32_e32 v20, 0x80000000, v4
	v_bitop3_b32 v4, v4, v41, s61 bitop3:0x48
	v_cmp_eq_u32_e64 s[20:21], v3, v34
	v_bfe_u32 v3, v19, v38, 2
	v_cmp_eq_u32_e64 s[26:27], 0, v2
	s_waitcnt vmcnt(0)
	v_xor_b32_e32 v22, 0x80000000, v5
	v_bitop3_b32 v5, v5, v41, s61 bitop3:0x48
	v_cmp_eq_u32_e64 s[22:23], v4, v34
	v_bfe_u32 v4, v20, v38, 2
	v_cmp_eq_u32_e64 s[28:29], 0, v3
	s_and_b64 s[26:27], s[2:3], s[26:27]
	v_cmp_eq_u32_e64 s[24:25], v5, v34
	v_bfe_u32 v5, v22, v38, 2
	v_cmp_eq_u32_e64 s[30:31], 0, v4
	v_cmp_eq_u32_e64 s[36:37], 1, v2
	;; [unrolled: 1-line block ×4, first 2 shown]
	v_cndmask_b32_e64 v2, 0, 1, s[26:27]
	s_and_b64 s[26:27], s[20:21], s[28:29]
	v_cmp_eq_u32_e64 s[34:35], 0, v5
	v_cmp_eq_u32_e64 s[38:39], 1, v3
	;; [unrolled: 1-line block ×4, first 2 shown]
	v_cndmask_b32_e64 v3, 0, 1, s[26:27]
	s_and_b64 s[26:27], s[22:23], s[30:31]
	v_cmp_eq_u32_e64 s[40:41], 1, v4
	v_cmp_eq_u32_e64 s[48:49], 2, v4
	;; [unrolled: 1-line block ×3, first 2 shown]
	v_cndmask_b32_e64 v4, 0, 1, s[26:27]
	s_and_b64 s[26:27], s[24:25], s[34:35]
	v_cmp_eq_u32_e64 s[42:43], 1, v5
	v_cmp_eq_u32_e64 s[50:51], 2, v5
	;; [unrolled: 1-line block ×3, first 2 shown]
	v_cndmask_b32_e64 v5, 0, 1, s[26:27]
	s_and_b64 s[26:27], s[2:3], s[36:37]
	v_cndmask_b32_e64 v10, 0, 1, s[26:27]
	s_and_b64 s[26:27], s[20:21], s[38:39]
	;; [unrolled: 2-line block ×5, first 2 shown]
	s_and_b64 s[2:3], s[2:3], s[52:53]
	v_cndmask_b32_e64 v23, 0, 1, s[26:27]
	s_and_b64 s[26:27], s[20:21], s[46:47]
	v_cndmask_b32_e64 v45, 0, 1, s[2:3]
	;; [unrolled: 2-line block ×7, first 2 shown]
	v_cndmask_b32_e64 v48, 0, 1, s[2:3]
	v_cmp_ne_u32_e64 s[2:3], 0, v2
	v_cmp_ne_u32_e64 s[20:21], 0, v3
	;; [unrolled: 1-line block ×11, first 2 shown]
	s_bcnt1_i32_b64 s2, s[2:3]
	s_bcnt1_i32_b64 s3, s[20:21]
	;; [unrolled: 1-line block ×8, first 2 shown]
	v_cmp_ne_u32_e64 s[34:35], 0, v22
	v_cmp_ne_u32_e64 s[40:41], 0, v25
	;; [unrolled: 1-line block ×3, first 2 shown]
	s_bcnt1_i32_b64 s23, s[28:29]
	s_bcnt1_i32_b64 s27, s[38:39]
	;; [unrolled: 1-line block ×3, first 2 shown]
	s_add_i32 s2, s17, s2
	s_add_i32 s16, s16, s22
	;; [unrolled: 1-line block ×4, first 2 shown]
	v_cmp_ne_u32_e64 s[42:43], 0, v44
	v_cmp_ne_u32_e64 s[50:51], 0, v48
	s_bcnt1_i32_b64 s25, s[34:35]
	s_bcnt1_i32_b64 s28, s[40:41]
	;; [unrolled: 1-line block ×3, first 2 shown]
	s_add_i32 s2, s2, s3
	s_add_i32 s3, s16, s23
	;; [unrolled: 1-line block ×4, first 2 shown]
	s_bcnt1_i32_b64 s29, s[42:43]
	s_bcnt1_i32_b64 s35, s[50:51]
	s_add_i32 s2, s2, s20
	s_add_i32 s3, s3, s24
	;; [unrolled: 1-line block ×8, first 2 shown]
	s_or_b64 s[70:71], vcc, s[70:71]
	v_mov_b32_e32 v2, s17
	v_mov_b32_e32 v3, s16
	;; [unrolled: 1-line block ×4, first 2 shown]
	s_andn2_b64 exec, exec, s[70:71]
	s_cbranch_execnz .LBB16_49
; %bb.50:                               ;   in Loop: Header=BB16_7 Depth=1
	s_or_b64 exec, exec, s[70:71]
	s_or_b64 exec, exec, s[66:67]
	v_mov_b32_e32 v10, 0
	s_and_saveexec_b64 s[2:3], s[12:13]
	s_cbranch_execz .LBB16_47
.LBB16_51:                              ;   in Loop: Header=BB16_7 Depth=1
	global_load_dword v10, v[16:17], off
	s_or_b64 exec, exec, s[2:3]
	s_and_saveexec_b64 s[20:21], s[14:15]
	s_cbranch_execz .LBB16_57
.LBB16_52:                              ;   in Loop: Header=BB16_7 Depth=1
	s_mov_b64 s[22:23], 0
	v_mov_b32_e32 v22, v35
	v_mov_b32_e32 v9, v29
	s_branch .LBB16_54
.LBB16_53:                              ;   in Loop: Header=BB16_54 Depth=2
	s_or_b64 exec, exec, s[2:3]
	s_waitcnt vmcnt(0)
	v_xor_b32_e32 v20, 0x80000000, v10
	v_bitop3_b32 v10, v10, v41, s61 bitop3:0x48
	v_cmp_eq_u32_e32 vcc, v10, v34
	v_bfe_u32 v10, v20, v38, 2
	v_cmp_eq_u32_e64 s[2:3], 0, v10
	s_and_b64 s[2:3], vcc, s[2:3]
	v_add_u32_e32 v22, s82, v22
	v_cndmask_b32_e64 v20, 0, 1, s[2:3]
	v_cmp_ne_u32_e64 s[2:3], 0, v20
	s_bcnt1_i32_b64 s2, s[2:3]
	s_nop 0
	v_add_u32_e32 v2, s2, v2
	v_cmp_eq_u32_e64 s[2:3], 1, v10
	s_and_b64 s[2:3], vcc, s[2:3]
	s_nop 0
	v_cndmask_b32_e64 v20, 0, 1, s[2:3]
	v_cmp_ne_u32_e64 s[2:3], 0, v20
	s_bcnt1_i32_b64 s2, s[2:3]
	s_nop 0
	v_add_u32_e32 v3, s2, v3
	v_cmp_eq_u32_e64 s[2:3], 2, v10
	s_and_b64 s[2:3], vcc, s[2:3]
	s_nop 0
	;; [unrolled: 8-line block ×3, first 2 shown]
	v_cndmask_b32_e64 v10, 0, 1, s[2:3]
	v_cmp_ne_u32_e32 vcc, 0, v10
	s_bcnt1_i32_b64 s2, vcc
	v_cmp_le_i32_e32 vcc, s60, v9
	v_add_u32_e32 v5, s2, v5
	s_or_b64 s[22:23], vcc, s[22:23]
	v_mov_b32_e32 v10, v19
	s_andn2_b64 exec, exec, s[22:23]
	s_cbranch_execz .LBB16_56
.LBB16_54:                              ;   Parent Loop BB16_7 Depth=1
                                        ; =>  This Inner Loop Header: Depth=2
	v_add_u32_e32 v9, s62, v9
	v_cmp_gt_u32_e32 vcc, s60, v9
	v_mov_b32_e32 v19, 0
	s_and_saveexec_b64 s[2:3], vcc
	s_cbranch_execz .LBB16_53
; %bb.55:                               ;   in Loop: Header=BB16_54 Depth=2
	v_ashrrev_i32_e32 v23, 31, v22
	v_lshl_add_u64 v[24:25], v[22:23], 2, s[68:69]
	global_load_dword v19, v[24:25], off
	s_branch .LBB16_53
.LBB16_56:                              ;   in Loop: Header=BB16_7 Depth=1
	s_or_b64 exec, exec, s[22:23]
.LBB16_57:                              ;   in Loop: Header=BB16_7 Depth=1
	s_or_b64 exec, exec, s[20:21]
	s_branch .LBB16_37
.LBB16_58:                              ;   in Loop: Header=BB16_7 Depth=1
	s_mul_hi_u32 s2, s78, s87
	s_mul_i32 s2, s2, s33
	s_sub_i32 s2, s78, s2
	s_sub_i32 s3, s2, s33
	s_cmp_ge_u32 s2, s33
	s_cselect_b32 s2, s3, s2
	s_sub_i32 s3, s2, s33
	s_cmp_ge_u32 s2, s33
	s_cselect_b32 s2, s3, s2
	s_sub_i32 s79, s78, s2
	v_cmp_gt_u32_e32 vcc, s79, v15
	s_waitcnt vmcnt(0)
	v_mov_b32_e32 v2, 0
	v_mov_b32_e32 v3, 0
	;; [unrolled: 1-line block ×4, first 2 shown]
	s_and_saveexec_b64 s[66:67], vcc
	s_cbranch_execz .LBB16_62
; %bb.59:                               ;   in Loop: Header=BB16_7 Depth=1
	s_mov_b32 s16, 0
	s_mov_b64 s[70:71], 0
	v_mov_b32_e32 v9, v36
	s_mov_b32 s17, 0
	s_mov_b32 s80, 0
	;; [unrolled: 1-line block ×3, first 2 shown]
	v_mov_b32_e32 v10, v15
.LBB16_60:                              ;   Parent Loop BB16_7 Depth=1
                                        ; =>  This Inner Loop Header: Depth=2
	ds_read_b128 v[2:5], v9
	v_add_u32_e32 v10, s33, v10
	v_cmp_le_i32_e32 vcc, s79, v10
	v_add_u32_e32 v9, s9, v9
	s_waitcnt lgkmcnt(0)
	v_xor_b32_e32 v19, 0x80000000, v2
	v_bitop3_b32 v2, v2, v41, s61 bitop3:0x48
	v_xor_b32_e32 v20, 0x80000000, v3
	v_bitop3_b32 v3, v3, v41, s61 bitop3:0x48
	v_cmp_eq_u32_e64 s[2:3], v2, v34
	v_bfe_u32 v2, v19, v38, 2
	v_xor_b32_e32 v22, 0x80000000, v4
	v_bitop3_b32 v4, v4, v41, s61 bitop3:0x48
	v_cmp_eq_u32_e64 s[20:21], v3, v34
	v_bfe_u32 v3, v20, v38, 2
	v_cmp_eq_u32_e64 s[26:27], 0, v2
	v_xor_b32_e32 v23, 0x80000000, v5
	v_bitop3_b32 v5, v5, v41, s61 bitop3:0x48
	v_cmp_eq_u32_e64 s[22:23], v4, v34
	v_bfe_u32 v4, v22, v38, 2
	v_cmp_eq_u32_e64 s[28:29], 0, v3
	s_and_b64 s[26:27], s[2:3], s[26:27]
	v_cmp_eq_u32_e64 s[24:25], v5, v34
	v_bfe_u32 v5, v23, v38, 2
	v_cmp_eq_u32_e64 s[30:31], 0, v4
	v_cmp_eq_u32_e64 s[36:37], 1, v2
	;; [unrolled: 1-line block ×4, first 2 shown]
	v_cndmask_b32_e64 v2, 0, 1, s[26:27]
	s_and_b64 s[26:27], s[20:21], s[28:29]
	v_cmp_eq_u32_e64 s[34:35], 0, v5
	v_cmp_eq_u32_e64 s[38:39], 1, v3
	;; [unrolled: 1-line block ×4, first 2 shown]
	v_cndmask_b32_e64 v3, 0, 1, s[26:27]
	s_and_b64 s[26:27], s[22:23], s[30:31]
	v_cmp_eq_u32_e64 s[40:41], 1, v4
	v_cmp_eq_u32_e64 s[48:49], 2, v4
	;; [unrolled: 1-line block ×3, first 2 shown]
	v_cndmask_b32_e64 v4, 0, 1, s[26:27]
	s_and_b64 s[26:27], s[24:25], s[34:35]
	v_cmp_eq_u32_e64 s[42:43], 1, v5
	v_cmp_eq_u32_e64 s[50:51], 2, v5
	;; [unrolled: 1-line block ×3, first 2 shown]
	v_cndmask_b32_e64 v5, 0, 1, s[26:27]
	s_and_b64 s[26:27], s[2:3], s[36:37]
	v_cndmask_b32_e64 v19, 0, 1, s[26:27]
	s_and_b64 s[26:27], s[20:21], s[38:39]
	;; [unrolled: 2-line block ×5, first 2 shown]
	s_and_b64 s[2:3], s[2:3], s[52:53]
	v_cndmask_b32_e64 v24, 0, 1, s[26:27]
	s_and_b64 s[26:27], s[20:21], s[46:47]
	v_cndmask_b32_e64 v46, 0, 1, s[2:3]
	;; [unrolled: 2-line block ×7, first 2 shown]
	v_cndmask_b32_e64 v49, 0, 1, s[2:3]
	v_cmp_ne_u32_e64 s[2:3], 0, v2
	v_cmp_ne_u32_e64 s[20:21], 0, v3
	v_cmp_ne_u32_e64 s[22:23], 0, v4
	v_cmp_ne_u32_e64 s[24:25], 0, v5
	v_cmp_ne_u32_e64 s[26:27], 0, v19
	v_cmp_ne_u32_e64 s[30:31], 0, v22
	v_cmp_ne_u32_e64 s[36:37], 0, v24
	v_cmp_ne_u32_e64 s[44:45], 0, v46
	v_cmp_ne_u32_e64 s[28:29], 0, v20
	v_cmp_ne_u32_e64 s[38:39], 0, v25
	v_cmp_ne_u32_e64 s[46:47], 0, v47
	s_bcnt1_i32_b64 s2, s[2:3]
	s_bcnt1_i32_b64 s3, s[20:21]
	;; [unrolled: 1-line block ×8, first 2 shown]
	v_cmp_ne_u32_e64 s[34:35], 0, v23
	v_cmp_ne_u32_e64 s[40:41], 0, v44
	;; [unrolled: 1-line block ×3, first 2 shown]
	s_bcnt1_i32_b64 s23, s[28:29]
	s_bcnt1_i32_b64 s27, s[38:39]
	;; [unrolled: 1-line block ×3, first 2 shown]
	s_add_i32 s2, s81, s2
	s_add_i32 s22, s80, s22
	;; [unrolled: 1-line block ×4, first 2 shown]
	v_cmp_ne_u32_e64 s[42:43], 0, v45
	v_cmp_ne_u32_e64 s[50:51], 0, v49
	s_bcnt1_i32_b64 s25, s[34:35]
	s_bcnt1_i32_b64 s28, s[40:41]
	;; [unrolled: 1-line block ×3, first 2 shown]
	s_add_i32 s2, s2, s3
	s_add_i32 s3, s22, s23
	;; [unrolled: 1-line block ×4, first 2 shown]
	s_bcnt1_i32_b64 s29, s[42:43]
	s_bcnt1_i32_b64 s35, s[50:51]
	s_add_i32 s2, s2, s20
	s_add_i32 s3, s3, s24
	;; [unrolled: 1-line block ×8, first 2 shown]
	s_or_b64 s[70:71], vcc, s[70:71]
	v_mov_b32_e32 v2, s81
	v_mov_b32_e32 v3, s80
	;; [unrolled: 1-line block ×4, first 2 shown]
	s_andn2_b64 exec, exec, s[70:71]
	s_cbranch_execnz .LBB16_60
; %bb.61:                               ;   in Loop: Header=BB16_7 Depth=1
	s_or_b64 exec, exec, s[70:71]
.LBB16_62:                              ;   in Loop: Header=BB16_7 Depth=1
	s_or_b64 exec, exec, s[66:67]
	v_add_u32_e32 v9, s79, v0
	v_cmp_gt_i32_e32 vcc, s78, v9
	s_and_saveexec_b64 s[28:29], vcc
	s_cbranch_execz .LBB16_66
; %bb.63:                               ;   in Loop: Header=BB16_7 Depth=1
	v_lshlrev_b32_e32 v10, 2, v9
	s_mov_b64 s[30:31], 0
.LBB16_64:                              ;   Parent Loop BB16_7 Depth=1
                                        ; =>  This Inner Loop Header: Depth=2
	ds_read_b32 v19, v10
	v_add_u32_e32 v9, s62, v9
	v_cmp_le_i32_e32 vcc, s78, v9
	v_add_u32_e32 v10, s33, v10
	s_waitcnt lgkmcnt(0)
	v_xor_b32_e32 v20, 0x80000000, v19
	v_bitop3_b32 v19, v19, v41, s61 bitop3:0x48
	v_cmp_eq_u32_e64 s[2:3], v19, v34
	v_bfe_u32 v19, v20, v38, 2
	v_cmp_eq_u32_e64 s[20:21], 0, v19
	v_cmp_eq_u32_e64 s[22:23], 1, v19
	s_and_b64 s[16:17], s[2:3], s[20:21]
	v_cmp_eq_u32_e64 s[24:25], 2, v19
	v_cmp_eq_u32_e64 s[26:27], 3, v19
	v_cndmask_b32_e64 v19, 0, 1, s[16:17]
	s_and_b64 s[16:17], s[2:3], s[22:23]
	v_cndmask_b32_e64 v20, 0, 1, s[16:17]
	s_and_b64 s[16:17], s[2:3], s[24:25]
	s_and_b64 s[2:3], s[2:3], s[26:27]
	v_cndmask_b32_e64 v22, 0, 1, s[16:17]
	v_cndmask_b32_e64 v23, 0, 1, s[2:3]
	v_cmp_ne_u32_e64 s[2:3], 0, v19
	v_cmp_ne_u32_e64 s[20:21], 0, v20
	;; [unrolled: 1-line block ×4, first 2 shown]
	s_bcnt1_i32_b64 s2, s[2:3]
	s_bcnt1_i32_b64 s3, s[20:21]
	;; [unrolled: 1-line block ×4, first 2 shown]
	v_add_u32_e32 v2, s2, v2
	v_add_u32_e32 v3, s3, v3
	;; [unrolled: 1-line block ×3, first 2 shown]
	s_or_b64 s[30:31], vcc, s[30:31]
	v_add_u32_e32 v5, s17, v5
	s_andn2_b64 exec, exec, s[30:31]
	s_cbranch_execnz .LBB16_64
; %bb.65:                               ;   in Loop: Header=BB16_7 Depth=1
	s_or_b64 exec, exec, s[30:31]
.LBB16_66:                              ;   in Loop: Header=BB16_7 Depth=1
	s_or_b64 exec, exec, s[28:29]
	v_lshlrev_b32_e32 v10, 6, v40
	s_and_saveexec_b64 s[2:3], s[0:1]
	s_cbranch_execnz .LBB16_38
	s_branch .LBB16_39
.LBB16_67:                              ;   in Loop: Header=BB16_7 Depth=1
	s_or_b64 exec, exec, s[22:23]
	s_waitcnt lgkmcnt(0)
	s_barrier
	s_and_saveexec_b64 s[2:3], s[18:19]
	s_cbranch_execz .LBB16_69
; %bb.68:                               ;   in Loop: Header=BB16_7 Depth=1
	ds_read_b32 v2, v11 offset:4104
	s_waitcnt lgkmcnt(0)
	ds_write_b32 v11, v2 offset:4096
.LBB16_69:                              ;   in Loop: Header=BB16_7 Depth=1
	s_or_b64 exec, exec, s[2:3]
	s_waitcnt lgkmcnt(0)
	s_barrier
	s_mov_b64 s[2:3], -1
	s_and_b64 vcc, exec, s[20:21]
	s_cbranch_vccnz .LBB16_23
	s_branch .LBB16_33
.LBB16_70:                              ;   in Loop: Header=BB16_7 Depth=1
	v_mov_b32_e32 v2, 0
	s_mov_b32 s16, 0
	s_cbranch_execnz .LBB16_75
	s_branch .LBB16_77
.LBB16_71:                              ;   in Loop: Header=BB16_7 Depth=1
	v_mov_b32_e32 v9, v8
	v_readlane_b32 s20, v56, 4
	v_mov_b64_e32 v[2:3], v[8:9]
	v_readlane_b32 s21, v56, 5
.LBB16_72:                              ;   in Loop: Header=BB16_7 Depth=1
	v_readlane_b32 s16, v56, 19
	v_readlane_b32 s17, v56, 20
	s_andn2_b64 vcc, exec, s[16:17]
	v_readlane_b32 s16, v56, 18
	s_cbranch_vccnz .LBB16_74
.LBB16_73:                              ;   Parent Loop BB16_7 Depth=1
                                        ; =>  This Inner Loop Header: Depth=2
	v_lshl_add_u32 v9, s20, 4, v5
	v_lshl_add_u32 v19, s21, 4, v5
	ds_read_b32 v19, v19
	ds_read_b32 v9, v9
	s_add_i32 s21, s21, 2
	s_add_i32 s20, s20, 2
	s_add_i32 s16, s16, -1
	s_cmp_lg_u32 s16, 0
	s_waitcnt lgkmcnt(1)
	v_add_u32_e32 v3, v19, v3
	s_waitcnt lgkmcnt(0)
	v_add_u32_e32 v2, v9, v2
	s_cbranch_scc1 .LBB16_73
.LBB16_74:                              ;   in Loop: Header=BB16_7 Depth=1
	v_readlane_b32 s20, v56, 23
	v_add_u32_e32 v2, v2, v3
	v_readlane_b32 s16, v56, 22
	v_readlane_b32 s21, v56, 24
	s_and_b64 vcc, exec, s[20:21]
	s_cbranch_vccz .LBB16_77
.LBB16_75:                              ;   in Loop: Header=BB16_7 Depth=1
	v_lshlrev_b32_e32 v3, 8, v40
	s_lshl_b32 s17, s16, 4
	v_add_u32_e32 v3, s17, v3
	v_readlane_b32 s17, v56, 21
	v_add_u32_e32 v3, v37, v3
	s_sub_i32 s16, s17, s16
.LBB16_76:                              ;   Parent Loop BB16_7 Depth=1
                                        ; =>  This Inner Loop Header: Depth=2
	ds_read_b32 v5, v3
	s_add_i32 s16, s16, -1
	v_add_u32_e32 v3, 16, v3
	s_cmp_eq_u32 s16, 0
	s_waitcnt lgkmcnt(0)
	v_add_u32_e32 v2, v5, v2
	s_cbranch_scc0 .LBB16_76
.LBB16_77:                              ;   in Loop: Header=BB16_7 Depth=1
	v_lshlrev_b32_e32 v3, 2, v4
	ds_write_b32 v3, v2 offset:3072
.LBB16_78:                              ;   in Loop: Header=BB16_7 Depth=1
	s_or_b64 exec, exec, s[2:3]
	v_lshlrev_b32_e32 v2, 2, v10
	s_waitcnt lgkmcnt(0)
	s_barrier
	ds_read_b128 v[2:5], v2 offset:3072
	v_cmp_eq_u32_e32 vcc, 1, v42
	s_mov_b64 s[20:21], -1
	s_mov_b64 s[28:29], -1
                                        ; implicit-def: $sgpr26_sgpr27
                                        ; implicit-def: $sgpr24_sgpr25
	s_waitcnt lgkmcnt(0)
	v_readfirstlane_b32 s42, v2
	s_cmp_eq_u32 s42, 1
	v_readfirstlane_b32 s54, v4
	v_lshlrev_b32_e64 v4, v38, 3
	s_cselect_b64 s[2:3], -1, 0
	v_readfirstlane_b32 s46, v3
	v_readfirstlane_b32 s70, v5
	v_not_b32_e32 v9, v4
	s_and_b64 s[22:23], s[2:3], vcc
	s_and_saveexec_b64 s[2:3], s[22:23]
	s_cbranch_execz .LBB16_104
; %bb.79:                               ;   in Loop: Header=BB16_7 Depth=1
	ds_read_b32 v2, v11 offset:4096
	s_waitcnt lgkmcnt(0)
	s_barrier
	v_readfirstlane_b32 s16, v2
	s_and_saveexec_b64 s[24:25], s[4:5]
; %bb.80:                               ;   in Loop: Header=BB16_7 Depth=1
	ds_write_b32 v27, v11
; %bb.81:                               ;   in Loop: Header=BB16_7 Depth=1
	s_or_b64 exec, exec, s[24:25]
	v_and_b32_e32 v34, v34, v9
	v_or_b32_e32 v41, v41, v4
	s_mov_b64 s[24:25], -1
	s_mov_b64 s[26:27], 0
	s_cmp_lt_i32 s16, 1
	s_mov_b64 s[28:29], 0
	s_mov_b64 s[30:31], -1
	s_waitcnt lgkmcnt(0)
	s_barrier
                                        ; implicit-def: $vgpr21
	s_cbranch_scc0 .LBB16_92
; %bb.82:                               ;   in Loop: Header=BB16_7 Depth=1
	s_mov_b64 s[30:31], 0
                                        ; implicit-def: $vgpr21
	s_mov_b64 s[34:35], exec
	v_readlane_b32 s36, v56, 25
	v_readlane_b32 s37, v56, 26
	s_and_b64 s[36:37], s[34:35], s[36:37]
	s_mov_b64 exec, s[36:37]
	s_cbranch_execz .LBB16_91
; %bb.83:                               ;   in Loop: Header=BB16_7 Depth=1
	v_mov_b32_e32 v2, v6
	v_mov_b32_e32 v5, v0
                                        ; implicit-def: $sgpr36_sgpr37
	s_branch .LBB16_86
.LBB16_84:                              ;   in Loop: Header=BB16_86 Depth=2
	s_or_b64 exec, exec, s[38:39]
	s_waitcnt lgkmcnt(0)
	s_barrier
	ds_read_b64 v[20:21], v11 offset:3072
	s_mov_b64 s[38:39], -1
	s_mov_b64 s[40:41], -1
	s_waitcnt lgkmcnt(0)
	s_barrier
	v_cmp_ne_u32_e32 vcc, 0, v20
	s_cbranch_vccz .LBB16_89
.LBB16_85:                              ;   in Loop: Header=BB16_86 Depth=2
	s_and_b64 s[38:39], exec, s[38:39]
	s_or_b64 s[28:29], s[38:39], s[28:29]
	s_andn2_b64 s[36:37], s[36:37], exec
	s_and_b64 s[38:39], s[40:41], exec
	s_or_b64 s[36:37], s[36:37], s[38:39]
	s_andn2_b64 exec, exec, s[28:29]
	s_cbranch_execz .LBB16_90
.LBB16_86:                              ;   Parent Loop BB16_7 Depth=1
                                        ; =>  This Inner Loop Header: Depth=2
	v_cmp_gt_i32_e32 vcc, s60, v5
	s_and_saveexec_b64 s[38:39], vcc
	s_cbranch_execz .LBB16_84
; %bb.87:                               ;   in Loop: Header=BB16_86 Depth=2
	v_ashrrev_i32_e32 v3, 31, v2
	v_lshl_add_u64 v[20:21], v[2:3], 2, s[68:69]
	global_load_dword v19, v[20:21], off
	s_waitcnt vmcnt(0)
	v_bitop3_b32 v3, v19, v41, s61 bitop3:0x48
	v_cmp_eq_u32_e32 vcc, v3, v34
	s_and_b64 exec, exec, vcc
	s_cbranch_execz .LBB16_84
; %bb.88:                               ;   in Loop: Header=BB16_86 Depth=2
	ds_write_b64 v11, v[18:19] offset:3072
	s_branch .LBB16_84
.LBB16_89:                              ;   in Loop: Header=BB16_86 Depth=2
	v_add_u32_e32 v5, s62, v5
	v_cmp_le_i32_e32 vcc, s84, v5
	v_add_u32_e32 v2, s82, v2
	s_mov_b64 s[40:41], 0
	s_orn2_b64 s[38:39], vcc, exec
	s_branch .LBB16_85
.LBB16_90:                              ;   in Loop: Header=BB16_7 Depth=1
	s_or_b64 exec, exec, s[28:29]
	s_and_b64 s[28:29], s[36:37], exec
.LBB16_91:                              ;   in Loop: Header=BB16_7 Depth=1
	s_or_b64 exec, exec, s[34:35]
.LBB16_92:                              ;   in Loop: Header=BB16_7 Depth=1
	s_and_b64 vcc, exec, s[30:31]
	s_cbranch_vccz .LBB16_103
; %bb.93:                               ;   in Loop: Header=BB16_7 Depth=1
	s_add_i32 s17, s16, s83
	s_abs_i32 s25, s17
	s_mul_hi_u32 s26, s25, s86
	s_mul_i32 s26, s26, s62
	s_sub_i32 s25, s25, s26
	s_ashr_i32 s24, s17, 31
	s_sub_i32 s26, s25, s62
	s_cmp_ge_u32 s25, s62
	s_cselect_b32 s25, s26, s25
	s_sub_i32 s26, s25, s62
	s_cmp_ge_u32 s25, s62
	s_cselect_b32 s25, s26, s25
	s_xor_b32 s25, s25, s24
	s_sub_i32 s24, s24, s25
	s_add_i32 s17, s17, s24
	v_cmp_gt_i32_e32 vcc, s17, v0
                                        ; implicit-def: $vgpr21
	s_and_saveexec_b64 s[24:25], vcc
	s_cbranch_execz .LBB16_102
; %bb.94:                               ;   in Loop: Header=BB16_7 Depth=1
	s_mov_b64 s[26:27], 0
	v_mov_b32_e32 v2, v15
	v_mov_b32_e32 v3, v0
                                        ; implicit-def: $sgpr30_sgpr31
	s_branch .LBB16_97
.LBB16_95:                              ;   in Loop: Header=BB16_97 Depth=2
	s_or_b64 exec, exec, s[34:35]
	s_waitcnt lgkmcnt(0)
	s_barrier
	ds_read_b64 v[20:21], v11 offset:3072
	s_mov_b64 s[34:35], -1
	s_mov_b64 s[36:37], -1
	s_waitcnt lgkmcnt(0)
	s_barrier
	v_cmp_ne_u32_e32 vcc, 0, v20
	s_cbranch_vccz .LBB16_100
.LBB16_96:                              ;   in Loop: Header=BB16_97 Depth=2
	s_and_b64 s[34:35], exec, s[34:35]
	s_or_b64 s[26:27], s[34:35], s[26:27]
	s_andn2_b64 s[30:31], s[30:31], exec
	s_and_b64 s[34:35], s[36:37], exec
	s_or_b64 s[30:31], s[30:31], s[34:35]
	s_andn2_b64 exec, exec, s[26:27]
	s_cbranch_execz .LBB16_101
.LBB16_97:                              ;   Parent Loop BB16_7 Depth=1
                                        ; =>  This Inner Loop Header: Depth=2
	v_cmp_gt_i32_e32 vcc, s16, v3
	s_and_saveexec_b64 s[34:35], vcc
	s_cbranch_execz .LBB16_95
; %bb.98:                               ;   in Loop: Header=BB16_97 Depth=2
	ds_read_b32 v19, v2
	s_waitcnt lgkmcnt(0)
	v_bitop3_b32 v5, v19, v41, s61 bitop3:0x48
	v_cmp_eq_u32_e32 vcc, v5, v34
	s_and_b64 exec, exec, vcc
	s_cbranch_execz .LBB16_95
; %bb.99:                               ;   in Loop: Header=BB16_97 Depth=2
	ds_write_b64 v11, v[18:19] offset:3072
	s_branch .LBB16_95
.LBB16_100:                             ;   in Loop: Header=BB16_97 Depth=2
	v_add_u32_e32 v3, s62, v3
	v_cmp_le_i32_e32 vcc, s17, v3
	v_add_u32_e32 v2, s33, v2
	s_mov_b64 s[36:37], 0
	s_orn2_b64 s[34:35], vcc, exec
	s_branch .LBB16_96
.LBB16_101:                             ;   in Loop: Header=BB16_7 Depth=1
	s_or_b64 exec, exec, s[26:27]
	s_andn2_b64 s[16:17], s[28:29], exec
	s_and_b64 s[26:27], s[30:31], exec
	s_or_b64 s[28:29], s[16:17], s[26:27]
.LBB16_102:                             ;   in Loop: Header=BB16_7 Depth=1
	s_or_b64 exec, exec, s[24:25]
	s_mov_b64 s[24:25], 0
	s_mov_b64 s[26:27], -1
.LBB16_103:                             ;   in Loop: Header=BB16_7 Depth=1
	s_orn2_b64 s[28:29], s[28:29], exec
.LBB16_104:                             ;   in Loop: Header=BB16_7 Depth=1
	s_or_b64 exec, exec, s[2:3]
	s_andn2_b64 s[2:3], s[64:65], exec
	s_and_b64 s[16:17], s[26:27], exec
	s_or_b64 s[64:65], s[2:3], s[16:17]
	s_andn2_b64 s[2:3], s[98:99], exec
	s_and_b64 s[16:17], s[24:25], exec
	s_andn2_b64 s[96:97], s[96:97], exec
	s_or_b64 s[98:99], s[2:3], s[16:17]
                                        ; implicit-def: $vgpr10
	s_and_saveexec_b64 s[2:3], s[28:29]
	s_cbranch_execz .LBB16_6
; %bb.105:                              ;   in Loop: Header=BB16_7 Depth=1
	s_xor_b64 s[16:17], s[22:23], -1
	s_mov_b64 s[22:23], 0
	v_mov_b32_e32 v10, 1
	v_mov_b32_e32 v5, 1
	s_and_saveexec_b64 s[20:21], s[16:17]
	s_cbranch_execz .LBB16_114
; %bb.106:                              ;   in Loop: Header=BB16_7 Depth=1
	v_cmp_ge_i32_e32 vcc, s42, v42
	s_and_saveexec_b64 s[16:17], vcc
	s_xor_b64 s[22:23], exec, s[16:17]
	s_cbranch_execz .LBB16_111
; %bb.107:                              ;   in Loop: Header=BB16_7 Depth=1
	ds_read_b32 v2, v11 offset:4096
	v_and_b32_e32 v34, v34, v9
	v_or_b32_e32 v41, v41, v4
	s_waitcnt lgkmcnt(0)
	v_cmp_ne_u32_e32 vcc, 0, v2
	s_cbranch_vccnz .LBB16_111
; %bb.108:                              ;   in Loop: Header=BB16_7 Depth=1
	s_and_saveexec_b64 s[24:25], s[18:19]
; %bb.109:                              ;   in Loop: Header=BB16_7 Depth=1
	v_mov_b32_e32 v2, s42
	ds_write_b32 v11, v2 offset:4100
; %bb.110:                              ;   in Loop: Header=BB16_7 Depth=1
	s_or_b64 exec, exec, s[24:25]
	s_waitcnt lgkmcnt(0)
	s_barrier
.LBB16_111:                             ;   in Loop: Header=BB16_7 Depth=1
	s_or_saveexec_b64 s[22:23], s[22:23]
	s_mov_b64 s[24:25], 0
	v_mov_b32_e32 v5, 8
	s_xor_b64 exec, exec, s[22:23]
; %bb.112:                              ;   in Loop: Header=BB16_7 Depth=1
	s_mov_b64 s[24:25], exec
	v_subrev_u32_e32 v42, s42, v42
	v_mov_b32_e32 v5, 0
; %bb.113:                              ;   in Loop: Header=BB16_7 Depth=1
	s_or_b64 exec, exec, s[22:23]
	s_and_b64 s[22:23], s[24:25], exec
	v_mov_b32_e32 v10, v42
.LBB16_114:                             ;   in Loop: Header=BB16_7 Depth=1
	s_or_b64 exec, exec, s[20:21]
	s_mov_b64 s[20:21], -1
	s_mov_b64 s[28:29], -1
                                        ; implicit-def: $sgpr24_sgpr25
                                        ; implicit-def: $sgpr26_sgpr27
	s_and_saveexec_b64 s[16:17], s[22:23]
	s_xor_b64 s[22:23], exec, s[16:17]
	s_cbranch_execz .LBB16_231
; %bb.115:                              ;   in Loop: Header=BB16_7 Depth=1
	s_cmp_eq_u32 s46, 1
	s_cselect_b64 s[16:17], -1, 0
	v_cmp_eq_u32_e32 vcc, 1, v10
	s_and_b64 s[30:31], s[16:17], vcc
	s_mov_b64 s[34:35], -1
                                        ; implicit-def: $sgpr26_sgpr27
                                        ; implicit-def: $sgpr24_sgpr25
	s_and_saveexec_b64 s[28:29], s[30:31]
	s_cbranch_execz .LBB16_141
; %bb.116:                              ;   in Loop: Header=BB16_7 Depth=1
	ds_read_b32 v2, v11 offset:4096
	s_waitcnt lgkmcnt(0)
	s_barrier
	v_readfirstlane_b32 s16, v2
	s_and_saveexec_b64 s[24:25], s[4:5]
; %bb.117:                              ;   in Loop: Header=BB16_7 Depth=1
	ds_write_b32 v27, v11
; %bb.118:                              ;   in Loop: Header=BB16_7 Depth=1
	s_or_b64 exec, exec, s[24:25]
	v_and_b32_e32 v2, v34, v9
	v_lshl_or_b32 v34, 1, v38, v2
	v_or_b32_e32 v41, v41, v4
	s_mov_b64 s[24:25], -1
	s_mov_b64 s[26:27], 0
	s_cmp_gt_i32 s16, 0
	s_mov_b64 s[34:35], 0
	s_mov_b64 s[36:37], -1
	s_waitcnt lgkmcnt(0)
	s_barrier
                                        ; implicit-def: $vgpr21
	s_cbranch_scc1 .LBB16_129
; %bb.119:                              ;   in Loop: Header=BB16_7 Depth=1
	s_mov_b64 s[36:37], 0
                                        ; implicit-def: $vgpr21
	s_mov_b64 s[38:39], exec
	v_readlane_b32 s40, v56, 25
	v_readlane_b32 s41, v56, 26
	s_and_b64 s[40:41], s[38:39], s[40:41]
	s_mov_b64 exec, s[40:41]
	s_cbranch_execz .LBB16_128
; %bb.120:                              ;   in Loop: Header=BB16_7 Depth=1
	v_mov_b32_e32 v2, v6
	v_mov_b32_e32 v22, v0
                                        ; implicit-def: $sgpr40_sgpr41
	s_branch .LBB16_123
.LBB16_121:                             ;   in Loop: Header=BB16_123 Depth=2
	s_or_b64 exec, exec, s[42:43]
	s_waitcnt lgkmcnt(0)
	s_barrier
	ds_read_b64 v[20:21], v11 offset:3072
	s_mov_b64 s[42:43], -1
	s_mov_b64 s[44:45], -1
	s_waitcnt lgkmcnt(0)
	s_barrier
	v_cmp_ne_u32_e32 vcc, 0, v20
	s_cbranch_vccz .LBB16_126
.LBB16_122:                             ;   in Loop: Header=BB16_123 Depth=2
	s_and_b64 s[42:43], exec, s[42:43]
	s_or_b64 s[34:35], s[42:43], s[34:35]
	s_andn2_b64 s[40:41], s[40:41], exec
	s_and_b64 s[42:43], s[44:45], exec
	s_or_b64 s[40:41], s[40:41], s[42:43]
	s_andn2_b64 exec, exec, s[34:35]
	s_cbranch_execz .LBB16_127
.LBB16_123:                             ;   Parent Loop BB16_7 Depth=1
                                        ; =>  This Inner Loop Header: Depth=2
	v_cmp_gt_i32_e32 vcc, s60, v22
	s_and_saveexec_b64 s[42:43], vcc
	s_cbranch_execz .LBB16_121
; %bb.124:                              ;   in Loop: Header=BB16_123 Depth=2
	v_ashrrev_i32_e32 v3, 31, v2
	v_lshl_add_u64 v[20:21], v[2:3], 2, s[68:69]
	global_load_dword v19, v[20:21], off
	s_waitcnt vmcnt(0)
	v_bitop3_b32 v3, v19, v41, s61 bitop3:0x48
	v_cmp_eq_u32_e32 vcc, v3, v34
	s_and_b64 exec, exec, vcc
	s_cbranch_execz .LBB16_121
; %bb.125:                              ;   in Loop: Header=BB16_123 Depth=2
	ds_write_b64 v11, v[18:19] offset:3072
	s_branch .LBB16_121
.LBB16_126:                             ;   in Loop: Header=BB16_123 Depth=2
	v_add_u32_e32 v22, s62, v22
	v_cmp_le_i32_e32 vcc, s84, v22
	v_add_u32_e32 v2, s82, v2
	s_mov_b64 s[44:45], 0
	s_orn2_b64 s[42:43], vcc, exec
	s_branch .LBB16_122
.LBB16_127:                             ;   in Loop: Header=BB16_7 Depth=1
	s_or_b64 exec, exec, s[34:35]
	s_and_b64 s[34:35], s[40:41], exec
.LBB16_128:                             ;   in Loop: Header=BB16_7 Depth=1
	s_or_b64 exec, exec, s[38:39]
.LBB16_129:                             ;   in Loop: Header=BB16_7 Depth=1
	s_and_b64 vcc, exec, s[36:37]
	s_cbranch_vccz .LBB16_140
; %bb.130:                              ;   in Loop: Header=BB16_7 Depth=1
	s_add_i32 s17, s16, s83
	s_abs_i32 s25, s17
	s_mul_hi_u32 s26, s25, s86
	s_mul_i32 s26, s26, s62
	s_sub_i32 s25, s25, s26
	s_ashr_i32 s24, s17, 31
	s_sub_i32 s26, s25, s62
	s_cmp_ge_u32 s25, s62
	s_cselect_b32 s25, s26, s25
	s_sub_i32 s26, s25, s62
	s_cmp_ge_u32 s25, s62
	s_cselect_b32 s25, s26, s25
	s_xor_b32 s25, s25, s24
	s_sub_i32 s24, s24, s25
	s_add_i32 s17, s17, s24
	v_cmp_gt_i32_e32 vcc, s17, v0
                                        ; implicit-def: $vgpr21
	s_and_saveexec_b64 s[24:25], vcc
	s_cbranch_execz .LBB16_139
; %bb.131:                              ;   in Loop: Header=BB16_7 Depth=1
	s_mov_b64 s[26:27], 0
	v_mov_b32_e32 v2, v15
	v_mov_b32_e32 v3, v0
                                        ; implicit-def: $sgpr36_sgpr37
	s_branch .LBB16_134
.LBB16_132:                             ;   in Loop: Header=BB16_134 Depth=2
	s_or_b64 exec, exec, s[38:39]
	s_waitcnt lgkmcnt(0)
	s_barrier
	ds_read_b64 v[20:21], v11 offset:3072
	s_mov_b64 s[38:39], -1
	s_mov_b64 s[40:41], -1
	s_waitcnt lgkmcnt(0)
	s_barrier
	v_cmp_eq_u32_e32 vcc, 0, v20
	s_cbranch_vccnz .LBB16_137
.LBB16_133:                             ;   in Loop: Header=BB16_134 Depth=2
	s_and_b64 s[38:39], exec, s[38:39]
	s_or_b64 s[26:27], s[38:39], s[26:27]
	s_andn2_b64 s[36:37], s[36:37], exec
	s_and_b64 s[38:39], s[40:41], exec
	s_or_b64 s[36:37], s[36:37], s[38:39]
	s_andn2_b64 exec, exec, s[26:27]
	s_cbranch_execz .LBB16_138
.LBB16_134:                             ;   Parent Loop BB16_7 Depth=1
                                        ; =>  This Inner Loop Header: Depth=2
	v_cmp_gt_i32_e32 vcc, s16, v3
	s_and_saveexec_b64 s[38:39], vcc
	s_cbranch_execz .LBB16_132
; %bb.135:                              ;   in Loop: Header=BB16_134 Depth=2
	ds_read_b32 v19, v2
	s_waitcnt lgkmcnt(0)
	v_bitop3_b32 v20, v19, v41, s61 bitop3:0x48
	v_cmp_eq_u32_e32 vcc, v20, v34
	s_and_b64 exec, exec, vcc
	s_cbranch_execz .LBB16_132
; %bb.136:                              ;   in Loop: Header=BB16_134 Depth=2
	ds_write_b64 v11, v[18:19] offset:3072
	s_branch .LBB16_132
.LBB16_137:                             ;   in Loop: Header=BB16_134 Depth=2
	v_add_u32_e32 v3, s62, v3
	v_cmp_le_i32_e32 vcc, s17, v3
	v_add_u32_e32 v2, s33, v2
	s_mov_b64 s[40:41], 0
	s_orn2_b64 s[38:39], vcc, exec
	s_branch .LBB16_133
.LBB16_138:                             ;   in Loop: Header=BB16_7 Depth=1
	s_or_b64 exec, exec, s[26:27]
	s_andn2_b64 s[16:17], s[34:35], exec
	s_and_b64 s[26:27], s[36:37], exec
	s_or_b64 s[34:35], s[16:17], s[26:27]
.LBB16_139:                             ;   in Loop: Header=BB16_7 Depth=1
	s_or_b64 exec, exec, s[24:25]
	s_mov_b64 s[24:25], 0
	s_mov_b64 s[26:27], -1
.LBB16_140:                             ;   in Loop: Header=BB16_7 Depth=1
	s_orn2_b64 s[34:35], s[34:35], exec
.LBB16_141:                             ;   in Loop: Header=BB16_7 Depth=1
	s_or_b64 exec, exec, s[28:29]
	s_mov_b64 s[36:37], 0
	s_and_saveexec_b64 s[28:29], s[34:35]
	s_cbranch_execz .LBB16_230
; %bb.142:                              ;   in Loop: Header=BB16_7 Depth=1
	s_xor_b64 s[16:17], s[30:31], -1
	s_mov_b64 s[40:41], 0
	v_mov_b32_e32 v22, 1
	v_mov_b32_e32 v5, 1
	s_and_saveexec_b64 s[30:31], s[16:17]
	s_cbranch_execz .LBB16_151
; %bb.143:                              ;   in Loop: Header=BB16_7 Depth=1
	v_cmp_ge_i32_e32 vcc, s46, v10
	s_and_saveexec_b64 s[16:17], vcc
	s_xor_b64 s[34:35], exec, s[16:17]
	s_cbranch_execz .LBB16_148
; %bb.144:                              ;   in Loop: Header=BB16_7 Depth=1
	ds_read_b32 v2, v11 offset:4096
	v_and_b32_e32 v3, v34, v9
	v_lshl_or_b32 v34, 1, v38, v3
	v_or_b32_e32 v41, v41, v4
	s_waitcnt lgkmcnt(0)
	v_cmp_ne_u32_e32 vcc, 0, v2
	s_cbranch_vccnz .LBB16_148
; %bb.145:                              ;   in Loop: Header=BB16_7 Depth=1
	s_and_saveexec_b64 s[36:37], s[18:19]
; %bb.146:                              ;   in Loop: Header=BB16_7 Depth=1
	v_mov_b32_e32 v2, s46
	ds_write_b32 v11, v2 offset:4100
; %bb.147:                              ;   in Loop: Header=BB16_7 Depth=1
	s_or_b64 exec, exec, s[36:37]
	s_waitcnt lgkmcnt(0)
	s_barrier
.LBB16_148:                             ;   in Loop: Header=BB16_7 Depth=1
	s_or_saveexec_b64 s[34:35], s[34:35]
	s_mov_b64 s[36:37], 0
	v_mov_b32_e32 v5, 8
	s_xor_b64 exec, exec, s[34:35]
; %bb.149:                              ;   in Loop: Header=BB16_7 Depth=1
	s_mov_b64 s[36:37], exec
	v_subrev_u32_e32 v10, s46, v10
	v_mov_b32_e32 v5, 0
; %bb.150:                              ;   in Loop: Header=BB16_7 Depth=1
	s_or_b64 exec, exec, s[34:35]
	s_and_b64 s[40:41], s[36:37], exec
	v_mov_b32_e32 v22, v10
.LBB16_151:                             ;   in Loop: Header=BB16_7 Depth=1
	s_or_b64 exec, exec, s[30:31]
	s_mov_b64 s[38:39], -1
                                        ; implicit-def: $sgpr34_sgpr35
                                        ; implicit-def: $sgpr36_sgpr37
	s_and_saveexec_b64 s[30:31], s[40:41]
	s_cbranch_execz .LBB16_229
; %bb.152:                              ;   in Loop: Header=BB16_7 Depth=1
	s_cmp_eq_u32 s54, 1
	s_cselect_b64 s[16:17], -1, 0
	v_cmp_eq_u32_e32 vcc, 1, v22
	s_and_b64 s[40:41], s[16:17], vcc
	s_mov_b64 s[42:43], -1
                                        ; implicit-def: $sgpr36_sgpr37
                                        ; implicit-def: $sgpr34_sgpr35
	s_and_saveexec_b64 s[38:39], s[40:41]
	s_cbranch_execz .LBB16_178
; %bb.153:                              ;   in Loop: Header=BB16_7 Depth=1
	ds_read_b32 v2, v11 offset:4096
	s_waitcnt lgkmcnt(0)
	s_barrier
	v_readfirstlane_b32 s16, v2
	s_and_saveexec_b64 s[34:35], s[4:5]
; %bb.154:                              ;   in Loop: Header=BB16_7 Depth=1
	ds_write_b32 v27, v11
; %bb.155:                              ;   in Loop: Header=BB16_7 Depth=1
	s_or_b64 exec, exec, s[34:35]
	v_and_b32_e32 v2, v34, v9
	v_lshl_or_b32 v34, 2, v38, v2
	v_or_b32_e32 v41, v41, v4
	s_mov_b64 s[34:35], -1
	s_mov_b64 s[36:37], 0
	s_cmp_gt_i32 s16, 0
	s_mov_b64 s[42:43], 0
	s_mov_b64 s[44:45], -1
	s_waitcnt lgkmcnt(0)
	s_barrier
                                        ; implicit-def: $vgpr21
	s_cbranch_scc1 .LBB16_166
; %bb.156:                              ;   in Loop: Header=BB16_7 Depth=1
	s_mov_b64 s[44:45], 0
                                        ; implicit-def: $vgpr21
	s_mov_b64 s[46:47], exec
	v_readlane_b32 s48, v56, 25
	v_readlane_b32 s49, v56, 26
	s_and_b64 s[48:49], s[46:47], s[48:49]
	s_mov_b64 exec, s[48:49]
	s_cbranch_execz .LBB16_165
; %bb.157:                              ;   in Loop: Header=BB16_7 Depth=1
	v_mov_b32_e32 v2, v6
	v_mov_b32_e32 v10, v0
                                        ; implicit-def: $sgpr48_sgpr49
	s_branch .LBB16_160
.LBB16_158:                             ;   in Loop: Header=BB16_160 Depth=2
	s_or_b64 exec, exec, s[50:51]
	s_waitcnt lgkmcnt(0)
	s_barrier
	ds_read_b64 v[20:21], v11 offset:3072
	s_mov_b64 s[50:51], -1
	s_mov_b64 s[52:53], -1
	s_waitcnt lgkmcnt(0)
	s_barrier
	v_cmp_ne_u32_e32 vcc, 0, v20
	s_cbranch_vccz .LBB16_163
.LBB16_159:                             ;   in Loop: Header=BB16_160 Depth=2
	s_and_b64 s[50:51], exec, s[50:51]
	s_or_b64 s[42:43], s[50:51], s[42:43]
	s_andn2_b64 s[48:49], s[48:49], exec
	s_and_b64 s[50:51], s[52:53], exec
	s_or_b64 s[48:49], s[48:49], s[50:51]
	s_andn2_b64 exec, exec, s[42:43]
	s_cbranch_execz .LBB16_164
.LBB16_160:                             ;   Parent Loop BB16_7 Depth=1
                                        ; =>  This Inner Loop Header: Depth=2
	v_cmp_gt_i32_e32 vcc, s60, v10
	s_and_saveexec_b64 s[50:51], vcc
	s_cbranch_execz .LBB16_158
; %bb.161:                              ;   in Loop: Header=BB16_160 Depth=2
	v_ashrrev_i32_e32 v3, 31, v2
	v_lshl_add_u64 v[20:21], v[2:3], 2, s[68:69]
	global_load_dword v19, v[20:21], off
	s_waitcnt vmcnt(0)
	v_bitop3_b32 v3, v19, v41, s61 bitop3:0x48
	v_cmp_eq_u32_e32 vcc, v3, v34
	s_and_b64 exec, exec, vcc
	s_cbranch_execz .LBB16_158
; %bb.162:                              ;   in Loop: Header=BB16_160 Depth=2
	ds_write_b64 v11, v[18:19] offset:3072
	s_branch .LBB16_158
.LBB16_163:                             ;   in Loop: Header=BB16_160 Depth=2
	v_add_u32_e32 v10, s62, v10
	v_cmp_le_i32_e32 vcc, s84, v10
	v_add_u32_e32 v2, s82, v2
	s_mov_b64 s[52:53], 0
	s_orn2_b64 s[50:51], vcc, exec
	s_branch .LBB16_159
.LBB16_164:                             ;   in Loop: Header=BB16_7 Depth=1
	s_or_b64 exec, exec, s[42:43]
	s_and_b64 s[42:43], s[48:49], exec
.LBB16_165:                             ;   in Loop: Header=BB16_7 Depth=1
	s_or_b64 exec, exec, s[46:47]
.LBB16_166:                             ;   in Loop: Header=BB16_7 Depth=1
	s_and_b64 vcc, exec, s[44:45]
	s_cbranch_vccz .LBB16_177
; %bb.167:                              ;   in Loop: Header=BB16_7 Depth=1
	s_add_i32 s17, s16, s83
	s_abs_i32 s35, s17
	s_mul_hi_u32 s36, s35, s86
	s_mul_i32 s36, s36, s62
	s_sub_i32 s35, s35, s36
	s_ashr_i32 s34, s17, 31
	s_sub_i32 s36, s35, s62
	s_cmp_ge_u32 s35, s62
	s_cselect_b32 s35, s36, s35
	s_sub_i32 s36, s35, s62
	s_cmp_ge_u32 s35, s62
	s_cselect_b32 s35, s36, s35
	s_xor_b32 s35, s35, s34
	s_sub_i32 s34, s34, s35
	s_add_i32 s17, s17, s34
	v_cmp_gt_i32_e32 vcc, s17, v0
                                        ; implicit-def: $vgpr21
	s_and_saveexec_b64 s[34:35], vcc
	s_cbranch_execz .LBB16_176
; %bb.168:                              ;   in Loop: Header=BB16_7 Depth=1
	s_mov_b64 s[36:37], 0
	v_mov_b32_e32 v2, v15
	v_mov_b32_e32 v3, v0
                                        ; implicit-def: $sgpr44_sgpr45
	s_branch .LBB16_171
.LBB16_169:                             ;   in Loop: Header=BB16_171 Depth=2
	s_or_b64 exec, exec, s[46:47]
	s_waitcnt lgkmcnt(0)
	s_barrier
	ds_read_b64 v[20:21], v11 offset:3072
	s_mov_b64 s[46:47], -1
	s_mov_b64 s[48:49], -1
	s_waitcnt lgkmcnt(0)
	s_barrier
	v_cmp_eq_u32_e32 vcc, 0, v20
	s_cbranch_vccnz .LBB16_174
.LBB16_170:                             ;   in Loop: Header=BB16_171 Depth=2
	s_and_b64 s[46:47], exec, s[46:47]
	s_or_b64 s[36:37], s[46:47], s[36:37]
	s_andn2_b64 s[44:45], s[44:45], exec
	s_and_b64 s[46:47], s[48:49], exec
	s_or_b64 s[44:45], s[44:45], s[46:47]
	s_andn2_b64 exec, exec, s[36:37]
	s_cbranch_execz .LBB16_175
.LBB16_171:                             ;   Parent Loop BB16_7 Depth=1
                                        ; =>  This Inner Loop Header: Depth=2
	v_cmp_gt_i32_e32 vcc, s16, v3
	s_and_saveexec_b64 s[46:47], vcc
	s_cbranch_execz .LBB16_169
; %bb.172:                              ;   in Loop: Header=BB16_171 Depth=2
	ds_read_b32 v19, v2
	s_waitcnt lgkmcnt(0)
	v_bitop3_b32 v10, v19, v41, s61 bitop3:0x48
	v_cmp_eq_u32_e32 vcc, v10, v34
	s_and_b64 exec, exec, vcc
	s_cbranch_execz .LBB16_169
; %bb.173:                              ;   in Loop: Header=BB16_171 Depth=2
	ds_write_b64 v11, v[18:19] offset:3072
	s_branch .LBB16_169
.LBB16_174:                             ;   in Loop: Header=BB16_171 Depth=2
	v_add_u32_e32 v3, s62, v3
	v_cmp_le_i32_e32 vcc, s17, v3
	v_add_u32_e32 v2, s33, v2
	s_mov_b64 s[48:49], 0
	s_orn2_b64 s[46:47], vcc, exec
	s_branch .LBB16_170
.LBB16_175:                             ;   in Loop: Header=BB16_7 Depth=1
	s_or_b64 exec, exec, s[36:37]
	s_andn2_b64 s[16:17], s[42:43], exec
	s_and_b64 s[36:37], s[44:45], exec
	s_or_b64 s[42:43], s[16:17], s[36:37]
.LBB16_176:                             ;   in Loop: Header=BB16_7 Depth=1
	s_or_b64 exec, exec, s[34:35]
	s_mov_b64 s[34:35], 0
	s_mov_b64 s[36:37], -1
.LBB16_177:                             ;   in Loop: Header=BB16_7 Depth=1
	s_orn2_b64 s[42:43], s[42:43], exec
.LBB16_178:                             ;   in Loop: Header=BB16_7 Depth=1
	s_or_b64 exec, exec, s[38:39]
	s_mov_b64 s[44:45], 0
	s_and_saveexec_b64 s[38:39], s[42:43]
	s_cbranch_execz .LBB16_228
; %bb.179:                              ;   in Loop: Header=BB16_7 Depth=1
	s_xor_b64 s[16:17], s[40:41], -1
	s_mov_b64 s[48:49], 0
	v_mov_b32_e32 v10, 1
	v_mov_b32_e32 v5, 1
	s_and_saveexec_b64 s[40:41], s[16:17]
	s_cbranch_execz .LBB16_188
; %bb.180:                              ;   in Loop: Header=BB16_7 Depth=1
	v_cmp_ge_i32_e32 vcc, s54, v22
	s_and_saveexec_b64 s[16:17], vcc
	s_xor_b64 s[42:43], exec, s[16:17]
	s_cbranch_execz .LBB16_185
; %bb.181:                              ;   in Loop: Header=BB16_7 Depth=1
	ds_read_b32 v2, v11 offset:4096
	v_and_b32_e32 v3, v34, v9
	v_lshl_or_b32 v34, 2, v38, v3
	v_or_b32_e32 v41, v41, v4
	s_waitcnt lgkmcnt(0)
	v_cmp_ne_u32_e32 vcc, 0, v2
	s_cbranch_vccnz .LBB16_185
; %bb.182:                              ;   in Loop: Header=BB16_7 Depth=1
	s_and_saveexec_b64 s[44:45], s[18:19]
; %bb.183:                              ;   in Loop: Header=BB16_7 Depth=1
	v_mov_b32_e32 v2, s54
	ds_write_b32 v11, v2 offset:4100
; %bb.184:                              ;   in Loop: Header=BB16_7 Depth=1
	s_or_b64 exec, exec, s[44:45]
	s_waitcnt lgkmcnt(0)
	s_barrier
.LBB16_185:                             ;   in Loop: Header=BB16_7 Depth=1
	s_or_saveexec_b64 s[42:43], s[42:43]
	s_mov_b64 s[44:45], 0
	v_mov_b32_e32 v5, 8
	s_xor_b64 exec, exec, s[42:43]
; %bb.186:                              ;   in Loop: Header=BB16_7 Depth=1
	s_mov_b64 s[44:45], exec
	v_subrev_u32_e32 v22, s54, v22
	v_mov_b32_e32 v5, 0
; %bb.187:                              ;   in Loop: Header=BB16_7 Depth=1
	s_or_b64 exec, exec, s[42:43]
	s_and_b64 s[48:49], s[44:45], exec
	v_mov_b32_e32 v10, v22
.LBB16_188:                             ;   in Loop: Header=BB16_7 Depth=1
	s_or_b64 exec, exec, s[40:41]
	s_mov_b64 s[42:43], -1
                                        ; implicit-def: $sgpr46_sgpr47
                                        ; implicit-def: $sgpr44_sgpr45
	s_and_saveexec_b64 s[40:41], s[48:49]
	s_cbranch_execz .LBB16_227
; %bb.189:                              ;   in Loop: Header=BB16_7 Depth=1
	s_cmp_eq_u32 s70, 1
	s_cselect_b64 s[16:17], -1, 0
	v_cmp_eq_u32_e32 vcc, 1, v10
	s_and_b64 s[42:43], s[16:17], vcc
	s_mov_b64 s[50:51], -1
                                        ; implicit-def: $sgpr46_sgpr47
                                        ; implicit-def: $sgpr44_sgpr45
	s_and_saveexec_b64 s[48:49], s[42:43]
	s_cbranch_execz .LBB16_215
; %bb.190:                              ;   in Loop: Header=BB16_7 Depth=1
	ds_read_b32 v2, v11 offset:4096
	s_waitcnt lgkmcnt(0)
	s_barrier
	v_readfirstlane_b32 s16, v2
	s_and_saveexec_b64 s[44:45], s[4:5]
; %bb.191:                              ;   in Loop: Header=BB16_7 Depth=1
	ds_write_b32 v27, v11
; %bb.192:                              ;   in Loop: Header=BB16_7 Depth=1
	s_or_b64 exec, exec, s[44:45]
	v_or_b32_e32 v34, v34, v4
	v_or_b32_e32 v41, v41, v4
	s_mov_b64 s[44:45], -1
	s_mov_b64 s[46:47], 0
	s_cmp_gt_i32 s16, 0
	s_mov_b64 s[50:51], 0
	s_mov_b64 s[52:53], -1
	s_waitcnt lgkmcnt(0)
	s_barrier
                                        ; implicit-def: $vgpr21
	s_cbranch_scc1 .LBB16_203
; %bb.193:                              ;   in Loop: Header=BB16_7 Depth=1
	s_mov_b64 s[52:53], 0
                                        ; implicit-def: $vgpr21
	s_mov_b64 s[54:55], exec
	v_readlane_b32 s56, v56, 25
	v_readlane_b32 s57, v56, 26
	s_and_b64 s[56:57], s[54:55], s[56:57]
	s_mov_b64 exec, s[56:57]
	s_cbranch_execz .LBB16_202
; %bb.194:                              ;   in Loop: Header=BB16_7 Depth=1
	v_mov_b32_e32 v2, v6
	v_mov_b32_e32 v9, v0
                                        ; implicit-def: $sgpr56_sgpr57
	s_branch .LBB16_197
.LBB16_195:                             ;   in Loop: Header=BB16_197 Depth=2
	s_or_b64 exec, exec, s[58:59]
	s_waitcnt lgkmcnt(0)
	s_barrier
	ds_read_b64 v[20:21], v11 offset:3072
	s_mov_b64 s[58:59], -1
	s_mov_b64 s[66:67], -1
	s_waitcnt lgkmcnt(0)
	s_barrier
	v_cmp_ne_u32_e32 vcc, 0, v20
	s_cbranch_vccz .LBB16_200
.LBB16_196:                             ;   in Loop: Header=BB16_197 Depth=2
	s_and_b64 s[58:59], exec, s[58:59]
	s_or_b64 s[50:51], s[58:59], s[50:51]
	s_andn2_b64 s[56:57], s[56:57], exec
	s_and_b64 s[58:59], s[66:67], exec
	s_or_b64 s[56:57], s[56:57], s[58:59]
	s_andn2_b64 exec, exec, s[50:51]
	s_cbranch_execz .LBB16_201
.LBB16_197:                             ;   Parent Loop BB16_7 Depth=1
                                        ; =>  This Inner Loop Header: Depth=2
	v_cmp_gt_i32_e32 vcc, s60, v9
	s_and_saveexec_b64 s[58:59], vcc
	s_cbranch_execz .LBB16_195
; %bb.198:                              ;   in Loop: Header=BB16_197 Depth=2
	v_ashrrev_i32_e32 v3, 31, v2
	v_lshl_add_u64 v[20:21], v[2:3], 2, s[68:69]
	global_load_dword v19, v[20:21], off
	s_waitcnt vmcnt(0)
	v_bitop3_b32 v3, v19, v41, s61 bitop3:0x48
	v_cmp_eq_u32_e32 vcc, v3, v34
	s_and_b64 exec, exec, vcc
	s_cbranch_execz .LBB16_195
; %bb.199:                              ;   in Loop: Header=BB16_197 Depth=2
	ds_write_b64 v11, v[18:19] offset:3072
	s_branch .LBB16_195
.LBB16_200:                             ;   in Loop: Header=BB16_197 Depth=2
	v_add_u32_e32 v9, s62, v9
	v_cmp_le_i32_e32 vcc, s84, v9
	v_add_u32_e32 v2, s82, v2
	s_mov_b64 s[66:67], 0
	s_orn2_b64 s[58:59], vcc, exec
	s_branch .LBB16_196
.LBB16_201:                             ;   in Loop: Header=BB16_7 Depth=1
	s_or_b64 exec, exec, s[50:51]
	s_and_b64 s[50:51], s[56:57], exec
.LBB16_202:                             ;   in Loop: Header=BB16_7 Depth=1
	s_or_b64 exec, exec, s[54:55]
.LBB16_203:                             ;   in Loop: Header=BB16_7 Depth=1
	s_and_b64 vcc, exec, s[52:53]
	s_cbranch_vccz .LBB16_214
; %bb.204:                              ;   in Loop: Header=BB16_7 Depth=1
	s_add_i32 s17, s16, s83
	s_abs_i32 s45, s17
	s_mul_hi_u32 s46, s45, s86
	s_mul_i32 s46, s46, s62
	s_sub_i32 s45, s45, s46
	s_ashr_i32 s44, s17, 31
	s_sub_i32 s46, s45, s62
	s_cmp_ge_u32 s45, s62
	s_cselect_b32 s45, s46, s45
	s_sub_i32 s46, s45, s62
	s_cmp_ge_u32 s45, s62
	s_cselect_b32 s45, s46, s45
	s_xor_b32 s45, s45, s44
	s_sub_i32 s44, s44, s45
	s_add_i32 s17, s17, s44
	v_cmp_gt_i32_e32 vcc, s17, v0
                                        ; implicit-def: $vgpr21
	s_and_saveexec_b64 s[44:45], vcc
	s_cbranch_execz .LBB16_213
; %bb.205:                              ;   in Loop: Header=BB16_7 Depth=1
	s_mov_b64 s[46:47], 0
	v_mov_b32_e32 v2, v15
	v_mov_b32_e32 v3, v0
                                        ; implicit-def: $sgpr52_sgpr53
	s_branch .LBB16_208
.LBB16_206:                             ;   in Loop: Header=BB16_208 Depth=2
	s_or_b64 exec, exec, s[54:55]
	s_waitcnt lgkmcnt(0)
	s_barrier
	ds_read_b64 v[20:21], v11 offset:3072
	s_mov_b64 s[54:55], -1
	s_mov_b64 s[56:57], -1
	s_waitcnt lgkmcnt(0)
	s_barrier
	v_cmp_eq_u32_e32 vcc, 0, v20
	s_cbranch_vccnz .LBB16_211
.LBB16_207:                             ;   in Loop: Header=BB16_208 Depth=2
	s_and_b64 s[54:55], exec, s[54:55]
	s_or_b64 s[46:47], s[54:55], s[46:47]
	s_andn2_b64 s[52:53], s[52:53], exec
	s_and_b64 s[54:55], s[56:57], exec
	s_or_b64 s[52:53], s[52:53], s[54:55]
	s_andn2_b64 exec, exec, s[46:47]
	s_cbranch_execz .LBB16_212
.LBB16_208:                             ;   Parent Loop BB16_7 Depth=1
                                        ; =>  This Inner Loop Header: Depth=2
	v_cmp_gt_i32_e32 vcc, s16, v3
	s_and_saveexec_b64 s[54:55], vcc
	s_cbranch_execz .LBB16_206
; %bb.209:                              ;   in Loop: Header=BB16_208 Depth=2
	ds_read_b32 v19, v2
	s_waitcnt lgkmcnt(0)
	v_bitop3_b32 v9, v19, v41, s61 bitop3:0x48
	v_cmp_eq_u32_e32 vcc, v9, v34
	s_and_b64 exec, exec, vcc
	s_cbranch_execz .LBB16_206
; %bb.210:                              ;   in Loop: Header=BB16_208 Depth=2
	ds_write_b64 v11, v[18:19] offset:3072
	s_branch .LBB16_206
.LBB16_211:                             ;   in Loop: Header=BB16_208 Depth=2
	v_add_u32_e32 v3, s62, v3
	v_cmp_le_i32_e32 vcc, s17, v3
	v_add_u32_e32 v2, s33, v2
	s_mov_b64 s[56:57], 0
	s_orn2_b64 s[54:55], vcc, exec
	s_branch .LBB16_207
.LBB16_212:                             ;   in Loop: Header=BB16_7 Depth=1
	s_or_b64 exec, exec, s[46:47]
	s_andn2_b64 s[16:17], s[50:51], exec
	s_and_b64 s[46:47], s[52:53], exec
	s_or_b64 s[50:51], s[16:17], s[46:47]
.LBB16_213:                             ;   in Loop: Header=BB16_7 Depth=1
	s_or_b64 exec, exec, s[44:45]
	s_mov_b64 s[44:45], 0
	s_mov_b64 s[46:47], -1
.LBB16_214:                             ;   in Loop: Header=BB16_7 Depth=1
	s_orn2_b64 s[50:51], s[50:51], exec
.LBB16_215:                             ;   in Loop: Header=BB16_7 Depth=1
	s_or_b64 exec, exec, s[48:49]
	s_mov_b64 s[52:53], 0
	s_and_saveexec_b64 s[48:49], s[50:51]
	s_cbranch_execz .LBB16_226
; %bb.216:                              ;   in Loop: Header=BB16_7 Depth=1
	s_xor_b64 s[16:17], s[42:43], -1
	v_mov_b32_e32 v5, 1
	v_mov_b32_e32 v2, 1
	s_and_saveexec_b64 s[42:43], s[16:17]
	s_cbranch_execz .LBB16_225
; %bb.217:                              ;   in Loop: Header=BB16_7 Depth=1
	v_cmp_ge_i32_e32 vcc, s70, v10
	s_and_saveexec_b64 s[16:17], vcc
	s_xor_b64 s[50:51], exec, s[16:17]
	s_cbranch_execz .LBB16_222
; %bb.218:                              ;   in Loop: Header=BB16_7 Depth=1
	ds_read_b32 v2, v11 offset:4096
	v_or_b32_e32 v34, v34, v4
	v_or_b32_e32 v41, v41, v4
	s_waitcnt lgkmcnt(0)
	v_cmp_ne_u32_e32 vcc, 0, v2
	s_cbranch_vccnz .LBB16_222
; %bb.219:                              ;   in Loop: Header=BB16_7 Depth=1
	s_and_saveexec_b64 s[52:53], s[18:19]
; %bb.220:                              ;   in Loop: Header=BB16_7 Depth=1
	v_mov_b32_e32 v2, s70
	ds_write_b32 v11, v2 offset:4100
; %bb.221:                              ;   in Loop: Header=BB16_7 Depth=1
	s_or_b64 exec, exec, s[52:53]
	s_waitcnt lgkmcnt(0)
	s_barrier
.LBB16_222:                             ;   in Loop: Header=BB16_7 Depth=1
	s_andn2_saveexec_b64 s[50:51], s[50:51]
; %bb.223:                              ;   in Loop: Header=BB16_7 Depth=1
	v_subrev_u32_e32 v10, s70, v10
; %bb.224:                              ;   in Loop: Header=BB16_7 Depth=1
	s_or_b64 exec, exec, s[50:51]
	v_mov_b32_e32 v5, 8
	v_mov_b32_e32 v2, v10
.LBB16_225:                             ;   in Loop: Header=BB16_7 Depth=1
	s_or_b64 exec, exec, s[42:43]
	s_mov_b64 s[52:53], exec
	v_mov_b32_e32 v10, v2
.LBB16_226:                             ;   in Loop: Header=BB16_7 Depth=1
	s_or_b64 exec, exec, s[48:49]
	s_orn2_b64 s[42:43], s[52:53], exec
.LBB16_227:                             ;   in Loop: Header=BB16_7 Depth=1
	s_or_b64 exec, exec, s[40:41]
	s_andn2_b64 s[16:17], s[36:37], exec
	s_and_b64 s[36:37], s[46:47], exec
	s_or_b64 s[36:37], s[16:17], s[36:37]
	s_andn2_b64 s[16:17], s[34:35], exec
	s_and_b64 s[34:35], s[44:45], exec
	s_or_b64 s[34:35], s[16:17], s[34:35]
	s_and_b64 s[44:45], s[42:43], exec
	v_mov_b32_e32 v22, v10
.LBB16_228:                             ;   in Loop: Header=BB16_7 Depth=1
	s_or_b64 exec, exec, s[38:39]
	s_orn2_b64 s[38:39], s[44:45], exec
.LBB16_229:                             ;   in Loop: Header=BB16_7 Depth=1
	s_or_b64 exec, exec, s[30:31]
	s_andn2_b64 s[16:17], s[26:27], exec
	s_and_b64 s[26:27], s[36:37], exec
	s_or_b64 s[26:27], s[16:17], s[26:27]
	s_andn2_b64 s[16:17], s[24:25], exec
	s_and_b64 s[24:25], s[34:35], exec
	s_or_b64 s[24:25], s[16:17], s[24:25]
	s_and_b64 s[36:37], s[38:39], exec
	v_mov_b32_e32 v10, v22
.LBB16_230:                             ;   in Loop: Header=BB16_7 Depth=1
	s_or_b64 exec, exec, s[28:29]
	s_orn2_b64 s[28:29], s[36:37], exec
.LBB16_231:                             ;   in Loop: Header=BB16_7 Depth=1
	s_or_b64 exec, exec, s[22:23]
	s_mov_b64 s[30:31], 0
	s_and_saveexec_b64 s[16:17], s[28:29]
	s_xor_b64 s[22:23], exec, s[16:17]
	s_cbranch_execz .LBB16_5
; %bb.232:                              ;   in Loop: Header=BB16_7 Depth=1
	v_and_b32_e32 v2, 7, v5
	v_cmp_eq_u32_e32 vcc, 0, v2
	s_mov_b64 s[20:21], -1
	s_mov_b64 s[28:29], -1
	s_and_saveexec_b64 s[30:31], vcc
	s_cbranch_execz .LBB16_4
; %bb.233:                              ;   in Loop: Header=BB16_7 Depth=1
	v_add_u32_e32 v2, -2, v38
	v_cmp_eq_u32_e32 vcc, 0, v38
	v_xor_b32_e32 v40, 1, v40
	s_xor_b64 s[28:29], exec, -1
	s_orn2_b64 s[20:21], vcc, exec
	v_mov_b32_e32 v38, v2
	s_branch .LBB16_4
.LBB16_234:
	s_or_b64 exec, exec, s[88:89]
	s_xor_b64 s[6:7], s[94:95], -1
	s_xor_b64 s[0:1], s[90:91], -1
	;; [unrolled: 1-line block ×3, first 2 shown]
	s_mov_b64 s[2:3], 0
	s_and_saveexec_b64 s[8:9], s[0:1]
	s_xor_b64 s[0:1], exec, s[8:9]
	s_cbranch_execnz .LBB16_239
; %bb.235:
	s_andn2_saveexec_b64 s[0:1], s[0:1]
	s_cbranch_execnz .LBB16_259
.LBB16_236:
	s_or_b64 exec, exec, s[0:1]
	s_and_saveexec_b64 s[0:1], s[2:3]
.LBB16_237:
	; divergent unreachable
.LBB16_238:
	s_endpgm
.LBB16_239:
	s_and_saveexec_b64 s[2:3], s[6:7]
	s_xor_b64 s[2:3], exec, s[2:3]
	s_cbranch_execz .LBB16_257
; %bb.240:
	s_and_saveexec_b64 s[6:7], s[4:5]
	s_xor_b64 s[4:5], exec, s[6:7]
; %bb.241:
	v_xor_b32_e32 v21, 0x80000000, v34
; %bb.242:
	s_or_b64 exec, exec, s[4:5]
	s_and_saveexec_b64 s[4:5], s[18:19]
	v_readlane_b32 s20, v56, 8
; %bb.243:
	v_mov_b32_e32 v1, 0
	v_mov_b32_e32 v2, s60
	ds_write_b32 v1, v2 offset:4108
; %bb.244:
	s_or_b64 exec, exec, s[4:5]
	v_mov_b32_e32 v1, 0
	s_waitcnt lgkmcnt(0)
	s_barrier
	ds_read_b32 v1, v1 offset:4108
	s_waitcnt lgkmcnt(0)
	v_min_i32_e32 v2, s60, v1
	v_cmp_lt_i32_e32 vcc, v0, v2
	s_and_saveexec_b64 s[4:5], vcc
	s_cbranch_execz .LBB16_254
; %bb.245:
	s_mov_b64 s[6:7], 0
                                        ; implicit-def: $sgpr8_sgpr9
                                        ; implicit-def: $sgpr12_sgpr13
                                        ; implicit-def: $sgpr10_sgpr11
	s_branch .LBB16_247
.LBB16_246:                             ;   in Loop: Header=BB16_247 Depth=1
	s_or_b64 exec, exec, s[14:15]
	s_and_b64 s[14:15], exec, s[12:13]
	s_or_b64 s[6:7], s[14:15], s[6:7]
	s_andn2_b64 s[8:9], s[8:9], exec
	s_and_b64 s[14:15], s[10:11], exec
	s_or_b64 s[8:9], s[8:9], s[14:15]
	s_andn2_b64 exec, exec, s[6:7]
	s_cbranch_execz .LBB16_249
.LBB16_247:                             ; =>This Inner Loop Header: Depth=1
	v_ashrrev_i32_e32 v7, 31, v6
	v_lshl_add_u64 v[4:5], v[6:7], 2, s[68:69]
	global_load_dword v3, v[4:5], off
	v_mov_b32_e32 v1, v0
	s_or_b64 s[10:11], s[10:11], exec
	s_or_b64 s[12:13], s[12:13], exec
                                        ; implicit-def: $vgpr0
	s_waitcnt vmcnt(0)
	v_cmp_ne_u32_e32 vcc, v3, v21
	s_and_saveexec_b64 s[14:15], vcc
	s_cbranch_execz .LBB16_246
; %bb.248:                              ;   in Loop: Header=BB16_247 Depth=1
	v_add_u32_e32 v0, s62, v1
	v_cmp_ge_i32_e32 vcc, v0, v2
	s_andn2_b64 s[12:13], s[12:13], exec
	s_and_b64 s[16:17], vcc, exec
	v_add_u32_e32 v6, s82, v6
	s_andn2_b64 s[10:11], s[10:11], exec
	s_or_b64 s[12:13], s[12:13], s[16:17]
	s_branch .LBB16_246
.LBB16_249:
	s_or_b64 exec, exec, s[6:7]
	s_and_saveexec_b64 s[6:7], s[8:9]
	s_xor_b64 s[6:7], exec, s[6:7]
	s_cbranch_execz .LBB16_254
; %bb.250:
	s_mov_b64 s[6:7], exec
	s_brev_b32 s8, -2
.LBB16_251:                             ; =>This Inner Loop Header: Depth=1
	s_ff1_i32_b64 s9, s[6:7]
	v_readlane_b32 s12, v1, s9
	s_lshl_b64 s[10:11], 1, s9
	s_min_i32 s8, s8, s12
	s_andn2_b64 s[6:7], s[6:7], s[10:11]
	s_cmp_lg_u64 s[6:7], 0
	s_cbranch_scc1 .LBB16_251
; %bb.252:
	v_mbcnt_lo_u32_b32 v0, exec_lo, 0
	v_mbcnt_hi_u32_b32 v0, exec_hi, v0
	v_cmp_eq_u32_e32 vcc, 0, v0
	s_and_saveexec_b64 s[6:7], vcc
	s_xor_b64 s[6:7], exec, s[6:7]
; %bb.253:
	v_mov_b32_e32 v0, 0
	v_mov_b32_e32 v1, s8
	ds_min_i32 v0, v1 offset:4108
.LBB16_254:
	s_or_b64 exec, exec, s[4:5]
	s_waitcnt lgkmcnt(0)
	s_barrier
	s_and_saveexec_b64 s[4:5], s[18:19]
	s_cbranch_execz .LBB16_256
; %bb.255:
	v_readlane_b32 s6, v56, 7
	s_mul_i32 s6, s6, s20
	v_readlane_b32 s7, v56, 6
	s_mul_i32 s8, s7, s20
	s_ashr_i32 s7, s6, 31
	v_mov_b32_e32 v2, 0
	s_lshl_b64 s[6:7], s[6:7], 2
	v_readlane_b32 s10, v56, 2
	ds_read_b32 v0, v2 offset:4108
	v_readlane_b32 s11, v56, 3
	s_add_u32 s6, s10, s6
	s_addc_u32 s7, s11, s7
	s_ashr_i32 s9, s8, 31
	s_lshl_b64 s[8:9], s[8:9], 3
	v_readlane_b32 s10, v56, 0
	v_readlane_b32 s11, v56, 1
	s_add_u32 s8, s10, s8
	s_addc_u32 s9, s11, s9
	s_waitcnt lgkmcnt(0)
	v_ashrrev_i32_e32 v1, 31, v0
	global_store_dwordx2 v2, v[0:1], s[8:9]
	global_store_dword v2, v21, s[6:7]
.LBB16_256:
	s_or_b64 exec, exec, s[4:5]
.LBB16_257:
	s_or_saveexec_b64 s[2:3], s[2:3]
	s_mov_b64 s[4:5], 0
	s_xor_b64 exec, exec, s[2:3]
	s_cbranch_execnz .LBB16_260
.LBB16_258:
	s_or_b64 exec, exec, s[2:3]
	s_and_b64 s[2:3], s[4:5], exec
	s_andn2_saveexec_b64 s[0:1], s[0:1]
	s_cbranch_execz .LBB16_236
.LBB16_259:
	s_or_b64 s[2:3], s[2:3], exec
	s_trap 2
	s_or_b64 exec, exec, s[0:1]
	s_and_saveexec_b64 s[0:1], s[2:3]
	s_cbranch_execnz .LBB16_237
	s_branch .LBB16_238
.LBB16_260:
	s_mov_b64 s[4:5], exec
	s_trap 2
	s_branch .LBB16_258
	.section	.rodata,"a",@progbits
	.p2align	6, 0x0
	.amdhsa_kernel _ZN2at6native12_GLOBAL__N_114gatherKthValueIiiLi1EEEvNS_4cuda6detail10TensorInfoIKT_T0_EES8_S8_S8_S8_NS5_IS6_S8_EENS5_IlS8_EE
		.amdhsa_group_segment_fixed_size 4112
		.amdhsa_private_segment_fixed_size 0
		.amdhsa_kernarg_size 920
		.amdhsa_user_sgpr_count 2
		.amdhsa_user_sgpr_dispatch_ptr 0
		.amdhsa_user_sgpr_queue_ptr 0
		.amdhsa_user_sgpr_kernarg_segment_ptr 1
		.amdhsa_user_sgpr_dispatch_id 0
		.amdhsa_user_sgpr_kernarg_preload_length 0
		.amdhsa_user_sgpr_kernarg_preload_offset 0
		.amdhsa_user_sgpr_private_segment_size 0
		.amdhsa_uses_dynamic_stack 0
		.amdhsa_enable_private_segment 0
		.amdhsa_system_sgpr_workgroup_id_x 1
		.amdhsa_system_sgpr_workgroup_id_y 1
		.amdhsa_system_sgpr_workgroup_id_z 1
		.amdhsa_system_sgpr_workgroup_info 0
		.amdhsa_system_vgpr_workitem_id 0
		.amdhsa_next_free_vgpr 57
		.amdhsa_next_free_sgpr 100
		.amdhsa_accum_offset 60
		.amdhsa_reserve_vcc 1
		.amdhsa_float_round_mode_32 0
		.amdhsa_float_round_mode_16_64 0
		.amdhsa_float_denorm_mode_32 3
		.amdhsa_float_denorm_mode_16_64 3
		.amdhsa_dx10_clamp 1
		.amdhsa_ieee_mode 1
		.amdhsa_fp16_overflow 0
		.amdhsa_tg_split 0
		.amdhsa_exception_fp_ieee_invalid_op 0
		.amdhsa_exception_fp_denorm_src 0
		.amdhsa_exception_fp_ieee_div_zero 0
		.amdhsa_exception_fp_ieee_overflow 0
		.amdhsa_exception_fp_ieee_underflow 0
		.amdhsa_exception_fp_ieee_inexact 0
		.amdhsa_exception_int_div_zero 0
	.end_amdhsa_kernel
	.section	.text._ZN2at6native12_GLOBAL__N_114gatherKthValueIiiLi1EEEvNS_4cuda6detail10TensorInfoIKT_T0_EES8_S8_S8_S8_NS5_IS6_S8_EENS5_IlS8_EE,"axG",@progbits,_ZN2at6native12_GLOBAL__N_114gatherKthValueIiiLi1EEEvNS_4cuda6detail10TensorInfoIKT_T0_EES8_S8_S8_S8_NS5_IS6_S8_EENS5_IlS8_EE,comdat
.Lfunc_end16:
	.size	_ZN2at6native12_GLOBAL__N_114gatherKthValueIiiLi1EEEvNS_4cuda6detail10TensorInfoIKT_T0_EES8_S8_S8_S8_NS5_IS6_S8_EENS5_IlS8_EE, .Lfunc_end16-_ZN2at6native12_GLOBAL__N_114gatherKthValueIiiLi1EEEvNS_4cuda6detail10TensorInfoIKT_T0_EES8_S8_S8_S8_NS5_IS6_S8_EENS5_IlS8_EE
                                        ; -- End function
	.set _ZN2at6native12_GLOBAL__N_114gatherKthValueIiiLi1EEEvNS_4cuda6detail10TensorInfoIKT_T0_EES8_S8_S8_S8_NS5_IS6_S8_EENS5_IlS8_EE.num_vgpr, 57
	.set _ZN2at6native12_GLOBAL__N_114gatherKthValueIiiLi1EEEvNS_4cuda6detail10TensorInfoIKT_T0_EES8_S8_S8_S8_NS5_IS6_S8_EENS5_IlS8_EE.num_agpr, 0
	.set _ZN2at6native12_GLOBAL__N_114gatherKthValueIiiLi1EEEvNS_4cuda6detail10TensorInfoIKT_T0_EES8_S8_S8_S8_NS5_IS6_S8_EENS5_IlS8_EE.numbered_sgpr, 100
	.set _ZN2at6native12_GLOBAL__N_114gatherKthValueIiiLi1EEEvNS_4cuda6detail10TensorInfoIKT_T0_EES8_S8_S8_S8_NS5_IS6_S8_EENS5_IlS8_EE.num_named_barrier, 0
	.set _ZN2at6native12_GLOBAL__N_114gatherKthValueIiiLi1EEEvNS_4cuda6detail10TensorInfoIKT_T0_EES8_S8_S8_S8_NS5_IS6_S8_EENS5_IlS8_EE.private_seg_size, 0
	.set _ZN2at6native12_GLOBAL__N_114gatherKthValueIiiLi1EEEvNS_4cuda6detail10TensorInfoIKT_T0_EES8_S8_S8_S8_NS5_IS6_S8_EENS5_IlS8_EE.uses_vcc, 1
	.set _ZN2at6native12_GLOBAL__N_114gatherKthValueIiiLi1EEEvNS_4cuda6detail10TensorInfoIKT_T0_EES8_S8_S8_S8_NS5_IS6_S8_EENS5_IlS8_EE.uses_flat_scratch, 0
	.set _ZN2at6native12_GLOBAL__N_114gatherKthValueIiiLi1EEEvNS_4cuda6detail10TensorInfoIKT_T0_EES8_S8_S8_S8_NS5_IS6_S8_EENS5_IlS8_EE.has_dyn_sized_stack, 0
	.set _ZN2at6native12_GLOBAL__N_114gatherKthValueIiiLi1EEEvNS_4cuda6detail10TensorInfoIKT_T0_EES8_S8_S8_S8_NS5_IS6_S8_EENS5_IlS8_EE.has_recursion, 0
	.set _ZN2at6native12_GLOBAL__N_114gatherKthValueIiiLi1EEEvNS_4cuda6detail10TensorInfoIKT_T0_EES8_S8_S8_S8_NS5_IS6_S8_EENS5_IlS8_EE.has_indirect_call, 0
	.section	.AMDGPU.csdata,"",@progbits
; Kernel info:
; codeLenInByte = 8960
; TotalNumSgprs: 106
; NumVgprs: 57
; NumAgprs: 0
; TotalNumVgprs: 57
; ScratchSize: 0
; MemoryBound: 0
; FloatMode: 240
; IeeeMode: 1
; LDSByteSize: 4112 bytes/workgroup (compile time only)
; SGPRBlocks: 13
; VGPRBlocks: 7
; NumSGPRsForWavesPerEU: 106
; NumVGPRsForWavesPerEU: 57
; AccumOffset: 60
; Occupancy: 7
; WaveLimiterHint : 1
; COMPUTE_PGM_RSRC2:SCRATCH_EN: 0
; COMPUTE_PGM_RSRC2:USER_SGPR: 2
; COMPUTE_PGM_RSRC2:TRAP_HANDLER: 0
; COMPUTE_PGM_RSRC2:TGID_X_EN: 1
; COMPUTE_PGM_RSRC2:TGID_Y_EN: 1
; COMPUTE_PGM_RSRC2:TGID_Z_EN: 1
; COMPUTE_PGM_RSRC2:TIDIG_COMP_CNT: 0
; COMPUTE_PGM_RSRC3_GFX90A:ACCUM_OFFSET: 14
; COMPUTE_PGM_RSRC3_GFX90A:TG_SPLIT: 0
	.section	.text._ZN2at6native12_GLOBAL__N_114gatherKthValueIiiLi2EEEvNS_4cuda6detail10TensorInfoIKT_T0_EES8_S8_S8_S8_NS5_IS6_S8_EENS5_IlS8_EE,"axG",@progbits,_ZN2at6native12_GLOBAL__N_114gatherKthValueIiiLi2EEEvNS_4cuda6detail10TensorInfoIKT_T0_EES8_S8_S8_S8_NS5_IS6_S8_EENS5_IlS8_EE,comdat
	.globl	_ZN2at6native12_GLOBAL__N_114gatherKthValueIiiLi2EEEvNS_4cuda6detail10TensorInfoIKT_T0_EES8_S8_S8_S8_NS5_IS6_S8_EENS5_IlS8_EE ; -- Begin function _ZN2at6native12_GLOBAL__N_114gatherKthValueIiiLi2EEEvNS_4cuda6detail10TensorInfoIKT_T0_EES8_S8_S8_S8_NS5_IS6_S8_EENS5_IlS8_EE
	.p2align	8
	.type	_ZN2at6native12_GLOBAL__N_114gatherKthValueIiiLi2EEEvNS_4cuda6detail10TensorInfoIKT_T0_EES8_S8_S8_S8_NS5_IS6_S8_EENS5_IlS8_EE,@function
_ZN2at6native12_GLOBAL__N_114gatherKthValueIiiLi2EEEvNS_4cuda6detail10TensorInfoIKT_T0_EES8_S8_S8_S8_NS5_IS6_S8_EENS5_IlS8_EE: ; @_ZN2at6native12_GLOBAL__N_114gatherKthValueIiiLi2EEEvNS_4cuda6detail10TensorInfoIKT_T0_EES8_S8_S8_S8_NS5_IS6_S8_EENS5_IlS8_EE
; %bb.0:
	s_load_dwordx2 s[12:13], s[0:1], 0x298
	s_load_dwordx4 s[60:63], s[0:1], 0xd8
	s_add_u32 s10, s0, 0x298
	s_addc_u32 s11, s1, 0
	s_waitcnt lgkmcnt(0)
	s_mul_i32 s4, s13, s4
	s_add_i32 s3, s4, s3
	s_mul_i32 s3, s3, s12
	s_add_i32 s18, s3, s2
	s_cmp_ge_i32 s18, s62
	s_cbranch_scc1 .LBB17_238
; %bb.1:
	s_load_dword s3, s[0:1], 0xc
	s_load_dwordx2 s[4:5], s[0:1], 0xe8
                                        ; implicit-def: $vgpr56 : SGPR spill to VGPR lane
                                        ; kill: killed $sgpr0 killed $sgpr1
	s_abs_i32 s21, s18
	s_ashr_i32 s20, s18, 31
	s_load_dword s22, s[0:1], 0xf4
	s_waitcnt lgkmcnt(0)
	s_abs_i32 s13, s3
	v_writelane_b32 v56, s4, 0
	v_cvt_f32_u32_e32 v1, s13
	s_ashr_i32 s14, s3, 31
	v_writelane_b32 v56, s5, 1
	s_load_dwordx2 s[6:7], s[0:1], 0x6c
	s_load_dwordx2 s[4:5], s[0:1], 0x0
	;; [unrolled: 1-line block ×3, first 2 shown]
	v_rcp_iflag_f32_e32 v1, v1
	s_waitcnt lgkmcnt(0)
	v_writelane_b32 v56, s8, 2
	s_nop 1
	v_writelane_b32 v56, s9, 3
	s_load_dword s19, s[0:1], 0x1cc
	s_load_dwordx2 s[8:9], s[0:1], 0x1c0
	v_mul_f32_e32 v1, 0x4f7ffffe, v1
	v_cvt_u32_f32_e32 v1, v1
	s_waitcnt lgkmcnt(0)
	v_writelane_b32 v56, s8, 4
	s_nop 1
	v_writelane_b32 v56, s9, 5
	s_load_dwordx2 s[8:9], s[0:1], 0x154
	s_mov_b32 s0, 0
	s_waitcnt lgkmcnt(0)
	v_writelane_b32 v56, s8, 6
	s_nop 1
	v_writelane_b32 v56, s9, 7
	s_abs_i32 s9, s22
	v_cvt_f32_u32_e32 v2, s9
	v_writelane_b32 v56, s0, 8
	s_abs_i32 s8, s19
	s_nop 0
	v_writelane_b32 v56, s1, 9
	v_readfirstlane_b32 s1, v1
	v_rcp_iflag_f32_e32 v1, v2
	v_cvt_f32_u32_e32 v2, s8
	s_sub_i32 s0, 0, s13
	s_mul_i32 s0, s0, s1
	v_mul_f32_e32 v1, 0x4f7ffffe, v1
	v_cvt_u32_f32_e32 v1, v1
	v_rcp_iflag_f32_e32 v2, v2
	s_mul_hi_u32 s0, s1, s0
	s_add_i32 s1, s1, s0
	s_mul_hi_u32 s15, s21, s1
	s_sub_i32 s0, 0, s9
	v_readfirstlane_b32 s1, v1
	v_mul_f32_e32 v1, 0x4f7ffffe, v2
	s_mul_i32 s0, s0, s1
	v_cvt_u32_f32_e32 v1, v1
	s_mul_hi_u32 s0, s1, s0
	s_add_i32 s1, s1, s0
	v_writelane_b32 v56, s9, 10
	s_mul_hi_u32 s0, s21, s1
	v_writelane_b32 v56, s0, 11
	s_sub_i32 s0, 0, s8
	v_readfirstlane_b32 s1, v1
	s_mul_i32 s0, s0, s1
	s_mul_hi_u32 s0, s1, s0
	s_add_i32 s1, s1, s0
	v_writelane_b32 v56, s8, 12
	s_mul_hi_u32 s0, s21, s1
	v_writelane_b32 v56, s0, 13
	v_cmp_eq_u32_e64 s[0:1], 0, v0
	s_and_saveexec_b64 s[8:9], s[0:1]
; %bb.2:
	v_mov_b32_e32 v2, 0
	v_mov_b32_e32 v3, s60
	;; [unrolled: 1-line block ×3, first 2 shown]
	ds_write_b96 v2, v[2:4] offset:4096
; %bb.3:
	s_or_b64 exec, exec, s[8:9]
	v_writelane_b32 v56, s22, 14
	s_ashr_i32 s8, s22, 31
	v_writelane_b32 v56, s8, 15
	v_writelane_b32 v56, s19, 16
	s_ashr_i32 s8, s19, 31
	v_writelane_b32 v56, s8, 17
	v_writelane_b32 v56, s20, 18
	;; [unrolled: 1-line block ×3, first 2 shown]
	s_mul_i32 s9, s15, s13
	v_readlane_b32 s16, v56, 8
	v_readlane_b32 s17, v56, 9
	s_mov_b32 s17, 1
	s_sub_i32 s9, s21, s9
	v_writelane_b32 v56, s16, 8
	s_xor_b32 s8, s20, s14
	s_add_i32 s14, s15, 1
	v_writelane_b32 v56, s17, 9
	s_sub_i32 s16, s9, s13
	s_cmp_ge_u32 s9, s13
	s_cselect_b32 s14, s14, s15
	s_cselect_b32 s9, s16, s9
	s_add_i32 s15, s14, 1
	s_cmp_ge_u32 s9, s13
	s_cselect_b32 s9, s15, s14
	s_xor_b32 s9, s9, s8
	s_sub_i32 s8, s9, s8
	s_mul_i32 s3, s8, s3
	s_sub_i32 s3, s18, s3
	s_mul_i32 s3, s3, s7
	s_mul_i32 s6, s8, s6
	s_add_i32 s6, s6, s3
	s_waitcnt lgkmcnt(0)
	s_barrier
	s_load_dword s3, s[10:11], 0xc
	s_ashr_i32 s7, s6, 31
	s_lshl_b64 s[6:7], s[6:7], 2
	s_add_u32 s72, s4, s6
	v_mbcnt_lo_u32_b32 v1, -1, 0
	s_addc_u32 s73, s5, s7
	s_waitcnt lgkmcnt(0)
	s_and_b32 s62, s3, 0xffff
	v_mbcnt_hi_u32_b32 v26, -1, v1
	v_cmp_gt_u32_e32 vcc, 64, v0
	v_cmp_gt_i32_e64 s[4:5], 4, v26
	s_add_i32 s88, s62, -1
	s_lshl_b32 s86, s62, 2
	s_and_b64 s[76:77], vcc, s[4:5]
	s_add_i32 s89, s88, s60
	s_cmpk_gt_i32 s60, 0x300
	s_cselect_b64 s[78:79], -1, 0
	s_cmp_gt_u32 s62, 63
	v_writelane_b32 v56, s18, 20
	v_cmp_gt_i32_e64 s[8:9], s60, v0
	s_cselect_b64 s[80:81], -1, 0
	s_cmp_lt_u32 s2, s12
	v_writelane_b32 v56, s8, 21
	s_cselect_b32 s2, 12, 18
	v_lshlrev_b64 v[2:3], v26, -1
	v_writelane_b32 v56, s9, 22
	s_add_u32 s8, s10, s2
	s_addc_u32 s9, s11, 0
	v_writelane_b32 v56, s8, 23
	v_not_b32_e32 v14, v2
	v_lshrrev_b32_e32 v2, 2, v0
	v_writelane_b32 v56, s9, 24
	s_bfe_u32 s8, s3, 0xa0006
	s_add_i32 s2, s8, -2
	s_lshr_b32 s3, s2, 1
	s_add_i32 s3, s3, 1
	s_cmpk_gt_u32 s62, 0x7f
	v_and_b32_e32 v2, 0xf0, v2
	s_cselect_b64 s[10:11], -1, 0
	v_or_b32_e32 v28, 0xc00, v2
	v_writelane_b32 v56, s10, 25
	v_cvt_f32_u32_e32 v2, s86
	s_and_b32 s9, s8, 0x3fe
	v_writelane_b32 v56, s11, 26
	s_and_b32 s10, s3, 7
	s_cmp_gt_u32 s2, 13
	s_cselect_b64 s[12:13], -1, 0
	v_writelane_b32 v56, s12, 27
	v_rcp_iflag_f32_e32 v2, v2
	s_and_b32 s2, s3, -8
	v_writelane_b32 v56, s13, 28
	v_writelane_b32 v56, s2, 29
	s_cmp_lg_u32 s10, 0
	v_writelane_b32 v56, s10, 30
	s_cselect_b64 s[2:3], -1, 0
	v_writelane_b32 v56, s2, 31
	v_mul_f32_e32 v2, 0x4f7ffffe, v2
	v_cvt_u32_f32_e32 v2, v2
	v_writelane_b32 v56, s3, 32
	v_writelane_b32 v56, s8, 33
	s_cmp_lg_u32 s9, s8
	v_writelane_b32 v56, s9, 34
	s_cselect_b64 s[2:3], -1, 0
	v_writelane_b32 v56, s2, 35
	v_not_b32_e32 v1, v3
	v_cvt_f32_u32_e32 v3, s62
	v_writelane_b32 v56, s3, 36
	s_sub_i32 s2, 0, s86
	v_readfirstlane_b32 s3, v2
	s_mul_i32 s2, s2, s3
	s_mul_hi_u32 s2, s3, s2
	s_add_i32 s90, s3, s2
	s_mul_hi_u32 s2, s60, s90
	s_mul_i32 s2, s2, s86
	s_sub_i32 s2, s60, s2
	s_sub_i32 s3, s2, s86
	s_cmp_ge_u32 s2, s86
	s_cselect_b32 s2, s3, s2
	s_sub_i32 s3, s2, s86
	s_cmp_ge_u32 s2, s86
	s_cselect_b32 s2, s3, s2
	s_sub_i32 s91, s60, s2
	v_rcp_iflag_f32_e32 v5, v3
	v_add_u32_e32 v29, s91, v0
	v_mul_lo_u32 v2, v29, s63
	v_ashrrev_i32_e32 v3, 31, v2
	v_lshl_add_u64 v[16:17], v[2:3], 2, s[72:73]
	v_mul_f32_e32 v2, 0x4f7ffffe, v5
	v_cvt_u32_f32_e32 v2, v2
	s_sub_i32 s9, 0, s62
	s_abs_i32 s8, s89
	s_ashr_i32 s3, s89, 31
	v_readfirstlane_b32 s16, v2
	s_mul_i32 s9, s9, s16
	s_mul_hi_u32 s9, s16, s9
	s_add_i32 s33, s16, s9
	s_mul_hi_u32 s9, s8, s33
	s_mul_i32 s9, s9, s62
	s_sub_i32 s8, s8, s9
	s_sub_i32 s9, s8, s62
	s_cmp_ge_u32 s8, s62
	s_cselect_b32 s8, s9, s8
	s_sub_i32 s9, s8, s62
	s_cmp_ge_u32 s8, s62
	v_lshlrev_b32_e32 v15, 2, v0
	s_cselect_b32 s8, s9, s8
	s_xor_b32 s8, s8, s3
	v_mul_lo_u32 v2, s63, v15
	s_sub_i32 s3, s3, s8
	v_add_u32_e32 v30, s63, v2
	v_or_b32_e32 v2, 2, v15
	s_add_i32 s89, s89, s3
	v_mul_lo_u32 v31, s63, v2
	v_or_b32_e32 v2, 3, v15
	s_add_i32 s3, s62, s60
	v_mov_b32_e32 v11, 0
	v_cmp_gt_i32_e64 s[8:9], s89, v0
	v_mul_lo_u32 v32, s63, v2
	v_add_u32_e32 v2, s3, v0
	v_mov_b32_e32 v8, 0
	v_mul_lo_u32 v6, s63, v0
	v_mov_b32_e32 v7, v11
	v_lshlrev_b32_e32 v4, 2, v26
	v_writelane_b32 v56, s8, 37
	s_mul_i32 s87, s63, s62
	v_subrev_u32_e32 v2, s2, v2
	v_cmp_eq_u32_e64 s[18:19], 0, v26
	v_cmp_gt_u32_e64 s[4:5], 2, v0
	v_add_u32_e32 v27, 0xc00, v15
	v_cmp_gt_u32_e64 s[6:7], s60, v0
	v_lshl_add_u64 v[12:13], v[6:7], 2, s[72:73]
	v_and_b32_e32 v7, 0x100, v4
	v_cmp_gt_i32_e64 s[10:11], s91, v15
	v_cmp_gt_u32_e64 s[12:13], s60, v29
	v_cmp_gt_i32_e64 s[14:15], s60, v29
	v_writelane_b32 v56, s9, 38
	s_lshl_b32 s8, s87, 2
	v_lshlrev_b32_e32 v33, 2, v6
	v_mul_lo_u32 v35, s63, v2
	v_lshlrev_b32_e32 v36, 4, v0
	s_lshl_b32 s9, s62, 4
	v_or_b32_e32 v37, 0xc00, v4
	s_mov_b64 s[92:93], 0
	v_mov_b32_e32 v38, 30
	v_mov_b32_e32 v42, s61
	s_brev_b32 s61, 1
	v_mov_b32_e32 v43, s60
	v_mov_b32_e32 v18, 1
	;; [unrolled: 1-line block ×7, first 2 shown]
                                        ; implicit-def: $sgpr94_sgpr95
                                        ; implicit-def: $sgpr98_sgpr99
                                        ; implicit-def: $sgpr96_sgpr97
                                        ; implicit-def: $sgpr64_sgpr65
                                        ; implicit-def: $sgpr66_sgpr67
                                        ; implicit-def: $sgpr68_sgpr69
	s_branch .LBB17_7
.LBB17_4:                               ;   in Loop: Header=BB17_7 Depth=1
	s_or_b64 exec, exec, s[30:31]
	s_and_b64 s[30:31], s[28:29], exec
	s_andn2_b64 s[26:27], s[26:27], exec
	s_andn2_b64 s[24:25], s[24:25], exec
	s_orn2_b64 s[20:21], s[20:21], exec
.LBB17_5:                               ;   in Loop: Header=BB17_7 Depth=1
	s_or_b64 exec, exec, s[22:23]
	s_andn2_b64 s[16:17], s[68:69], exec
	s_and_b64 s[22:23], s[30:31], exec
	s_or_b64 s[68:69], s[16:17], s[22:23]
	s_andn2_b64 s[16:17], s[66:67], exec
	s_and_b64 s[22:23], s[26:27], exec
	s_or_b64 s[66:67], s[16:17], s[22:23]
	;; [unrolled: 3-line block ×3, first 2 shown]
	s_orn2_b64 s[20:21], s[20:21], exec
.LBB17_6:                               ;   in Loop: Header=BB17_7 Depth=1
	s_or_b64 exec, exec, s[2:3]
	s_and_b64 s[2:3], exec, s[20:21]
	s_or_b64 s[92:93], s[2:3], s[92:93]
	s_andn2_b64 s[2:3], s[96:97], exec
	s_and_b64 s[16:17], s[68:69], exec
	s_or_b64 s[96:97], s[2:3], s[16:17]
	s_andn2_b64 s[2:3], s[98:99], exec
	s_and_b64 s[16:17], s[66:67], exec
	;; [unrolled: 3-line block ×3, first 2 shown]
	s_or_b64 s[94:95], s[2:3], s[16:17]
	v_mov_b32_e32 v42, v10
	s_andn2_b64 exec, exec, s[92:93]
	s_cbranch_execz .LBB17_234
.LBB17_7:                               ; =>This Loop Header: Depth=1
                                        ;     Child Loop BB17_13 Depth 2
                                        ;     Child Loop BB17_28 Depth 2
	;; [unrolled: 1-line block ×17, first 2 shown]
	ds_read_b64 v[2:3], v11 offset:4096
	s_waitcnt lgkmcnt(0)
	v_readfirstlane_b32 s82, v2
	s_cmp_gt_i32 s82, 0
	s_cbranch_scc1 .LBB17_35
; %bb.8:                                ;   in Loop: Header=BB17_7 Depth=1
	s_and_b64 vcc, exec, s[78:79]
	s_cbranch_vccz .LBB17_21
; %bb.9:                                ;   in Loop: Header=BB17_7 Depth=1
	s_movk_i32 s2, 0x301
	v_cmp_gt_i32_e32 vcc, s2, v3
	s_mov_b64 s[20:21], 0
	s_mov_b64 s[2:3], 0
	s_cbranch_vccz .LBB17_22
; %bb.10:                               ;   in Loop: Header=BB17_7 Depth=1
	s_and_saveexec_b64 s[22:23], s[6:7]
	s_cbranch_execz .LBB17_67
; %bb.11:                               ;   in Loop: Header=BB17_7 Depth=1
	v_readlane_b32 s2, v56, 23
	v_readlane_b32 s3, v56, 24
	s_nop 4
	global_load_ushort v2, v11, s[2:3]
	global_load_dword v4, v[12:13], off
	s_mov_b64 s[24:25], 0
	s_waitcnt vmcnt(1)
	v_add_u32_e32 v5, v0, v2
	v_mul_lo_u32 v3, s63, v2
	v_mul_lo_u32 v10, s63, v5
	v_mov_b32_e32 v5, v0
	s_branch .LBB17_13
.LBB17_12:                              ;   in Loop: Header=BB17_13 Depth=2
	s_or_b64 exec, exec, s[2:3]
	v_cmp_le_i32_e32 vcc, s60, v5
	v_add_u32_e32 v10, v10, v3
	s_or_b64 s[24:25], vcc, s[24:25]
	v_mov_b32_e32 v4, v9
	s_andn2_b64 exec, exec, s[24:25]
	s_cbranch_execz .LBB17_67
.LBB17_13:                              ;   Parent Loop BB17_7 Depth=1
                                        ; =>  This Inner Loop Header: Depth=2
	v_add_u32_e32 v5, v5, v2
	v_cmp_gt_u32_e32 vcc, s60, v5
	s_waitcnt lgkmcnt(0)
	v_mov_b32_e32 v19, 0
	v_mov_b32_e32 v9, 0
	s_and_saveexec_b64 s[2:3], vcc
	s_cbranch_execz .LBB17_15
; %bb.14:                               ;   in Loop: Header=BB17_13 Depth=2
	v_lshl_add_u64 v[22:23], v[10:11], 2, s[72:73]
	global_load_dword v9, v[22:23], off
.LBB17_15:                              ;   in Loop: Header=BB17_13 Depth=2
	s_or_b64 exec, exec, s[2:3]
	s_waitcnt vmcnt(0)
	v_bitop3_b32 v20, v4, v41, s61 bitop3:0x48
	v_cmp_eq_u32_e32 vcc, v20, v34
	s_cmp_lg_u64 vcc, 0
	s_cselect_b64 s[2:3], -1, 0
	s_and_b64 s[2:3], s[18:19], s[2:3]
	s_and_saveexec_b64 s[26:27], s[2:3]
	s_cbranch_execz .LBB17_19
; %bb.16:                               ;   in Loop: Header=BB17_13 Depth=2
	s_mov_b64 s[30:31], exec
	v_mbcnt_lo_u32_b32 v19, s30, 0
	v_mbcnt_hi_u32_b32 v19, s31, v19
	s_bcnt1_i32_b64 s16, vcc
	v_cmp_eq_u32_e64 s[2:3], 0, v19
                                        ; implicit-def: $vgpr20
	s_and_saveexec_b64 s[28:29], s[2:3]
; %bb.17:                               ;   in Loop: Header=BB17_13 Depth=2
	s_bcnt1_i32_b64 s2, s[30:31]
	s_mul_i32 s2, s16, s2
	v_mov_b32_e32 v20, s2
	ds_add_rtn_u32 v20, v11, v20 offset:4104
; %bb.18:                               ;   in Loop: Header=BB17_13 Depth=2
	s_or_b64 exec, exec, s[28:29]
	s_waitcnt lgkmcnt(0)
	v_readfirstlane_b32 s2, v20
	s_nop 1
	v_mov_b32_e32 v20, s2
	v_mad_u32_u24 v19, s16, v19, v20
.LBB17_19:                              ;   in Loop: Header=BB17_13 Depth=2
	s_or_b64 exec, exec, s[26:27]
	ds_bpermute_b32 v19, v7, v19
	s_and_saveexec_b64 s[2:3], vcc
	s_cbranch_execz .LBB17_12
; %bb.20:                               ;   in Loop: Header=BB17_13 Depth=2
	v_and_b32_e32 v22, vcc_lo, v14
	v_and_b32_e32 v20, vcc_hi, v1
	v_bcnt_u32_b32 v22, v22, 0
	v_bcnt_u32_b32 v20, v20, v22
	v_lshlrev_b32_e32 v20, 2, v20
	s_waitcnt lgkmcnt(0)
	v_lshl_add_u32 v19, v19, 2, v20
	ds_write_b32 v19, v4
	s_branch .LBB17_12
.LBB17_21:                              ;   in Loop: Header=BB17_7 Depth=1
	s_mov_b64 s[20:21], -1
	s_mov_b64 s[2:3], 0
.LBB17_22:                              ;   in Loop: Header=BB17_7 Depth=1
	s_and_b64 vcc, exec, s[20:21]
	s_cbranch_vccz .LBB17_33
.LBB17_23:                              ;   in Loop: Header=BB17_7 Depth=1
	v_mov_b32_e32 v2, 0
	s_and_saveexec_b64 s[2:3], s[6:7]
	s_cbranch_execz .LBB17_25
; %bb.24:                               ;   in Loop: Header=BB17_7 Depth=1
	global_load_dword v2, v[12:13], off
.LBB17_25:                              ;   in Loop: Header=BB17_7 Depth=1
	s_or_b64 exec, exec, s[2:3]
	s_mov_b64 s[2:3], exec
	v_readlane_b32 s16, v56, 21
	v_readlane_b32 s17, v56, 22
	s_and_b64 s[16:17], s[2:3], s[16:17]
	s_mov_b64 exec, s[16:17]
	s_cbranch_execz .LBB17_30
; %bb.26:                               ;   in Loop: Header=BB17_7 Depth=1
	v_readlane_b32 s16, v56, 23
	v_readlane_b32 s17, v56, 24
	s_mov_b64 s[20:21], 0
	v_mov_b32_e32 v4, v15
	v_mov_b32_e32 v19, v0
	s_nop 1
	global_load_ushort v3, v11, s[16:17]
	s_waitcnt vmcnt(0)
	v_add_u32_e32 v10, v0, v3
	v_lshlrev_b32_e32 v5, 2, v3
	v_mul_lo_u32 v9, s63, v3
	v_mul_lo_u32 v10, s63, v10
	s_branch .LBB17_28
.LBB17_27:                              ;   in Loop: Header=BB17_28 Depth=2
	s_or_b64 exec, exec, s[22:23]
	v_cmp_le_i32_e32 vcc, s60, v19
	ds_write_b32 v4, v2
	v_add_u32_e32 v4, v4, v5
	v_add_u32_e32 v10, v10, v9
	s_or_b64 s[20:21], vcc, s[20:21]
	s_waitcnt vmcnt(0)
	v_mov_b32_e32 v2, v20
	s_andn2_b64 exec, exec, s[20:21]
	s_cbranch_execz .LBB17_30
.LBB17_28:                              ;   Parent Loop BB17_7 Depth=1
                                        ; =>  This Inner Loop Header: Depth=2
	v_add_u32_e32 v19, v19, v3
	v_cmp_gt_u32_e32 vcc, s60, v19
	v_mov_b32_e32 v20, 0
	s_and_saveexec_b64 s[22:23], vcc
	s_cbranch_execz .LBB17_27
; %bb.29:                               ;   in Loop: Header=BB17_28 Depth=2
	v_lshl_add_u64 v[22:23], v[10:11], 2, s[72:73]
	global_load_dword v20, v[22:23], off
	s_branch .LBB17_27
.LBB17_30:                              ;   in Loop: Header=BB17_7 Depth=1
	s_or_b64 exec, exec, s[2:3]
	s_waitcnt lgkmcnt(0)
	s_barrier
	s_and_saveexec_b64 s[2:3], s[0:1]
; %bb.31:                               ;   in Loop: Header=BB17_7 Depth=1
	ds_write_b32 v11, v43 offset:4096
; %bb.32:                               ;   in Loop: Header=BB17_7 Depth=1
	s_or_b64 exec, exec, s[2:3]
	s_mov_b64 s[2:3], -1
	s_waitcnt lgkmcnt(0)
	s_barrier
.LBB17_33:                              ;   in Loop: Header=BB17_7 Depth=1
	s_and_b64 vcc, exec, s[2:3]
	s_cbranch_vccz .LBB17_35
; %bb.34:                               ;   in Loop: Header=BB17_7 Depth=1
	s_waitcnt vmcnt(0)
	ds_read_b32 v2, v11 offset:4096
	s_waitcnt lgkmcnt(0)
	v_readfirstlane_b32 s82, v2
.LBB17_35:                              ;   in Loop: Header=BB17_7 Depth=1
	s_cmp_lt_i32 s82, 1
	s_mov_b64 s[2:3], -1
                                        ; implicit-def: $vgpr5
	s_cbranch_scc1 .LBB17_45
; %bb.36:                               ;   in Loop: Header=BB17_7 Depth=1
	s_and_b64 vcc, exec, s[2:3]
	s_cbranch_vccnz .LBB17_58
.LBB17_37:                              ;   in Loop: Header=BB17_7 Depth=1
	s_waitcnt vmcnt(0)
	v_lshlrev_b32_e32 v10, 6, v40
	s_and_saveexec_b64 s[2:3], s[18:19]
.LBB17_38:                              ;   in Loop: Header=BB17_7 Depth=1
	v_lshl_add_u32 v9, v10, 2, v28
	ds_write_b128 v9, v[2:5]
.LBB17_39:                              ;   in Loop: Header=BB17_7 Depth=1
	s_or_b64 exec, exec, s[2:3]
	s_waitcnt lgkmcnt(0)
	s_barrier
	s_and_saveexec_b64 s[2:3], s[76:77]
	s_cbranch_execz .LBB17_78
; %bb.40:                               ;   in Loop: Header=BB17_7 Depth=1
	v_add_u32_e32 v4, v10, v26
	s_andn2_b64 vcc, exec, s[80:81]
	v_mov_b32_e32 v2, 0
	s_cbranch_vccnz .LBB17_77
; %bb.41:                               ;   in Loop: Header=BB17_7 Depth=1
	v_readlane_b32 s16, v56, 25
	v_readlane_b32 s17, v56, 26
	s_andn2_b64 vcc, exec, s[16:17]
	s_cbranch_vccnz .LBB17_70
; %bb.42:                               ;   in Loop: Header=BB17_7 Depth=1
	v_readlane_b32 s16, v56, 27
	v_readlane_b32 s17, v56, 28
	s_andn2_b64 vcc, exec, s[16:17]
	v_lshl_add_u32 v5, v4, 2, v39
	s_cbranch_vccnz .LBB17_71
; %bb.43:                               ;   in Loop: Header=BB17_7 Depth=1
	s_mov_b32 s21, 1
	s_mov_b32 s20, 0
	v_mov_b32_e32 v2, 0
	v_mov_b32_e32 v3, 0
	v_readlane_b32 s16, v56, 29
.LBB17_44:                              ;   Parent Loop BB17_7 Depth=1
                                        ; =>  This Inner Loop Header: Depth=2
	v_lshl_add_u32 v9, s20, 4, v5
	v_lshl_add_u32 v19, s21, 4, v5
	ds_read2_b32 v[22:23], v9 offset1:8
	ds_read2_b32 v[24:25], v19 offset1:8
	ds_read2_b32 v[44:45], v9 offset0:16 offset1:24
	ds_read2_b32 v[46:47], v19 offset0:16 offset1:24
	;; [unrolled: 1-line block ×6, first 2 shown]
	s_waitcnt lgkmcnt(7)
	v_add3_u32 v2, v22, v2, v23
	s_waitcnt lgkmcnt(6)
	v_add3_u32 v3, v24, v3, v25
	;; [unrolled: 2-line block ×3, first 2 shown]
	v_add3_u32 v2, v44, v2, v45
	s_add_i32 s21, s21, 16
	s_add_i32 s20, s20, 16
	s_add_i32 s16, s16, -8
	s_waitcnt lgkmcnt(3)
	v_add3_u32 v2, v48, v2, v49
	s_waitcnt lgkmcnt(2)
	v_add3_u32 v3, v50, v3, v51
	s_cmp_lg_u32 s16, 0
	s_waitcnt lgkmcnt(0)
	v_add3_u32 v3, v54, v3, v55
	v_add3_u32 v2, v52, v2, v53
	s_cbranch_scc1 .LBB17_44
	s_branch .LBB17_72
.LBB17_45:                              ;   in Loop: Header=BB17_7 Depth=1
	s_waitcnt vmcnt(0)
	v_mov_b32_e32 v2, 0
	v_mov_b32_e32 v3, 0
	;; [unrolled: 1-line block ×4, first 2 shown]
	s_and_saveexec_b64 s[70:71], s[10:11]
	s_cbranch_execnz .LBB17_48
; %bb.46:                               ;   in Loop: Header=BB17_7 Depth=1
	s_or_b64 exec, exec, s[70:71]
	v_mov_b32_e32 v10, 0
	s_and_saveexec_b64 s[2:3], s[12:13]
	s_cbranch_execnz .LBB17_51
.LBB17_47:                              ;   in Loop: Header=BB17_7 Depth=1
	s_or_b64 exec, exec, s[2:3]
	s_and_saveexec_b64 s[20:21], s[14:15]
	s_cbranch_execnz .LBB17_52
	s_branch .LBB17_57
.LBB17_48:                              ;   in Loop: Header=BB17_7 Depth=1
	s_mov_b32 s83, 0
	s_mov_b64 s[74:75], 0
	s_mov_b32 s84, 0
	s_mov_b32 s85, 0
	;; [unrolled: 1-line block ×4, first 2 shown]
	v_mov_b32_e32 v9, v15
.LBB17_49:                              ;   Parent Loop BB17_7 Depth=1
                                        ; =>  This Inner Loop Header: Depth=2
	v_add_u32_e32 v2, s83, v33
	v_add_u32_e32 v4, s83, v30
	;; [unrolled: 1-line block ×4, first 2 shown]
	v_ashrrev_i32_e32 v3, 31, v2
	v_ashrrev_i32_e32 v5, 31, v4
	;; [unrolled: 1-line block ×4, first 2 shown]
	v_lshl_add_u64 v[2:3], v[2:3], 2, s[72:73]
	v_lshl_add_u64 v[4:5], v[4:5], 2, s[72:73]
	;; [unrolled: 1-line block ×4, first 2 shown]
	global_load_dword v2, v[2:3], off
	s_nop 0
	global_load_dword v3, v[4:5], off
	s_nop 0
	global_load_dword v4, v[22:23], off
	global_load_dword v5, v[24:25], off
	v_add_u32_e32 v9, s86, v9
	s_add_i32 s83, s83, s8
	v_cmp_le_i32_e32 vcc, s91, v9
	s_waitcnt vmcnt(3)
	v_xor_b32_e32 v10, 0x80000000, v2
	v_bitop3_b32 v2, v2, v41, s61 bitop3:0x48
	s_waitcnt vmcnt(2)
	v_xor_b32_e32 v19, 0x80000000, v3
	v_bitop3_b32 v3, v3, v41, s61 bitop3:0x48
	v_cmp_eq_u32_e64 s[2:3], v2, v34
	v_bfe_u32 v2, v10, v38, 2
	s_waitcnt vmcnt(1)
	v_xor_b32_e32 v20, 0x80000000, v4
	v_bitop3_b32 v4, v4, v41, s61 bitop3:0x48
	v_cmp_eq_u32_e64 s[20:21], v3, v34
	v_bfe_u32 v3, v19, v38, 2
	v_cmp_eq_u32_e64 s[26:27], 0, v2
	s_waitcnt vmcnt(0)
	v_xor_b32_e32 v22, 0x80000000, v5
	v_bitop3_b32 v5, v5, v41, s61 bitop3:0x48
	v_cmp_eq_u32_e64 s[22:23], v4, v34
	v_bfe_u32 v4, v20, v38, 2
	v_cmp_eq_u32_e64 s[28:29], 0, v3
	s_and_b64 s[26:27], s[2:3], s[26:27]
	v_cmp_eq_u32_e64 s[24:25], v5, v34
	v_bfe_u32 v5, v22, v38, 2
	v_cmp_eq_u32_e64 s[30:31], 0, v4
	v_cmp_eq_u32_e64 s[36:37], 1, v2
	;; [unrolled: 1-line block ×4, first 2 shown]
	v_cndmask_b32_e64 v2, 0, 1, s[26:27]
	s_and_b64 s[26:27], s[20:21], s[28:29]
	v_cmp_eq_u32_e64 s[34:35], 0, v5
	v_cmp_eq_u32_e64 s[38:39], 1, v3
	;; [unrolled: 1-line block ×4, first 2 shown]
	v_cndmask_b32_e64 v3, 0, 1, s[26:27]
	s_and_b64 s[26:27], s[22:23], s[30:31]
	v_cmp_eq_u32_e64 s[40:41], 1, v4
	v_cmp_eq_u32_e64 s[48:49], 2, v4
	;; [unrolled: 1-line block ×3, first 2 shown]
	v_cndmask_b32_e64 v4, 0, 1, s[26:27]
	s_and_b64 s[26:27], s[24:25], s[34:35]
	v_cmp_eq_u32_e64 s[42:43], 1, v5
	v_cmp_eq_u32_e64 s[50:51], 2, v5
	;; [unrolled: 1-line block ×3, first 2 shown]
	v_cndmask_b32_e64 v5, 0, 1, s[26:27]
	s_and_b64 s[26:27], s[2:3], s[36:37]
	v_cndmask_b32_e64 v10, 0, 1, s[26:27]
	s_and_b64 s[26:27], s[20:21], s[38:39]
	;; [unrolled: 2-line block ×5, first 2 shown]
	s_and_b64 s[2:3], s[2:3], s[52:53]
	v_cndmask_b32_e64 v23, 0, 1, s[26:27]
	s_and_b64 s[26:27], s[20:21], s[46:47]
	v_cndmask_b32_e64 v45, 0, 1, s[2:3]
	;; [unrolled: 2-line block ×7, first 2 shown]
	v_cndmask_b32_e64 v48, 0, 1, s[2:3]
	v_cmp_ne_u32_e64 s[2:3], 0, v2
	v_cmp_ne_u32_e64 s[20:21], 0, v3
	;; [unrolled: 1-line block ×11, first 2 shown]
	s_bcnt1_i32_b64 s2, s[2:3]
	s_bcnt1_i32_b64 s3, s[20:21]
	;; [unrolled: 1-line block ×8, first 2 shown]
	v_cmp_ne_u32_e64 s[34:35], 0, v22
	v_cmp_ne_u32_e64 s[40:41], 0, v25
	;; [unrolled: 1-line block ×3, first 2 shown]
	s_bcnt1_i32_b64 s23, s[28:29]
	s_bcnt1_i32_b64 s27, s[38:39]
	;; [unrolled: 1-line block ×3, first 2 shown]
	s_add_i32 s2, s17, s2
	s_add_i32 s16, s16, s22
	;; [unrolled: 1-line block ×4, first 2 shown]
	v_cmp_ne_u32_e64 s[42:43], 0, v44
	v_cmp_ne_u32_e64 s[50:51], 0, v48
	s_bcnt1_i32_b64 s25, s[34:35]
	s_bcnt1_i32_b64 s28, s[40:41]
	;; [unrolled: 1-line block ×3, first 2 shown]
	s_add_i32 s2, s2, s3
	s_add_i32 s3, s16, s23
	;; [unrolled: 1-line block ×4, first 2 shown]
	s_bcnt1_i32_b64 s29, s[42:43]
	s_bcnt1_i32_b64 s35, s[50:51]
	s_add_i32 s2, s2, s20
	s_add_i32 s3, s3, s24
	;; [unrolled: 1-line block ×8, first 2 shown]
	s_or_b64 s[74:75], vcc, s[74:75]
	v_mov_b32_e32 v2, s17
	v_mov_b32_e32 v3, s16
	;; [unrolled: 1-line block ×4, first 2 shown]
	s_andn2_b64 exec, exec, s[74:75]
	s_cbranch_execnz .LBB17_49
; %bb.50:                               ;   in Loop: Header=BB17_7 Depth=1
	s_or_b64 exec, exec, s[74:75]
	s_or_b64 exec, exec, s[70:71]
	v_mov_b32_e32 v10, 0
	s_and_saveexec_b64 s[2:3], s[12:13]
	s_cbranch_execz .LBB17_47
.LBB17_51:                              ;   in Loop: Header=BB17_7 Depth=1
	global_load_dword v10, v[16:17], off
	s_or_b64 exec, exec, s[2:3]
	s_and_saveexec_b64 s[20:21], s[14:15]
	s_cbranch_execz .LBB17_57
.LBB17_52:                              ;   in Loop: Header=BB17_7 Depth=1
	s_mov_b64 s[22:23], 0
	v_mov_b32_e32 v22, v35
	v_mov_b32_e32 v9, v29
	s_branch .LBB17_54
.LBB17_53:                              ;   in Loop: Header=BB17_54 Depth=2
	s_or_b64 exec, exec, s[2:3]
	s_waitcnt vmcnt(0)
	v_xor_b32_e32 v20, 0x80000000, v10
	v_bitop3_b32 v10, v10, v41, s61 bitop3:0x48
	v_cmp_eq_u32_e32 vcc, v10, v34
	v_bfe_u32 v10, v20, v38, 2
	v_cmp_eq_u32_e64 s[2:3], 0, v10
	s_and_b64 s[2:3], vcc, s[2:3]
	v_add_u32_e32 v22, s87, v22
	v_cndmask_b32_e64 v20, 0, 1, s[2:3]
	v_cmp_ne_u32_e64 s[2:3], 0, v20
	s_bcnt1_i32_b64 s2, s[2:3]
	s_nop 0
	v_add_u32_e32 v2, s2, v2
	v_cmp_eq_u32_e64 s[2:3], 1, v10
	s_and_b64 s[2:3], vcc, s[2:3]
	s_nop 0
	v_cndmask_b32_e64 v20, 0, 1, s[2:3]
	v_cmp_ne_u32_e64 s[2:3], 0, v20
	s_bcnt1_i32_b64 s2, s[2:3]
	s_nop 0
	v_add_u32_e32 v3, s2, v3
	v_cmp_eq_u32_e64 s[2:3], 2, v10
	s_and_b64 s[2:3], vcc, s[2:3]
	s_nop 0
	;; [unrolled: 8-line block ×3, first 2 shown]
	v_cndmask_b32_e64 v10, 0, 1, s[2:3]
	v_cmp_ne_u32_e32 vcc, 0, v10
	s_bcnt1_i32_b64 s2, vcc
	v_cmp_le_i32_e32 vcc, s60, v9
	v_add_u32_e32 v5, s2, v5
	s_or_b64 s[22:23], vcc, s[22:23]
	v_mov_b32_e32 v10, v19
	s_andn2_b64 exec, exec, s[22:23]
	s_cbranch_execz .LBB17_56
.LBB17_54:                              ;   Parent Loop BB17_7 Depth=1
                                        ; =>  This Inner Loop Header: Depth=2
	v_add_u32_e32 v9, s62, v9
	v_cmp_gt_u32_e32 vcc, s60, v9
	v_mov_b32_e32 v19, 0
	s_and_saveexec_b64 s[2:3], vcc
	s_cbranch_execz .LBB17_53
; %bb.55:                               ;   in Loop: Header=BB17_54 Depth=2
	v_ashrrev_i32_e32 v23, 31, v22
	v_lshl_add_u64 v[24:25], v[22:23], 2, s[72:73]
	global_load_dword v19, v[24:25], off
	s_branch .LBB17_53
.LBB17_56:                              ;   in Loop: Header=BB17_7 Depth=1
	s_or_b64 exec, exec, s[22:23]
.LBB17_57:                              ;   in Loop: Header=BB17_7 Depth=1
	s_or_b64 exec, exec, s[20:21]
	s_branch .LBB17_37
.LBB17_58:                              ;   in Loop: Header=BB17_7 Depth=1
	s_mul_hi_u32 s2, s82, s90
	s_mul_i32 s2, s2, s86
	s_sub_i32 s2, s82, s2
	s_sub_i32 s3, s2, s86
	s_cmp_ge_u32 s2, s86
	s_cselect_b32 s2, s3, s2
	s_sub_i32 s3, s2, s86
	s_cmp_ge_u32 s2, s86
	s_cselect_b32 s2, s3, s2
	s_sub_i32 s83, s82, s2
	v_cmp_gt_u32_e32 vcc, s83, v15
	s_waitcnt vmcnt(0)
	v_mov_b32_e32 v2, 0
	v_mov_b32_e32 v3, 0
	;; [unrolled: 1-line block ×4, first 2 shown]
	s_and_saveexec_b64 s[70:71], vcc
	s_cbranch_execz .LBB17_62
; %bb.59:                               ;   in Loop: Header=BB17_7 Depth=1
	s_mov_b32 s16, 0
	s_mov_b64 s[74:75], 0
	v_mov_b32_e32 v9, v36
	s_mov_b32 s17, 0
	s_mov_b32 s84, 0
	;; [unrolled: 1-line block ×3, first 2 shown]
	v_mov_b32_e32 v10, v15
.LBB17_60:                              ;   Parent Loop BB17_7 Depth=1
                                        ; =>  This Inner Loop Header: Depth=2
	ds_read_b128 v[2:5], v9
	v_add_u32_e32 v10, s86, v10
	v_cmp_le_i32_e32 vcc, s83, v10
	v_add_u32_e32 v9, s9, v9
	s_waitcnt lgkmcnt(0)
	v_xor_b32_e32 v19, 0x80000000, v2
	v_bitop3_b32 v2, v2, v41, s61 bitop3:0x48
	v_xor_b32_e32 v20, 0x80000000, v3
	v_bitop3_b32 v3, v3, v41, s61 bitop3:0x48
	v_cmp_eq_u32_e64 s[2:3], v2, v34
	v_bfe_u32 v2, v19, v38, 2
	v_xor_b32_e32 v22, 0x80000000, v4
	v_bitop3_b32 v4, v4, v41, s61 bitop3:0x48
	v_cmp_eq_u32_e64 s[20:21], v3, v34
	v_bfe_u32 v3, v20, v38, 2
	v_cmp_eq_u32_e64 s[26:27], 0, v2
	v_xor_b32_e32 v23, 0x80000000, v5
	v_bitop3_b32 v5, v5, v41, s61 bitop3:0x48
	v_cmp_eq_u32_e64 s[22:23], v4, v34
	v_bfe_u32 v4, v22, v38, 2
	v_cmp_eq_u32_e64 s[28:29], 0, v3
	s_and_b64 s[26:27], s[2:3], s[26:27]
	v_cmp_eq_u32_e64 s[24:25], v5, v34
	v_bfe_u32 v5, v23, v38, 2
	v_cmp_eq_u32_e64 s[30:31], 0, v4
	v_cmp_eq_u32_e64 s[36:37], 1, v2
	;; [unrolled: 1-line block ×4, first 2 shown]
	v_cndmask_b32_e64 v2, 0, 1, s[26:27]
	s_and_b64 s[26:27], s[20:21], s[28:29]
	v_cmp_eq_u32_e64 s[34:35], 0, v5
	v_cmp_eq_u32_e64 s[38:39], 1, v3
	;; [unrolled: 1-line block ×4, first 2 shown]
	v_cndmask_b32_e64 v3, 0, 1, s[26:27]
	s_and_b64 s[26:27], s[22:23], s[30:31]
	v_cmp_eq_u32_e64 s[40:41], 1, v4
	v_cmp_eq_u32_e64 s[48:49], 2, v4
	;; [unrolled: 1-line block ×3, first 2 shown]
	v_cndmask_b32_e64 v4, 0, 1, s[26:27]
	s_and_b64 s[26:27], s[24:25], s[34:35]
	v_cmp_eq_u32_e64 s[42:43], 1, v5
	v_cmp_eq_u32_e64 s[50:51], 2, v5
	v_cmp_eq_u32_e64 s[58:59], 3, v5
	v_cndmask_b32_e64 v5, 0, 1, s[26:27]
	s_and_b64 s[26:27], s[2:3], s[36:37]
	v_cndmask_b32_e64 v19, 0, 1, s[26:27]
	s_and_b64 s[26:27], s[20:21], s[38:39]
	;; [unrolled: 2-line block ×5, first 2 shown]
	s_and_b64 s[2:3], s[2:3], s[52:53]
	v_cndmask_b32_e64 v24, 0, 1, s[26:27]
	s_and_b64 s[26:27], s[20:21], s[46:47]
	v_cndmask_b32_e64 v46, 0, 1, s[2:3]
	;; [unrolled: 2-line block ×7, first 2 shown]
	v_cndmask_b32_e64 v49, 0, 1, s[2:3]
	v_cmp_ne_u32_e64 s[2:3], 0, v2
	v_cmp_ne_u32_e64 s[20:21], 0, v3
	;; [unrolled: 1-line block ×11, first 2 shown]
	s_bcnt1_i32_b64 s2, s[2:3]
	s_bcnt1_i32_b64 s3, s[20:21]
	;; [unrolled: 1-line block ×8, first 2 shown]
	v_cmp_ne_u32_e64 s[34:35], 0, v23
	v_cmp_ne_u32_e64 s[40:41], 0, v44
	;; [unrolled: 1-line block ×3, first 2 shown]
	s_bcnt1_i32_b64 s23, s[28:29]
	s_bcnt1_i32_b64 s27, s[38:39]
	;; [unrolled: 1-line block ×3, first 2 shown]
	s_add_i32 s2, s85, s2
	s_add_i32 s22, s84, s22
	;; [unrolled: 1-line block ×4, first 2 shown]
	v_cmp_ne_u32_e64 s[42:43], 0, v45
	v_cmp_ne_u32_e64 s[50:51], 0, v49
	s_bcnt1_i32_b64 s25, s[34:35]
	s_bcnt1_i32_b64 s28, s[40:41]
	s_bcnt1_i32_b64 s34, s[48:49]
	s_add_i32 s2, s2, s3
	s_add_i32 s3, s22, s23
	;; [unrolled: 1-line block ×4, first 2 shown]
	s_bcnt1_i32_b64 s29, s[42:43]
	s_bcnt1_i32_b64 s35, s[50:51]
	s_add_i32 s2, s2, s20
	s_add_i32 s3, s3, s24
	;; [unrolled: 1-line block ×8, first 2 shown]
	s_or_b64 s[74:75], vcc, s[74:75]
	v_mov_b32_e32 v2, s85
	v_mov_b32_e32 v3, s84
	v_mov_b32_e32 v4, s17
	v_mov_b32_e32 v5, s16
	s_andn2_b64 exec, exec, s[74:75]
	s_cbranch_execnz .LBB17_60
; %bb.61:                               ;   in Loop: Header=BB17_7 Depth=1
	s_or_b64 exec, exec, s[74:75]
.LBB17_62:                              ;   in Loop: Header=BB17_7 Depth=1
	s_or_b64 exec, exec, s[70:71]
	v_add_u32_e32 v9, s83, v0
	v_cmp_gt_i32_e32 vcc, s82, v9
	s_and_saveexec_b64 s[28:29], vcc
	s_cbranch_execz .LBB17_66
; %bb.63:                               ;   in Loop: Header=BB17_7 Depth=1
	v_lshlrev_b32_e32 v10, 2, v9
	s_mov_b64 s[30:31], 0
.LBB17_64:                              ;   Parent Loop BB17_7 Depth=1
                                        ; =>  This Inner Loop Header: Depth=2
	ds_read_b32 v19, v10
	v_add_u32_e32 v9, s62, v9
	v_cmp_le_i32_e32 vcc, s82, v9
	v_add_u32_e32 v10, s86, v10
	s_waitcnt lgkmcnt(0)
	v_xor_b32_e32 v20, 0x80000000, v19
	v_bitop3_b32 v19, v19, v41, s61 bitop3:0x48
	v_cmp_eq_u32_e64 s[2:3], v19, v34
	v_bfe_u32 v19, v20, v38, 2
	v_cmp_eq_u32_e64 s[20:21], 0, v19
	v_cmp_eq_u32_e64 s[22:23], 1, v19
	s_and_b64 s[16:17], s[2:3], s[20:21]
	v_cmp_eq_u32_e64 s[24:25], 2, v19
	v_cmp_eq_u32_e64 s[26:27], 3, v19
	v_cndmask_b32_e64 v19, 0, 1, s[16:17]
	s_and_b64 s[16:17], s[2:3], s[22:23]
	v_cndmask_b32_e64 v20, 0, 1, s[16:17]
	s_and_b64 s[16:17], s[2:3], s[24:25]
	s_and_b64 s[2:3], s[2:3], s[26:27]
	v_cndmask_b32_e64 v22, 0, 1, s[16:17]
	v_cndmask_b32_e64 v23, 0, 1, s[2:3]
	v_cmp_ne_u32_e64 s[2:3], 0, v19
	v_cmp_ne_u32_e64 s[20:21], 0, v20
	v_cmp_ne_u32_e64 s[22:23], 0, v22
	v_cmp_ne_u32_e64 s[24:25], 0, v23
	s_bcnt1_i32_b64 s2, s[2:3]
	s_bcnt1_i32_b64 s3, s[20:21]
	;; [unrolled: 1-line block ×4, first 2 shown]
	v_add_u32_e32 v2, s2, v2
	v_add_u32_e32 v3, s3, v3
	;; [unrolled: 1-line block ×3, first 2 shown]
	s_or_b64 s[30:31], vcc, s[30:31]
	v_add_u32_e32 v5, s17, v5
	s_andn2_b64 exec, exec, s[30:31]
	s_cbranch_execnz .LBB17_64
; %bb.65:                               ;   in Loop: Header=BB17_7 Depth=1
	s_or_b64 exec, exec, s[30:31]
.LBB17_66:                              ;   in Loop: Header=BB17_7 Depth=1
	s_or_b64 exec, exec, s[28:29]
	v_lshlrev_b32_e32 v10, 6, v40
	s_and_saveexec_b64 s[2:3], s[18:19]
	s_cbranch_execnz .LBB17_38
	s_branch .LBB17_39
.LBB17_67:                              ;   in Loop: Header=BB17_7 Depth=1
	s_or_b64 exec, exec, s[22:23]
	s_waitcnt lgkmcnt(0)
	s_barrier
	s_and_saveexec_b64 s[2:3], s[0:1]
	s_cbranch_execz .LBB17_69
; %bb.68:                               ;   in Loop: Header=BB17_7 Depth=1
	ds_read_b32 v2, v11 offset:4104
	s_waitcnt lgkmcnt(0)
	ds_write_b32 v11, v2 offset:4096
.LBB17_69:                              ;   in Loop: Header=BB17_7 Depth=1
	s_or_b64 exec, exec, s[2:3]
	s_waitcnt lgkmcnt(0)
	s_barrier
	s_mov_b64 s[2:3], -1
	s_and_b64 vcc, exec, s[20:21]
	s_cbranch_vccnz .LBB17_23
	s_branch .LBB17_33
.LBB17_70:                              ;   in Loop: Header=BB17_7 Depth=1
	v_mov_b32_e32 v2, 0
	s_mov_b32 s16, 0
	s_cbranch_execnz .LBB17_75
	s_branch .LBB17_77
.LBB17_71:                              ;   in Loop: Header=BB17_7 Depth=1
	v_mov_b32_e32 v9, v8
	v_readlane_b32 s20, v56, 8
	v_mov_b64_e32 v[2:3], v[8:9]
	v_readlane_b32 s21, v56, 9
.LBB17_72:                              ;   in Loop: Header=BB17_7 Depth=1
	v_readlane_b32 s16, v56, 31
	v_readlane_b32 s17, v56, 32
	s_andn2_b64 vcc, exec, s[16:17]
	v_readlane_b32 s16, v56, 30
	s_cbranch_vccnz .LBB17_74
.LBB17_73:                              ;   Parent Loop BB17_7 Depth=1
                                        ; =>  This Inner Loop Header: Depth=2
	v_lshl_add_u32 v9, s20, 4, v5
	v_lshl_add_u32 v19, s21, 4, v5
	ds_read_b32 v19, v19
	ds_read_b32 v9, v9
	s_add_i32 s21, s21, 2
	s_add_i32 s20, s20, 2
	s_add_i32 s16, s16, -1
	s_cmp_lg_u32 s16, 0
	s_waitcnt lgkmcnt(1)
	v_add_u32_e32 v3, v19, v3
	s_waitcnt lgkmcnt(0)
	v_add_u32_e32 v2, v9, v2
	s_cbranch_scc1 .LBB17_73
.LBB17_74:                              ;   in Loop: Header=BB17_7 Depth=1
	v_readlane_b32 s20, v56, 35
	v_add_u32_e32 v2, v2, v3
	v_readlane_b32 s16, v56, 34
	v_readlane_b32 s21, v56, 36
	s_and_b64 vcc, exec, s[20:21]
	s_cbranch_vccz .LBB17_77
.LBB17_75:                              ;   in Loop: Header=BB17_7 Depth=1
	v_lshlrev_b32_e32 v3, 8, v40
	s_lshl_b32 s17, s16, 4
	v_add_u32_e32 v3, s17, v3
	v_readlane_b32 s17, v56, 33
	v_add_u32_e32 v3, v37, v3
	s_sub_i32 s16, s17, s16
.LBB17_76:                              ;   Parent Loop BB17_7 Depth=1
                                        ; =>  This Inner Loop Header: Depth=2
	ds_read_b32 v5, v3
	s_add_i32 s16, s16, -1
	v_add_u32_e32 v3, 16, v3
	s_cmp_eq_u32 s16, 0
	s_waitcnt lgkmcnt(0)
	v_add_u32_e32 v2, v5, v2
	s_cbranch_scc0 .LBB17_76
.LBB17_77:                              ;   in Loop: Header=BB17_7 Depth=1
	v_lshlrev_b32_e32 v3, 2, v4
	ds_write_b32 v3, v2 offset:3072
.LBB17_78:                              ;   in Loop: Header=BB17_7 Depth=1
	s_or_b64 exec, exec, s[2:3]
	v_lshlrev_b32_e32 v2, 2, v10
	s_waitcnt lgkmcnt(0)
	s_barrier
	ds_read_b128 v[2:5], v2 offset:3072
	v_cmp_eq_u32_e32 vcc, 1, v42
	s_mov_b64 s[20:21], -1
	s_mov_b64 s[28:29], -1
                                        ; implicit-def: $sgpr26_sgpr27
                                        ; implicit-def: $sgpr24_sgpr25
	s_waitcnt lgkmcnt(0)
	v_readfirstlane_b32 s42, v2
	s_cmp_eq_u32 s42, 1
	v_readfirstlane_b32 s54, v4
	v_lshlrev_b32_e64 v4, v38, 3
	s_cselect_b64 s[2:3], -1, 0
	v_readfirstlane_b32 s46, v3
	v_readfirstlane_b32 s74, v5
	v_not_b32_e32 v9, v4
	s_and_b64 s[22:23], s[2:3], vcc
	s_and_saveexec_b64 s[2:3], s[22:23]
	s_cbranch_execz .LBB17_104
; %bb.79:                               ;   in Loop: Header=BB17_7 Depth=1
	ds_read_b32 v2, v11 offset:4096
	s_waitcnt lgkmcnt(0)
	s_barrier
	v_readfirstlane_b32 s16, v2
	s_and_saveexec_b64 s[24:25], s[4:5]
; %bb.80:                               ;   in Loop: Header=BB17_7 Depth=1
	ds_write_b32 v27, v11
; %bb.81:                               ;   in Loop: Header=BB17_7 Depth=1
	s_or_b64 exec, exec, s[24:25]
	v_and_b32_e32 v34, v34, v9
	v_or_b32_e32 v41, v41, v4
	s_mov_b64 s[24:25], -1
	s_mov_b64 s[26:27], 0
	s_cmp_lt_i32 s16, 1
	s_mov_b64 s[28:29], 0
	s_mov_b64 s[30:31], -1
	s_waitcnt lgkmcnt(0)
	s_barrier
                                        ; implicit-def: $vgpr21
	s_cbranch_scc0 .LBB17_92
; %bb.82:                               ;   in Loop: Header=BB17_7 Depth=1
	s_mov_b64 s[30:31], 0
                                        ; implicit-def: $vgpr21
	s_mov_b64 s[34:35], exec
	v_readlane_b32 s36, v56, 37
	v_readlane_b32 s37, v56, 38
	s_and_b64 s[36:37], s[34:35], s[36:37]
	s_mov_b64 exec, s[36:37]
	s_cbranch_execz .LBB17_91
; %bb.83:                               ;   in Loop: Header=BB17_7 Depth=1
	v_mov_b32_e32 v2, v6
	v_mov_b32_e32 v5, v0
                                        ; implicit-def: $sgpr36_sgpr37
	s_branch .LBB17_86
.LBB17_84:                              ;   in Loop: Header=BB17_86 Depth=2
	s_or_b64 exec, exec, s[38:39]
	s_waitcnt lgkmcnt(0)
	s_barrier
	ds_read_b64 v[20:21], v11 offset:3072
	s_mov_b64 s[38:39], -1
	s_mov_b64 s[40:41], -1
	s_waitcnt lgkmcnt(0)
	s_barrier
	v_cmp_ne_u32_e32 vcc, 0, v20
	s_cbranch_vccz .LBB17_89
.LBB17_85:                              ;   in Loop: Header=BB17_86 Depth=2
	s_and_b64 s[38:39], exec, s[38:39]
	s_or_b64 s[28:29], s[38:39], s[28:29]
	s_andn2_b64 s[36:37], s[36:37], exec
	s_and_b64 s[38:39], s[40:41], exec
	s_or_b64 s[36:37], s[36:37], s[38:39]
	s_andn2_b64 exec, exec, s[28:29]
	s_cbranch_execz .LBB17_90
.LBB17_86:                              ;   Parent Loop BB17_7 Depth=1
                                        ; =>  This Inner Loop Header: Depth=2
	v_cmp_gt_i32_e32 vcc, s60, v5
	s_and_saveexec_b64 s[38:39], vcc
	s_cbranch_execz .LBB17_84
; %bb.87:                               ;   in Loop: Header=BB17_86 Depth=2
	v_ashrrev_i32_e32 v3, 31, v2
	v_lshl_add_u64 v[20:21], v[2:3], 2, s[72:73]
	global_load_dword v19, v[20:21], off
	s_waitcnt vmcnt(0)
	v_bitop3_b32 v3, v19, v41, s61 bitop3:0x48
	v_cmp_eq_u32_e32 vcc, v3, v34
	s_and_b64 exec, exec, vcc
	s_cbranch_execz .LBB17_84
; %bb.88:                               ;   in Loop: Header=BB17_86 Depth=2
	ds_write_b64 v11, v[18:19] offset:3072
	s_branch .LBB17_84
.LBB17_89:                              ;   in Loop: Header=BB17_86 Depth=2
	v_add_u32_e32 v5, s62, v5
	v_cmp_le_i32_e32 vcc, s89, v5
	v_add_u32_e32 v2, s87, v2
	s_mov_b64 s[40:41], 0
	s_orn2_b64 s[38:39], vcc, exec
	s_branch .LBB17_85
.LBB17_90:                              ;   in Loop: Header=BB17_7 Depth=1
	s_or_b64 exec, exec, s[28:29]
	s_and_b64 s[28:29], s[36:37], exec
.LBB17_91:                              ;   in Loop: Header=BB17_7 Depth=1
	s_or_b64 exec, exec, s[34:35]
.LBB17_92:                              ;   in Loop: Header=BB17_7 Depth=1
	s_and_b64 vcc, exec, s[30:31]
	s_cbranch_vccz .LBB17_103
; %bb.93:                               ;   in Loop: Header=BB17_7 Depth=1
	s_add_i32 s17, s16, s88
	s_abs_i32 s25, s17
	s_mul_hi_u32 s26, s25, s33
	s_mul_i32 s26, s26, s62
	s_sub_i32 s25, s25, s26
	s_ashr_i32 s24, s17, 31
	s_sub_i32 s26, s25, s62
	s_cmp_ge_u32 s25, s62
	s_cselect_b32 s25, s26, s25
	s_sub_i32 s26, s25, s62
	s_cmp_ge_u32 s25, s62
	s_cselect_b32 s25, s26, s25
	s_xor_b32 s25, s25, s24
	s_sub_i32 s24, s24, s25
	s_add_i32 s17, s17, s24
	v_cmp_gt_i32_e32 vcc, s17, v0
                                        ; implicit-def: $vgpr21
	s_and_saveexec_b64 s[24:25], vcc
	s_cbranch_execz .LBB17_102
; %bb.94:                               ;   in Loop: Header=BB17_7 Depth=1
	s_mov_b64 s[26:27], 0
	v_mov_b32_e32 v2, v15
	v_mov_b32_e32 v3, v0
                                        ; implicit-def: $sgpr30_sgpr31
	s_branch .LBB17_97
.LBB17_95:                              ;   in Loop: Header=BB17_97 Depth=2
	s_or_b64 exec, exec, s[34:35]
	s_waitcnt lgkmcnt(0)
	s_barrier
	ds_read_b64 v[20:21], v11 offset:3072
	s_mov_b64 s[34:35], -1
	s_mov_b64 s[36:37], -1
	s_waitcnt lgkmcnt(0)
	s_barrier
	v_cmp_ne_u32_e32 vcc, 0, v20
	s_cbranch_vccz .LBB17_100
.LBB17_96:                              ;   in Loop: Header=BB17_97 Depth=2
	s_and_b64 s[34:35], exec, s[34:35]
	s_or_b64 s[26:27], s[34:35], s[26:27]
	s_andn2_b64 s[30:31], s[30:31], exec
	s_and_b64 s[34:35], s[36:37], exec
	s_or_b64 s[30:31], s[30:31], s[34:35]
	s_andn2_b64 exec, exec, s[26:27]
	s_cbranch_execz .LBB17_101
.LBB17_97:                              ;   Parent Loop BB17_7 Depth=1
                                        ; =>  This Inner Loop Header: Depth=2
	v_cmp_gt_i32_e32 vcc, s16, v3
	s_and_saveexec_b64 s[34:35], vcc
	s_cbranch_execz .LBB17_95
; %bb.98:                               ;   in Loop: Header=BB17_97 Depth=2
	ds_read_b32 v19, v2
	s_waitcnt lgkmcnt(0)
	v_bitop3_b32 v5, v19, v41, s61 bitop3:0x48
	v_cmp_eq_u32_e32 vcc, v5, v34
	s_and_b64 exec, exec, vcc
	s_cbranch_execz .LBB17_95
; %bb.99:                               ;   in Loop: Header=BB17_97 Depth=2
	ds_write_b64 v11, v[18:19] offset:3072
	s_branch .LBB17_95
.LBB17_100:                             ;   in Loop: Header=BB17_97 Depth=2
	v_add_u32_e32 v3, s62, v3
	v_cmp_le_i32_e32 vcc, s17, v3
	v_add_u32_e32 v2, s86, v2
	s_mov_b64 s[36:37], 0
	s_orn2_b64 s[34:35], vcc, exec
	s_branch .LBB17_96
.LBB17_101:                             ;   in Loop: Header=BB17_7 Depth=1
	s_or_b64 exec, exec, s[26:27]
	s_andn2_b64 s[16:17], s[28:29], exec
	s_and_b64 s[26:27], s[30:31], exec
	s_or_b64 s[28:29], s[16:17], s[26:27]
.LBB17_102:                             ;   in Loop: Header=BB17_7 Depth=1
	s_or_b64 exec, exec, s[24:25]
	s_mov_b64 s[24:25], 0
	s_mov_b64 s[26:27], -1
.LBB17_103:                             ;   in Loop: Header=BB17_7 Depth=1
	s_orn2_b64 s[28:29], s[28:29], exec
.LBB17_104:                             ;   in Loop: Header=BB17_7 Depth=1
	s_or_b64 exec, exec, s[2:3]
	s_andn2_b64 s[2:3], s[66:67], exec
	s_and_b64 s[16:17], s[26:27], exec
	s_or_b64 s[66:67], s[2:3], s[16:17]
	s_andn2_b64 s[2:3], s[64:65], exec
	s_and_b64 s[16:17], s[24:25], exec
	s_andn2_b64 s[68:69], s[68:69], exec
	s_or_b64 s[64:65], s[2:3], s[16:17]
                                        ; implicit-def: $vgpr10
	s_and_saveexec_b64 s[2:3], s[28:29]
	s_cbranch_execz .LBB17_6
; %bb.105:                              ;   in Loop: Header=BB17_7 Depth=1
	s_xor_b64 s[16:17], s[22:23], -1
	s_mov_b64 s[22:23], 0
	v_mov_b32_e32 v10, 1
	v_mov_b32_e32 v5, 1
	s_and_saveexec_b64 s[20:21], s[16:17]
	s_cbranch_execz .LBB17_114
; %bb.106:                              ;   in Loop: Header=BB17_7 Depth=1
	v_cmp_ge_i32_e32 vcc, s42, v42
	s_and_saveexec_b64 s[16:17], vcc
	s_xor_b64 s[22:23], exec, s[16:17]
	s_cbranch_execz .LBB17_111
; %bb.107:                              ;   in Loop: Header=BB17_7 Depth=1
	ds_read_b32 v2, v11 offset:4096
	v_and_b32_e32 v34, v34, v9
	v_or_b32_e32 v41, v41, v4
	s_waitcnt lgkmcnt(0)
	v_cmp_ne_u32_e32 vcc, 0, v2
	s_cbranch_vccnz .LBB17_111
; %bb.108:                              ;   in Loop: Header=BB17_7 Depth=1
	s_and_saveexec_b64 s[24:25], s[0:1]
; %bb.109:                              ;   in Loop: Header=BB17_7 Depth=1
	v_mov_b32_e32 v2, s42
	ds_write_b32 v11, v2 offset:4100
; %bb.110:                              ;   in Loop: Header=BB17_7 Depth=1
	s_or_b64 exec, exec, s[24:25]
	s_waitcnt lgkmcnt(0)
	s_barrier
.LBB17_111:                             ;   in Loop: Header=BB17_7 Depth=1
	s_or_saveexec_b64 s[22:23], s[22:23]
	s_mov_b64 s[24:25], 0
	v_mov_b32_e32 v5, 8
	s_xor_b64 exec, exec, s[22:23]
; %bb.112:                              ;   in Loop: Header=BB17_7 Depth=1
	s_mov_b64 s[24:25], exec
	v_subrev_u32_e32 v42, s42, v42
	v_mov_b32_e32 v5, 0
; %bb.113:                              ;   in Loop: Header=BB17_7 Depth=1
	s_or_b64 exec, exec, s[22:23]
	s_and_b64 s[22:23], s[24:25], exec
	v_mov_b32_e32 v10, v42
.LBB17_114:                             ;   in Loop: Header=BB17_7 Depth=1
	s_or_b64 exec, exec, s[20:21]
	s_mov_b64 s[20:21], -1
	s_mov_b64 s[28:29], -1
                                        ; implicit-def: $sgpr24_sgpr25
                                        ; implicit-def: $sgpr26_sgpr27
	s_and_saveexec_b64 s[16:17], s[22:23]
	s_xor_b64 s[22:23], exec, s[16:17]
	s_cbranch_execz .LBB17_231
; %bb.115:                              ;   in Loop: Header=BB17_7 Depth=1
	s_cmp_eq_u32 s46, 1
	s_cselect_b64 s[16:17], -1, 0
	v_cmp_eq_u32_e32 vcc, 1, v10
	s_and_b64 s[30:31], s[16:17], vcc
	s_mov_b64 s[34:35], -1
                                        ; implicit-def: $sgpr26_sgpr27
                                        ; implicit-def: $sgpr24_sgpr25
	s_and_saveexec_b64 s[28:29], s[30:31]
	s_cbranch_execz .LBB17_141
; %bb.116:                              ;   in Loop: Header=BB17_7 Depth=1
	ds_read_b32 v2, v11 offset:4096
	s_waitcnt lgkmcnt(0)
	s_barrier
	v_readfirstlane_b32 s16, v2
	s_and_saveexec_b64 s[24:25], s[4:5]
; %bb.117:                              ;   in Loop: Header=BB17_7 Depth=1
	ds_write_b32 v27, v11
; %bb.118:                              ;   in Loop: Header=BB17_7 Depth=1
	s_or_b64 exec, exec, s[24:25]
	v_and_b32_e32 v2, v34, v9
	v_lshl_or_b32 v34, 1, v38, v2
	v_or_b32_e32 v41, v41, v4
	s_mov_b64 s[24:25], -1
	s_mov_b64 s[26:27], 0
	s_cmp_gt_i32 s16, 0
	s_mov_b64 s[34:35], 0
	s_mov_b64 s[36:37], -1
	s_waitcnt lgkmcnt(0)
	s_barrier
                                        ; implicit-def: $vgpr21
	s_cbranch_scc1 .LBB17_129
; %bb.119:                              ;   in Loop: Header=BB17_7 Depth=1
	s_mov_b64 s[36:37], 0
                                        ; implicit-def: $vgpr21
	s_mov_b64 s[38:39], exec
	v_readlane_b32 s40, v56, 37
	v_readlane_b32 s41, v56, 38
	s_and_b64 s[40:41], s[38:39], s[40:41]
	s_mov_b64 exec, s[40:41]
	s_cbranch_execz .LBB17_128
; %bb.120:                              ;   in Loop: Header=BB17_7 Depth=1
	v_mov_b32_e32 v2, v6
	v_mov_b32_e32 v22, v0
                                        ; implicit-def: $sgpr40_sgpr41
	s_branch .LBB17_123
.LBB17_121:                             ;   in Loop: Header=BB17_123 Depth=2
	s_or_b64 exec, exec, s[42:43]
	s_waitcnt lgkmcnt(0)
	s_barrier
	ds_read_b64 v[20:21], v11 offset:3072
	s_mov_b64 s[42:43], -1
	s_mov_b64 s[44:45], -1
	s_waitcnt lgkmcnt(0)
	s_barrier
	v_cmp_ne_u32_e32 vcc, 0, v20
	s_cbranch_vccz .LBB17_126
.LBB17_122:                             ;   in Loop: Header=BB17_123 Depth=2
	s_and_b64 s[42:43], exec, s[42:43]
	s_or_b64 s[34:35], s[42:43], s[34:35]
	s_andn2_b64 s[40:41], s[40:41], exec
	s_and_b64 s[42:43], s[44:45], exec
	s_or_b64 s[40:41], s[40:41], s[42:43]
	s_andn2_b64 exec, exec, s[34:35]
	s_cbranch_execz .LBB17_127
.LBB17_123:                             ;   Parent Loop BB17_7 Depth=1
                                        ; =>  This Inner Loop Header: Depth=2
	v_cmp_gt_i32_e32 vcc, s60, v22
	s_and_saveexec_b64 s[42:43], vcc
	s_cbranch_execz .LBB17_121
; %bb.124:                              ;   in Loop: Header=BB17_123 Depth=2
	v_ashrrev_i32_e32 v3, 31, v2
	v_lshl_add_u64 v[20:21], v[2:3], 2, s[72:73]
	global_load_dword v19, v[20:21], off
	s_waitcnt vmcnt(0)
	v_bitop3_b32 v3, v19, v41, s61 bitop3:0x48
	v_cmp_eq_u32_e32 vcc, v3, v34
	s_and_b64 exec, exec, vcc
	s_cbranch_execz .LBB17_121
; %bb.125:                              ;   in Loop: Header=BB17_123 Depth=2
	ds_write_b64 v11, v[18:19] offset:3072
	s_branch .LBB17_121
.LBB17_126:                             ;   in Loop: Header=BB17_123 Depth=2
	v_add_u32_e32 v22, s62, v22
	v_cmp_le_i32_e32 vcc, s89, v22
	v_add_u32_e32 v2, s87, v2
	s_mov_b64 s[44:45], 0
	s_orn2_b64 s[42:43], vcc, exec
	s_branch .LBB17_122
.LBB17_127:                             ;   in Loop: Header=BB17_7 Depth=1
	s_or_b64 exec, exec, s[34:35]
	s_and_b64 s[34:35], s[40:41], exec
.LBB17_128:                             ;   in Loop: Header=BB17_7 Depth=1
	s_or_b64 exec, exec, s[38:39]
.LBB17_129:                             ;   in Loop: Header=BB17_7 Depth=1
	s_and_b64 vcc, exec, s[36:37]
	s_cbranch_vccz .LBB17_140
; %bb.130:                              ;   in Loop: Header=BB17_7 Depth=1
	s_add_i32 s17, s16, s88
	s_abs_i32 s25, s17
	s_mul_hi_u32 s26, s25, s33
	s_mul_i32 s26, s26, s62
	s_sub_i32 s25, s25, s26
	s_ashr_i32 s24, s17, 31
	s_sub_i32 s26, s25, s62
	s_cmp_ge_u32 s25, s62
	s_cselect_b32 s25, s26, s25
	s_sub_i32 s26, s25, s62
	s_cmp_ge_u32 s25, s62
	s_cselect_b32 s25, s26, s25
	s_xor_b32 s25, s25, s24
	s_sub_i32 s24, s24, s25
	s_add_i32 s17, s17, s24
	v_cmp_gt_i32_e32 vcc, s17, v0
                                        ; implicit-def: $vgpr21
	s_and_saveexec_b64 s[24:25], vcc
	s_cbranch_execz .LBB17_139
; %bb.131:                              ;   in Loop: Header=BB17_7 Depth=1
	s_mov_b64 s[26:27], 0
	v_mov_b32_e32 v2, v15
	v_mov_b32_e32 v3, v0
                                        ; implicit-def: $sgpr36_sgpr37
	s_branch .LBB17_134
.LBB17_132:                             ;   in Loop: Header=BB17_134 Depth=2
	s_or_b64 exec, exec, s[38:39]
	s_waitcnt lgkmcnt(0)
	s_barrier
	ds_read_b64 v[20:21], v11 offset:3072
	s_mov_b64 s[38:39], -1
	s_mov_b64 s[40:41], -1
	s_waitcnt lgkmcnt(0)
	s_barrier
	v_cmp_eq_u32_e32 vcc, 0, v20
	s_cbranch_vccnz .LBB17_137
.LBB17_133:                             ;   in Loop: Header=BB17_134 Depth=2
	s_and_b64 s[38:39], exec, s[38:39]
	s_or_b64 s[26:27], s[38:39], s[26:27]
	s_andn2_b64 s[36:37], s[36:37], exec
	s_and_b64 s[38:39], s[40:41], exec
	s_or_b64 s[36:37], s[36:37], s[38:39]
	s_andn2_b64 exec, exec, s[26:27]
	s_cbranch_execz .LBB17_138
.LBB17_134:                             ;   Parent Loop BB17_7 Depth=1
                                        ; =>  This Inner Loop Header: Depth=2
	v_cmp_gt_i32_e32 vcc, s16, v3
	s_and_saveexec_b64 s[38:39], vcc
	s_cbranch_execz .LBB17_132
; %bb.135:                              ;   in Loop: Header=BB17_134 Depth=2
	ds_read_b32 v19, v2
	s_waitcnt lgkmcnt(0)
	v_bitop3_b32 v20, v19, v41, s61 bitop3:0x48
	v_cmp_eq_u32_e32 vcc, v20, v34
	s_and_b64 exec, exec, vcc
	s_cbranch_execz .LBB17_132
; %bb.136:                              ;   in Loop: Header=BB17_134 Depth=2
	ds_write_b64 v11, v[18:19] offset:3072
	s_branch .LBB17_132
.LBB17_137:                             ;   in Loop: Header=BB17_134 Depth=2
	v_add_u32_e32 v3, s62, v3
	v_cmp_le_i32_e32 vcc, s17, v3
	v_add_u32_e32 v2, s86, v2
	s_mov_b64 s[40:41], 0
	s_orn2_b64 s[38:39], vcc, exec
	s_branch .LBB17_133
.LBB17_138:                             ;   in Loop: Header=BB17_7 Depth=1
	s_or_b64 exec, exec, s[26:27]
	s_andn2_b64 s[16:17], s[34:35], exec
	s_and_b64 s[26:27], s[36:37], exec
	s_or_b64 s[34:35], s[16:17], s[26:27]
.LBB17_139:                             ;   in Loop: Header=BB17_7 Depth=1
	s_or_b64 exec, exec, s[24:25]
	s_mov_b64 s[24:25], 0
	s_mov_b64 s[26:27], -1
.LBB17_140:                             ;   in Loop: Header=BB17_7 Depth=1
	s_orn2_b64 s[34:35], s[34:35], exec
.LBB17_141:                             ;   in Loop: Header=BB17_7 Depth=1
	s_or_b64 exec, exec, s[28:29]
	s_mov_b64 s[36:37], 0
	s_and_saveexec_b64 s[28:29], s[34:35]
	s_cbranch_execz .LBB17_230
; %bb.142:                              ;   in Loop: Header=BB17_7 Depth=1
	s_xor_b64 s[16:17], s[30:31], -1
	s_mov_b64 s[40:41], 0
	v_mov_b32_e32 v22, 1
	v_mov_b32_e32 v5, 1
	s_and_saveexec_b64 s[30:31], s[16:17]
	s_cbranch_execz .LBB17_151
; %bb.143:                              ;   in Loop: Header=BB17_7 Depth=1
	v_cmp_ge_i32_e32 vcc, s46, v10
	s_and_saveexec_b64 s[16:17], vcc
	s_xor_b64 s[34:35], exec, s[16:17]
	s_cbranch_execz .LBB17_148
; %bb.144:                              ;   in Loop: Header=BB17_7 Depth=1
	ds_read_b32 v2, v11 offset:4096
	v_and_b32_e32 v3, v34, v9
	v_lshl_or_b32 v34, 1, v38, v3
	v_or_b32_e32 v41, v41, v4
	s_waitcnt lgkmcnt(0)
	v_cmp_ne_u32_e32 vcc, 0, v2
	s_cbranch_vccnz .LBB17_148
; %bb.145:                              ;   in Loop: Header=BB17_7 Depth=1
	s_and_saveexec_b64 s[36:37], s[0:1]
; %bb.146:                              ;   in Loop: Header=BB17_7 Depth=1
	v_mov_b32_e32 v2, s46
	ds_write_b32 v11, v2 offset:4100
; %bb.147:                              ;   in Loop: Header=BB17_7 Depth=1
	s_or_b64 exec, exec, s[36:37]
	s_waitcnt lgkmcnt(0)
	s_barrier
.LBB17_148:                             ;   in Loop: Header=BB17_7 Depth=1
	s_or_saveexec_b64 s[34:35], s[34:35]
	s_mov_b64 s[36:37], 0
	v_mov_b32_e32 v5, 8
	s_xor_b64 exec, exec, s[34:35]
; %bb.149:                              ;   in Loop: Header=BB17_7 Depth=1
	s_mov_b64 s[36:37], exec
	v_subrev_u32_e32 v10, s46, v10
	v_mov_b32_e32 v5, 0
; %bb.150:                              ;   in Loop: Header=BB17_7 Depth=1
	s_or_b64 exec, exec, s[34:35]
	s_and_b64 s[40:41], s[36:37], exec
	v_mov_b32_e32 v22, v10
.LBB17_151:                             ;   in Loop: Header=BB17_7 Depth=1
	s_or_b64 exec, exec, s[30:31]
	s_mov_b64 s[38:39], -1
                                        ; implicit-def: $sgpr34_sgpr35
                                        ; implicit-def: $sgpr36_sgpr37
	s_and_saveexec_b64 s[30:31], s[40:41]
	s_cbranch_execz .LBB17_229
; %bb.152:                              ;   in Loop: Header=BB17_7 Depth=1
	s_cmp_eq_u32 s54, 1
	s_cselect_b64 s[16:17], -1, 0
	v_cmp_eq_u32_e32 vcc, 1, v22
	s_and_b64 s[40:41], s[16:17], vcc
	s_mov_b64 s[42:43], -1
                                        ; implicit-def: $sgpr36_sgpr37
                                        ; implicit-def: $sgpr34_sgpr35
	s_and_saveexec_b64 s[38:39], s[40:41]
	s_cbranch_execz .LBB17_178
; %bb.153:                              ;   in Loop: Header=BB17_7 Depth=1
	ds_read_b32 v2, v11 offset:4096
	s_waitcnt lgkmcnt(0)
	s_barrier
	v_readfirstlane_b32 s16, v2
	s_and_saveexec_b64 s[34:35], s[4:5]
; %bb.154:                              ;   in Loop: Header=BB17_7 Depth=1
	ds_write_b32 v27, v11
; %bb.155:                              ;   in Loop: Header=BB17_7 Depth=1
	s_or_b64 exec, exec, s[34:35]
	v_and_b32_e32 v2, v34, v9
	v_lshl_or_b32 v34, 2, v38, v2
	v_or_b32_e32 v41, v41, v4
	s_mov_b64 s[34:35], -1
	s_mov_b64 s[36:37], 0
	s_cmp_gt_i32 s16, 0
	s_mov_b64 s[42:43], 0
	s_mov_b64 s[44:45], -1
	s_waitcnt lgkmcnt(0)
	s_barrier
                                        ; implicit-def: $vgpr21
	s_cbranch_scc1 .LBB17_166
; %bb.156:                              ;   in Loop: Header=BB17_7 Depth=1
	s_mov_b64 s[44:45], 0
                                        ; implicit-def: $vgpr21
	s_mov_b64 s[46:47], exec
	v_readlane_b32 s48, v56, 37
	v_readlane_b32 s49, v56, 38
	s_and_b64 s[48:49], s[46:47], s[48:49]
	s_mov_b64 exec, s[48:49]
	s_cbranch_execz .LBB17_165
; %bb.157:                              ;   in Loop: Header=BB17_7 Depth=1
	v_mov_b32_e32 v2, v6
	v_mov_b32_e32 v10, v0
                                        ; implicit-def: $sgpr48_sgpr49
	s_branch .LBB17_160
.LBB17_158:                             ;   in Loop: Header=BB17_160 Depth=2
	s_or_b64 exec, exec, s[50:51]
	s_waitcnt lgkmcnt(0)
	s_barrier
	ds_read_b64 v[20:21], v11 offset:3072
	s_mov_b64 s[50:51], -1
	s_mov_b64 s[52:53], -1
	s_waitcnt lgkmcnt(0)
	s_barrier
	v_cmp_ne_u32_e32 vcc, 0, v20
	s_cbranch_vccz .LBB17_163
.LBB17_159:                             ;   in Loop: Header=BB17_160 Depth=2
	s_and_b64 s[50:51], exec, s[50:51]
	s_or_b64 s[42:43], s[50:51], s[42:43]
	s_andn2_b64 s[48:49], s[48:49], exec
	s_and_b64 s[50:51], s[52:53], exec
	s_or_b64 s[48:49], s[48:49], s[50:51]
	s_andn2_b64 exec, exec, s[42:43]
	s_cbranch_execz .LBB17_164
.LBB17_160:                             ;   Parent Loop BB17_7 Depth=1
                                        ; =>  This Inner Loop Header: Depth=2
	v_cmp_gt_i32_e32 vcc, s60, v10
	s_and_saveexec_b64 s[50:51], vcc
	s_cbranch_execz .LBB17_158
; %bb.161:                              ;   in Loop: Header=BB17_160 Depth=2
	v_ashrrev_i32_e32 v3, 31, v2
	v_lshl_add_u64 v[20:21], v[2:3], 2, s[72:73]
	global_load_dword v19, v[20:21], off
	s_waitcnt vmcnt(0)
	v_bitop3_b32 v3, v19, v41, s61 bitop3:0x48
	v_cmp_eq_u32_e32 vcc, v3, v34
	s_and_b64 exec, exec, vcc
	s_cbranch_execz .LBB17_158
; %bb.162:                              ;   in Loop: Header=BB17_160 Depth=2
	ds_write_b64 v11, v[18:19] offset:3072
	s_branch .LBB17_158
.LBB17_163:                             ;   in Loop: Header=BB17_160 Depth=2
	v_add_u32_e32 v10, s62, v10
	v_cmp_le_i32_e32 vcc, s89, v10
	v_add_u32_e32 v2, s87, v2
	s_mov_b64 s[52:53], 0
	s_orn2_b64 s[50:51], vcc, exec
	s_branch .LBB17_159
.LBB17_164:                             ;   in Loop: Header=BB17_7 Depth=1
	s_or_b64 exec, exec, s[42:43]
	s_and_b64 s[42:43], s[48:49], exec
.LBB17_165:                             ;   in Loop: Header=BB17_7 Depth=1
	s_or_b64 exec, exec, s[46:47]
.LBB17_166:                             ;   in Loop: Header=BB17_7 Depth=1
	s_and_b64 vcc, exec, s[44:45]
	s_cbranch_vccz .LBB17_177
; %bb.167:                              ;   in Loop: Header=BB17_7 Depth=1
	s_add_i32 s17, s16, s88
	s_abs_i32 s35, s17
	s_mul_hi_u32 s36, s35, s33
	s_mul_i32 s36, s36, s62
	s_sub_i32 s35, s35, s36
	s_ashr_i32 s34, s17, 31
	s_sub_i32 s36, s35, s62
	s_cmp_ge_u32 s35, s62
	s_cselect_b32 s35, s36, s35
	s_sub_i32 s36, s35, s62
	s_cmp_ge_u32 s35, s62
	s_cselect_b32 s35, s36, s35
	s_xor_b32 s35, s35, s34
	s_sub_i32 s34, s34, s35
	s_add_i32 s17, s17, s34
	v_cmp_gt_i32_e32 vcc, s17, v0
                                        ; implicit-def: $vgpr21
	s_and_saveexec_b64 s[34:35], vcc
	s_cbranch_execz .LBB17_176
; %bb.168:                              ;   in Loop: Header=BB17_7 Depth=1
	s_mov_b64 s[36:37], 0
	v_mov_b32_e32 v2, v15
	v_mov_b32_e32 v3, v0
                                        ; implicit-def: $sgpr44_sgpr45
	s_branch .LBB17_171
.LBB17_169:                             ;   in Loop: Header=BB17_171 Depth=2
	s_or_b64 exec, exec, s[46:47]
	s_waitcnt lgkmcnt(0)
	s_barrier
	ds_read_b64 v[20:21], v11 offset:3072
	s_mov_b64 s[46:47], -1
	s_mov_b64 s[48:49], -1
	s_waitcnt lgkmcnt(0)
	s_barrier
	v_cmp_eq_u32_e32 vcc, 0, v20
	s_cbranch_vccnz .LBB17_174
.LBB17_170:                             ;   in Loop: Header=BB17_171 Depth=2
	s_and_b64 s[46:47], exec, s[46:47]
	s_or_b64 s[36:37], s[46:47], s[36:37]
	s_andn2_b64 s[44:45], s[44:45], exec
	s_and_b64 s[46:47], s[48:49], exec
	s_or_b64 s[44:45], s[44:45], s[46:47]
	s_andn2_b64 exec, exec, s[36:37]
	s_cbranch_execz .LBB17_175
.LBB17_171:                             ;   Parent Loop BB17_7 Depth=1
                                        ; =>  This Inner Loop Header: Depth=2
	v_cmp_gt_i32_e32 vcc, s16, v3
	s_and_saveexec_b64 s[46:47], vcc
	s_cbranch_execz .LBB17_169
; %bb.172:                              ;   in Loop: Header=BB17_171 Depth=2
	ds_read_b32 v19, v2
	s_waitcnt lgkmcnt(0)
	v_bitop3_b32 v10, v19, v41, s61 bitop3:0x48
	v_cmp_eq_u32_e32 vcc, v10, v34
	s_and_b64 exec, exec, vcc
	s_cbranch_execz .LBB17_169
; %bb.173:                              ;   in Loop: Header=BB17_171 Depth=2
	ds_write_b64 v11, v[18:19] offset:3072
	s_branch .LBB17_169
.LBB17_174:                             ;   in Loop: Header=BB17_171 Depth=2
	v_add_u32_e32 v3, s62, v3
	v_cmp_le_i32_e32 vcc, s17, v3
	v_add_u32_e32 v2, s86, v2
	s_mov_b64 s[48:49], 0
	s_orn2_b64 s[46:47], vcc, exec
	s_branch .LBB17_170
.LBB17_175:                             ;   in Loop: Header=BB17_7 Depth=1
	s_or_b64 exec, exec, s[36:37]
	s_andn2_b64 s[16:17], s[42:43], exec
	s_and_b64 s[36:37], s[44:45], exec
	s_or_b64 s[42:43], s[16:17], s[36:37]
.LBB17_176:                             ;   in Loop: Header=BB17_7 Depth=1
	s_or_b64 exec, exec, s[34:35]
	s_mov_b64 s[34:35], 0
	s_mov_b64 s[36:37], -1
.LBB17_177:                             ;   in Loop: Header=BB17_7 Depth=1
	s_orn2_b64 s[42:43], s[42:43], exec
.LBB17_178:                             ;   in Loop: Header=BB17_7 Depth=1
	s_or_b64 exec, exec, s[38:39]
	s_mov_b64 s[44:45], 0
	s_and_saveexec_b64 s[38:39], s[42:43]
	s_cbranch_execz .LBB17_228
; %bb.179:                              ;   in Loop: Header=BB17_7 Depth=1
	s_xor_b64 s[16:17], s[40:41], -1
	s_mov_b64 s[48:49], 0
	v_mov_b32_e32 v10, 1
	v_mov_b32_e32 v5, 1
	s_and_saveexec_b64 s[40:41], s[16:17]
	s_cbranch_execz .LBB17_188
; %bb.180:                              ;   in Loop: Header=BB17_7 Depth=1
	v_cmp_ge_i32_e32 vcc, s54, v22
	s_and_saveexec_b64 s[16:17], vcc
	s_xor_b64 s[42:43], exec, s[16:17]
	s_cbranch_execz .LBB17_185
; %bb.181:                              ;   in Loop: Header=BB17_7 Depth=1
	ds_read_b32 v2, v11 offset:4096
	v_and_b32_e32 v3, v34, v9
	v_lshl_or_b32 v34, 2, v38, v3
	v_or_b32_e32 v41, v41, v4
	s_waitcnt lgkmcnt(0)
	v_cmp_ne_u32_e32 vcc, 0, v2
	s_cbranch_vccnz .LBB17_185
; %bb.182:                              ;   in Loop: Header=BB17_7 Depth=1
	s_and_saveexec_b64 s[44:45], s[0:1]
; %bb.183:                              ;   in Loop: Header=BB17_7 Depth=1
	v_mov_b32_e32 v2, s54
	ds_write_b32 v11, v2 offset:4100
; %bb.184:                              ;   in Loop: Header=BB17_7 Depth=1
	s_or_b64 exec, exec, s[44:45]
	s_waitcnt lgkmcnt(0)
	s_barrier
.LBB17_185:                             ;   in Loop: Header=BB17_7 Depth=1
	s_or_saveexec_b64 s[42:43], s[42:43]
	s_mov_b64 s[44:45], 0
	v_mov_b32_e32 v5, 8
	s_xor_b64 exec, exec, s[42:43]
; %bb.186:                              ;   in Loop: Header=BB17_7 Depth=1
	s_mov_b64 s[44:45], exec
	v_subrev_u32_e32 v22, s54, v22
	v_mov_b32_e32 v5, 0
; %bb.187:                              ;   in Loop: Header=BB17_7 Depth=1
	s_or_b64 exec, exec, s[42:43]
	s_and_b64 s[48:49], s[44:45], exec
	v_mov_b32_e32 v10, v22
.LBB17_188:                             ;   in Loop: Header=BB17_7 Depth=1
	s_or_b64 exec, exec, s[40:41]
	s_mov_b64 s[42:43], -1
                                        ; implicit-def: $sgpr46_sgpr47
                                        ; implicit-def: $sgpr44_sgpr45
	s_and_saveexec_b64 s[40:41], s[48:49]
	s_cbranch_execz .LBB17_227
; %bb.189:                              ;   in Loop: Header=BB17_7 Depth=1
	s_cmp_eq_u32 s74, 1
	s_cselect_b64 s[16:17], -1, 0
	v_cmp_eq_u32_e32 vcc, 1, v10
	s_and_b64 s[42:43], s[16:17], vcc
	s_mov_b64 s[50:51], -1
                                        ; implicit-def: $sgpr46_sgpr47
                                        ; implicit-def: $sgpr44_sgpr45
	s_and_saveexec_b64 s[48:49], s[42:43]
	s_cbranch_execz .LBB17_215
; %bb.190:                              ;   in Loop: Header=BB17_7 Depth=1
	ds_read_b32 v2, v11 offset:4096
	s_waitcnt lgkmcnt(0)
	s_barrier
	v_readfirstlane_b32 s16, v2
	s_and_saveexec_b64 s[44:45], s[4:5]
; %bb.191:                              ;   in Loop: Header=BB17_7 Depth=1
	ds_write_b32 v27, v11
; %bb.192:                              ;   in Loop: Header=BB17_7 Depth=1
	s_or_b64 exec, exec, s[44:45]
	v_or_b32_e32 v34, v34, v4
	v_or_b32_e32 v41, v41, v4
	s_mov_b64 s[44:45], -1
	s_mov_b64 s[46:47], 0
	s_cmp_gt_i32 s16, 0
	s_mov_b64 s[50:51], 0
	s_mov_b64 s[52:53], -1
	s_waitcnt lgkmcnt(0)
	s_barrier
                                        ; implicit-def: $vgpr21
	s_cbranch_scc1 .LBB17_203
; %bb.193:                              ;   in Loop: Header=BB17_7 Depth=1
	s_mov_b64 s[52:53], 0
                                        ; implicit-def: $vgpr21
	s_mov_b64 s[54:55], exec
	v_readlane_b32 s56, v56, 37
	v_readlane_b32 s57, v56, 38
	s_and_b64 s[56:57], s[54:55], s[56:57]
	s_mov_b64 exec, s[56:57]
	s_cbranch_execz .LBB17_202
; %bb.194:                              ;   in Loop: Header=BB17_7 Depth=1
	v_mov_b32_e32 v2, v6
	v_mov_b32_e32 v9, v0
                                        ; implicit-def: $sgpr56_sgpr57
	s_branch .LBB17_197
.LBB17_195:                             ;   in Loop: Header=BB17_197 Depth=2
	s_or_b64 exec, exec, s[58:59]
	s_waitcnt lgkmcnt(0)
	s_barrier
	ds_read_b64 v[20:21], v11 offset:3072
	s_mov_b64 s[58:59], -1
	s_mov_b64 s[70:71], -1
	s_waitcnt lgkmcnt(0)
	s_barrier
	v_cmp_ne_u32_e32 vcc, 0, v20
	s_cbranch_vccz .LBB17_200
.LBB17_196:                             ;   in Loop: Header=BB17_197 Depth=2
	s_and_b64 s[58:59], exec, s[58:59]
	s_or_b64 s[50:51], s[58:59], s[50:51]
	s_andn2_b64 s[56:57], s[56:57], exec
	s_and_b64 s[58:59], s[70:71], exec
	s_or_b64 s[56:57], s[56:57], s[58:59]
	s_andn2_b64 exec, exec, s[50:51]
	s_cbranch_execz .LBB17_201
.LBB17_197:                             ;   Parent Loop BB17_7 Depth=1
                                        ; =>  This Inner Loop Header: Depth=2
	v_cmp_gt_i32_e32 vcc, s60, v9
	s_and_saveexec_b64 s[58:59], vcc
	s_cbranch_execz .LBB17_195
; %bb.198:                              ;   in Loop: Header=BB17_197 Depth=2
	v_ashrrev_i32_e32 v3, 31, v2
	v_lshl_add_u64 v[20:21], v[2:3], 2, s[72:73]
	global_load_dword v19, v[20:21], off
	s_waitcnt vmcnt(0)
	v_bitop3_b32 v3, v19, v41, s61 bitop3:0x48
	v_cmp_eq_u32_e32 vcc, v3, v34
	s_and_b64 exec, exec, vcc
	s_cbranch_execz .LBB17_195
; %bb.199:                              ;   in Loop: Header=BB17_197 Depth=2
	ds_write_b64 v11, v[18:19] offset:3072
	s_branch .LBB17_195
.LBB17_200:                             ;   in Loop: Header=BB17_197 Depth=2
	v_add_u32_e32 v9, s62, v9
	v_cmp_le_i32_e32 vcc, s89, v9
	v_add_u32_e32 v2, s87, v2
	s_mov_b64 s[70:71], 0
	s_orn2_b64 s[58:59], vcc, exec
	s_branch .LBB17_196
.LBB17_201:                             ;   in Loop: Header=BB17_7 Depth=1
	s_or_b64 exec, exec, s[50:51]
	s_and_b64 s[50:51], s[56:57], exec
.LBB17_202:                             ;   in Loop: Header=BB17_7 Depth=1
	s_or_b64 exec, exec, s[54:55]
.LBB17_203:                             ;   in Loop: Header=BB17_7 Depth=1
	s_and_b64 vcc, exec, s[52:53]
	s_cbranch_vccz .LBB17_214
; %bb.204:                              ;   in Loop: Header=BB17_7 Depth=1
	s_add_i32 s17, s16, s88
	s_abs_i32 s45, s17
	s_mul_hi_u32 s46, s45, s33
	s_mul_i32 s46, s46, s62
	s_sub_i32 s45, s45, s46
	s_ashr_i32 s44, s17, 31
	s_sub_i32 s46, s45, s62
	s_cmp_ge_u32 s45, s62
	s_cselect_b32 s45, s46, s45
	s_sub_i32 s46, s45, s62
	s_cmp_ge_u32 s45, s62
	s_cselect_b32 s45, s46, s45
	s_xor_b32 s45, s45, s44
	s_sub_i32 s44, s44, s45
	s_add_i32 s17, s17, s44
	v_cmp_gt_i32_e32 vcc, s17, v0
                                        ; implicit-def: $vgpr21
	s_and_saveexec_b64 s[44:45], vcc
	s_cbranch_execz .LBB17_213
; %bb.205:                              ;   in Loop: Header=BB17_7 Depth=1
	s_mov_b64 s[46:47], 0
	v_mov_b32_e32 v2, v15
	v_mov_b32_e32 v3, v0
                                        ; implicit-def: $sgpr52_sgpr53
	s_branch .LBB17_208
.LBB17_206:                             ;   in Loop: Header=BB17_208 Depth=2
	s_or_b64 exec, exec, s[54:55]
	s_waitcnt lgkmcnt(0)
	s_barrier
	ds_read_b64 v[20:21], v11 offset:3072
	s_mov_b64 s[54:55], -1
	s_mov_b64 s[56:57], -1
	s_waitcnt lgkmcnt(0)
	s_barrier
	v_cmp_eq_u32_e32 vcc, 0, v20
	s_cbranch_vccnz .LBB17_211
.LBB17_207:                             ;   in Loop: Header=BB17_208 Depth=2
	s_and_b64 s[54:55], exec, s[54:55]
	s_or_b64 s[46:47], s[54:55], s[46:47]
	s_andn2_b64 s[52:53], s[52:53], exec
	s_and_b64 s[54:55], s[56:57], exec
	s_or_b64 s[52:53], s[52:53], s[54:55]
	s_andn2_b64 exec, exec, s[46:47]
	s_cbranch_execz .LBB17_212
.LBB17_208:                             ;   Parent Loop BB17_7 Depth=1
                                        ; =>  This Inner Loop Header: Depth=2
	v_cmp_gt_i32_e32 vcc, s16, v3
	s_and_saveexec_b64 s[54:55], vcc
	s_cbranch_execz .LBB17_206
; %bb.209:                              ;   in Loop: Header=BB17_208 Depth=2
	ds_read_b32 v19, v2
	s_waitcnt lgkmcnt(0)
	v_bitop3_b32 v9, v19, v41, s61 bitop3:0x48
	v_cmp_eq_u32_e32 vcc, v9, v34
	s_and_b64 exec, exec, vcc
	s_cbranch_execz .LBB17_206
; %bb.210:                              ;   in Loop: Header=BB17_208 Depth=2
	ds_write_b64 v11, v[18:19] offset:3072
	s_branch .LBB17_206
.LBB17_211:                             ;   in Loop: Header=BB17_208 Depth=2
	v_add_u32_e32 v3, s62, v3
	v_cmp_le_i32_e32 vcc, s17, v3
	v_add_u32_e32 v2, s86, v2
	s_mov_b64 s[56:57], 0
	s_orn2_b64 s[54:55], vcc, exec
	s_branch .LBB17_207
.LBB17_212:                             ;   in Loop: Header=BB17_7 Depth=1
	s_or_b64 exec, exec, s[46:47]
	s_andn2_b64 s[16:17], s[50:51], exec
	s_and_b64 s[46:47], s[52:53], exec
	s_or_b64 s[50:51], s[16:17], s[46:47]
.LBB17_213:                             ;   in Loop: Header=BB17_7 Depth=1
	s_or_b64 exec, exec, s[44:45]
	s_mov_b64 s[44:45], 0
	s_mov_b64 s[46:47], -1
.LBB17_214:                             ;   in Loop: Header=BB17_7 Depth=1
	s_orn2_b64 s[50:51], s[50:51], exec
.LBB17_215:                             ;   in Loop: Header=BB17_7 Depth=1
	s_or_b64 exec, exec, s[48:49]
	s_mov_b64 s[52:53], 0
	s_and_saveexec_b64 s[48:49], s[50:51]
	s_cbranch_execz .LBB17_226
; %bb.216:                              ;   in Loop: Header=BB17_7 Depth=1
	s_xor_b64 s[16:17], s[42:43], -1
	v_mov_b32_e32 v5, 1
	v_mov_b32_e32 v2, 1
	s_and_saveexec_b64 s[42:43], s[16:17]
	s_cbranch_execz .LBB17_225
; %bb.217:                              ;   in Loop: Header=BB17_7 Depth=1
	v_cmp_ge_i32_e32 vcc, s74, v10
	s_and_saveexec_b64 s[16:17], vcc
	s_xor_b64 s[50:51], exec, s[16:17]
	s_cbranch_execz .LBB17_222
; %bb.218:                              ;   in Loop: Header=BB17_7 Depth=1
	ds_read_b32 v2, v11 offset:4096
	v_or_b32_e32 v34, v34, v4
	v_or_b32_e32 v41, v41, v4
	s_waitcnt lgkmcnt(0)
	v_cmp_ne_u32_e32 vcc, 0, v2
	s_cbranch_vccnz .LBB17_222
; %bb.219:                              ;   in Loop: Header=BB17_7 Depth=1
	s_and_saveexec_b64 s[52:53], s[0:1]
; %bb.220:                              ;   in Loop: Header=BB17_7 Depth=1
	v_mov_b32_e32 v2, s74
	ds_write_b32 v11, v2 offset:4100
; %bb.221:                              ;   in Loop: Header=BB17_7 Depth=1
	s_or_b64 exec, exec, s[52:53]
	s_waitcnt lgkmcnt(0)
	s_barrier
.LBB17_222:                             ;   in Loop: Header=BB17_7 Depth=1
	s_andn2_saveexec_b64 s[50:51], s[50:51]
; %bb.223:                              ;   in Loop: Header=BB17_7 Depth=1
	v_subrev_u32_e32 v10, s74, v10
; %bb.224:                              ;   in Loop: Header=BB17_7 Depth=1
	s_or_b64 exec, exec, s[50:51]
	v_mov_b32_e32 v5, 8
	v_mov_b32_e32 v2, v10
.LBB17_225:                             ;   in Loop: Header=BB17_7 Depth=1
	s_or_b64 exec, exec, s[42:43]
	s_mov_b64 s[52:53], exec
	v_mov_b32_e32 v10, v2
.LBB17_226:                             ;   in Loop: Header=BB17_7 Depth=1
	s_or_b64 exec, exec, s[48:49]
	s_orn2_b64 s[42:43], s[52:53], exec
.LBB17_227:                             ;   in Loop: Header=BB17_7 Depth=1
	s_or_b64 exec, exec, s[40:41]
	s_andn2_b64 s[16:17], s[36:37], exec
	s_and_b64 s[36:37], s[46:47], exec
	s_or_b64 s[36:37], s[16:17], s[36:37]
	s_andn2_b64 s[16:17], s[34:35], exec
	s_and_b64 s[34:35], s[44:45], exec
	s_or_b64 s[34:35], s[16:17], s[34:35]
	s_and_b64 s[44:45], s[42:43], exec
	v_mov_b32_e32 v22, v10
.LBB17_228:                             ;   in Loop: Header=BB17_7 Depth=1
	s_or_b64 exec, exec, s[38:39]
	s_orn2_b64 s[38:39], s[44:45], exec
.LBB17_229:                             ;   in Loop: Header=BB17_7 Depth=1
	s_or_b64 exec, exec, s[30:31]
	s_andn2_b64 s[16:17], s[26:27], exec
	s_and_b64 s[26:27], s[36:37], exec
	s_or_b64 s[26:27], s[16:17], s[26:27]
	s_andn2_b64 s[16:17], s[24:25], exec
	s_and_b64 s[24:25], s[34:35], exec
	s_or_b64 s[24:25], s[16:17], s[24:25]
	s_and_b64 s[36:37], s[38:39], exec
	v_mov_b32_e32 v10, v22
.LBB17_230:                             ;   in Loop: Header=BB17_7 Depth=1
	s_or_b64 exec, exec, s[28:29]
	s_orn2_b64 s[28:29], s[36:37], exec
.LBB17_231:                             ;   in Loop: Header=BB17_7 Depth=1
	s_or_b64 exec, exec, s[22:23]
	s_mov_b64 s[30:31], 0
	s_and_saveexec_b64 s[16:17], s[28:29]
	s_xor_b64 s[22:23], exec, s[16:17]
	s_cbranch_execz .LBB17_5
; %bb.232:                              ;   in Loop: Header=BB17_7 Depth=1
	v_and_b32_e32 v2, 7, v5
	v_cmp_eq_u32_e32 vcc, 0, v2
	s_mov_b64 s[20:21], -1
	s_mov_b64 s[28:29], -1
	s_and_saveexec_b64 s[30:31], vcc
	s_cbranch_execz .LBB17_4
; %bb.233:                              ;   in Loop: Header=BB17_7 Depth=1
	v_add_u32_e32 v2, -2, v38
	v_cmp_eq_u32_e32 vcc, 0, v38
	v_xor_b32_e32 v40, 1, v40
	s_xor_b64 s[28:29], exec, -1
	s_orn2_b64 s[20:21], vcc, exec
	v_mov_b32_e32 v38, v2
	s_branch .LBB17_4
.LBB17_234:
	s_or_b64 exec, exec, s[92:93]
	s_xor_b64 s[8:9], s[98:99], -1
	s_xor_b64 s[2:3], s[94:95], -1
	;; [unrolled: 1-line block ×3, first 2 shown]
	s_mov_b64 s[4:5], 0
	s_and_saveexec_b64 s[10:11], s[2:3]
	s_xor_b64 s[2:3], exec, s[10:11]
	s_cbranch_execnz .LBB17_239
; %bb.235:
	s_andn2_saveexec_b64 s[0:1], s[2:3]
	s_cbranch_execnz .LBB17_259
.LBB17_236:
	s_or_b64 exec, exec, s[0:1]
	s_and_saveexec_b64 s[0:1], s[4:5]
.LBB17_237:
	; divergent unreachable
.LBB17_238:
	s_endpgm
.LBB17_239:
	s_and_saveexec_b64 s[4:5], s[8:9]
	s_xor_b64 s[4:5], exec, s[4:5]
	s_cbranch_execz .LBB17_257
; %bb.240:
	s_and_saveexec_b64 s[8:9], s[6:7]
	s_xor_b64 s[6:7], exec, s[8:9]
; %bb.241:
	v_xor_b32_e32 v21, 0x80000000, v34
; %bb.242:
	s_or_b64 exec, exec, s[6:7]
	s_and_saveexec_b64 s[6:7], s[0:1]
	v_readlane_b32 s20, v56, 20
	v_readlane_b32 s21, v56, 16
	;; [unrolled: 1-line block ×5, first 2 shown]
; %bb.243:
	v_mov_b32_e32 v1, 0
	v_mov_b32_e32 v2, s60
	ds_write_b32 v1, v2 offset:4108
; %bb.244:
	s_or_b64 exec, exec, s[6:7]
	v_mov_b32_e32 v1, 0
	s_waitcnt lgkmcnt(0)
	s_barrier
	ds_read_b32 v1, v1 offset:4108
	s_waitcnt lgkmcnt(0)
	v_min_i32_e32 v2, s60, v1
	v_cmp_lt_i32_e32 vcc, v0, v2
	s_and_saveexec_b64 s[6:7], vcc
	s_cbranch_execz .LBB17_254
; %bb.245:
	s_mov_b64 s[8:9], 0
                                        ; implicit-def: $sgpr10_sgpr11
                                        ; implicit-def: $sgpr14_sgpr15
                                        ; implicit-def: $sgpr12_sgpr13
	s_branch .LBB17_247
.LBB17_246:                             ;   in Loop: Header=BB17_247 Depth=1
	s_or_b64 exec, exec, s[16:17]
	s_and_b64 s[16:17], exec, s[14:15]
	s_or_b64 s[8:9], s[16:17], s[8:9]
	s_andn2_b64 s[10:11], s[10:11], exec
	s_and_b64 s[16:17], s[12:13], exec
	s_or_b64 s[10:11], s[10:11], s[16:17]
	s_andn2_b64 exec, exec, s[8:9]
	s_cbranch_execz .LBB17_249
.LBB17_247:                             ; =>This Inner Loop Header: Depth=1
	v_ashrrev_i32_e32 v7, 31, v6
	v_lshl_add_u64 v[4:5], v[6:7], 2, s[72:73]
	global_load_dword v3, v[4:5], off
	v_mov_b32_e32 v1, v0
	s_or_b64 s[12:13], s[12:13], exec
	s_or_b64 s[14:15], s[14:15], exec
                                        ; implicit-def: $vgpr0
	s_waitcnt vmcnt(0)
	v_cmp_ne_u32_e32 vcc, v3, v21
	s_and_saveexec_b64 s[16:17], vcc
	s_cbranch_execz .LBB17_246
; %bb.248:                              ;   in Loop: Header=BB17_247 Depth=1
	v_add_u32_e32 v0, s62, v1
	v_cmp_ge_i32_e32 vcc, v0, v2
	s_andn2_b64 s[14:15], s[14:15], exec
	s_and_b64 s[18:19], vcc, exec
	v_add_u32_e32 v6, s87, v6
	s_andn2_b64 s[12:13], s[12:13], exec
	s_or_b64 s[14:15], s[14:15], s[18:19]
	s_branch .LBB17_246
.LBB17_249:
	s_or_b64 exec, exec, s[8:9]
	s_and_saveexec_b64 s[8:9], s[10:11]
	s_xor_b64 s[8:9], exec, s[8:9]
	s_cbranch_execz .LBB17_254
; %bb.250:
	s_mov_b64 s[8:9], exec
	s_brev_b32 s10, -2
.LBB17_251:                             ; =>This Inner Loop Header: Depth=1
	s_ff1_i32_b64 s11, s[8:9]
	v_readlane_b32 s14, v1, s11
	s_lshl_b64 s[12:13], 1, s11
	s_min_i32 s10, s10, s14
	s_andn2_b64 s[8:9], s[8:9], s[12:13]
	s_cmp_lg_u64 s[8:9], 0
	s_cbranch_scc1 .LBB17_251
; %bb.252:
	v_mbcnt_lo_u32_b32 v0, exec_lo, 0
	v_mbcnt_hi_u32_b32 v0, exec_hi, v0
	v_cmp_eq_u32_e32 vcc, 0, v0
	s_and_saveexec_b64 s[8:9], vcc
	s_xor_b64 s[8:9], exec, s[8:9]
; %bb.253:
	v_mov_b32_e32 v0, 0
	v_mov_b32_e32 v1, s10
	ds_min_i32 v0, v1 offset:4108
.LBB17_254:
	s_or_b64 exec, exec, s[6:7]
	s_waitcnt lgkmcnt(0)
	s_barrier
	s_and_saveexec_b64 s[6:7], s[0:1]
	s_cbranch_execz .LBB17_256
; %bb.255:
	v_readlane_b32 s10, v56, 10
	v_readlane_b32 s11, v56, 11
	s_mul_i32 s1, s11, s10
	v_readlane_b32 s0, v56, 15
	s_sub_i32 s1, s23, s1
	s_xor_b32 s0, s22, s0
	s_add_i32 s8, s11, 1
	s_sub_i32 s9, s1, s10
	s_cmp_ge_u32 s1, s10
	s_cselect_b32 s8, s8, s11
	s_cselect_b32 s1, s9, s1
	s_add_i32 s9, s8, 1
	s_cmp_ge_u32 s1, s10
	s_cselect_b32 s1, s9, s8
	s_xor_b32 s1, s1, s0
	s_sub_i32 s0, s1, s0
	s_mul_i32 s1, s0, s24
	v_readlane_b32 s8, v56, 6
	s_sub_i32 s1, s20, s1
	v_readlane_b32 s9, v56, 7
	v_readlane_b32 s11, v56, 12
	;; [unrolled: 1-line block ×3, first 2 shown]
	s_mul_i32 s1, s1, s9
	s_mul_i32 s0, s0, s8
	;; [unrolled: 1-line block ×3, first 2 shown]
	s_add_i32 s0, s0, s1
	v_readlane_b32 s1, v56, 17
	s_sub_i32 s8, s23, s8
	s_xor_b32 s1, s22, s1
	s_add_i32 s9, s12, 1
	s_sub_i32 s10, s8, s11
	s_cmp_ge_u32 s8, s11
	s_cselect_b32 s9, s9, s12
	s_cselect_b32 s8, s10, s8
	s_add_i32 s10, s9, 1
	s_cmp_ge_u32 s8, s11
	s_cselect_b32 s8, s10, s9
	s_xor_b32 s8, s8, s1
	s_sub_i32 s1, s8, s1
	s_mul_i32 s8, s1, s21
	v_readlane_b32 s10, v56, 2
	s_sub_i32 s8, s20, s8
	v_readlane_b32 s11, v56, 3
	s_mul_i32 s8, s8, s11
	s_mul_i32 s1, s1, s10
	s_add_i32 s8, s1, s8
	s_ashr_i32 s1, s0, 31
	v_mov_b32_e32 v2, 0
	s_lshl_b64 s[0:1], s[0:1], 2
	v_readlane_b32 s10, v56, 0
	ds_read_b32 v0, v2 offset:4108
	v_readlane_b32 s11, v56, 1
	s_add_u32 s0, s10, s0
	s_addc_u32 s1, s11, s1
	s_ashr_i32 s9, s8, 31
	s_lshl_b64 s[8:9], s[8:9], 3
	v_readlane_b32 s10, v56, 4
	v_readlane_b32 s11, v56, 5
	s_add_u32 s8, s10, s8
	s_addc_u32 s9, s11, s9
	s_waitcnt lgkmcnt(0)
	v_ashrrev_i32_e32 v1, 31, v0
	global_store_dwordx2 v2, v[0:1], s[8:9]
	global_store_dword v2, v21, s[0:1]
.LBB17_256:
	s_or_b64 exec, exec, s[6:7]
.LBB17_257:
	s_or_saveexec_b64 s[0:1], s[4:5]
	s_mov_b64 s[4:5], 0
	s_xor_b64 exec, exec, s[0:1]
	s_cbranch_execnz .LBB17_260
.LBB17_258:
	s_or_b64 exec, exec, s[0:1]
	s_and_b64 s[4:5], s[4:5], exec
	s_andn2_saveexec_b64 s[0:1], s[2:3]
	s_cbranch_execz .LBB17_236
.LBB17_259:
	s_or_b64 s[4:5], s[4:5], exec
	s_trap 2
	s_or_b64 exec, exec, s[0:1]
	s_and_saveexec_b64 s[0:1], s[4:5]
	s_cbranch_execnz .LBB17_237
	s_branch .LBB17_238
.LBB17_260:
	s_mov_b64 s[4:5], exec
	s_trap 2
	s_branch .LBB17_258
	.section	.rodata,"a",@progbits
	.p2align	6, 0x0
	.amdhsa_kernel _ZN2at6native12_GLOBAL__N_114gatherKthValueIiiLi2EEEvNS_4cuda6detail10TensorInfoIKT_T0_EES8_S8_S8_S8_NS5_IS6_S8_EENS5_IlS8_EE
		.amdhsa_group_segment_fixed_size 4112
		.amdhsa_private_segment_fixed_size 0
		.amdhsa_kernarg_size 920
		.amdhsa_user_sgpr_count 2
		.amdhsa_user_sgpr_dispatch_ptr 0
		.amdhsa_user_sgpr_queue_ptr 0
		.amdhsa_user_sgpr_kernarg_segment_ptr 1
		.amdhsa_user_sgpr_dispatch_id 0
		.amdhsa_user_sgpr_kernarg_preload_length 0
		.amdhsa_user_sgpr_kernarg_preload_offset 0
		.amdhsa_user_sgpr_private_segment_size 0
		.amdhsa_uses_dynamic_stack 0
		.amdhsa_enable_private_segment 0
		.amdhsa_system_sgpr_workgroup_id_x 1
		.amdhsa_system_sgpr_workgroup_id_y 1
		.amdhsa_system_sgpr_workgroup_id_z 1
		.amdhsa_system_sgpr_workgroup_info 0
		.amdhsa_system_vgpr_workitem_id 0
		.amdhsa_next_free_vgpr 57
		.amdhsa_next_free_sgpr 100
		.amdhsa_accum_offset 60
		.amdhsa_reserve_vcc 1
		.amdhsa_float_round_mode_32 0
		.amdhsa_float_round_mode_16_64 0
		.amdhsa_float_denorm_mode_32 3
		.amdhsa_float_denorm_mode_16_64 3
		.amdhsa_dx10_clamp 1
		.amdhsa_ieee_mode 1
		.amdhsa_fp16_overflow 0
		.amdhsa_tg_split 0
		.amdhsa_exception_fp_ieee_invalid_op 0
		.amdhsa_exception_fp_denorm_src 0
		.amdhsa_exception_fp_ieee_div_zero 0
		.amdhsa_exception_fp_ieee_overflow 0
		.amdhsa_exception_fp_ieee_underflow 0
		.amdhsa_exception_fp_ieee_inexact 0
		.amdhsa_exception_int_div_zero 0
	.end_amdhsa_kernel
	.section	.text._ZN2at6native12_GLOBAL__N_114gatherKthValueIiiLi2EEEvNS_4cuda6detail10TensorInfoIKT_T0_EES8_S8_S8_S8_NS5_IS6_S8_EENS5_IlS8_EE,"axG",@progbits,_ZN2at6native12_GLOBAL__N_114gatherKthValueIiiLi2EEEvNS_4cuda6detail10TensorInfoIKT_T0_EES8_S8_S8_S8_NS5_IS6_S8_EENS5_IlS8_EE,comdat
.Lfunc_end17:
	.size	_ZN2at6native12_GLOBAL__N_114gatherKthValueIiiLi2EEEvNS_4cuda6detail10TensorInfoIKT_T0_EES8_S8_S8_S8_NS5_IS6_S8_EENS5_IlS8_EE, .Lfunc_end17-_ZN2at6native12_GLOBAL__N_114gatherKthValueIiiLi2EEEvNS_4cuda6detail10TensorInfoIKT_T0_EES8_S8_S8_S8_NS5_IS6_S8_EENS5_IlS8_EE
                                        ; -- End function
	.set _ZN2at6native12_GLOBAL__N_114gatherKthValueIiiLi2EEEvNS_4cuda6detail10TensorInfoIKT_T0_EES8_S8_S8_S8_NS5_IS6_S8_EENS5_IlS8_EE.num_vgpr, 57
	.set _ZN2at6native12_GLOBAL__N_114gatherKthValueIiiLi2EEEvNS_4cuda6detail10TensorInfoIKT_T0_EES8_S8_S8_S8_NS5_IS6_S8_EENS5_IlS8_EE.num_agpr, 0
	.set _ZN2at6native12_GLOBAL__N_114gatherKthValueIiiLi2EEEvNS_4cuda6detail10TensorInfoIKT_T0_EES8_S8_S8_S8_NS5_IS6_S8_EENS5_IlS8_EE.numbered_sgpr, 100
	.set _ZN2at6native12_GLOBAL__N_114gatherKthValueIiiLi2EEEvNS_4cuda6detail10TensorInfoIKT_T0_EES8_S8_S8_S8_NS5_IS6_S8_EENS5_IlS8_EE.num_named_barrier, 0
	.set _ZN2at6native12_GLOBAL__N_114gatherKthValueIiiLi2EEEvNS_4cuda6detail10TensorInfoIKT_T0_EES8_S8_S8_S8_NS5_IS6_S8_EENS5_IlS8_EE.private_seg_size, 0
	.set _ZN2at6native12_GLOBAL__N_114gatherKthValueIiiLi2EEEvNS_4cuda6detail10TensorInfoIKT_T0_EES8_S8_S8_S8_NS5_IS6_S8_EENS5_IlS8_EE.uses_vcc, 1
	.set _ZN2at6native12_GLOBAL__N_114gatherKthValueIiiLi2EEEvNS_4cuda6detail10TensorInfoIKT_T0_EES8_S8_S8_S8_NS5_IS6_S8_EENS5_IlS8_EE.uses_flat_scratch, 0
	.set _ZN2at6native12_GLOBAL__N_114gatherKthValueIiiLi2EEEvNS_4cuda6detail10TensorInfoIKT_T0_EES8_S8_S8_S8_NS5_IS6_S8_EENS5_IlS8_EE.has_dyn_sized_stack, 0
	.set _ZN2at6native12_GLOBAL__N_114gatherKthValueIiiLi2EEEvNS_4cuda6detail10TensorInfoIKT_T0_EES8_S8_S8_S8_NS5_IS6_S8_EENS5_IlS8_EE.has_recursion, 0
	.set _ZN2at6native12_GLOBAL__N_114gatherKthValueIiiLi2EEEvNS_4cuda6detail10TensorInfoIKT_T0_EES8_S8_S8_S8_NS5_IS6_S8_EENS5_IlS8_EE.has_indirect_call, 0
	.section	.AMDGPU.csdata,"",@progbits
; Kernel info:
; codeLenInByte = 9556
; TotalNumSgprs: 106
; NumVgprs: 57
; NumAgprs: 0
; TotalNumVgprs: 57
; ScratchSize: 0
; MemoryBound: 0
; FloatMode: 240
; IeeeMode: 1
; LDSByteSize: 4112 bytes/workgroup (compile time only)
; SGPRBlocks: 13
; VGPRBlocks: 7
; NumSGPRsForWavesPerEU: 106
; NumVGPRsForWavesPerEU: 57
; AccumOffset: 60
; Occupancy: 7
; WaveLimiterHint : 1
; COMPUTE_PGM_RSRC2:SCRATCH_EN: 0
; COMPUTE_PGM_RSRC2:USER_SGPR: 2
; COMPUTE_PGM_RSRC2:TRAP_HANDLER: 0
; COMPUTE_PGM_RSRC2:TGID_X_EN: 1
; COMPUTE_PGM_RSRC2:TGID_Y_EN: 1
; COMPUTE_PGM_RSRC2:TGID_Z_EN: 1
; COMPUTE_PGM_RSRC2:TIDIG_COMP_CNT: 0
; COMPUTE_PGM_RSRC3_GFX90A:ACCUM_OFFSET: 14
; COMPUTE_PGM_RSRC3_GFX90A:TG_SPLIT: 0
	.section	.text._ZN2at6native12_GLOBAL__N_114gatherKthValueIiiLi3EEEvNS_4cuda6detail10TensorInfoIKT_T0_EES8_S8_S8_S8_NS5_IS6_S8_EENS5_IlS8_EE,"axG",@progbits,_ZN2at6native12_GLOBAL__N_114gatherKthValueIiiLi3EEEvNS_4cuda6detail10TensorInfoIKT_T0_EES8_S8_S8_S8_NS5_IS6_S8_EENS5_IlS8_EE,comdat
	.globl	_ZN2at6native12_GLOBAL__N_114gatherKthValueIiiLi3EEEvNS_4cuda6detail10TensorInfoIKT_T0_EES8_S8_S8_S8_NS5_IS6_S8_EENS5_IlS8_EE ; -- Begin function _ZN2at6native12_GLOBAL__N_114gatherKthValueIiiLi3EEEvNS_4cuda6detail10TensorInfoIKT_T0_EES8_S8_S8_S8_NS5_IS6_S8_EENS5_IlS8_EE
	.p2align	8
	.type	_ZN2at6native12_GLOBAL__N_114gatherKthValueIiiLi3EEEvNS_4cuda6detail10TensorInfoIKT_T0_EES8_S8_S8_S8_NS5_IS6_S8_EENS5_IlS8_EE,@function
_ZN2at6native12_GLOBAL__N_114gatherKthValueIiiLi3EEEvNS_4cuda6detail10TensorInfoIKT_T0_EES8_S8_S8_S8_NS5_IS6_S8_EENS5_IlS8_EE: ; @_ZN2at6native12_GLOBAL__N_114gatherKthValueIiiLi3EEEvNS_4cuda6detail10TensorInfoIKT_T0_EES8_S8_S8_S8_NS5_IS6_S8_EENS5_IlS8_EE
; %bb.0:
	s_load_dwordx2 s[12:13], s[0:1], 0x298
	s_load_dwordx4 s[68:71], s[0:1], 0xd8
	s_add_u32 s10, s0, 0x298
	s_addc_u32 s11, s1, 0
	s_waitcnt lgkmcnt(0)
	s_mul_i32 s4, s13, s4
	s_add_i32 s3, s4, s3
	s_mul_i32 s3, s3, s12
	s_add_i32 s24, s3, s2
	s_cmp_ge_i32 s24, s70
	s_cbranch_scc1 .LBB18_238
; %bb.1:
	s_load_dwordx2 s[8:9], s[0:1], 0xc
	s_load_dwordx2 s[26:27], s[0:1], 0xf4
	s_abs_i32 s5, s24
	s_ashr_i32 s4, s24, 31
	s_load_dwordx4 s[28:31], s[0:1], 0x154
	s_waitcnt lgkmcnt(0)
	s_abs_i32 s3, s9
	v_cvt_f32_u32_e32 v1, s3
	s_sub_i32 s7, 0, s3
	s_ashr_i32 s6, s9, 31
	s_xor_b32 s6, s4, s6
	v_rcp_iflag_f32_e32 v1, v1
                                        ; implicit-def: $vgpr56 : SGPR spill to VGPR lane
                                        ; kill: killed $sgpr0 killed $sgpr1
	v_writelane_b32 v56, s28, 0
	v_mul_f32_e32 v1, 0x4f7ffffe, v1
	v_cvt_u32_f32_e32 v1, v1
	v_writelane_b32 v56, s29, 1
	v_writelane_b32 v56, s30, 2
	;; [unrolled: 1-line block ×3, first 2 shown]
	v_readfirstlane_b32 s13, v1
	s_mul_i32 s7, s7, s13
	s_mul_hi_u32 s7, s13, s7
	s_add_i32 s13, s13, s7
	s_mul_hi_u32 s7, s5, s13
	s_mul_i32 s13, s7, s3
	s_sub_i32 s13, s5, s13
	s_add_i32 s14, s7, 1
	s_sub_i32 s15, s13, s3
	s_cmp_ge_u32 s13, s3
	s_cselect_b32 s7, s14, s7
	s_cselect_b32 s13, s15, s13
	s_add_i32 s14, s7, 1
	s_cmp_ge_u32 s13, s3
	s_cselect_b32 s7, s14, s7
	s_abs_i32 s3, s8
	v_cvt_f32_u32_e32 v1, s3
	s_abs_i32 s15, s27
	v_cvt_f32_u32_e32 v2, s15
	s_xor_b32 s7, s7, s6
	v_rcp_iflag_f32_e32 v1, v1
	s_sub_i32 s16, 0, s3
	v_rcp_iflag_f32_e32 v2, v2
	s_sub_i32 s18, s7, s6
	v_mul_f32_e32 v1, 0x4f7ffffe, v1
	v_cvt_u32_f32_e32 v1, v1
	v_mul_f32_e32 v2, 0x4f7ffffe, v2
	v_cvt_u32_f32_e32 v2, v2
	s_ashr_i32 s14, s27, 31
	v_readfirstlane_b32 s6, v1
	s_mul_i32 s16, s16, s6
	s_mul_hi_u32 s7, s6, s16
	s_add_i32 s16, s6, s7
	s_sub_i32 s6, 0, s15
	v_readfirstlane_b32 s7, v2
	s_mul_i32 s6, s6, s7
	s_mul_hi_u32 s6, s7, s6
	s_add_i32 s7, s7, s6
	s_mul_hi_u32 s6, s5, s7
	s_mul_i32 s7, s6, s15
	s_sub_i32 s7, s5, s7
	s_ashr_i32 s13, s8, 31
	s_xor_b32 s17, s4, s14
	s_ashr_i32 s19, s18, 31
	s_abs_i32 s20, s18
	s_add_i32 s14, s6, 1
	s_sub_i32 s21, s7, s15
	s_cmp_ge_u32 s7, s15
	s_cselect_b32 s6, s14, s6
	s_cselect_b32 s7, s21, s7
	s_add_i32 s14, s6, 1
	s_cmp_ge_u32 s7, s15
	s_cselect_b32 s6, s14, s6
	s_load_dwordx2 s[14:15], s[0:1], 0x0
	s_load_dwordx4 s[28:31], s[0:1], 0x22c
	s_abs_i32 s7, s26
	v_cvt_f32_u32_e32 v1, s7
	s_xor_b32 s6, s6, s17
	s_sub_i32 s25, s6, s17
	s_waitcnt lgkmcnt(0)
	v_writelane_b32 v56, s28, 4
	v_rcp_iflag_f32_e32 v1, v1
	s_nop 0
	v_writelane_b32 v56, s29, 5
	v_writelane_b32 v56, s30, 6
	;; [unrolled: 1-line block ×3, first 2 shown]
	s_load_dwordx2 s[28:29], s[0:1], 0x1cc
	s_load_dwordx2 s[22:23], s[0:1], 0x1c0
	v_mul_f32_e32 v1, 0x4f7ffffe, v1
	v_cvt_u32_f32_e32 v1, v1
	s_waitcnt lgkmcnt(0)
	s_abs_i32 s6, s29
	v_cvt_f32_u32_e32 v2, s6
	v_readfirstlane_b32 s17, v1
	v_writelane_b32 v56, s22, 8
	v_rcp_iflag_f32_e32 v1, v2
	s_nop 0
	v_writelane_b32 v56, s23, 9
	v_writelane_b32 v56, s7, 10
	s_sub_i32 s7, 0, s7
	v_mul_f32_e32 v1, 0x4f7ffffe, v1
	v_cvt_u32_f32_e32 v1, v1
	s_mul_i32 s7, s7, s17
	s_mul_hi_u32 s7, s17, s7
	s_add_i32 s17, s17, s7
	s_ashr_i32 s7, s29, 31
	s_xor_b32 s21, s4, s7
	s_sub_i32 s4, 0, s6
	v_readfirstlane_b32 s7, v1
	s_mul_i32 s4, s4, s7
	s_mul_hi_u32 s4, s7, s4
	s_add_i32 s7, s7, s4
	s_mul_hi_u32 s4, s5, s7
	s_mul_i32 s7, s4, s6
	s_sub_i32 s5, s5, s7
	s_abs_i32 s23, s25
	s_add_i32 s7, s4, 1
	s_sub_i32 s22, s5, s6
	s_cmp_ge_u32 s5, s6
	s_cselect_b32 s4, s7, s4
	s_cselect_b32 s5, s22, s5
	s_add_i32 s7, s4, 1
	s_cmp_ge_u32 s5, s6
	s_cselect_b32 s22, s7, s4
	s_abs_i32 s30, s28
	v_cvt_f32_u32_e32 v1, s30
	s_load_dwordx2 s[4:5], s[0:1], 0xe8
	v_rcp_iflag_f32_e32 v1, v1
	s_waitcnt lgkmcnt(0)
	v_writelane_b32 v56, s4, 11
	v_mul_f32_e32 v1, 0x4f7ffffe, v1
	v_cvt_u32_f32_e32 v1, v1
	v_writelane_b32 v56, s5, 12
	s_load_dwordx4 s[4:7], s[0:1], 0x6c
	v_writelane_b32 v56, s23, 13
	s_mul_hi_u32 s0, s23, s17
	v_writelane_b32 v56, s0, 14
	s_xor_b32 s0, s22, s21
	s_sub_i32 s21, s0, s21
	s_sub_i32 s0, 0, s30
	v_readfirstlane_b32 s1, v1
	s_mul_i32 s0, s0, s1
	s_mul_hi_u32 s0, s1, s0
	s_waitcnt lgkmcnt(0)
	s_mul_hi_u32 s7, s20, s16
	s_abs_i32 s16, s21
	v_writelane_b32 v56, s30, 15
	s_add_i32 s1, s1, s0
	v_writelane_b32 v56, s16, 16
	s_mul_hi_u32 s0, s16, s1
	v_writelane_b32 v56, s0, 17
	v_cmp_eq_u32_e64 s[0:1], 0, v0
	s_and_saveexec_b64 s[16:17], s[0:1]
; %bb.2:
	v_mov_b32_e32 v2, 0
	v_mov_b32_e32 v3, s68
	;; [unrolled: 1-line block ×3, first 2 shown]
	ds_write_b96 v2, v[2:4] offset:4096
; %bb.3:
	s_or_b64 exec, exec, s[16:17]
	v_writelane_b32 v56, s25, 18
	s_ashr_i32 s16, s25, 31
	v_writelane_b32 v56, s16, 19
	v_writelane_b32 v56, s26, 20
	s_ashr_i32 s16, s26, 31
	s_mul_i32 s9, s18, s9
	v_writelane_b32 v56, s27, 21
	v_writelane_b32 v56, s16, 22
	;; [unrolled: 1-line block ×3, first 2 shown]
	s_ashr_i32 s16, s21, 31
	v_writelane_b32 v56, s16, 24
	s_sub_i32 s9, s24, s9
	v_writelane_b32 v56, s28, 25
	s_mul_i32 s9, s9, s6
	s_xor_b32 s6, s19, s13
	s_mul_i32 s13, s7, s3
	v_writelane_b32 v56, s29, 26
	s_ashr_i32 s16, s28, 31
	s_sub_i32 s13, s20, s13
	v_writelane_b32 v56, s16, 27
	s_add_i32 s16, s7, 1
	s_sub_i32 s17, s13, s3
	s_cmp_ge_u32 s13, s3
	s_cselect_b32 s7, s16, s7
	s_cselect_b32 s13, s17, s13
	s_add_i32 s16, s7, 1
	s_cmp_ge_u32 s13, s3
	s_cselect_b32 s3, s16, s7
	s_xor_b32 s3, s3, s6
	s_sub_i32 s3, s3, s6
	s_mul_i32 s6, s3, s8
	s_sub_i32 s6, s18, s6
	s_mul_i32 s5, s6, s5
	s_add_i32 s5, s5, s9
	s_mul_i32 s3, s3, s4
	s_add_i32 s4, s5, s3
	s_waitcnt lgkmcnt(0)
	s_barrier
	s_load_dword s3, s[10:11], 0xc
	s_ashr_i32 s5, s4, 31
	s_lshl_b64 s[4:5], s[4:5], 2
	s_add_u32 s80, s14, s4
	v_mbcnt_lo_u32_b32 v1, -1, 0
	s_addc_u32 s81, s15, s5
	s_waitcnt lgkmcnt(0)
	s_and_b32 s70, s3, 0xffff
	v_mbcnt_hi_u32_b32 v26, -1, v1
	v_cmp_gt_u32_e32 vcc, 64, v0
	v_cmp_gt_i32_e64 s[4:5], 4, v26
	s_add_i32 s96, s70, -1
	s_lshl_b32 s94, s70, 2
	s_and_b64 s[84:85], vcc, s[4:5]
	s_add_i32 s97, s96, s68
	s_cmpk_gt_i32 s68, 0x300
	s_cselect_b64 s[86:87], -1, 0
	s_cmp_gt_u32 s70, 63
	v_writelane_b32 v56, s24, 28
	v_cmp_gt_i32_e64 s[8:9], s68, v0
	s_cselect_b64 s[88:89], -1, 0
	s_cmp_lt_u32 s2, s12
	v_writelane_b32 v56, s8, 29
	s_cselect_b32 s2, 12, 18
	v_lshlrev_b64 v[2:3], v26, -1
	v_writelane_b32 v56, s9, 30
	s_add_u32 s8, s10, s2
	s_addc_u32 s9, s11, 0
	v_writelane_b32 v56, s8, 31
	v_not_b32_e32 v14, v2
	v_lshrrev_b32_e32 v2, 2, v0
	v_writelane_b32 v56, s9, 32
	s_bfe_u32 s8, s3, 0xa0006
	s_add_i32 s2, s8, -2
	s_lshr_b32 s3, s2, 1
	s_add_i32 s3, s3, 1
	s_cmpk_gt_u32 s70, 0x7f
	v_and_b32_e32 v2, 0xf0, v2
	s_cselect_b64 s[10:11], -1, 0
	v_or_b32_e32 v28, 0xc00, v2
	v_writelane_b32 v56, s10, 33
	v_cvt_f32_u32_e32 v2, s94
	s_and_b32 s9, s8, 0x3fe
	v_writelane_b32 v56, s11, 34
	s_and_b32 s10, s3, 7
	s_cmp_gt_u32 s2, 13
	s_cselect_b64 s[12:13], -1, 0
	v_writelane_b32 v56, s12, 35
	v_rcp_iflag_f32_e32 v2, v2
	s_and_b32 s2, s3, -8
	v_writelane_b32 v56, s13, 36
	v_writelane_b32 v56, s2, 37
	s_cmp_lg_u32 s10, 0
	v_writelane_b32 v56, s10, 38
	s_cselect_b64 s[2:3], -1, 0
	v_writelane_b32 v56, s2, 39
	v_mul_f32_e32 v2, 0x4f7ffffe, v2
	v_cvt_u32_f32_e32 v2, v2
	v_writelane_b32 v56, s3, 40
	v_writelane_b32 v56, s8, 41
	s_cmp_lg_u32 s9, s8
	v_writelane_b32 v56, s9, 42
	s_cselect_b64 s[2:3], -1, 0
	v_writelane_b32 v56, s2, 43
	v_not_b32_e32 v1, v3
	v_cvt_f32_u32_e32 v3, s70
	v_writelane_b32 v56, s3, 44
	s_sub_i32 s2, 0, s94
	v_readfirstlane_b32 s3, v2
	s_mul_i32 s2, s2, s3
	s_mul_hi_u32 s2, s3, s2
	s_add_i32 s98, s3, s2
	s_mul_hi_u32 s2, s68, s98
	s_mul_i32 s2, s2, s94
	s_sub_i32 s2, s68, s2
	s_sub_i32 s3, s2, s94
	s_cmp_ge_u32 s2, s94
	s_cselect_b32 s2, s3, s2
	s_sub_i32 s3, s2, s94
	s_cmp_ge_u32 s2, s94
	s_cselect_b32 s2, s3, s2
	s_sub_i32 s99, s68, s2
	v_rcp_iflag_f32_e32 v5, v3
	v_add_u32_e32 v29, s99, v0
	v_mul_lo_u32 v2, v29, s71
	v_ashrrev_i32_e32 v3, 31, v2
	v_lshl_add_u64 v[16:17], v[2:3], 2, s[80:81]
	v_mul_f32_e32 v2, 0x4f7ffffe, v5
	v_cvt_u32_f32_e32 v2, v2
	s_sub_i32 s9, 0, s70
	s_abs_i32 s8, s97
	s_ashr_i32 s3, s97, 31
	v_readfirstlane_b32 s16, v2
	s_mul_i32 s9, s9, s16
	s_mul_hi_u32 s9, s16, s9
	s_add_i32 s33, s16, s9
	s_mul_hi_u32 s9, s8, s33
	s_mul_i32 s9, s9, s70
	s_sub_i32 s8, s8, s9
	s_sub_i32 s9, s8, s70
	s_cmp_ge_u32 s8, s70
	s_cselect_b32 s8, s9, s8
	s_sub_i32 s9, s8, s70
	s_cmp_ge_u32 s8, s70
	v_lshlrev_b32_e32 v15, 2, v0
	s_cselect_b32 s8, s9, s8
	s_xor_b32 s8, s8, s3
	v_mul_lo_u32 v2, s71, v15
	s_sub_i32 s3, s3, s8
	v_add_u32_e32 v30, s71, v2
	v_or_b32_e32 v2, 2, v15
	s_add_i32 s97, s97, s3
	v_mul_lo_u32 v31, s71, v2
	v_or_b32_e32 v2, 3, v15
	s_add_i32 s3, s70, s68
	v_mov_b32_e32 v11, 0
	v_cmp_gt_i32_e64 s[8:9], s97, v0
	v_mul_lo_u32 v32, s71, v2
	v_add_u32_e32 v2, s3, v0
	v_mov_b32_e32 v8, 0
	v_mul_lo_u32 v6, s71, v0
	v_mov_b32_e32 v7, v11
	v_lshlrev_b32_e32 v4, 2, v26
	v_writelane_b32 v56, s8, 45
	s_mul_i32 s95, s71, s70
	v_subrev_u32_e32 v2, s2, v2
	v_cmp_eq_u32_e64 s[18:19], 0, v26
	v_cmp_gt_u32_e64 s[4:5], 2, v0
	v_add_u32_e32 v27, 0xc00, v15
	v_cmp_gt_u32_e64 s[6:7], s68, v0
	v_lshl_add_u64 v[12:13], v[6:7], 2, s[80:81]
	v_and_b32_e32 v7, 0x100, v4
	v_cmp_gt_i32_e64 s[10:11], s99, v15
	v_cmp_gt_u32_e64 s[12:13], s68, v29
	v_cmp_gt_i32_e64 s[14:15], s68, v29
	v_writelane_b32 v56, s9, 46
	s_lshl_b32 s8, s95, 2
	v_lshlrev_b32_e32 v33, 2, v6
	v_mul_lo_u32 v35, s71, v2
	v_lshlrev_b32_e32 v36, 4, v0
	s_lshl_b32 s9, s70, 4
	v_or_b32_e32 v37, 0xc00, v4
	s_mov_b64 s[74:75], 0
	v_mov_b32_e32 v38, 30
	v_mov_b32_e32 v42, s69
	s_brev_b32 s69, 1
	v_mov_b32_e32 v43, s68
	v_mov_b32_e32 v18, 1
	;; [unrolled: 1-line block ×7, first 2 shown]
                                        ; implicit-def: $sgpr78_sgpr79
                                        ; implicit-def: $sgpr62_sgpr63
                                        ; implicit-def: $sgpr60_sgpr61
                                        ; implicit-def: $sgpr64_sgpr65
                                        ; implicit-def: $sgpr82_sgpr83
                                        ; implicit-def: $sgpr66_sgpr67
	s_branch .LBB18_7
.LBB18_4:                               ;   in Loop: Header=BB18_7 Depth=1
	s_or_b64 exec, exec, s[30:31]
	s_and_b64 s[30:31], s[28:29], exec
	s_andn2_b64 s[26:27], s[26:27], exec
	s_andn2_b64 s[24:25], s[24:25], exec
	s_orn2_b64 s[20:21], s[20:21], exec
.LBB18_5:                               ;   in Loop: Header=BB18_7 Depth=1
	s_or_b64 exec, exec, s[22:23]
	s_andn2_b64 s[16:17], s[66:67], exec
	s_and_b64 s[22:23], s[30:31], exec
	s_or_b64 s[66:67], s[16:17], s[22:23]
	s_andn2_b64 s[16:17], s[82:83], exec
	s_and_b64 s[22:23], s[26:27], exec
	s_or_b64 s[82:83], s[16:17], s[22:23]
	s_andn2_b64 s[16:17], s[64:65], exec
	s_and_b64 s[22:23], s[24:25], exec
	s_or_b64 s[64:65], s[16:17], s[22:23]
	s_orn2_b64 s[20:21], s[20:21], exec
.LBB18_6:                               ;   in Loop: Header=BB18_7 Depth=1
	s_or_b64 exec, exec, s[2:3]
	s_and_b64 s[2:3], exec, s[20:21]
	s_or_b64 s[74:75], s[2:3], s[74:75]
	s_andn2_b64 s[2:3], s[60:61], exec
	s_and_b64 s[16:17], s[66:67], exec
	s_or_b64 s[60:61], s[2:3], s[16:17]
	s_andn2_b64 s[2:3], s[62:63], exec
	s_and_b64 s[16:17], s[82:83], exec
	;; [unrolled: 3-line block ×3, first 2 shown]
	s_or_b64 s[78:79], s[2:3], s[16:17]
	v_mov_b32_e32 v42, v10
	s_andn2_b64 exec, exec, s[74:75]
	s_cbranch_execz .LBB18_234
.LBB18_7:                               ; =>This Loop Header: Depth=1
                                        ;     Child Loop BB18_13 Depth 2
                                        ;     Child Loop BB18_28 Depth 2
	;; [unrolled: 1-line block ×17, first 2 shown]
	ds_read_b64 v[2:3], v11 offset:4096
	s_waitcnt lgkmcnt(0)
	v_readfirstlane_b32 s90, v2
	s_cmp_gt_i32 s90, 0
	s_cbranch_scc1 .LBB18_35
; %bb.8:                                ;   in Loop: Header=BB18_7 Depth=1
	s_and_b64 vcc, exec, s[86:87]
	s_cbranch_vccz .LBB18_21
; %bb.9:                                ;   in Loop: Header=BB18_7 Depth=1
	s_movk_i32 s2, 0x301
	v_cmp_gt_i32_e32 vcc, s2, v3
	s_mov_b64 s[20:21], 0
	s_mov_b64 s[2:3], 0
	s_cbranch_vccz .LBB18_22
; %bb.10:                               ;   in Loop: Header=BB18_7 Depth=1
	s_and_saveexec_b64 s[22:23], s[6:7]
	s_cbranch_execz .LBB18_67
; %bb.11:                               ;   in Loop: Header=BB18_7 Depth=1
	v_readlane_b32 s2, v56, 31
	v_readlane_b32 s3, v56, 32
	s_nop 4
	global_load_ushort v2, v11, s[2:3]
	global_load_dword v4, v[12:13], off
	s_mov_b64 s[24:25], 0
	s_waitcnt vmcnt(1)
	v_add_u32_e32 v5, v0, v2
	v_mul_lo_u32 v3, s71, v2
	v_mul_lo_u32 v10, s71, v5
	v_mov_b32_e32 v5, v0
	s_branch .LBB18_13
.LBB18_12:                              ;   in Loop: Header=BB18_13 Depth=2
	s_or_b64 exec, exec, s[2:3]
	v_cmp_le_i32_e32 vcc, s68, v5
	v_add_u32_e32 v10, v10, v3
	s_or_b64 s[24:25], vcc, s[24:25]
	v_mov_b32_e32 v4, v9
	s_andn2_b64 exec, exec, s[24:25]
	s_cbranch_execz .LBB18_67
.LBB18_13:                              ;   Parent Loop BB18_7 Depth=1
                                        ; =>  This Inner Loop Header: Depth=2
	v_add_u32_e32 v5, v5, v2
	v_cmp_gt_u32_e32 vcc, s68, v5
	s_waitcnt lgkmcnt(0)
	v_mov_b32_e32 v19, 0
	v_mov_b32_e32 v9, 0
	s_and_saveexec_b64 s[2:3], vcc
	s_cbranch_execz .LBB18_15
; %bb.14:                               ;   in Loop: Header=BB18_13 Depth=2
	v_lshl_add_u64 v[22:23], v[10:11], 2, s[80:81]
	global_load_dword v9, v[22:23], off
.LBB18_15:                              ;   in Loop: Header=BB18_13 Depth=2
	s_or_b64 exec, exec, s[2:3]
	s_waitcnt vmcnt(0)
	v_bitop3_b32 v20, v4, v41, s69 bitop3:0x48
	v_cmp_eq_u32_e32 vcc, v20, v34
	s_cmp_lg_u64 vcc, 0
	s_cselect_b64 s[2:3], -1, 0
	s_and_b64 s[2:3], s[18:19], s[2:3]
	s_and_saveexec_b64 s[26:27], s[2:3]
	s_cbranch_execz .LBB18_19
; %bb.16:                               ;   in Loop: Header=BB18_13 Depth=2
	s_mov_b64 s[30:31], exec
	v_mbcnt_lo_u32_b32 v19, s30, 0
	v_mbcnt_hi_u32_b32 v19, s31, v19
	s_bcnt1_i32_b64 s16, vcc
	v_cmp_eq_u32_e64 s[2:3], 0, v19
                                        ; implicit-def: $vgpr20
	s_and_saveexec_b64 s[28:29], s[2:3]
; %bb.17:                               ;   in Loop: Header=BB18_13 Depth=2
	s_bcnt1_i32_b64 s2, s[30:31]
	s_mul_i32 s2, s16, s2
	v_mov_b32_e32 v20, s2
	ds_add_rtn_u32 v20, v11, v20 offset:4104
; %bb.18:                               ;   in Loop: Header=BB18_13 Depth=2
	s_or_b64 exec, exec, s[28:29]
	s_waitcnt lgkmcnt(0)
	v_readfirstlane_b32 s2, v20
	s_nop 1
	v_mov_b32_e32 v20, s2
	v_mad_u32_u24 v19, s16, v19, v20
.LBB18_19:                              ;   in Loop: Header=BB18_13 Depth=2
	s_or_b64 exec, exec, s[26:27]
	ds_bpermute_b32 v19, v7, v19
	s_and_saveexec_b64 s[2:3], vcc
	s_cbranch_execz .LBB18_12
; %bb.20:                               ;   in Loop: Header=BB18_13 Depth=2
	v_and_b32_e32 v22, vcc_lo, v14
	v_and_b32_e32 v20, vcc_hi, v1
	v_bcnt_u32_b32 v22, v22, 0
	v_bcnt_u32_b32 v20, v20, v22
	v_lshlrev_b32_e32 v20, 2, v20
	s_waitcnt lgkmcnt(0)
	v_lshl_add_u32 v19, v19, 2, v20
	ds_write_b32 v19, v4
	s_branch .LBB18_12
.LBB18_21:                              ;   in Loop: Header=BB18_7 Depth=1
	s_mov_b64 s[20:21], -1
	s_mov_b64 s[2:3], 0
.LBB18_22:                              ;   in Loop: Header=BB18_7 Depth=1
	s_and_b64 vcc, exec, s[20:21]
	s_cbranch_vccz .LBB18_33
.LBB18_23:                              ;   in Loop: Header=BB18_7 Depth=1
	v_mov_b32_e32 v2, 0
	s_and_saveexec_b64 s[2:3], s[6:7]
	s_cbranch_execz .LBB18_25
; %bb.24:                               ;   in Loop: Header=BB18_7 Depth=1
	global_load_dword v2, v[12:13], off
.LBB18_25:                              ;   in Loop: Header=BB18_7 Depth=1
	s_or_b64 exec, exec, s[2:3]
	s_mov_b64 s[2:3], exec
	v_readlane_b32 s16, v56, 29
	v_readlane_b32 s17, v56, 30
	s_and_b64 s[16:17], s[2:3], s[16:17]
	s_mov_b64 exec, s[16:17]
	s_cbranch_execz .LBB18_30
; %bb.26:                               ;   in Loop: Header=BB18_7 Depth=1
	v_readlane_b32 s16, v56, 31
	v_readlane_b32 s17, v56, 32
	s_mov_b64 s[20:21], 0
	v_mov_b32_e32 v4, v15
	v_mov_b32_e32 v19, v0
	s_nop 1
	global_load_ushort v3, v11, s[16:17]
	s_waitcnt vmcnt(0)
	v_add_u32_e32 v10, v0, v3
	v_lshlrev_b32_e32 v5, 2, v3
	v_mul_lo_u32 v9, s71, v3
	v_mul_lo_u32 v10, s71, v10
	s_branch .LBB18_28
.LBB18_27:                              ;   in Loop: Header=BB18_28 Depth=2
	s_or_b64 exec, exec, s[22:23]
	v_cmp_le_i32_e32 vcc, s68, v19
	ds_write_b32 v4, v2
	v_add_u32_e32 v4, v4, v5
	v_add_u32_e32 v10, v10, v9
	s_or_b64 s[20:21], vcc, s[20:21]
	s_waitcnt vmcnt(0)
	v_mov_b32_e32 v2, v20
	s_andn2_b64 exec, exec, s[20:21]
	s_cbranch_execz .LBB18_30
.LBB18_28:                              ;   Parent Loop BB18_7 Depth=1
                                        ; =>  This Inner Loop Header: Depth=2
	v_add_u32_e32 v19, v19, v3
	v_cmp_gt_u32_e32 vcc, s68, v19
	v_mov_b32_e32 v20, 0
	s_and_saveexec_b64 s[22:23], vcc
	s_cbranch_execz .LBB18_27
; %bb.29:                               ;   in Loop: Header=BB18_28 Depth=2
	v_lshl_add_u64 v[22:23], v[10:11], 2, s[80:81]
	global_load_dword v20, v[22:23], off
	s_branch .LBB18_27
.LBB18_30:                              ;   in Loop: Header=BB18_7 Depth=1
	s_or_b64 exec, exec, s[2:3]
	s_waitcnt lgkmcnt(0)
	s_barrier
	s_and_saveexec_b64 s[2:3], s[0:1]
; %bb.31:                               ;   in Loop: Header=BB18_7 Depth=1
	ds_write_b32 v11, v43 offset:4096
; %bb.32:                               ;   in Loop: Header=BB18_7 Depth=1
	s_or_b64 exec, exec, s[2:3]
	s_mov_b64 s[2:3], -1
	s_waitcnt lgkmcnt(0)
	s_barrier
.LBB18_33:                              ;   in Loop: Header=BB18_7 Depth=1
	s_and_b64 vcc, exec, s[2:3]
	s_cbranch_vccz .LBB18_35
; %bb.34:                               ;   in Loop: Header=BB18_7 Depth=1
	s_waitcnt vmcnt(0)
	ds_read_b32 v2, v11 offset:4096
	s_waitcnt lgkmcnt(0)
	v_readfirstlane_b32 s90, v2
.LBB18_35:                              ;   in Loop: Header=BB18_7 Depth=1
	s_cmp_lt_i32 s90, 1
	s_mov_b64 s[2:3], -1
                                        ; implicit-def: $vgpr5
	s_cbranch_scc1 .LBB18_45
; %bb.36:                               ;   in Loop: Header=BB18_7 Depth=1
	s_and_b64 vcc, exec, s[2:3]
	s_cbranch_vccnz .LBB18_58
.LBB18_37:                              ;   in Loop: Header=BB18_7 Depth=1
	s_waitcnt vmcnt(0)
	v_lshlrev_b32_e32 v10, 6, v40
	s_and_saveexec_b64 s[2:3], s[18:19]
.LBB18_38:                              ;   in Loop: Header=BB18_7 Depth=1
	v_lshl_add_u32 v9, v10, 2, v28
	ds_write_b128 v9, v[2:5]
.LBB18_39:                              ;   in Loop: Header=BB18_7 Depth=1
	s_or_b64 exec, exec, s[2:3]
	s_waitcnt lgkmcnt(0)
	s_barrier
	s_and_saveexec_b64 s[2:3], s[84:85]
	s_cbranch_execz .LBB18_78
; %bb.40:                               ;   in Loop: Header=BB18_7 Depth=1
	v_add_u32_e32 v4, v10, v26
	s_andn2_b64 vcc, exec, s[88:89]
	v_mov_b32_e32 v2, 0
	s_cbranch_vccnz .LBB18_77
; %bb.41:                               ;   in Loop: Header=BB18_7 Depth=1
	v_readlane_b32 s16, v56, 33
	v_readlane_b32 s17, v56, 34
	s_andn2_b64 vcc, exec, s[16:17]
	s_cbranch_vccnz .LBB18_70
; %bb.42:                               ;   in Loop: Header=BB18_7 Depth=1
	v_readlane_b32 s16, v56, 35
	v_readlane_b32 s17, v56, 36
	s_andn2_b64 vcc, exec, s[16:17]
	v_lshl_add_u32 v5, v4, 2, v39
	s_cbranch_vccnz .LBB18_71
; %bb.43:                               ;   in Loop: Header=BB18_7 Depth=1
	s_mov_b32 s21, 1
	s_mov_b32 s20, 0
	v_mov_b32_e32 v2, 0
	v_mov_b32_e32 v3, 0
	v_readlane_b32 s16, v56, 37
.LBB18_44:                              ;   Parent Loop BB18_7 Depth=1
                                        ; =>  This Inner Loop Header: Depth=2
	v_lshl_add_u32 v9, s20, 4, v5
	v_lshl_add_u32 v19, s21, 4, v5
	ds_read2_b32 v[22:23], v9 offset1:8
	ds_read2_b32 v[24:25], v19 offset1:8
	ds_read2_b32 v[44:45], v9 offset0:16 offset1:24
	ds_read2_b32 v[46:47], v19 offset0:16 offset1:24
	;; [unrolled: 1-line block ×6, first 2 shown]
	s_waitcnt lgkmcnt(7)
	v_add3_u32 v2, v22, v2, v23
	s_waitcnt lgkmcnt(6)
	v_add3_u32 v3, v24, v3, v25
	;; [unrolled: 2-line block ×3, first 2 shown]
	v_add3_u32 v2, v44, v2, v45
	s_add_i32 s21, s21, 16
	s_add_i32 s20, s20, 16
	s_add_i32 s16, s16, -8
	s_waitcnt lgkmcnt(3)
	v_add3_u32 v2, v48, v2, v49
	s_waitcnt lgkmcnt(2)
	v_add3_u32 v3, v50, v3, v51
	s_cmp_lg_u32 s16, 0
	s_waitcnt lgkmcnt(0)
	v_add3_u32 v3, v54, v3, v55
	v_add3_u32 v2, v52, v2, v53
	s_cbranch_scc1 .LBB18_44
	s_branch .LBB18_72
.LBB18_45:                              ;   in Loop: Header=BB18_7 Depth=1
	s_waitcnt vmcnt(0)
	v_mov_b32_e32 v2, 0
	v_mov_b32_e32 v3, 0
	;; [unrolled: 1-line block ×4, first 2 shown]
	s_and_saveexec_b64 s[72:73], s[10:11]
	s_cbranch_execnz .LBB18_48
; %bb.46:                               ;   in Loop: Header=BB18_7 Depth=1
	s_or_b64 exec, exec, s[72:73]
	v_mov_b32_e32 v10, 0
	s_and_saveexec_b64 s[2:3], s[12:13]
	s_cbranch_execnz .LBB18_51
.LBB18_47:                              ;   in Loop: Header=BB18_7 Depth=1
	s_or_b64 exec, exec, s[2:3]
	s_and_saveexec_b64 s[20:21], s[14:15]
	s_cbranch_execnz .LBB18_52
	s_branch .LBB18_57
.LBB18_48:                              ;   in Loop: Header=BB18_7 Depth=1
	s_mov_b32 s91, 0
	s_mov_b64 s[76:77], 0
	s_mov_b32 s92, 0
	s_mov_b32 s93, 0
	;; [unrolled: 1-line block ×4, first 2 shown]
	v_mov_b32_e32 v9, v15
.LBB18_49:                              ;   Parent Loop BB18_7 Depth=1
                                        ; =>  This Inner Loop Header: Depth=2
	v_add_u32_e32 v2, s91, v33
	v_add_u32_e32 v4, s91, v30
	;; [unrolled: 1-line block ×4, first 2 shown]
	v_ashrrev_i32_e32 v3, 31, v2
	v_ashrrev_i32_e32 v5, 31, v4
	v_ashrrev_i32_e32 v23, 31, v22
	v_ashrrev_i32_e32 v25, 31, v24
	v_lshl_add_u64 v[2:3], v[2:3], 2, s[80:81]
	v_lshl_add_u64 v[4:5], v[4:5], 2, s[80:81]
	;; [unrolled: 1-line block ×4, first 2 shown]
	global_load_dword v2, v[2:3], off
	s_nop 0
	global_load_dword v3, v[4:5], off
	s_nop 0
	global_load_dword v4, v[22:23], off
	global_load_dword v5, v[24:25], off
	v_add_u32_e32 v9, s94, v9
	s_add_i32 s91, s91, s8
	v_cmp_le_i32_e32 vcc, s99, v9
	s_waitcnt vmcnt(3)
	v_xor_b32_e32 v10, 0x80000000, v2
	v_bitop3_b32 v2, v2, v41, s69 bitop3:0x48
	s_waitcnt vmcnt(2)
	v_xor_b32_e32 v19, 0x80000000, v3
	v_bitop3_b32 v3, v3, v41, s69 bitop3:0x48
	v_cmp_eq_u32_e64 s[2:3], v2, v34
	v_bfe_u32 v2, v10, v38, 2
	s_waitcnt vmcnt(1)
	v_xor_b32_e32 v20, 0x80000000, v4
	v_bitop3_b32 v4, v4, v41, s69 bitop3:0x48
	v_cmp_eq_u32_e64 s[20:21], v3, v34
	v_bfe_u32 v3, v19, v38, 2
	v_cmp_eq_u32_e64 s[26:27], 0, v2
	s_waitcnt vmcnt(0)
	v_xor_b32_e32 v22, 0x80000000, v5
	v_bitop3_b32 v5, v5, v41, s69 bitop3:0x48
	v_cmp_eq_u32_e64 s[22:23], v4, v34
	v_bfe_u32 v4, v20, v38, 2
	v_cmp_eq_u32_e64 s[28:29], 0, v3
	s_and_b64 s[26:27], s[2:3], s[26:27]
	v_cmp_eq_u32_e64 s[24:25], v5, v34
	v_bfe_u32 v5, v22, v38, 2
	v_cmp_eq_u32_e64 s[30:31], 0, v4
	v_cmp_eq_u32_e64 s[36:37], 1, v2
	;; [unrolled: 1-line block ×4, first 2 shown]
	v_cndmask_b32_e64 v2, 0, 1, s[26:27]
	s_and_b64 s[26:27], s[20:21], s[28:29]
	v_cmp_eq_u32_e64 s[34:35], 0, v5
	v_cmp_eq_u32_e64 s[38:39], 1, v3
	v_cmp_eq_u32_e64 s[46:47], 2, v3
	v_cmp_eq_u32_e64 s[54:55], 3, v3
	v_cndmask_b32_e64 v3, 0, 1, s[26:27]
	s_and_b64 s[26:27], s[22:23], s[30:31]
	v_cmp_eq_u32_e64 s[40:41], 1, v4
	v_cmp_eq_u32_e64 s[48:49], 2, v4
	;; [unrolled: 1-line block ×3, first 2 shown]
	v_cndmask_b32_e64 v4, 0, 1, s[26:27]
	s_and_b64 s[26:27], s[24:25], s[34:35]
	v_cmp_eq_u32_e64 s[42:43], 1, v5
	v_cmp_eq_u32_e64 s[50:51], 2, v5
	;; [unrolled: 1-line block ×3, first 2 shown]
	v_cndmask_b32_e64 v5, 0, 1, s[26:27]
	s_and_b64 s[26:27], s[2:3], s[36:37]
	v_cndmask_b32_e64 v10, 0, 1, s[26:27]
	s_and_b64 s[26:27], s[20:21], s[38:39]
	v_cndmask_b32_e64 v19, 0, 1, s[26:27]
	s_and_b64 s[26:27], s[22:23], s[40:41]
	v_cndmask_b32_e64 v20, 0, 1, s[26:27]
	s_and_b64 s[26:27], s[24:25], s[42:43]
	v_cndmask_b32_e64 v22, 0, 1, s[26:27]
	s_and_b64 s[26:27], s[2:3], s[44:45]
	s_and_b64 s[2:3], s[2:3], s[52:53]
	v_cndmask_b32_e64 v23, 0, 1, s[26:27]
	s_and_b64 s[26:27], s[20:21], s[46:47]
	v_cndmask_b32_e64 v45, 0, 1, s[2:3]
	;; [unrolled: 2-line block ×7, first 2 shown]
	v_cndmask_b32_e64 v48, 0, 1, s[2:3]
	v_cmp_ne_u32_e64 s[2:3], 0, v2
	v_cmp_ne_u32_e64 s[20:21], 0, v3
	;; [unrolled: 1-line block ×11, first 2 shown]
	s_bcnt1_i32_b64 s2, s[2:3]
	s_bcnt1_i32_b64 s3, s[20:21]
	;; [unrolled: 1-line block ×8, first 2 shown]
	v_cmp_ne_u32_e64 s[34:35], 0, v22
	v_cmp_ne_u32_e64 s[40:41], 0, v25
	;; [unrolled: 1-line block ×3, first 2 shown]
	s_bcnt1_i32_b64 s23, s[28:29]
	s_bcnt1_i32_b64 s27, s[38:39]
	;; [unrolled: 1-line block ×3, first 2 shown]
	s_add_i32 s2, s17, s2
	s_add_i32 s16, s16, s22
	;; [unrolled: 1-line block ×4, first 2 shown]
	v_cmp_ne_u32_e64 s[42:43], 0, v44
	v_cmp_ne_u32_e64 s[50:51], 0, v48
	s_bcnt1_i32_b64 s25, s[34:35]
	s_bcnt1_i32_b64 s28, s[40:41]
	s_bcnt1_i32_b64 s34, s[48:49]
	s_add_i32 s2, s2, s3
	s_add_i32 s3, s16, s23
	s_add_i32 s16, s17, s27
	s_add_i32 s17, s22, s31
	s_bcnt1_i32_b64 s29, s[42:43]
	s_bcnt1_i32_b64 s35, s[50:51]
	s_add_i32 s2, s2, s20
	s_add_i32 s3, s3, s24
	;; [unrolled: 1-line block ×8, first 2 shown]
	s_or_b64 s[76:77], vcc, s[76:77]
	v_mov_b32_e32 v2, s17
	v_mov_b32_e32 v3, s16
	;; [unrolled: 1-line block ×4, first 2 shown]
	s_andn2_b64 exec, exec, s[76:77]
	s_cbranch_execnz .LBB18_49
; %bb.50:                               ;   in Loop: Header=BB18_7 Depth=1
	s_or_b64 exec, exec, s[76:77]
	s_or_b64 exec, exec, s[72:73]
	v_mov_b32_e32 v10, 0
	s_and_saveexec_b64 s[2:3], s[12:13]
	s_cbranch_execz .LBB18_47
.LBB18_51:                              ;   in Loop: Header=BB18_7 Depth=1
	global_load_dword v10, v[16:17], off
	s_or_b64 exec, exec, s[2:3]
	s_and_saveexec_b64 s[20:21], s[14:15]
	s_cbranch_execz .LBB18_57
.LBB18_52:                              ;   in Loop: Header=BB18_7 Depth=1
	s_mov_b64 s[22:23], 0
	v_mov_b32_e32 v22, v35
	v_mov_b32_e32 v9, v29
	s_branch .LBB18_54
.LBB18_53:                              ;   in Loop: Header=BB18_54 Depth=2
	s_or_b64 exec, exec, s[2:3]
	s_waitcnt vmcnt(0)
	v_xor_b32_e32 v20, 0x80000000, v10
	v_bitop3_b32 v10, v10, v41, s69 bitop3:0x48
	v_cmp_eq_u32_e32 vcc, v10, v34
	v_bfe_u32 v10, v20, v38, 2
	v_cmp_eq_u32_e64 s[2:3], 0, v10
	s_and_b64 s[2:3], vcc, s[2:3]
	v_add_u32_e32 v22, s95, v22
	v_cndmask_b32_e64 v20, 0, 1, s[2:3]
	v_cmp_ne_u32_e64 s[2:3], 0, v20
	s_bcnt1_i32_b64 s2, s[2:3]
	s_nop 0
	v_add_u32_e32 v2, s2, v2
	v_cmp_eq_u32_e64 s[2:3], 1, v10
	s_and_b64 s[2:3], vcc, s[2:3]
	s_nop 0
	v_cndmask_b32_e64 v20, 0, 1, s[2:3]
	v_cmp_ne_u32_e64 s[2:3], 0, v20
	s_bcnt1_i32_b64 s2, s[2:3]
	s_nop 0
	v_add_u32_e32 v3, s2, v3
	v_cmp_eq_u32_e64 s[2:3], 2, v10
	s_and_b64 s[2:3], vcc, s[2:3]
	s_nop 0
	;; [unrolled: 8-line block ×3, first 2 shown]
	v_cndmask_b32_e64 v10, 0, 1, s[2:3]
	v_cmp_ne_u32_e32 vcc, 0, v10
	s_bcnt1_i32_b64 s2, vcc
	v_cmp_le_i32_e32 vcc, s68, v9
	v_add_u32_e32 v5, s2, v5
	s_or_b64 s[22:23], vcc, s[22:23]
	v_mov_b32_e32 v10, v19
	s_andn2_b64 exec, exec, s[22:23]
	s_cbranch_execz .LBB18_56
.LBB18_54:                              ;   Parent Loop BB18_7 Depth=1
                                        ; =>  This Inner Loop Header: Depth=2
	v_add_u32_e32 v9, s70, v9
	v_cmp_gt_u32_e32 vcc, s68, v9
	v_mov_b32_e32 v19, 0
	s_and_saveexec_b64 s[2:3], vcc
	s_cbranch_execz .LBB18_53
; %bb.55:                               ;   in Loop: Header=BB18_54 Depth=2
	v_ashrrev_i32_e32 v23, 31, v22
	v_lshl_add_u64 v[24:25], v[22:23], 2, s[80:81]
	global_load_dword v19, v[24:25], off
	s_branch .LBB18_53
.LBB18_56:                              ;   in Loop: Header=BB18_7 Depth=1
	s_or_b64 exec, exec, s[22:23]
.LBB18_57:                              ;   in Loop: Header=BB18_7 Depth=1
	s_or_b64 exec, exec, s[20:21]
	s_branch .LBB18_37
.LBB18_58:                              ;   in Loop: Header=BB18_7 Depth=1
	s_mul_hi_u32 s2, s90, s98
	s_mul_i32 s2, s2, s94
	s_sub_i32 s2, s90, s2
	s_sub_i32 s3, s2, s94
	s_cmp_ge_u32 s2, s94
	s_cselect_b32 s2, s3, s2
	s_sub_i32 s3, s2, s94
	s_cmp_ge_u32 s2, s94
	s_cselect_b32 s2, s3, s2
	s_sub_i32 s91, s90, s2
	v_cmp_gt_u32_e32 vcc, s91, v15
	s_waitcnt vmcnt(0)
	v_mov_b32_e32 v2, 0
	v_mov_b32_e32 v3, 0
	;; [unrolled: 1-line block ×4, first 2 shown]
	s_and_saveexec_b64 s[72:73], vcc
	s_cbranch_execz .LBB18_62
; %bb.59:                               ;   in Loop: Header=BB18_7 Depth=1
	s_mov_b32 s16, 0
	s_mov_b64 s[76:77], 0
	v_mov_b32_e32 v9, v36
	s_mov_b32 s17, 0
	s_mov_b32 s92, 0
	;; [unrolled: 1-line block ×3, first 2 shown]
	v_mov_b32_e32 v10, v15
.LBB18_60:                              ;   Parent Loop BB18_7 Depth=1
                                        ; =>  This Inner Loop Header: Depth=2
	ds_read_b128 v[2:5], v9
	v_add_u32_e32 v10, s94, v10
	v_cmp_le_i32_e32 vcc, s91, v10
	v_add_u32_e32 v9, s9, v9
	s_waitcnt lgkmcnt(0)
	v_xor_b32_e32 v19, 0x80000000, v2
	v_bitop3_b32 v2, v2, v41, s69 bitop3:0x48
	v_xor_b32_e32 v20, 0x80000000, v3
	v_bitop3_b32 v3, v3, v41, s69 bitop3:0x48
	v_cmp_eq_u32_e64 s[2:3], v2, v34
	v_bfe_u32 v2, v19, v38, 2
	v_xor_b32_e32 v22, 0x80000000, v4
	v_bitop3_b32 v4, v4, v41, s69 bitop3:0x48
	v_cmp_eq_u32_e64 s[20:21], v3, v34
	v_bfe_u32 v3, v20, v38, 2
	v_cmp_eq_u32_e64 s[26:27], 0, v2
	v_xor_b32_e32 v23, 0x80000000, v5
	v_bitop3_b32 v5, v5, v41, s69 bitop3:0x48
	v_cmp_eq_u32_e64 s[22:23], v4, v34
	v_bfe_u32 v4, v22, v38, 2
	v_cmp_eq_u32_e64 s[28:29], 0, v3
	s_and_b64 s[26:27], s[2:3], s[26:27]
	v_cmp_eq_u32_e64 s[24:25], v5, v34
	v_bfe_u32 v5, v23, v38, 2
	v_cmp_eq_u32_e64 s[30:31], 0, v4
	v_cmp_eq_u32_e64 s[36:37], 1, v2
	;; [unrolled: 1-line block ×4, first 2 shown]
	v_cndmask_b32_e64 v2, 0, 1, s[26:27]
	s_and_b64 s[26:27], s[20:21], s[28:29]
	v_cmp_eq_u32_e64 s[34:35], 0, v5
	v_cmp_eq_u32_e64 s[38:39], 1, v3
	;; [unrolled: 1-line block ×4, first 2 shown]
	v_cndmask_b32_e64 v3, 0, 1, s[26:27]
	s_and_b64 s[26:27], s[22:23], s[30:31]
	v_cmp_eq_u32_e64 s[40:41], 1, v4
	v_cmp_eq_u32_e64 s[48:49], 2, v4
	;; [unrolled: 1-line block ×3, first 2 shown]
	v_cndmask_b32_e64 v4, 0, 1, s[26:27]
	s_and_b64 s[26:27], s[24:25], s[34:35]
	v_cmp_eq_u32_e64 s[42:43], 1, v5
	v_cmp_eq_u32_e64 s[50:51], 2, v5
	;; [unrolled: 1-line block ×3, first 2 shown]
	v_cndmask_b32_e64 v5, 0, 1, s[26:27]
	s_and_b64 s[26:27], s[2:3], s[36:37]
	v_cndmask_b32_e64 v19, 0, 1, s[26:27]
	s_and_b64 s[26:27], s[20:21], s[38:39]
	;; [unrolled: 2-line block ×5, first 2 shown]
	s_and_b64 s[2:3], s[2:3], s[52:53]
	v_cndmask_b32_e64 v24, 0, 1, s[26:27]
	s_and_b64 s[26:27], s[20:21], s[46:47]
	v_cndmask_b32_e64 v46, 0, 1, s[2:3]
	;; [unrolled: 2-line block ×7, first 2 shown]
	v_cndmask_b32_e64 v49, 0, 1, s[2:3]
	v_cmp_ne_u32_e64 s[2:3], 0, v2
	v_cmp_ne_u32_e64 s[20:21], 0, v3
	;; [unrolled: 1-line block ×11, first 2 shown]
	s_bcnt1_i32_b64 s2, s[2:3]
	s_bcnt1_i32_b64 s3, s[20:21]
	;; [unrolled: 1-line block ×8, first 2 shown]
	v_cmp_ne_u32_e64 s[34:35], 0, v23
	v_cmp_ne_u32_e64 s[40:41], 0, v44
	v_cmp_ne_u32_e64 s[48:49], 0, v48
	s_bcnt1_i32_b64 s23, s[28:29]
	s_bcnt1_i32_b64 s27, s[38:39]
	;; [unrolled: 1-line block ×3, first 2 shown]
	s_add_i32 s2, s93, s2
	s_add_i32 s22, s92, s22
	;; [unrolled: 1-line block ×4, first 2 shown]
	v_cmp_ne_u32_e64 s[42:43], 0, v45
	v_cmp_ne_u32_e64 s[50:51], 0, v49
	s_bcnt1_i32_b64 s25, s[34:35]
	s_bcnt1_i32_b64 s28, s[40:41]
	;; [unrolled: 1-line block ×3, first 2 shown]
	s_add_i32 s2, s2, s3
	s_add_i32 s3, s22, s23
	;; [unrolled: 1-line block ×4, first 2 shown]
	s_bcnt1_i32_b64 s29, s[42:43]
	s_bcnt1_i32_b64 s35, s[50:51]
	s_add_i32 s2, s2, s20
	s_add_i32 s3, s3, s24
	;; [unrolled: 1-line block ×8, first 2 shown]
	s_or_b64 s[76:77], vcc, s[76:77]
	v_mov_b32_e32 v2, s93
	v_mov_b32_e32 v3, s92
	;; [unrolled: 1-line block ×4, first 2 shown]
	s_andn2_b64 exec, exec, s[76:77]
	s_cbranch_execnz .LBB18_60
; %bb.61:                               ;   in Loop: Header=BB18_7 Depth=1
	s_or_b64 exec, exec, s[76:77]
.LBB18_62:                              ;   in Loop: Header=BB18_7 Depth=1
	s_or_b64 exec, exec, s[72:73]
	v_add_u32_e32 v9, s91, v0
	v_cmp_gt_i32_e32 vcc, s90, v9
	s_and_saveexec_b64 s[28:29], vcc
	s_cbranch_execz .LBB18_66
; %bb.63:                               ;   in Loop: Header=BB18_7 Depth=1
	v_lshlrev_b32_e32 v10, 2, v9
	s_mov_b64 s[30:31], 0
.LBB18_64:                              ;   Parent Loop BB18_7 Depth=1
                                        ; =>  This Inner Loop Header: Depth=2
	ds_read_b32 v19, v10
	v_add_u32_e32 v9, s70, v9
	v_cmp_le_i32_e32 vcc, s90, v9
	v_add_u32_e32 v10, s94, v10
	s_waitcnt lgkmcnt(0)
	v_xor_b32_e32 v20, 0x80000000, v19
	v_bitop3_b32 v19, v19, v41, s69 bitop3:0x48
	v_cmp_eq_u32_e64 s[2:3], v19, v34
	v_bfe_u32 v19, v20, v38, 2
	v_cmp_eq_u32_e64 s[20:21], 0, v19
	v_cmp_eq_u32_e64 s[22:23], 1, v19
	s_and_b64 s[16:17], s[2:3], s[20:21]
	v_cmp_eq_u32_e64 s[24:25], 2, v19
	v_cmp_eq_u32_e64 s[26:27], 3, v19
	v_cndmask_b32_e64 v19, 0, 1, s[16:17]
	s_and_b64 s[16:17], s[2:3], s[22:23]
	v_cndmask_b32_e64 v20, 0, 1, s[16:17]
	s_and_b64 s[16:17], s[2:3], s[24:25]
	s_and_b64 s[2:3], s[2:3], s[26:27]
	v_cndmask_b32_e64 v22, 0, 1, s[16:17]
	v_cndmask_b32_e64 v23, 0, 1, s[2:3]
	v_cmp_ne_u32_e64 s[2:3], 0, v19
	v_cmp_ne_u32_e64 s[20:21], 0, v20
	;; [unrolled: 1-line block ×4, first 2 shown]
	s_bcnt1_i32_b64 s2, s[2:3]
	s_bcnt1_i32_b64 s3, s[20:21]
	;; [unrolled: 1-line block ×4, first 2 shown]
	v_add_u32_e32 v2, s2, v2
	v_add_u32_e32 v3, s3, v3
	;; [unrolled: 1-line block ×3, first 2 shown]
	s_or_b64 s[30:31], vcc, s[30:31]
	v_add_u32_e32 v5, s17, v5
	s_andn2_b64 exec, exec, s[30:31]
	s_cbranch_execnz .LBB18_64
; %bb.65:                               ;   in Loop: Header=BB18_7 Depth=1
	s_or_b64 exec, exec, s[30:31]
.LBB18_66:                              ;   in Loop: Header=BB18_7 Depth=1
	s_or_b64 exec, exec, s[28:29]
	v_lshlrev_b32_e32 v10, 6, v40
	s_and_saveexec_b64 s[2:3], s[18:19]
	s_cbranch_execnz .LBB18_38
	s_branch .LBB18_39
.LBB18_67:                              ;   in Loop: Header=BB18_7 Depth=1
	s_or_b64 exec, exec, s[22:23]
	s_waitcnt lgkmcnt(0)
	s_barrier
	s_and_saveexec_b64 s[2:3], s[0:1]
	s_cbranch_execz .LBB18_69
; %bb.68:                               ;   in Loop: Header=BB18_7 Depth=1
	ds_read_b32 v2, v11 offset:4104
	s_waitcnt lgkmcnt(0)
	ds_write_b32 v11, v2 offset:4096
.LBB18_69:                              ;   in Loop: Header=BB18_7 Depth=1
	s_or_b64 exec, exec, s[2:3]
	s_waitcnt lgkmcnt(0)
	s_barrier
	s_mov_b64 s[2:3], -1
	s_and_b64 vcc, exec, s[20:21]
	s_cbranch_vccnz .LBB18_23
	s_branch .LBB18_33
.LBB18_70:                              ;   in Loop: Header=BB18_7 Depth=1
	v_mov_b32_e32 v2, 0
	s_mov_b32 s16, 0
	s_cbranch_execnz .LBB18_75
	s_branch .LBB18_77
.LBB18_71:                              ;   in Loop: Header=BB18_7 Depth=1
	v_mov_b32_e32 v9, v8
	s_mov_b32 s20, 0
	v_mov_b64_e32 v[2:3], v[8:9]
	s_mov_b32 s21, 1
.LBB18_72:                              ;   in Loop: Header=BB18_7 Depth=1
	v_readlane_b32 s16, v56, 39
	v_readlane_b32 s17, v56, 40
	s_andn2_b64 vcc, exec, s[16:17]
	v_readlane_b32 s16, v56, 38
	s_cbranch_vccnz .LBB18_74
.LBB18_73:                              ;   Parent Loop BB18_7 Depth=1
                                        ; =>  This Inner Loop Header: Depth=2
	v_lshl_add_u32 v9, s20, 4, v5
	v_lshl_add_u32 v19, s21, 4, v5
	ds_read_b32 v19, v19
	ds_read_b32 v9, v9
	s_add_i32 s21, s21, 2
	s_add_i32 s20, s20, 2
	s_add_i32 s16, s16, -1
	s_cmp_lg_u32 s16, 0
	s_waitcnt lgkmcnt(1)
	v_add_u32_e32 v3, v19, v3
	s_waitcnt lgkmcnt(0)
	v_add_u32_e32 v2, v9, v2
	s_cbranch_scc1 .LBB18_73
.LBB18_74:                              ;   in Loop: Header=BB18_7 Depth=1
	v_readlane_b32 s20, v56, 43
	v_add_u32_e32 v2, v2, v3
	v_readlane_b32 s16, v56, 42
	v_readlane_b32 s21, v56, 44
	s_and_b64 vcc, exec, s[20:21]
	s_cbranch_vccz .LBB18_77
.LBB18_75:                              ;   in Loop: Header=BB18_7 Depth=1
	v_lshlrev_b32_e32 v3, 8, v40
	s_lshl_b32 s17, s16, 4
	v_add_u32_e32 v3, s17, v3
	v_readlane_b32 s17, v56, 41
	v_add_u32_e32 v3, v37, v3
	s_sub_i32 s16, s17, s16
.LBB18_76:                              ;   Parent Loop BB18_7 Depth=1
                                        ; =>  This Inner Loop Header: Depth=2
	ds_read_b32 v5, v3
	s_add_i32 s16, s16, -1
	v_add_u32_e32 v3, 16, v3
	s_cmp_eq_u32 s16, 0
	s_waitcnt lgkmcnt(0)
	v_add_u32_e32 v2, v5, v2
	s_cbranch_scc0 .LBB18_76
.LBB18_77:                              ;   in Loop: Header=BB18_7 Depth=1
	v_lshlrev_b32_e32 v3, 2, v4
	ds_write_b32 v3, v2 offset:3072
.LBB18_78:                              ;   in Loop: Header=BB18_7 Depth=1
	s_or_b64 exec, exec, s[2:3]
	v_lshlrev_b32_e32 v2, 2, v10
	s_waitcnt lgkmcnt(0)
	s_barrier
	ds_read_b128 v[2:5], v2 offset:3072
	v_cmp_eq_u32_e32 vcc, 1, v42
	s_mov_b64 s[20:21], -1
	s_mov_b64 s[28:29], -1
                                        ; implicit-def: $sgpr26_sgpr27
                                        ; implicit-def: $sgpr24_sgpr25
	s_waitcnt lgkmcnt(0)
	v_readfirstlane_b32 s42, v2
	s_cmp_eq_u32 s42, 1
	v_readfirstlane_b32 s54, v4
	v_lshlrev_b32_e64 v4, v38, 3
	s_cselect_b64 s[2:3], -1, 0
	v_readfirstlane_b32 s46, v3
	v_readfirstlane_b32 s76, v5
	v_not_b32_e32 v9, v4
	s_and_b64 s[22:23], s[2:3], vcc
	s_and_saveexec_b64 s[2:3], s[22:23]
	s_cbranch_execz .LBB18_104
; %bb.79:                               ;   in Loop: Header=BB18_7 Depth=1
	ds_read_b32 v2, v11 offset:4096
	s_waitcnt lgkmcnt(0)
	s_barrier
	v_readfirstlane_b32 s16, v2
	s_and_saveexec_b64 s[24:25], s[4:5]
; %bb.80:                               ;   in Loop: Header=BB18_7 Depth=1
	ds_write_b32 v27, v11
; %bb.81:                               ;   in Loop: Header=BB18_7 Depth=1
	s_or_b64 exec, exec, s[24:25]
	v_and_b32_e32 v34, v34, v9
	v_or_b32_e32 v41, v41, v4
	s_mov_b64 s[24:25], -1
	s_mov_b64 s[26:27], 0
	s_cmp_lt_i32 s16, 1
	s_mov_b64 s[28:29], 0
	s_mov_b64 s[30:31], -1
	s_waitcnt lgkmcnt(0)
	s_barrier
                                        ; implicit-def: $vgpr21
	s_cbranch_scc0 .LBB18_92
; %bb.82:                               ;   in Loop: Header=BB18_7 Depth=1
	s_mov_b64 s[30:31], 0
                                        ; implicit-def: $vgpr21
	s_mov_b64 s[34:35], exec
	v_readlane_b32 s36, v56, 45
	v_readlane_b32 s37, v56, 46
	s_and_b64 s[36:37], s[34:35], s[36:37]
	s_mov_b64 exec, s[36:37]
	s_cbranch_execz .LBB18_91
; %bb.83:                               ;   in Loop: Header=BB18_7 Depth=1
	v_mov_b32_e32 v2, v6
	v_mov_b32_e32 v5, v0
                                        ; implicit-def: $sgpr36_sgpr37
	s_branch .LBB18_86
.LBB18_84:                              ;   in Loop: Header=BB18_86 Depth=2
	s_or_b64 exec, exec, s[38:39]
	s_waitcnt lgkmcnt(0)
	s_barrier
	ds_read_b64 v[20:21], v11 offset:3072
	s_mov_b64 s[38:39], -1
	s_mov_b64 s[40:41], -1
	s_waitcnt lgkmcnt(0)
	s_barrier
	v_cmp_ne_u32_e32 vcc, 0, v20
	s_cbranch_vccz .LBB18_89
.LBB18_85:                              ;   in Loop: Header=BB18_86 Depth=2
	s_and_b64 s[38:39], exec, s[38:39]
	s_or_b64 s[28:29], s[38:39], s[28:29]
	s_andn2_b64 s[36:37], s[36:37], exec
	s_and_b64 s[38:39], s[40:41], exec
	s_or_b64 s[36:37], s[36:37], s[38:39]
	s_andn2_b64 exec, exec, s[28:29]
	s_cbranch_execz .LBB18_90
.LBB18_86:                              ;   Parent Loop BB18_7 Depth=1
                                        ; =>  This Inner Loop Header: Depth=2
	v_cmp_gt_i32_e32 vcc, s68, v5
	s_and_saveexec_b64 s[38:39], vcc
	s_cbranch_execz .LBB18_84
; %bb.87:                               ;   in Loop: Header=BB18_86 Depth=2
	v_ashrrev_i32_e32 v3, 31, v2
	v_lshl_add_u64 v[20:21], v[2:3], 2, s[80:81]
	global_load_dword v19, v[20:21], off
	s_waitcnt vmcnt(0)
	v_bitop3_b32 v3, v19, v41, s69 bitop3:0x48
	v_cmp_eq_u32_e32 vcc, v3, v34
	s_and_b64 exec, exec, vcc
	s_cbranch_execz .LBB18_84
; %bb.88:                               ;   in Loop: Header=BB18_86 Depth=2
	ds_write_b64 v11, v[18:19] offset:3072
	s_branch .LBB18_84
.LBB18_89:                              ;   in Loop: Header=BB18_86 Depth=2
	v_add_u32_e32 v5, s70, v5
	v_cmp_le_i32_e32 vcc, s97, v5
	v_add_u32_e32 v2, s95, v2
	s_mov_b64 s[40:41], 0
	s_orn2_b64 s[38:39], vcc, exec
	s_branch .LBB18_85
.LBB18_90:                              ;   in Loop: Header=BB18_7 Depth=1
	s_or_b64 exec, exec, s[28:29]
	s_and_b64 s[28:29], s[36:37], exec
.LBB18_91:                              ;   in Loop: Header=BB18_7 Depth=1
	s_or_b64 exec, exec, s[34:35]
.LBB18_92:                              ;   in Loop: Header=BB18_7 Depth=1
	s_and_b64 vcc, exec, s[30:31]
	s_cbranch_vccz .LBB18_103
; %bb.93:                               ;   in Loop: Header=BB18_7 Depth=1
	s_add_i32 s17, s16, s96
	s_abs_i32 s25, s17
	s_mul_hi_u32 s26, s25, s33
	s_mul_i32 s26, s26, s70
	s_sub_i32 s25, s25, s26
	s_ashr_i32 s24, s17, 31
	s_sub_i32 s26, s25, s70
	s_cmp_ge_u32 s25, s70
	s_cselect_b32 s25, s26, s25
	s_sub_i32 s26, s25, s70
	s_cmp_ge_u32 s25, s70
	s_cselect_b32 s25, s26, s25
	s_xor_b32 s25, s25, s24
	s_sub_i32 s24, s24, s25
	s_add_i32 s17, s17, s24
	v_cmp_gt_i32_e32 vcc, s17, v0
                                        ; implicit-def: $vgpr21
	s_and_saveexec_b64 s[24:25], vcc
	s_cbranch_execz .LBB18_102
; %bb.94:                               ;   in Loop: Header=BB18_7 Depth=1
	s_mov_b64 s[26:27], 0
	v_mov_b32_e32 v2, v15
	v_mov_b32_e32 v3, v0
                                        ; implicit-def: $sgpr30_sgpr31
	s_branch .LBB18_97
.LBB18_95:                              ;   in Loop: Header=BB18_97 Depth=2
	s_or_b64 exec, exec, s[34:35]
	s_waitcnt lgkmcnt(0)
	s_barrier
	ds_read_b64 v[20:21], v11 offset:3072
	s_mov_b64 s[34:35], -1
	s_mov_b64 s[36:37], -1
	s_waitcnt lgkmcnt(0)
	s_barrier
	v_cmp_ne_u32_e32 vcc, 0, v20
	s_cbranch_vccz .LBB18_100
.LBB18_96:                              ;   in Loop: Header=BB18_97 Depth=2
	s_and_b64 s[34:35], exec, s[34:35]
	s_or_b64 s[26:27], s[34:35], s[26:27]
	s_andn2_b64 s[30:31], s[30:31], exec
	s_and_b64 s[34:35], s[36:37], exec
	s_or_b64 s[30:31], s[30:31], s[34:35]
	s_andn2_b64 exec, exec, s[26:27]
	s_cbranch_execz .LBB18_101
.LBB18_97:                              ;   Parent Loop BB18_7 Depth=1
                                        ; =>  This Inner Loop Header: Depth=2
	v_cmp_gt_i32_e32 vcc, s16, v3
	s_and_saveexec_b64 s[34:35], vcc
	s_cbranch_execz .LBB18_95
; %bb.98:                               ;   in Loop: Header=BB18_97 Depth=2
	ds_read_b32 v19, v2
	s_waitcnt lgkmcnt(0)
	v_bitop3_b32 v5, v19, v41, s69 bitop3:0x48
	v_cmp_eq_u32_e32 vcc, v5, v34
	s_and_b64 exec, exec, vcc
	s_cbranch_execz .LBB18_95
; %bb.99:                               ;   in Loop: Header=BB18_97 Depth=2
	ds_write_b64 v11, v[18:19] offset:3072
	s_branch .LBB18_95
.LBB18_100:                             ;   in Loop: Header=BB18_97 Depth=2
	v_add_u32_e32 v3, s70, v3
	v_cmp_le_i32_e32 vcc, s17, v3
	v_add_u32_e32 v2, s94, v2
	s_mov_b64 s[36:37], 0
	s_orn2_b64 s[34:35], vcc, exec
	s_branch .LBB18_96
.LBB18_101:                             ;   in Loop: Header=BB18_7 Depth=1
	s_or_b64 exec, exec, s[26:27]
	s_andn2_b64 s[16:17], s[28:29], exec
	s_and_b64 s[26:27], s[30:31], exec
	s_or_b64 s[28:29], s[16:17], s[26:27]
.LBB18_102:                             ;   in Loop: Header=BB18_7 Depth=1
	s_or_b64 exec, exec, s[24:25]
	s_mov_b64 s[24:25], 0
	s_mov_b64 s[26:27], -1
.LBB18_103:                             ;   in Loop: Header=BB18_7 Depth=1
	s_orn2_b64 s[28:29], s[28:29], exec
.LBB18_104:                             ;   in Loop: Header=BB18_7 Depth=1
	s_or_b64 exec, exec, s[2:3]
	s_andn2_b64 s[2:3], s[82:83], exec
	s_and_b64 s[16:17], s[26:27], exec
	s_or_b64 s[82:83], s[2:3], s[16:17]
	s_andn2_b64 s[2:3], s[64:65], exec
	s_and_b64 s[16:17], s[24:25], exec
	s_andn2_b64 s[66:67], s[66:67], exec
	s_or_b64 s[64:65], s[2:3], s[16:17]
                                        ; implicit-def: $vgpr10
	s_and_saveexec_b64 s[2:3], s[28:29]
	s_cbranch_execz .LBB18_6
; %bb.105:                              ;   in Loop: Header=BB18_7 Depth=1
	s_xor_b64 s[16:17], s[22:23], -1
	s_mov_b64 s[22:23], 0
	v_mov_b32_e32 v10, 1
	v_mov_b32_e32 v5, 1
	s_and_saveexec_b64 s[20:21], s[16:17]
	s_cbranch_execz .LBB18_114
; %bb.106:                              ;   in Loop: Header=BB18_7 Depth=1
	v_cmp_ge_i32_e32 vcc, s42, v42
	s_and_saveexec_b64 s[16:17], vcc
	s_xor_b64 s[22:23], exec, s[16:17]
	s_cbranch_execz .LBB18_111
; %bb.107:                              ;   in Loop: Header=BB18_7 Depth=1
	ds_read_b32 v2, v11 offset:4096
	v_and_b32_e32 v34, v34, v9
	v_or_b32_e32 v41, v41, v4
	s_waitcnt lgkmcnt(0)
	v_cmp_ne_u32_e32 vcc, 0, v2
	s_cbranch_vccnz .LBB18_111
; %bb.108:                              ;   in Loop: Header=BB18_7 Depth=1
	s_and_saveexec_b64 s[24:25], s[0:1]
; %bb.109:                              ;   in Loop: Header=BB18_7 Depth=1
	v_mov_b32_e32 v2, s42
	ds_write_b32 v11, v2 offset:4100
; %bb.110:                              ;   in Loop: Header=BB18_7 Depth=1
	s_or_b64 exec, exec, s[24:25]
	s_waitcnt lgkmcnt(0)
	s_barrier
.LBB18_111:                             ;   in Loop: Header=BB18_7 Depth=1
	s_or_saveexec_b64 s[22:23], s[22:23]
	s_mov_b64 s[24:25], 0
	v_mov_b32_e32 v5, 8
	s_xor_b64 exec, exec, s[22:23]
; %bb.112:                              ;   in Loop: Header=BB18_7 Depth=1
	s_mov_b64 s[24:25], exec
	v_subrev_u32_e32 v42, s42, v42
	v_mov_b32_e32 v5, 0
; %bb.113:                              ;   in Loop: Header=BB18_7 Depth=1
	s_or_b64 exec, exec, s[22:23]
	s_and_b64 s[22:23], s[24:25], exec
	v_mov_b32_e32 v10, v42
.LBB18_114:                             ;   in Loop: Header=BB18_7 Depth=1
	s_or_b64 exec, exec, s[20:21]
	s_mov_b64 s[20:21], -1
	s_mov_b64 s[28:29], -1
                                        ; implicit-def: $sgpr24_sgpr25
                                        ; implicit-def: $sgpr26_sgpr27
	s_and_saveexec_b64 s[16:17], s[22:23]
	s_xor_b64 s[22:23], exec, s[16:17]
	s_cbranch_execz .LBB18_231
; %bb.115:                              ;   in Loop: Header=BB18_7 Depth=1
	s_cmp_eq_u32 s46, 1
	s_cselect_b64 s[16:17], -1, 0
	v_cmp_eq_u32_e32 vcc, 1, v10
	s_and_b64 s[30:31], s[16:17], vcc
	s_mov_b64 s[34:35], -1
                                        ; implicit-def: $sgpr26_sgpr27
                                        ; implicit-def: $sgpr24_sgpr25
	s_and_saveexec_b64 s[28:29], s[30:31]
	s_cbranch_execz .LBB18_141
; %bb.116:                              ;   in Loop: Header=BB18_7 Depth=1
	ds_read_b32 v2, v11 offset:4096
	s_waitcnt lgkmcnt(0)
	s_barrier
	v_readfirstlane_b32 s16, v2
	s_and_saveexec_b64 s[24:25], s[4:5]
; %bb.117:                              ;   in Loop: Header=BB18_7 Depth=1
	ds_write_b32 v27, v11
; %bb.118:                              ;   in Loop: Header=BB18_7 Depth=1
	s_or_b64 exec, exec, s[24:25]
	v_and_b32_e32 v2, v34, v9
	v_lshl_or_b32 v34, 1, v38, v2
	v_or_b32_e32 v41, v41, v4
	s_mov_b64 s[24:25], -1
	s_mov_b64 s[26:27], 0
	s_cmp_gt_i32 s16, 0
	s_mov_b64 s[34:35], 0
	s_mov_b64 s[36:37], -1
	s_waitcnt lgkmcnt(0)
	s_barrier
                                        ; implicit-def: $vgpr21
	s_cbranch_scc1 .LBB18_129
; %bb.119:                              ;   in Loop: Header=BB18_7 Depth=1
	s_mov_b64 s[36:37], 0
                                        ; implicit-def: $vgpr21
	s_mov_b64 s[38:39], exec
	v_readlane_b32 s40, v56, 45
	v_readlane_b32 s41, v56, 46
	s_and_b64 s[40:41], s[38:39], s[40:41]
	s_mov_b64 exec, s[40:41]
	s_cbranch_execz .LBB18_128
; %bb.120:                              ;   in Loop: Header=BB18_7 Depth=1
	v_mov_b32_e32 v2, v6
	v_mov_b32_e32 v22, v0
                                        ; implicit-def: $sgpr40_sgpr41
	s_branch .LBB18_123
.LBB18_121:                             ;   in Loop: Header=BB18_123 Depth=2
	s_or_b64 exec, exec, s[42:43]
	s_waitcnt lgkmcnt(0)
	s_barrier
	ds_read_b64 v[20:21], v11 offset:3072
	s_mov_b64 s[42:43], -1
	s_mov_b64 s[44:45], -1
	s_waitcnt lgkmcnt(0)
	s_barrier
	v_cmp_ne_u32_e32 vcc, 0, v20
	s_cbranch_vccz .LBB18_126
.LBB18_122:                             ;   in Loop: Header=BB18_123 Depth=2
	s_and_b64 s[42:43], exec, s[42:43]
	s_or_b64 s[34:35], s[42:43], s[34:35]
	s_andn2_b64 s[40:41], s[40:41], exec
	s_and_b64 s[42:43], s[44:45], exec
	s_or_b64 s[40:41], s[40:41], s[42:43]
	s_andn2_b64 exec, exec, s[34:35]
	s_cbranch_execz .LBB18_127
.LBB18_123:                             ;   Parent Loop BB18_7 Depth=1
                                        ; =>  This Inner Loop Header: Depth=2
	v_cmp_gt_i32_e32 vcc, s68, v22
	s_and_saveexec_b64 s[42:43], vcc
	s_cbranch_execz .LBB18_121
; %bb.124:                              ;   in Loop: Header=BB18_123 Depth=2
	v_ashrrev_i32_e32 v3, 31, v2
	v_lshl_add_u64 v[20:21], v[2:3], 2, s[80:81]
	global_load_dword v19, v[20:21], off
	s_waitcnt vmcnt(0)
	v_bitop3_b32 v3, v19, v41, s69 bitop3:0x48
	v_cmp_eq_u32_e32 vcc, v3, v34
	s_and_b64 exec, exec, vcc
	s_cbranch_execz .LBB18_121
; %bb.125:                              ;   in Loop: Header=BB18_123 Depth=2
	ds_write_b64 v11, v[18:19] offset:3072
	s_branch .LBB18_121
.LBB18_126:                             ;   in Loop: Header=BB18_123 Depth=2
	v_add_u32_e32 v22, s70, v22
	v_cmp_le_i32_e32 vcc, s97, v22
	v_add_u32_e32 v2, s95, v2
	s_mov_b64 s[44:45], 0
	s_orn2_b64 s[42:43], vcc, exec
	s_branch .LBB18_122
.LBB18_127:                             ;   in Loop: Header=BB18_7 Depth=1
	s_or_b64 exec, exec, s[34:35]
	s_and_b64 s[34:35], s[40:41], exec
.LBB18_128:                             ;   in Loop: Header=BB18_7 Depth=1
	s_or_b64 exec, exec, s[38:39]
.LBB18_129:                             ;   in Loop: Header=BB18_7 Depth=1
	s_and_b64 vcc, exec, s[36:37]
	s_cbranch_vccz .LBB18_140
; %bb.130:                              ;   in Loop: Header=BB18_7 Depth=1
	s_add_i32 s17, s16, s96
	s_abs_i32 s25, s17
	s_mul_hi_u32 s26, s25, s33
	s_mul_i32 s26, s26, s70
	s_sub_i32 s25, s25, s26
	s_ashr_i32 s24, s17, 31
	s_sub_i32 s26, s25, s70
	s_cmp_ge_u32 s25, s70
	s_cselect_b32 s25, s26, s25
	s_sub_i32 s26, s25, s70
	s_cmp_ge_u32 s25, s70
	s_cselect_b32 s25, s26, s25
	s_xor_b32 s25, s25, s24
	s_sub_i32 s24, s24, s25
	s_add_i32 s17, s17, s24
	v_cmp_gt_i32_e32 vcc, s17, v0
                                        ; implicit-def: $vgpr21
	s_and_saveexec_b64 s[24:25], vcc
	s_cbranch_execz .LBB18_139
; %bb.131:                              ;   in Loop: Header=BB18_7 Depth=1
	s_mov_b64 s[26:27], 0
	v_mov_b32_e32 v2, v15
	v_mov_b32_e32 v3, v0
                                        ; implicit-def: $sgpr36_sgpr37
	s_branch .LBB18_134
.LBB18_132:                             ;   in Loop: Header=BB18_134 Depth=2
	s_or_b64 exec, exec, s[38:39]
	s_waitcnt lgkmcnt(0)
	s_barrier
	ds_read_b64 v[20:21], v11 offset:3072
	s_mov_b64 s[38:39], -1
	s_mov_b64 s[40:41], -1
	s_waitcnt lgkmcnt(0)
	s_barrier
	v_cmp_eq_u32_e32 vcc, 0, v20
	s_cbranch_vccnz .LBB18_137
.LBB18_133:                             ;   in Loop: Header=BB18_134 Depth=2
	s_and_b64 s[38:39], exec, s[38:39]
	s_or_b64 s[26:27], s[38:39], s[26:27]
	s_andn2_b64 s[36:37], s[36:37], exec
	s_and_b64 s[38:39], s[40:41], exec
	s_or_b64 s[36:37], s[36:37], s[38:39]
	s_andn2_b64 exec, exec, s[26:27]
	s_cbranch_execz .LBB18_138
.LBB18_134:                             ;   Parent Loop BB18_7 Depth=1
                                        ; =>  This Inner Loop Header: Depth=2
	v_cmp_gt_i32_e32 vcc, s16, v3
	s_and_saveexec_b64 s[38:39], vcc
	s_cbranch_execz .LBB18_132
; %bb.135:                              ;   in Loop: Header=BB18_134 Depth=2
	ds_read_b32 v19, v2
	s_waitcnt lgkmcnt(0)
	v_bitop3_b32 v20, v19, v41, s69 bitop3:0x48
	v_cmp_eq_u32_e32 vcc, v20, v34
	s_and_b64 exec, exec, vcc
	s_cbranch_execz .LBB18_132
; %bb.136:                              ;   in Loop: Header=BB18_134 Depth=2
	ds_write_b64 v11, v[18:19] offset:3072
	s_branch .LBB18_132
.LBB18_137:                             ;   in Loop: Header=BB18_134 Depth=2
	v_add_u32_e32 v3, s70, v3
	v_cmp_le_i32_e32 vcc, s17, v3
	v_add_u32_e32 v2, s94, v2
	s_mov_b64 s[40:41], 0
	s_orn2_b64 s[38:39], vcc, exec
	s_branch .LBB18_133
.LBB18_138:                             ;   in Loop: Header=BB18_7 Depth=1
	s_or_b64 exec, exec, s[26:27]
	s_andn2_b64 s[16:17], s[34:35], exec
	s_and_b64 s[26:27], s[36:37], exec
	s_or_b64 s[34:35], s[16:17], s[26:27]
.LBB18_139:                             ;   in Loop: Header=BB18_7 Depth=1
	s_or_b64 exec, exec, s[24:25]
	s_mov_b64 s[24:25], 0
	s_mov_b64 s[26:27], -1
.LBB18_140:                             ;   in Loop: Header=BB18_7 Depth=1
	s_orn2_b64 s[34:35], s[34:35], exec
.LBB18_141:                             ;   in Loop: Header=BB18_7 Depth=1
	s_or_b64 exec, exec, s[28:29]
	s_mov_b64 s[36:37], 0
	s_and_saveexec_b64 s[28:29], s[34:35]
	s_cbranch_execz .LBB18_230
; %bb.142:                              ;   in Loop: Header=BB18_7 Depth=1
	s_xor_b64 s[16:17], s[30:31], -1
	s_mov_b64 s[40:41], 0
	v_mov_b32_e32 v22, 1
	v_mov_b32_e32 v5, 1
	s_and_saveexec_b64 s[30:31], s[16:17]
	s_cbranch_execz .LBB18_151
; %bb.143:                              ;   in Loop: Header=BB18_7 Depth=1
	v_cmp_ge_i32_e32 vcc, s46, v10
	s_and_saveexec_b64 s[16:17], vcc
	s_xor_b64 s[34:35], exec, s[16:17]
	s_cbranch_execz .LBB18_148
; %bb.144:                              ;   in Loop: Header=BB18_7 Depth=1
	ds_read_b32 v2, v11 offset:4096
	v_and_b32_e32 v3, v34, v9
	v_lshl_or_b32 v34, 1, v38, v3
	v_or_b32_e32 v41, v41, v4
	s_waitcnt lgkmcnt(0)
	v_cmp_ne_u32_e32 vcc, 0, v2
	s_cbranch_vccnz .LBB18_148
; %bb.145:                              ;   in Loop: Header=BB18_7 Depth=1
	s_and_saveexec_b64 s[36:37], s[0:1]
; %bb.146:                              ;   in Loop: Header=BB18_7 Depth=1
	v_mov_b32_e32 v2, s46
	ds_write_b32 v11, v2 offset:4100
; %bb.147:                              ;   in Loop: Header=BB18_7 Depth=1
	s_or_b64 exec, exec, s[36:37]
	s_waitcnt lgkmcnt(0)
	s_barrier
.LBB18_148:                             ;   in Loop: Header=BB18_7 Depth=1
	s_or_saveexec_b64 s[34:35], s[34:35]
	s_mov_b64 s[36:37], 0
	v_mov_b32_e32 v5, 8
	s_xor_b64 exec, exec, s[34:35]
; %bb.149:                              ;   in Loop: Header=BB18_7 Depth=1
	s_mov_b64 s[36:37], exec
	v_subrev_u32_e32 v10, s46, v10
	v_mov_b32_e32 v5, 0
; %bb.150:                              ;   in Loop: Header=BB18_7 Depth=1
	s_or_b64 exec, exec, s[34:35]
	s_and_b64 s[40:41], s[36:37], exec
	v_mov_b32_e32 v22, v10
.LBB18_151:                             ;   in Loop: Header=BB18_7 Depth=1
	s_or_b64 exec, exec, s[30:31]
	s_mov_b64 s[38:39], -1
                                        ; implicit-def: $sgpr34_sgpr35
                                        ; implicit-def: $sgpr36_sgpr37
	s_and_saveexec_b64 s[30:31], s[40:41]
	s_cbranch_execz .LBB18_229
; %bb.152:                              ;   in Loop: Header=BB18_7 Depth=1
	s_cmp_eq_u32 s54, 1
	s_cselect_b64 s[16:17], -1, 0
	v_cmp_eq_u32_e32 vcc, 1, v22
	s_and_b64 s[40:41], s[16:17], vcc
	s_mov_b64 s[42:43], -1
                                        ; implicit-def: $sgpr36_sgpr37
                                        ; implicit-def: $sgpr34_sgpr35
	s_and_saveexec_b64 s[38:39], s[40:41]
	s_cbranch_execz .LBB18_178
; %bb.153:                              ;   in Loop: Header=BB18_7 Depth=1
	ds_read_b32 v2, v11 offset:4096
	s_waitcnt lgkmcnt(0)
	s_barrier
	v_readfirstlane_b32 s16, v2
	s_and_saveexec_b64 s[34:35], s[4:5]
; %bb.154:                              ;   in Loop: Header=BB18_7 Depth=1
	ds_write_b32 v27, v11
; %bb.155:                              ;   in Loop: Header=BB18_7 Depth=1
	s_or_b64 exec, exec, s[34:35]
	v_and_b32_e32 v2, v34, v9
	v_lshl_or_b32 v34, 2, v38, v2
	v_or_b32_e32 v41, v41, v4
	s_mov_b64 s[34:35], -1
	s_mov_b64 s[36:37], 0
	s_cmp_gt_i32 s16, 0
	s_mov_b64 s[42:43], 0
	s_mov_b64 s[44:45], -1
	s_waitcnt lgkmcnt(0)
	s_barrier
                                        ; implicit-def: $vgpr21
	s_cbranch_scc1 .LBB18_166
; %bb.156:                              ;   in Loop: Header=BB18_7 Depth=1
	s_mov_b64 s[44:45], 0
                                        ; implicit-def: $vgpr21
	s_mov_b64 s[46:47], exec
	v_readlane_b32 s48, v56, 45
	v_readlane_b32 s49, v56, 46
	s_and_b64 s[48:49], s[46:47], s[48:49]
	s_mov_b64 exec, s[48:49]
	s_cbranch_execz .LBB18_165
; %bb.157:                              ;   in Loop: Header=BB18_7 Depth=1
	v_mov_b32_e32 v2, v6
	v_mov_b32_e32 v10, v0
                                        ; implicit-def: $sgpr48_sgpr49
	s_branch .LBB18_160
.LBB18_158:                             ;   in Loop: Header=BB18_160 Depth=2
	s_or_b64 exec, exec, s[50:51]
	s_waitcnt lgkmcnt(0)
	s_barrier
	ds_read_b64 v[20:21], v11 offset:3072
	s_mov_b64 s[50:51], -1
	s_mov_b64 s[52:53], -1
	s_waitcnt lgkmcnt(0)
	s_barrier
	v_cmp_ne_u32_e32 vcc, 0, v20
	s_cbranch_vccz .LBB18_163
.LBB18_159:                             ;   in Loop: Header=BB18_160 Depth=2
	s_and_b64 s[50:51], exec, s[50:51]
	s_or_b64 s[42:43], s[50:51], s[42:43]
	s_andn2_b64 s[48:49], s[48:49], exec
	s_and_b64 s[50:51], s[52:53], exec
	s_or_b64 s[48:49], s[48:49], s[50:51]
	s_andn2_b64 exec, exec, s[42:43]
	s_cbranch_execz .LBB18_164
.LBB18_160:                             ;   Parent Loop BB18_7 Depth=1
                                        ; =>  This Inner Loop Header: Depth=2
	v_cmp_gt_i32_e32 vcc, s68, v10
	s_and_saveexec_b64 s[50:51], vcc
	s_cbranch_execz .LBB18_158
; %bb.161:                              ;   in Loop: Header=BB18_160 Depth=2
	v_ashrrev_i32_e32 v3, 31, v2
	v_lshl_add_u64 v[20:21], v[2:3], 2, s[80:81]
	global_load_dword v19, v[20:21], off
	s_waitcnt vmcnt(0)
	v_bitop3_b32 v3, v19, v41, s69 bitop3:0x48
	v_cmp_eq_u32_e32 vcc, v3, v34
	s_and_b64 exec, exec, vcc
	s_cbranch_execz .LBB18_158
; %bb.162:                              ;   in Loop: Header=BB18_160 Depth=2
	ds_write_b64 v11, v[18:19] offset:3072
	s_branch .LBB18_158
.LBB18_163:                             ;   in Loop: Header=BB18_160 Depth=2
	v_add_u32_e32 v10, s70, v10
	v_cmp_le_i32_e32 vcc, s97, v10
	v_add_u32_e32 v2, s95, v2
	s_mov_b64 s[52:53], 0
	s_orn2_b64 s[50:51], vcc, exec
	s_branch .LBB18_159
.LBB18_164:                             ;   in Loop: Header=BB18_7 Depth=1
	s_or_b64 exec, exec, s[42:43]
	s_and_b64 s[42:43], s[48:49], exec
.LBB18_165:                             ;   in Loop: Header=BB18_7 Depth=1
	s_or_b64 exec, exec, s[46:47]
.LBB18_166:                             ;   in Loop: Header=BB18_7 Depth=1
	s_and_b64 vcc, exec, s[44:45]
	s_cbranch_vccz .LBB18_177
; %bb.167:                              ;   in Loop: Header=BB18_7 Depth=1
	s_add_i32 s17, s16, s96
	s_abs_i32 s35, s17
	s_mul_hi_u32 s36, s35, s33
	s_mul_i32 s36, s36, s70
	s_sub_i32 s35, s35, s36
	s_ashr_i32 s34, s17, 31
	s_sub_i32 s36, s35, s70
	s_cmp_ge_u32 s35, s70
	s_cselect_b32 s35, s36, s35
	s_sub_i32 s36, s35, s70
	s_cmp_ge_u32 s35, s70
	s_cselect_b32 s35, s36, s35
	s_xor_b32 s35, s35, s34
	s_sub_i32 s34, s34, s35
	s_add_i32 s17, s17, s34
	v_cmp_gt_i32_e32 vcc, s17, v0
                                        ; implicit-def: $vgpr21
	s_and_saveexec_b64 s[34:35], vcc
	s_cbranch_execz .LBB18_176
; %bb.168:                              ;   in Loop: Header=BB18_7 Depth=1
	s_mov_b64 s[36:37], 0
	v_mov_b32_e32 v2, v15
	v_mov_b32_e32 v3, v0
                                        ; implicit-def: $sgpr44_sgpr45
	s_branch .LBB18_171
.LBB18_169:                             ;   in Loop: Header=BB18_171 Depth=2
	s_or_b64 exec, exec, s[46:47]
	s_waitcnt lgkmcnt(0)
	s_barrier
	ds_read_b64 v[20:21], v11 offset:3072
	s_mov_b64 s[46:47], -1
	s_mov_b64 s[48:49], -1
	s_waitcnt lgkmcnt(0)
	s_barrier
	v_cmp_eq_u32_e32 vcc, 0, v20
	s_cbranch_vccnz .LBB18_174
.LBB18_170:                             ;   in Loop: Header=BB18_171 Depth=2
	s_and_b64 s[46:47], exec, s[46:47]
	s_or_b64 s[36:37], s[46:47], s[36:37]
	s_andn2_b64 s[44:45], s[44:45], exec
	s_and_b64 s[46:47], s[48:49], exec
	s_or_b64 s[44:45], s[44:45], s[46:47]
	s_andn2_b64 exec, exec, s[36:37]
	s_cbranch_execz .LBB18_175
.LBB18_171:                             ;   Parent Loop BB18_7 Depth=1
                                        ; =>  This Inner Loop Header: Depth=2
	v_cmp_gt_i32_e32 vcc, s16, v3
	s_and_saveexec_b64 s[46:47], vcc
	s_cbranch_execz .LBB18_169
; %bb.172:                              ;   in Loop: Header=BB18_171 Depth=2
	ds_read_b32 v19, v2
	s_waitcnt lgkmcnt(0)
	v_bitop3_b32 v10, v19, v41, s69 bitop3:0x48
	v_cmp_eq_u32_e32 vcc, v10, v34
	s_and_b64 exec, exec, vcc
	s_cbranch_execz .LBB18_169
; %bb.173:                              ;   in Loop: Header=BB18_171 Depth=2
	ds_write_b64 v11, v[18:19] offset:3072
	s_branch .LBB18_169
.LBB18_174:                             ;   in Loop: Header=BB18_171 Depth=2
	v_add_u32_e32 v3, s70, v3
	v_cmp_le_i32_e32 vcc, s17, v3
	v_add_u32_e32 v2, s94, v2
	s_mov_b64 s[48:49], 0
	s_orn2_b64 s[46:47], vcc, exec
	s_branch .LBB18_170
.LBB18_175:                             ;   in Loop: Header=BB18_7 Depth=1
	s_or_b64 exec, exec, s[36:37]
	s_andn2_b64 s[16:17], s[42:43], exec
	s_and_b64 s[36:37], s[44:45], exec
	s_or_b64 s[42:43], s[16:17], s[36:37]
.LBB18_176:                             ;   in Loop: Header=BB18_7 Depth=1
	s_or_b64 exec, exec, s[34:35]
	s_mov_b64 s[34:35], 0
	s_mov_b64 s[36:37], -1
.LBB18_177:                             ;   in Loop: Header=BB18_7 Depth=1
	s_orn2_b64 s[42:43], s[42:43], exec
.LBB18_178:                             ;   in Loop: Header=BB18_7 Depth=1
	s_or_b64 exec, exec, s[38:39]
	s_mov_b64 s[44:45], 0
	s_and_saveexec_b64 s[38:39], s[42:43]
	s_cbranch_execz .LBB18_228
; %bb.179:                              ;   in Loop: Header=BB18_7 Depth=1
	s_xor_b64 s[16:17], s[40:41], -1
	s_mov_b64 s[48:49], 0
	v_mov_b32_e32 v10, 1
	v_mov_b32_e32 v5, 1
	s_and_saveexec_b64 s[40:41], s[16:17]
	s_cbranch_execz .LBB18_188
; %bb.180:                              ;   in Loop: Header=BB18_7 Depth=1
	v_cmp_ge_i32_e32 vcc, s54, v22
	s_and_saveexec_b64 s[16:17], vcc
	s_xor_b64 s[42:43], exec, s[16:17]
	s_cbranch_execz .LBB18_185
; %bb.181:                              ;   in Loop: Header=BB18_7 Depth=1
	ds_read_b32 v2, v11 offset:4096
	v_and_b32_e32 v3, v34, v9
	v_lshl_or_b32 v34, 2, v38, v3
	v_or_b32_e32 v41, v41, v4
	s_waitcnt lgkmcnt(0)
	v_cmp_ne_u32_e32 vcc, 0, v2
	s_cbranch_vccnz .LBB18_185
; %bb.182:                              ;   in Loop: Header=BB18_7 Depth=1
	s_and_saveexec_b64 s[44:45], s[0:1]
; %bb.183:                              ;   in Loop: Header=BB18_7 Depth=1
	v_mov_b32_e32 v2, s54
	ds_write_b32 v11, v2 offset:4100
; %bb.184:                              ;   in Loop: Header=BB18_7 Depth=1
	s_or_b64 exec, exec, s[44:45]
	s_waitcnt lgkmcnt(0)
	s_barrier
.LBB18_185:                             ;   in Loop: Header=BB18_7 Depth=1
	s_or_saveexec_b64 s[42:43], s[42:43]
	s_mov_b64 s[44:45], 0
	v_mov_b32_e32 v5, 8
	s_xor_b64 exec, exec, s[42:43]
; %bb.186:                              ;   in Loop: Header=BB18_7 Depth=1
	s_mov_b64 s[44:45], exec
	v_subrev_u32_e32 v22, s54, v22
	v_mov_b32_e32 v5, 0
; %bb.187:                              ;   in Loop: Header=BB18_7 Depth=1
	s_or_b64 exec, exec, s[42:43]
	s_and_b64 s[48:49], s[44:45], exec
	v_mov_b32_e32 v10, v22
.LBB18_188:                             ;   in Loop: Header=BB18_7 Depth=1
	s_or_b64 exec, exec, s[40:41]
	s_mov_b64 s[42:43], -1
                                        ; implicit-def: $sgpr46_sgpr47
                                        ; implicit-def: $sgpr44_sgpr45
	s_and_saveexec_b64 s[40:41], s[48:49]
	s_cbranch_execz .LBB18_227
; %bb.189:                              ;   in Loop: Header=BB18_7 Depth=1
	s_cmp_eq_u32 s76, 1
	s_cselect_b64 s[16:17], -1, 0
	v_cmp_eq_u32_e32 vcc, 1, v10
	s_and_b64 s[42:43], s[16:17], vcc
	s_mov_b64 s[50:51], -1
                                        ; implicit-def: $sgpr46_sgpr47
                                        ; implicit-def: $sgpr44_sgpr45
	s_and_saveexec_b64 s[48:49], s[42:43]
	s_cbranch_execz .LBB18_215
; %bb.190:                              ;   in Loop: Header=BB18_7 Depth=1
	ds_read_b32 v2, v11 offset:4096
	s_waitcnt lgkmcnt(0)
	s_barrier
	v_readfirstlane_b32 s16, v2
	s_and_saveexec_b64 s[44:45], s[4:5]
; %bb.191:                              ;   in Loop: Header=BB18_7 Depth=1
	ds_write_b32 v27, v11
; %bb.192:                              ;   in Loop: Header=BB18_7 Depth=1
	s_or_b64 exec, exec, s[44:45]
	v_or_b32_e32 v34, v34, v4
	v_or_b32_e32 v41, v41, v4
	s_mov_b64 s[44:45], -1
	s_mov_b64 s[46:47], 0
	s_cmp_gt_i32 s16, 0
	s_mov_b64 s[50:51], 0
	s_mov_b64 s[52:53], -1
	s_waitcnt lgkmcnt(0)
	s_barrier
                                        ; implicit-def: $vgpr21
	s_cbranch_scc1 .LBB18_203
; %bb.193:                              ;   in Loop: Header=BB18_7 Depth=1
	s_mov_b64 s[52:53], 0
                                        ; implicit-def: $vgpr21
	s_mov_b64 s[54:55], exec
	v_readlane_b32 s56, v56, 45
	v_readlane_b32 s57, v56, 46
	s_and_b64 s[56:57], s[54:55], s[56:57]
	s_mov_b64 exec, s[56:57]
	s_cbranch_execz .LBB18_202
; %bb.194:                              ;   in Loop: Header=BB18_7 Depth=1
	v_mov_b32_e32 v2, v6
	v_mov_b32_e32 v9, v0
                                        ; implicit-def: $sgpr56_sgpr57
	s_branch .LBB18_197
.LBB18_195:                             ;   in Loop: Header=BB18_197 Depth=2
	s_or_b64 exec, exec, s[58:59]
	s_waitcnt lgkmcnt(0)
	s_barrier
	ds_read_b64 v[20:21], v11 offset:3072
	s_mov_b64 s[58:59], -1
	s_mov_b64 s[72:73], -1
	s_waitcnt lgkmcnt(0)
	s_barrier
	v_cmp_ne_u32_e32 vcc, 0, v20
	s_cbranch_vccz .LBB18_200
.LBB18_196:                             ;   in Loop: Header=BB18_197 Depth=2
	s_and_b64 s[58:59], exec, s[58:59]
	s_or_b64 s[50:51], s[58:59], s[50:51]
	s_andn2_b64 s[56:57], s[56:57], exec
	s_and_b64 s[58:59], s[72:73], exec
	s_or_b64 s[56:57], s[56:57], s[58:59]
	s_andn2_b64 exec, exec, s[50:51]
	s_cbranch_execz .LBB18_201
.LBB18_197:                             ;   Parent Loop BB18_7 Depth=1
                                        ; =>  This Inner Loop Header: Depth=2
	v_cmp_gt_i32_e32 vcc, s68, v9
	s_and_saveexec_b64 s[58:59], vcc
	s_cbranch_execz .LBB18_195
; %bb.198:                              ;   in Loop: Header=BB18_197 Depth=2
	v_ashrrev_i32_e32 v3, 31, v2
	v_lshl_add_u64 v[20:21], v[2:3], 2, s[80:81]
	global_load_dword v19, v[20:21], off
	s_waitcnt vmcnt(0)
	v_bitop3_b32 v3, v19, v41, s69 bitop3:0x48
	v_cmp_eq_u32_e32 vcc, v3, v34
	s_and_b64 exec, exec, vcc
	s_cbranch_execz .LBB18_195
; %bb.199:                              ;   in Loop: Header=BB18_197 Depth=2
	ds_write_b64 v11, v[18:19] offset:3072
	s_branch .LBB18_195
.LBB18_200:                             ;   in Loop: Header=BB18_197 Depth=2
	v_add_u32_e32 v9, s70, v9
	v_cmp_le_i32_e32 vcc, s97, v9
	v_add_u32_e32 v2, s95, v2
	s_mov_b64 s[72:73], 0
	s_orn2_b64 s[58:59], vcc, exec
	s_branch .LBB18_196
.LBB18_201:                             ;   in Loop: Header=BB18_7 Depth=1
	s_or_b64 exec, exec, s[50:51]
	s_and_b64 s[50:51], s[56:57], exec
.LBB18_202:                             ;   in Loop: Header=BB18_7 Depth=1
	s_or_b64 exec, exec, s[54:55]
.LBB18_203:                             ;   in Loop: Header=BB18_7 Depth=1
	s_and_b64 vcc, exec, s[52:53]
	s_cbranch_vccz .LBB18_214
; %bb.204:                              ;   in Loop: Header=BB18_7 Depth=1
	s_add_i32 s17, s16, s96
	s_abs_i32 s45, s17
	s_mul_hi_u32 s46, s45, s33
	s_mul_i32 s46, s46, s70
	s_sub_i32 s45, s45, s46
	s_ashr_i32 s44, s17, 31
	s_sub_i32 s46, s45, s70
	s_cmp_ge_u32 s45, s70
	s_cselect_b32 s45, s46, s45
	s_sub_i32 s46, s45, s70
	s_cmp_ge_u32 s45, s70
	s_cselect_b32 s45, s46, s45
	s_xor_b32 s45, s45, s44
	s_sub_i32 s44, s44, s45
	s_add_i32 s17, s17, s44
	v_cmp_gt_i32_e32 vcc, s17, v0
                                        ; implicit-def: $vgpr21
	s_and_saveexec_b64 s[44:45], vcc
	s_cbranch_execz .LBB18_213
; %bb.205:                              ;   in Loop: Header=BB18_7 Depth=1
	s_mov_b64 s[46:47], 0
	v_mov_b32_e32 v2, v15
	v_mov_b32_e32 v3, v0
                                        ; implicit-def: $sgpr52_sgpr53
	s_branch .LBB18_208
.LBB18_206:                             ;   in Loop: Header=BB18_208 Depth=2
	s_or_b64 exec, exec, s[54:55]
	s_waitcnt lgkmcnt(0)
	s_barrier
	ds_read_b64 v[20:21], v11 offset:3072
	s_mov_b64 s[54:55], -1
	s_mov_b64 s[56:57], -1
	s_waitcnt lgkmcnt(0)
	s_barrier
	v_cmp_eq_u32_e32 vcc, 0, v20
	s_cbranch_vccnz .LBB18_211
.LBB18_207:                             ;   in Loop: Header=BB18_208 Depth=2
	s_and_b64 s[54:55], exec, s[54:55]
	s_or_b64 s[46:47], s[54:55], s[46:47]
	s_andn2_b64 s[52:53], s[52:53], exec
	s_and_b64 s[54:55], s[56:57], exec
	s_or_b64 s[52:53], s[52:53], s[54:55]
	s_andn2_b64 exec, exec, s[46:47]
	s_cbranch_execz .LBB18_212
.LBB18_208:                             ;   Parent Loop BB18_7 Depth=1
                                        ; =>  This Inner Loop Header: Depth=2
	v_cmp_gt_i32_e32 vcc, s16, v3
	s_and_saveexec_b64 s[54:55], vcc
	s_cbranch_execz .LBB18_206
; %bb.209:                              ;   in Loop: Header=BB18_208 Depth=2
	ds_read_b32 v19, v2
	s_waitcnt lgkmcnt(0)
	v_bitop3_b32 v9, v19, v41, s69 bitop3:0x48
	v_cmp_eq_u32_e32 vcc, v9, v34
	s_and_b64 exec, exec, vcc
	s_cbranch_execz .LBB18_206
; %bb.210:                              ;   in Loop: Header=BB18_208 Depth=2
	ds_write_b64 v11, v[18:19] offset:3072
	s_branch .LBB18_206
.LBB18_211:                             ;   in Loop: Header=BB18_208 Depth=2
	v_add_u32_e32 v3, s70, v3
	v_cmp_le_i32_e32 vcc, s17, v3
	v_add_u32_e32 v2, s94, v2
	s_mov_b64 s[56:57], 0
	s_orn2_b64 s[54:55], vcc, exec
	s_branch .LBB18_207
.LBB18_212:                             ;   in Loop: Header=BB18_7 Depth=1
	s_or_b64 exec, exec, s[46:47]
	s_andn2_b64 s[16:17], s[50:51], exec
	s_and_b64 s[46:47], s[52:53], exec
	s_or_b64 s[50:51], s[16:17], s[46:47]
.LBB18_213:                             ;   in Loop: Header=BB18_7 Depth=1
	s_or_b64 exec, exec, s[44:45]
	s_mov_b64 s[44:45], 0
	s_mov_b64 s[46:47], -1
.LBB18_214:                             ;   in Loop: Header=BB18_7 Depth=1
	s_orn2_b64 s[50:51], s[50:51], exec
.LBB18_215:                             ;   in Loop: Header=BB18_7 Depth=1
	s_or_b64 exec, exec, s[48:49]
	s_mov_b64 s[52:53], 0
	s_and_saveexec_b64 s[48:49], s[50:51]
	s_cbranch_execz .LBB18_226
; %bb.216:                              ;   in Loop: Header=BB18_7 Depth=1
	s_xor_b64 s[16:17], s[42:43], -1
	v_mov_b32_e32 v5, 1
	v_mov_b32_e32 v2, 1
	s_and_saveexec_b64 s[42:43], s[16:17]
	s_cbranch_execz .LBB18_225
; %bb.217:                              ;   in Loop: Header=BB18_7 Depth=1
	v_cmp_ge_i32_e32 vcc, s76, v10
	s_and_saveexec_b64 s[16:17], vcc
	s_xor_b64 s[50:51], exec, s[16:17]
	s_cbranch_execz .LBB18_222
; %bb.218:                              ;   in Loop: Header=BB18_7 Depth=1
	ds_read_b32 v2, v11 offset:4096
	v_or_b32_e32 v34, v34, v4
	v_or_b32_e32 v41, v41, v4
	s_waitcnt lgkmcnt(0)
	v_cmp_ne_u32_e32 vcc, 0, v2
	s_cbranch_vccnz .LBB18_222
; %bb.219:                              ;   in Loop: Header=BB18_7 Depth=1
	s_and_saveexec_b64 s[52:53], s[0:1]
; %bb.220:                              ;   in Loop: Header=BB18_7 Depth=1
	v_mov_b32_e32 v2, s76
	ds_write_b32 v11, v2 offset:4100
; %bb.221:                              ;   in Loop: Header=BB18_7 Depth=1
	s_or_b64 exec, exec, s[52:53]
	s_waitcnt lgkmcnt(0)
	s_barrier
.LBB18_222:                             ;   in Loop: Header=BB18_7 Depth=1
	s_andn2_saveexec_b64 s[50:51], s[50:51]
; %bb.223:                              ;   in Loop: Header=BB18_7 Depth=1
	v_subrev_u32_e32 v10, s76, v10
; %bb.224:                              ;   in Loop: Header=BB18_7 Depth=1
	s_or_b64 exec, exec, s[50:51]
	v_mov_b32_e32 v5, 8
	v_mov_b32_e32 v2, v10
.LBB18_225:                             ;   in Loop: Header=BB18_7 Depth=1
	s_or_b64 exec, exec, s[42:43]
	s_mov_b64 s[52:53], exec
	v_mov_b32_e32 v10, v2
.LBB18_226:                             ;   in Loop: Header=BB18_7 Depth=1
	s_or_b64 exec, exec, s[48:49]
	s_orn2_b64 s[42:43], s[52:53], exec
.LBB18_227:                             ;   in Loop: Header=BB18_7 Depth=1
	s_or_b64 exec, exec, s[40:41]
	s_andn2_b64 s[16:17], s[36:37], exec
	s_and_b64 s[36:37], s[46:47], exec
	s_or_b64 s[36:37], s[16:17], s[36:37]
	s_andn2_b64 s[16:17], s[34:35], exec
	s_and_b64 s[34:35], s[44:45], exec
	s_or_b64 s[34:35], s[16:17], s[34:35]
	s_and_b64 s[44:45], s[42:43], exec
	v_mov_b32_e32 v22, v10
.LBB18_228:                             ;   in Loop: Header=BB18_7 Depth=1
	s_or_b64 exec, exec, s[38:39]
	s_orn2_b64 s[38:39], s[44:45], exec
.LBB18_229:                             ;   in Loop: Header=BB18_7 Depth=1
	s_or_b64 exec, exec, s[30:31]
	s_andn2_b64 s[16:17], s[26:27], exec
	s_and_b64 s[26:27], s[36:37], exec
	s_or_b64 s[26:27], s[16:17], s[26:27]
	s_andn2_b64 s[16:17], s[24:25], exec
	s_and_b64 s[24:25], s[34:35], exec
	s_or_b64 s[24:25], s[16:17], s[24:25]
	s_and_b64 s[36:37], s[38:39], exec
	v_mov_b32_e32 v10, v22
.LBB18_230:                             ;   in Loop: Header=BB18_7 Depth=1
	s_or_b64 exec, exec, s[28:29]
	s_orn2_b64 s[28:29], s[36:37], exec
.LBB18_231:                             ;   in Loop: Header=BB18_7 Depth=1
	s_or_b64 exec, exec, s[22:23]
	s_mov_b64 s[30:31], 0
	s_and_saveexec_b64 s[16:17], s[28:29]
	s_xor_b64 s[22:23], exec, s[16:17]
	s_cbranch_execz .LBB18_5
; %bb.232:                              ;   in Loop: Header=BB18_7 Depth=1
	v_and_b32_e32 v2, 7, v5
	v_cmp_eq_u32_e32 vcc, 0, v2
	s_mov_b64 s[20:21], -1
	s_mov_b64 s[28:29], -1
	s_and_saveexec_b64 s[30:31], vcc
	s_cbranch_execz .LBB18_4
; %bb.233:                              ;   in Loop: Header=BB18_7 Depth=1
	v_add_u32_e32 v2, -2, v38
	v_cmp_eq_u32_e32 vcc, 0, v38
	v_xor_b32_e32 v40, 1, v40
	s_xor_b64 s[28:29], exec, -1
	s_orn2_b64 s[20:21], vcc, exec
	v_mov_b32_e32 v38, v2
	s_branch .LBB18_4
.LBB18_234:
	s_or_b64 exec, exec, s[74:75]
	s_xor_b64 s[8:9], s[62:63], -1
	s_xor_b64 s[2:3], s[78:79], -1
	;; [unrolled: 1-line block ×3, first 2 shown]
	s_mov_b64 s[4:5], 0
	s_and_saveexec_b64 s[10:11], s[2:3]
	s_xor_b64 s[2:3], exec, s[10:11]
	s_cbranch_execnz .LBB18_239
; %bb.235:
	s_andn2_saveexec_b64 s[0:1], s[2:3]
	s_cbranch_execnz .LBB18_259
.LBB18_236:
	s_or_b64 exec, exec, s[0:1]
	s_and_saveexec_b64 s[0:1], s[4:5]
.LBB18_237:
	; divergent unreachable
.LBB18_238:
	s_endpgm
.LBB18_239:
	s_and_saveexec_b64 s[4:5], s[8:9]
	s_xor_b64 s[4:5], exec, s[4:5]
	s_cbranch_execz .LBB18_257
; %bb.240:
	s_and_saveexec_b64 s[8:9], s[6:7]
	s_xor_b64 s[6:7], exec, s[8:9]
; %bb.241:
	v_xor_b32_e32 v21, 0x80000000, v34
; %bb.242:
	s_or_b64 exec, exec, s[6:7]
	s_and_saveexec_b64 s[6:7], s[0:1]
	v_readlane_b32 s22, v56, 20
	v_readlane_b32 s24, v56, 25
	v_readlane_b32 s20, v56, 28
	v_readlane_b32 s23, v56, 21
	v_readlane_b32 s25, v56, 26
	v_readlane_b32 s21, v56, 18
	v_readlane_b32 s26, v56, 23
; %bb.243:
	v_mov_b32_e32 v1, 0
	v_mov_b32_e32 v2, s68
	ds_write_b32 v1, v2 offset:4108
; %bb.244:
	s_or_b64 exec, exec, s[6:7]
	v_mov_b32_e32 v1, 0
	s_waitcnt lgkmcnt(0)
	s_barrier
	ds_read_b32 v1, v1 offset:4108
	s_waitcnt lgkmcnt(0)
	v_min_i32_e32 v2, s68, v1
	v_cmp_lt_i32_e32 vcc, v0, v2
	s_and_saveexec_b64 s[6:7], vcc
	s_cbranch_execz .LBB18_254
; %bb.245:
	s_mov_b64 s[8:9], 0
                                        ; implicit-def: $sgpr10_sgpr11
                                        ; implicit-def: $sgpr14_sgpr15
                                        ; implicit-def: $sgpr12_sgpr13
	s_branch .LBB18_247
.LBB18_246:                             ;   in Loop: Header=BB18_247 Depth=1
	s_or_b64 exec, exec, s[16:17]
	s_and_b64 s[16:17], exec, s[14:15]
	s_or_b64 s[8:9], s[16:17], s[8:9]
	s_andn2_b64 s[10:11], s[10:11], exec
	s_and_b64 s[16:17], s[12:13], exec
	s_or_b64 s[10:11], s[10:11], s[16:17]
	s_andn2_b64 exec, exec, s[8:9]
	s_cbranch_execz .LBB18_249
.LBB18_247:                             ; =>This Inner Loop Header: Depth=1
	v_ashrrev_i32_e32 v7, 31, v6
	v_lshl_add_u64 v[4:5], v[6:7], 2, s[80:81]
	global_load_dword v3, v[4:5], off
	v_mov_b32_e32 v1, v0
	s_or_b64 s[12:13], s[12:13], exec
	s_or_b64 s[14:15], s[14:15], exec
                                        ; implicit-def: $vgpr0
	s_waitcnt vmcnt(0)
	v_cmp_ne_u32_e32 vcc, v3, v21
	s_and_saveexec_b64 s[16:17], vcc
	s_cbranch_execz .LBB18_246
; %bb.248:                              ;   in Loop: Header=BB18_247 Depth=1
	v_add_u32_e32 v0, s70, v1
	v_cmp_ge_i32_e32 vcc, v0, v2
	s_andn2_b64 s[14:15], s[14:15], exec
	s_and_b64 s[18:19], vcc, exec
	v_add_u32_e32 v6, s95, v6
	s_andn2_b64 s[12:13], s[12:13], exec
	s_or_b64 s[14:15], s[14:15], s[18:19]
	s_branch .LBB18_246
.LBB18_249:
	s_or_b64 exec, exec, s[8:9]
	s_and_saveexec_b64 s[8:9], s[10:11]
	s_xor_b64 s[8:9], exec, s[8:9]
	s_cbranch_execz .LBB18_254
; %bb.250:
	s_mov_b64 s[8:9], exec
	s_brev_b32 s10, -2
.LBB18_251:                             ; =>This Inner Loop Header: Depth=1
	s_ff1_i32_b64 s11, s[8:9]
	v_readlane_b32 s14, v1, s11
	s_lshl_b64 s[12:13], 1, s11
	s_min_i32 s10, s10, s14
	s_andn2_b64 s[8:9], s[8:9], s[12:13]
	s_cmp_lg_u64 s[8:9], 0
	s_cbranch_scc1 .LBB18_251
; %bb.252:
	v_mbcnt_lo_u32_b32 v0, exec_lo, 0
	v_mbcnt_hi_u32_b32 v0, exec_hi, v0
	v_cmp_eq_u32_e32 vcc, 0, v0
	s_and_saveexec_b64 s[8:9], vcc
	s_xor_b64 s[8:9], exec, s[8:9]
; %bb.253:
	v_mov_b32_e32 v0, 0
	v_mov_b32_e32 v1, s10
	ds_min_i32 v0, v1 offset:4108
.LBB18_254:
	s_or_b64 exec, exec, s[6:7]
	s_waitcnt lgkmcnt(0)
	s_barrier
	s_and_saveexec_b64 s[6:7], s[0:1]
	s_cbranch_execz .LBB18_256
; %bb.255:
	v_readlane_b32 s8, v56, 0
	s_mul_i32 s0, s21, s23
	v_readlane_b32 s10, v56, 2
	s_sub_i32 s0, s20, s0
	v_readlane_b32 s9, v56, 1
	v_readlane_b32 s11, v56, 3
	s_mov_b32 s14, s10
	s_mov_b64 s[12:13], s[8:9]
	s_mul_i32 s0, s0, s14
	v_readlane_b32 s1, v56, 19
	v_readlane_b32 s8, v56, 22
	;; [unrolled: 1-line block ×4, first 2 shown]
	s_xor_b32 s1, s1, s8
	s_mul_i32 s8, s14, s11
	v_readlane_b32 s9, v56, 13
	s_sub_i32 s8, s9, s8
	s_add_i32 s9, s14, 1
	s_sub_i32 s10, s8, s11
	s_cmp_ge_u32 s8, s11
	s_cselect_b32 s9, s9, s14
	s_cselect_b32 s8, s10, s8
	s_add_i32 s10, s9, 1
	s_cmp_ge_u32 s8, s11
	s_cselect_b32 s8, s10, s9
	s_xor_b32 s8, s8, s1
	s_sub_i32 s1, s8, s1
	s_mul_i32 s8, s1, s22
	s_sub_i32 s8, s21, s8
	s_mul_i32 s8, s8, s13
	s_add_i32 s0, s8, s0
	s_mul_i32 s1, s1, s12
	v_readlane_b32 s8, v56, 4
	s_add_i32 s0, s0, s1
	s_mul_i32 s1, s26, s25
	v_readlane_b32 s10, v56, 6
	s_sub_i32 s1, s20, s1
	v_readlane_b32 s9, v56, 5
	s_mov_b32 s14, s10
	s_mov_b64 s[12:13], s[8:9]
	s_mul_i32 s1, s1, s14
	v_readlane_b32 s8, v56, 24
	v_readlane_b32 s9, v56, 27
	;; [unrolled: 1-line block ×4, first 2 shown]
	s_xor_b32 s8, s8, s9
	s_mul_i32 s9, s15, s14
	v_readlane_b32 s10, v56, 16
	v_readlane_b32 s11, v56, 7
	s_sub_i32 s9, s10, s9
	s_add_i32 s10, s15, 1
	s_sub_i32 s11, s9, s14
	s_cmp_ge_u32 s9, s14
	s_cselect_b32 s10, s10, s15
	s_cselect_b32 s9, s11, s9
	s_add_i32 s11, s10, 1
	s_cmp_ge_u32 s9, s14
	s_cselect_b32 s9, s11, s10
	s_xor_b32 s9, s9, s8
	s_sub_i32 s8, s9, s8
	s_mul_i32 s9, s8, s24
	s_sub_i32 s9, s26, s9
	s_mul_i32 s9, s9, s13
	s_add_i32 s1, s9, s1
	s_mul_i32 s8, s8, s12
	s_add_i32 s8, s1, s8
	s_ashr_i32 s1, s0, 31
	v_mov_b32_e32 v2, 0
	s_lshl_b64 s[0:1], s[0:1], 2
	v_readlane_b32 s10, v56, 11
	ds_read_b32 v0, v2 offset:4108
	v_readlane_b32 s11, v56, 12
	s_add_u32 s0, s10, s0
	s_addc_u32 s1, s11, s1
	s_ashr_i32 s9, s8, 31
	s_lshl_b64 s[8:9], s[8:9], 3
	v_readlane_b32 s10, v56, 8
	v_readlane_b32 s11, v56, 9
	s_add_u32 s8, s10, s8
	s_addc_u32 s9, s11, s9
	s_waitcnt lgkmcnt(0)
	v_ashrrev_i32_e32 v1, 31, v0
	global_store_dwordx2 v2, v[0:1], s[8:9]
	global_store_dword v2, v21, s[0:1]
.LBB18_256:
	s_or_b64 exec, exec, s[6:7]
.LBB18_257:
	s_or_saveexec_b64 s[0:1], s[4:5]
	s_mov_b64 s[4:5], 0
	s_xor_b64 exec, exec, s[0:1]
	s_cbranch_execnz .LBB18_260
.LBB18_258:
	s_or_b64 exec, exec, s[0:1]
	s_and_b64 s[4:5], s[4:5], exec
	s_andn2_saveexec_b64 s[0:1], s[2:3]
	s_cbranch_execz .LBB18_236
.LBB18_259:
	s_or_b64 s[4:5], s[4:5], exec
	s_trap 2
	s_or_b64 exec, exec, s[0:1]
	s_and_saveexec_b64 s[0:1], s[4:5]
	s_cbranch_execnz .LBB18_237
	s_branch .LBB18_238
.LBB18_260:
	s_mov_b64 s[4:5], exec
	s_trap 2
	s_branch .LBB18_258
	.section	.rodata,"a",@progbits
	.p2align	6, 0x0
	.amdhsa_kernel _ZN2at6native12_GLOBAL__N_114gatherKthValueIiiLi3EEEvNS_4cuda6detail10TensorInfoIKT_T0_EES8_S8_S8_S8_NS5_IS6_S8_EENS5_IlS8_EE
		.amdhsa_group_segment_fixed_size 4112
		.amdhsa_private_segment_fixed_size 0
		.amdhsa_kernarg_size 920
		.amdhsa_user_sgpr_count 2
		.amdhsa_user_sgpr_dispatch_ptr 0
		.amdhsa_user_sgpr_queue_ptr 0
		.amdhsa_user_sgpr_kernarg_segment_ptr 1
		.amdhsa_user_sgpr_dispatch_id 0
		.amdhsa_user_sgpr_kernarg_preload_length 0
		.amdhsa_user_sgpr_kernarg_preload_offset 0
		.amdhsa_user_sgpr_private_segment_size 0
		.amdhsa_uses_dynamic_stack 0
		.amdhsa_enable_private_segment 0
		.amdhsa_system_sgpr_workgroup_id_x 1
		.amdhsa_system_sgpr_workgroup_id_y 1
		.amdhsa_system_sgpr_workgroup_id_z 1
		.amdhsa_system_sgpr_workgroup_info 0
		.amdhsa_system_vgpr_workitem_id 0
		.amdhsa_next_free_vgpr 57
		.amdhsa_next_free_sgpr 100
		.amdhsa_accum_offset 60
		.amdhsa_reserve_vcc 1
		.amdhsa_float_round_mode_32 0
		.amdhsa_float_round_mode_16_64 0
		.amdhsa_float_denorm_mode_32 3
		.amdhsa_float_denorm_mode_16_64 3
		.amdhsa_dx10_clamp 1
		.amdhsa_ieee_mode 1
		.amdhsa_fp16_overflow 0
		.amdhsa_tg_split 0
		.amdhsa_exception_fp_ieee_invalid_op 0
		.amdhsa_exception_fp_denorm_src 0
		.amdhsa_exception_fp_ieee_div_zero 0
		.amdhsa_exception_fp_ieee_overflow 0
		.amdhsa_exception_fp_ieee_underflow 0
		.amdhsa_exception_fp_ieee_inexact 0
		.amdhsa_exception_int_div_zero 0
	.end_amdhsa_kernel
	.section	.text._ZN2at6native12_GLOBAL__N_114gatherKthValueIiiLi3EEEvNS_4cuda6detail10TensorInfoIKT_T0_EES8_S8_S8_S8_NS5_IS6_S8_EENS5_IlS8_EE,"axG",@progbits,_ZN2at6native12_GLOBAL__N_114gatherKthValueIiiLi3EEEvNS_4cuda6detail10TensorInfoIKT_T0_EES8_S8_S8_S8_NS5_IS6_S8_EENS5_IlS8_EE,comdat
.Lfunc_end18:
	.size	_ZN2at6native12_GLOBAL__N_114gatherKthValueIiiLi3EEEvNS_4cuda6detail10TensorInfoIKT_T0_EES8_S8_S8_S8_NS5_IS6_S8_EENS5_IlS8_EE, .Lfunc_end18-_ZN2at6native12_GLOBAL__N_114gatherKthValueIiiLi3EEEvNS_4cuda6detail10TensorInfoIKT_T0_EES8_S8_S8_S8_NS5_IS6_S8_EENS5_IlS8_EE
                                        ; -- End function
	.set _ZN2at6native12_GLOBAL__N_114gatherKthValueIiiLi3EEEvNS_4cuda6detail10TensorInfoIKT_T0_EES8_S8_S8_S8_NS5_IS6_S8_EENS5_IlS8_EE.num_vgpr, 57
	.set _ZN2at6native12_GLOBAL__N_114gatherKthValueIiiLi3EEEvNS_4cuda6detail10TensorInfoIKT_T0_EES8_S8_S8_S8_NS5_IS6_S8_EENS5_IlS8_EE.num_agpr, 0
	.set _ZN2at6native12_GLOBAL__N_114gatherKthValueIiiLi3EEEvNS_4cuda6detail10TensorInfoIKT_T0_EES8_S8_S8_S8_NS5_IS6_S8_EENS5_IlS8_EE.numbered_sgpr, 100
	.set _ZN2at6native12_GLOBAL__N_114gatherKthValueIiiLi3EEEvNS_4cuda6detail10TensorInfoIKT_T0_EES8_S8_S8_S8_NS5_IS6_S8_EENS5_IlS8_EE.num_named_barrier, 0
	.set _ZN2at6native12_GLOBAL__N_114gatherKthValueIiiLi3EEEvNS_4cuda6detail10TensorInfoIKT_T0_EES8_S8_S8_S8_NS5_IS6_S8_EENS5_IlS8_EE.private_seg_size, 0
	.set _ZN2at6native12_GLOBAL__N_114gatherKthValueIiiLi3EEEvNS_4cuda6detail10TensorInfoIKT_T0_EES8_S8_S8_S8_NS5_IS6_S8_EENS5_IlS8_EE.uses_vcc, 1
	.set _ZN2at6native12_GLOBAL__N_114gatherKthValueIiiLi3EEEvNS_4cuda6detail10TensorInfoIKT_T0_EES8_S8_S8_S8_NS5_IS6_S8_EENS5_IlS8_EE.uses_flat_scratch, 0
	.set _ZN2at6native12_GLOBAL__N_114gatherKthValueIiiLi3EEEvNS_4cuda6detail10TensorInfoIKT_T0_EES8_S8_S8_S8_NS5_IS6_S8_EENS5_IlS8_EE.has_dyn_sized_stack, 0
	.set _ZN2at6native12_GLOBAL__N_114gatherKthValueIiiLi3EEEvNS_4cuda6detail10TensorInfoIKT_T0_EES8_S8_S8_S8_NS5_IS6_S8_EENS5_IlS8_EE.has_recursion, 0
	.set _ZN2at6native12_GLOBAL__N_114gatherKthValueIiiLi3EEEvNS_4cuda6detail10TensorInfoIKT_T0_EES8_S8_S8_S8_NS5_IS6_S8_EENS5_IlS8_EE.has_indirect_call, 0
	.section	.AMDGPU.csdata,"",@progbits
; Kernel info:
; codeLenInByte = 10048
; TotalNumSgprs: 106
; NumVgprs: 57
; NumAgprs: 0
; TotalNumVgprs: 57
; ScratchSize: 0
; MemoryBound: 0
; FloatMode: 240
; IeeeMode: 1
; LDSByteSize: 4112 bytes/workgroup (compile time only)
; SGPRBlocks: 13
; VGPRBlocks: 7
; NumSGPRsForWavesPerEU: 106
; NumVGPRsForWavesPerEU: 57
; AccumOffset: 60
; Occupancy: 7
; WaveLimiterHint : 1
; COMPUTE_PGM_RSRC2:SCRATCH_EN: 0
; COMPUTE_PGM_RSRC2:USER_SGPR: 2
; COMPUTE_PGM_RSRC2:TRAP_HANDLER: 0
; COMPUTE_PGM_RSRC2:TGID_X_EN: 1
; COMPUTE_PGM_RSRC2:TGID_Y_EN: 1
; COMPUTE_PGM_RSRC2:TGID_Z_EN: 1
; COMPUTE_PGM_RSRC2:TIDIG_COMP_CNT: 0
; COMPUTE_PGM_RSRC3_GFX90A:ACCUM_OFFSET: 14
; COMPUTE_PGM_RSRC3_GFX90A:TG_SPLIT: 0
	.section	.text._ZN2at6native12_GLOBAL__N_114gatherKthValueIiiLin1EEEvNS_4cuda6detail10TensorInfoIKT_T0_EES8_S8_S8_S8_NS5_IS6_S8_EENS5_IlS8_EE,"axG",@progbits,_ZN2at6native12_GLOBAL__N_114gatherKthValueIiiLin1EEEvNS_4cuda6detail10TensorInfoIKT_T0_EES8_S8_S8_S8_NS5_IS6_S8_EENS5_IlS8_EE,comdat
	.globl	_ZN2at6native12_GLOBAL__N_114gatherKthValueIiiLin1EEEvNS_4cuda6detail10TensorInfoIKT_T0_EES8_S8_S8_S8_NS5_IS6_S8_EENS5_IlS8_EE ; -- Begin function _ZN2at6native12_GLOBAL__N_114gatherKthValueIiiLin1EEEvNS_4cuda6detail10TensorInfoIKT_T0_EES8_S8_S8_S8_NS5_IS6_S8_EENS5_IlS8_EE
	.p2align	8
	.type	_ZN2at6native12_GLOBAL__N_114gatherKthValueIiiLin1EEEvNS_4cuda6detail10TensorInfoIKT_T0_EES8_S8_S8_S8_NS5_IS6_S8_EENS5_IlS8_EE,@function
_ZN2at6native12_GLOBAL__N_114gatherKthValueIiiLin1EEEvNS_4cuda6detail10TensorInfoIKT_T0_EES8_S8_S8_S8_NS5_IS6_S8_EENS5_IlS8_EE: ; @_ZN2at6native12_GLOBAL__N_114gatherKthValueIiiLin1EEEvNS_4cuda6detail10TensorInfoIKT_T0_EES8_S8_S8_S8_NS5_IS6_S8_EENS5_IlS8_EE
; %bb.0:
	s_load_dwordx2 s[12:13], s[0:1], 0x298
	s_load_dwordx4 s[60:63], s[0:1], 0xd8
	s_add_u32 s10, s0, 0x298
	s_addc_u32 s11, s1, 0
	s_waitcnt lgkmcnt(0)
	s_mul_i32 s4, s13, s4
	s_add_i32 s3, s4, s3
	s_mul_i32 s3, s3, s12
	s_add_i32 s33, s3, s2
	s_cmp_ge_i32 s33, s62
	s_cbranch_scc1 .LBB19_247
; %bb.1:
	s_load_dword s4, s[0:1], 0xd0
	s_mov_b32 s5, 0
	s_mov_b32 s3, s33
	s_waitcnt lgkmcnt(0)
	s_cmp_lt_i32 s4, 2
	s_cbranch_scc1 .LBB19_4
; %bb.2:
	s_add_i32 s8, s4, 1
	s_add_i32 s4, s4, -1
	s_lshl_b64 s[6:7], s[4:5], 2
	s_add_u32 s3, s0, s6
	s_addc_u32 s4, s1, s7
	s_add_u32 s6, s3, 8
	s_addc_u32 s7, s4, 0
	s_mov_b32 s3, s33
.LBB19_3:                               ; =>This Inner Loop Header: Depth=1
	s_load_dword s4, s[6:7], 0x0
	s_load_dword s13, s[6:7], 0x64
	s_mov_b32 s9, s3
	s_abs_i32 s3, s3
	s_waitcnt lgkmcnt(0)
	s_abs_i32 s15, s4
	v_cvt_f32_u32_e32 v1, s15
	s_sub_i32 s16, 0, s15
	s_xor_b32 s14, s9, s4
	s_ashr_i32 s14, s14, 31
	v_rcp_iflag_f32_e32 v1, v1
	s_nop 0
	v_mul_f32_e32 v1, 0x4f7ffffe, v1
	v_cvt_u32_f32_e32 v1, v1
	s_nop 0
	v_readfirstlane_b32 s17, v1
	s_mul_i32 s16, s16, s17
	s_mul_hi_u32 s16, s17, s16
	s_add_i32 s17, s17, s16
	s_mul_hi_u32 s16, s3, s17
	s_mul_i32 s17, s16, s15
	s_sub_i32 s3, s3, s17
	s_add_i32 s18, s16, 1
	s_sub_i32 s17, s3, s15
	s_cmp_ge_u32 s3, s15
	s_cselect_b32 s16, s18, s16
	s_cselect_b32 s3, s17, s3
	s_add_i32 s17, s16, 1
	s_cmp_ge_u32 s3, s15
	s_cselect_b32 s3, s17, s16
	s_xor_b32 s3, s3, s14
	s_sub_i32 s3, s3, s14
	s_mul_i32 s4, s3, s4
	s_sub_i32 s4, s9, s4
	s_mul_i32 s4, s13, s4
	s_add_i32 s8, s8, -1
	s_add_i32 s5, s4, s5
	s_add_u32 s6, s6, -4
	s_addc_u32 s7, s7, -1
	s_cmp_gt_u32 s8, 2
	s_cbranch_scc1 .LBB19_3
.LBB19_4:
	s_load_dword s8, s[0:1], 0x1b8
	s_add_u32 s6, s0, 0xe8
	s_addc_u32 s7, s1, 0
	s_mov_b32 s65, 0
	s_mov_b32 s62, s33
	s_waitcnt lgkmcnt(0)
	s_cmp_lt_i32 s8, 2
	s_cbranch_scc1 .LBB19_7
; %bb.5:
	s_add_i32 s64, s8, -1
	s_add_i32 s4, s8, 1
	s_lshl_b64 s[8:9], s[64:65], 2
	s_add_u32 s8, s6, s8
	s_addc_u32 s9, s7, s9
	s_add_u32 s8, s8, 8
	s_addc_u32 s9, s9, 0
	s_mov_b32 s62, s33
.LBB19_6:                               ; =>This Inner Loop Header: Depth=1
	s_load_dword s13, s[8:9], 0x0
	s_load_dword s15, s[8:9], 0x64
	s_abs_i32 s16, s62
	s_mov_b32 s14, s62
	s_waitcnt lgkmcnt(0)
	s_abs_i32 s18, s13
	v_cvt_f32_u32_e32 v1, s18
	s_sub_i32 s19, 0, s18
	s_xor_b32 s17, s62, s13
	s_ashr_i32 s17, s17, 31
	v_rcp_iflag_f32_e32 v1, v1
	s_nop 0
	v_mul_f32_e32 v1, 0x4f7ffffe, v1
	v_cvt_u32_f32_e32 v1, v1
	s_nop 0
	v_readfirstlane_b32 s20, v1
	s_mul_i32 s19, s19, s20
	s_mul_hi_u32 s19, s20, s19
	s_add_i32 s20, s20, s19
	s_mul_hi_u32 s19, s16, s20
	s_mul_i32 s20, s19, s18
	s_sub_i32 s16, s16, s20
	s_add_i32 s21, s19, 1
	s_sub_i32 s20, s16, s18
	s_cmp_ge_u32 s16, s18
	s_cselect_b32 s19, s21, s19
	s_cselect_b32 s16, s20, s16
	s_add_i32 s20, s19, 1
	s_cmp_ge_u32 s16, s18
	s_cselect_b32 s16, s20, s19
	s_xor_b32 s16, s16, s17
	s_sub_i32 s62, s16, s17
	s_mul_i32 s13, s62, s13
	s_sub_i32 s13, s14, s13
	s_mul_i32 s13, s15, s13
	s_add_i32 s4, s4, -1
	s_add_i32 s65, s13, s65
	s_add_u32 s8, s8, -4
	s_addc_u32 s9, s9, -1
	s_cmp_gt_u32 s4, 2
	s_cbranch_scc1 .LBB19_6
.LBB19_7:
	s_load_dword s4, s[0:1], 0x6c
	s_load_dword s14, s[0:1], 0x290
	s_add_u32 s8, s0, 0x1c0
	s_addc_u32 s9, s1, 0
	s_mov_b32 s67, 0
	s_waitcnt lgkmcnt(0)
	s_cmp_lt_i32 s14, 2
	s_cbranch_scc1 .LBB19_10
; %bb.8:
	s_add_i32 s66, s14, -1
	s_add_i32 s13, s14, 1
	s_lshl_b64 s[14:15], s[66:67], 2
	s_add_u32 s8, s8, s14
	s_addc_u32 s9, s9, s15
	s_add_u32 s8, s8, 8
	s_addc_u32 s9, s9, 0
.LBB19_9:                               ; =>This Inner Loop Header: Depth=1
	s_load_dword s14, s[8:9], 0x0
	s_load_dword s16, s[8:9], 0x64
	s_abs_i32 s17, s33
	s_mov_b32 s15, s33
	s_waitcnt lgkmcnt(0)
	s_abs_i32 s19, s14
	v_cvt_f32_u32_e32 v1, s19
	s_sub_i32 s20, 0, s19
	s_xor_b32 s18, s33, s14
	s_ashr_i32 s18, s18, 31
	v_rcp_iflag_f32_e32 v1, v1
	s_nop 0
	v_mul_f32_e32 v1, 0x4f7ffffe, v1
	v_cvt_u32_f32_e32 v1, v1
	s_nop 0
	v_readfirstlane_b32 s21, v1
	s_mul_i32 s20, s20, s21
	s_mul_hi_u32 s20, s21, s20
	s_add_i32 s21, s21, s20
	s_mul_hi_u32 s20, s17, s21
	s_mul_i32 s21, s20, s19
	s_sub_i32 s17, s17, s21
	s_add_i32 s22, s20, 1
	s_sub_i32 s21, s17, s19
	s_cmp_ge_u32 s17, s19
	s_cselect_b32 s20, s22, s20
	s_cselect_b32 s17, s21, s17
	s_add_i32 s21, s20, 1
	s_cmp_ge_u32 s17, s19
	s_cselect_b32 s17, s21, s20
	s_xor_b32 s17, s17, s18
	s_sub_i32 s33, s17, s18
	s_mul_i32 s14, s33, s14
	s_sub_i32 s14, s15, s14
	s_mul_i32 s14, s16, s14
	s_add_i32 s13, s13, -1
	s_add_i32 s67, s14, s67
	s_add_u32 s8, s8, -4
	s_addc_u32 s9, s9, -1
	s_cmp_gt_u32 s13, 2
	s_cbranch_scc1 .LBB19_9
.LBB19_10:
	s_load_dword s6, s[6:7], 0x6c
                                        ; implicit-def: $vgpr56 : SGPR spill to VGPR lane
	v_cmp_eq_u32_e64 s[18:19], 0, v0
	s_waitcnt lgkmcnt(0)
	v_writelane_b32 v56, s6, 0
	s_load_dwordx2 s[6:7], s[0:1], 0x0
	s_load_dwordx2 s[8:9], s[0:1], 0xe8
	s_waitcnt lgkmcnt(0)
	v_writelane_b32 v56, s8, 1
	s_nop 1
	v_writelane_b32 v56, s9, 2
	s_load_dwordx2 s[8:9], s[0:1], 0x1c0
	s_waitcnt lgkmcnt(0)
	v_writelane_b32 v56, s8, 3
	s_nop 1
	v_writelane_b32 v56, s9, 4
	s_mov_b32 s8, 0
	v_writelane_b32 v56, s8, 5
	s_nop 1
	v_writelane_b32 v56, s9, 6
	s_and_saveexec_b64 s[8:9], s[18:19]
; %bb.11:
	v_mov_b32_e32 v2, 0
	v_mov_b32_e32 v3, s60
	;; [unrolled: 1-line block ×3, first 2 shown]
	ds_write_b96 v2, v[2:4] offset:4096
; %bb.12:
	s_or_b64 exec, exec, s[8:9]
	s_load_dword s0, s[0:1], 0x22c
	s_waitcnt lgkmcnt(0)
	s_barrier
	v_mbcnt_lo_u32_b32 v1, -1, 0
	v_writelane_b32 v56, s0, 7
	s_mul_i32 s0, s4, s3
	s_load_dword s3, s[10:11], 0xc
	s_add_i32 s0, s0, s5
	s_ashr_i32 s1, s0, 31
	s_lshl_b64 s[0:1], s[0:1], 2
	s_add_u32 s72, s6, s0
	s_addc_u32 s73, s7, s1
	s_waitcnt lgkmcnt(0)
	s_and_b32 s64, s3, 0xffff
	v_mbcnt_hi_u32_b32 v26, -1, v1
	v_cmp_gt_u32_e32 vcc, 64, v0
	v_cmp_gt_i32_e64 s[4:5], 4, v26
	s_add_i32 s6, s64, -1
	s_lshl_b32 s66, s64, 2
	s_and_b64 s[76:77], vcc, s[4:5]
	s_add_i32 s83, s6, s60
	v_writelane_b32 v56, s6, 8
	s_cmpk_gt_i32 s60, 0x300
	v_cmp_gt_u32_e64 s[6:7], s60, v0
	s_cselect_b64 s[78:79], -1, 0
	s_cmp_gt_u32 s64, 63
	v_writelane_b32 v56, s6, 9
	s_cselect_b64 s[80:81], -1, 0
	s_cmp_lt_u32 s2, s12
	v_writelane_b32 v56, s7, 10
	v_cmp_gt_i32_e64 s[6:7], s60, v0
	s_cselect_b32 s2, 12, 18
	v_lshlrev_b64 v[2:3], v26, -1
	v_writelane_b32 v56, s6, 11
	v_not_b32_e32 v14, v2
	v_lshrrev_b32_e32 v2, 2, v0
	v_writelane_b32 v56, s7, 12
	s_add_u32 s6, s10, s2
	s_addc_u32 s7, s11, 0
	v_writelane_b32 v56, s6, 13
	s_bfe_u32 s8, s3, 0xa0006
	s_add_i32 s2, s8, -2
	v_writelane_b32 v56, s7, 14
	s_lshr_b32 s3, s2, 1
	v_readlane_b32 s6, v56, 5
	v_readlane_b32 s7, v56, 6
	s_mov_b32 s7, 1
	s_add_i32 s3, s3, 1
	v_writelane_b32 v56, s6, 5
	s_cmpk_gt_u32 s64, 0x7f
	v_and_b32_e32 v2, 0xf0, v2
	v_writelane_b32 v56, s7, 6
	s_cselect_b64 s[6:7], -1, 0
	v_or_b32_e32 v28, 0xc00, v2
	v_writelane_b32 v56, s6, 15
	v_cvt_f32_u32_e32 v2, s66
	v_not_b32_e32 v1, v3
	v_writelane_b32 v56, s7, 16
	s_and_b32 s6, s8, 0x3fe
	s_and_b32 s7, s3, 7
	s_cmp_gt_u32 s2, 13
	s_cselect_b64 s[10:11], -1, 0
	v_writelane_b32 v56, s10, 17
	v_rcp_iflag_f32_e32 v2, v2
	s_and_b32 s2, s3, -8
	v_writelane_b32 v56, s11, 18
	v_writelane_b32 v56, s2, 19
	s_cmp_lg_u32 s7, 0
	v_writelane_b32 v56, s7, 20
	s_cselect_b64 s[2:3], -1, 0
	v_writelane_b32 v56, s2, 21
	v_mul_f32_e32 v2, 0x4f7ffffe, v2
	v_cvt_u32_f32_e32 v2, v2
	v_writelane_b32 v56, s3, 22
	v_writelane_b32 v56, s8, 23
	s_cmp_lg_u32 s6, s8
	v_writelane_b32 v56, s6, 24
	s_cselect_b64 s[2:3], -1, 0
	v_writelane_b32 v56, s2, 25
	v_cvt_f32_u32_e32 v3, s64
	v_lshlrev_b32_e32 v15, 2, v0
	v_writelane_b32 v56, s3, 26
	s_sub_i32 s2, 0, s66
	v_readfirstlane_b32 s3, v2
	s_mul_i32 s2, s2, s3
	s_mul_hi_u32 s2, s3, s2
	s_add_i32 s8, s3, s2
	s_mul_hi_u32 s2, s60, s8
	s_mul_i32 s2, s2, s66
	s_sub_i32 s2, s60, s2
	s_sub_i32 s3, s2, s66
	s_cmp_ge_u32 s2, s66
	s_cselect_b32 s2, s3, s2
	s_sub_i32 s3, s2, s66
	s_cmp_ge_u32 s2, s66
	s_cselect_b32 s2, s3, s2
	s_sub_i32 s9, s60, s2
	v_rcp_iflag_f32_e32 v5, v3
	v_add_u32_e32 v29, s9, v0
	v_mul_lo_u32 v2, v29, s63
	v_ashrrev_i32_e32 v3, 31, v2
	v_lshl_add_u64 v[16:17], v[2:3], 2, s[72:73]
	v_mul_f32_e32 v2, 0x4f7ffffe, v5
	v_cvt_u32_f32_e32 v2, v2
	s_sub_i32 s7, 0, s64
	s_abs_i32 s6, s83
	s_ashr_i32 s3, s83, 31
	v_readfirstlane_b32 s16, v2
	s_mul_i32 s7, s7, s16
	s_mul_hi_u32 s7, s16, s7
	s_add_i32 s7, s16, s7
	v_writelane_b32 v56, s7, 27
	s_mul_hi_u32 s7, s6, s7
	s_mul_i32 s7, s7, s64
	s_sub_i32 s6, s6, s7
	s_sub_i32 s7, s6, s64
	s_cmp_ge_u32 s6, s64
	s_cselect_b32 s6, s7, s6
	s_sub_i32 s7, s6, s64
	s_cmp_ge_u32 s6, s64
	s_cselect_b32 s6, s7, s6
	s_xor_b32 s6, s6, s3
	v_mul_lo_u32 v2, s63, v15
	s_sub_i32 s3, s3, s6
	v_add_u32_e32 v30, s63, v2
	v_or_b32_e32 v2, 2, v15
	s_add_i32 s83, s83, s3
	v_mul_lo_u32 v31, s63, v2
	v_or_b32_e32 v2, 3, v15
	s_add_i32 s3, s64, s60
	v_mov_b32_e32 v11, 0
	v_mul_lo_u32 v32, s63, v2
	v_add_u32_e32 v2, s3, v0
	v_mov_b32_e32 v8, 0
	v_mul_lo_u32 v6, s63, v0
	v_mov_b32_e32 v7, v11
	v_lshlrev_b32_e32 v4, 2, v26
	v_cmp_gt_i32_e64 s[6:7], s83, v0
	s_mul_i32 s90, s63, s64
	v_subrev_u32_e32 v2, s2, v2
	v_cmp_eq_u32_e64 s[0:1], 0, v26
	v_cmp_gt_u32_e64 s[4:5], 2, v0
	v_add_u32_e32 v27, 0xc00, v15
	v_lshl_add_u64 v[12:13], v[6:7], 2, s[72:73]
	v_and_b32_e32 v7, 0x100, v4
	v_cmp_gt_i32_e64 s[10:11], s9, v15
	v_cmp_gt_u32_e64 s[12:13], s60, v29
	v_cmp_gt_i32_e64 s[14:15], s60, v29
	v_writelane_b32 v56, s6, 28
	s_lshl_b32 s84, s90, 2
	v_lshlrev_b32_e32 v33, 2, v6
	v_mul_lo_u32 v35, s63, v2
	v_lshlrev_b32_e32 v36, 4, v0
	s_lshl_b32 s85, s64, 4
	v_or_b32_e32 v37, 0xc00, v4
	s_mov_b64 s[92:93], 0
	v_mov_b32_e32 v38, 30
	v_mov_b32_e32 v42, s61
	s_brev_b32 s61, 1
	v_mov_b32_e32 v43, s60
	v_mov_b32_e32 v18, 1
	;; [unrolled: 1-line block ×7, first 2 shown]
	v_writelane_b32 v56, s7, 29
                                        ; implicit-def: $sgpr94_sgpr95
                                        ; implicit-def: $sgpr98_sgpr99
                                        ; implicit-def: $sgpr96_sgpr97
                                        ; implicit-def: $sgpr70_sgpr71
                                        ; implicit-def: $sgpr74_sgpr75
                                        ; implicit-def: $sgpr68_sgpr69
	s_branch .LBB19_16
.LBB19_13:                              ;   in Loop: Header=BB19_16 Depth=1
	s_or_b64 exec, exec, s[30:31]
	s_and_b64 s[30:31], s[28:29], exec
	s_andn2_b64 s[26:27], s[26:27], exec
	s_andn2_b64 s[24:25], s[24:25], exec
	s_orn2_b64 s[20:21], s[20:21], exec
.LBB19_14:                              ;   in Loop: Header=BB19_16 Depth=1
	s_or_b64 exec, exec, s[22:23]
	s_andn2_b64 s[6:7], s[68:69], exec
	s_and_b64 s[16:17], s[30:31], exec
	s_or_b64 s[68:69], s[6:7], s[16:17]
	s_andn2_b64 s[6:7], s[74:75], exec
	s_and_b64 s[16:17], s[26:27], exec
	s_or_b64 s[74:75], s[6:7], s[16:17]
	;; [unrolled: 3-line block ×3, first 2 shown]
	s_orn2_b64 s[20:21], s[20:21], exec
.LBB19_15:                              ;   in Loop: Header=BB19_16 Depth=1
	s_or_b64 exec, exec, s[2:3]
	s_and_b64 s[2:3], exec, s[20:21]
	s_or_b64 s[92:93], s[2:3], s[92:93]
	s_andn2_b64 s[2:3], s[96:97], exec
	s_and_b64 s[6:7], s[68:69], exec
	s_or_b64 s[96:97], s[2:3], s[6:7]
	s_andn2_b64 s[2:3], s[98:99], exec
	s_and_b64 s[6:7], s[74:75], exec
	;; [unrolled: 3-line block ×3, first 2 shown]
	s_or_b64 s[94:95], s[2:3], s[6:7]
	v_mov_b32_e32 v42, v10
	s_andn2_b64 exec, exec, s[92:93]
	s_cbranch_execz .LBB19_243
.LBB19_16:                              ; =>This Loop Header: Depth=1
                                        ;     Child Loop BB19_22 Depth 2
                                        ;     Child Loop BB19_37 Depth 2
	;; [unrolled: 1-line block ×17, first 2 shown]
	ds_read_b64 v[2:3], v11 offset:4096
	s_waitcnt lgkmcnt(0)
	v_readfirstlane_b32 s16, v2
	s_cmp_gt_i32 s16, 0
	s_cbranch_scc1 .LBB19_44
; %bb.17:                               ;   in Loop: Header=BB19_16 Depth=1
	s_and_b64 vcc, exec, s[78:79]
	s_cbranch_vccz .LBB19_30
; %bb.18:                               ;   in Loop: Header=BB19_16 Depth=1
	s_movk_i32 s2, 0x301
	v_cmp_gt_i32_e32 vcc, s2, v3
	s_mov_b64 s[20:21], 0
	s_mov_b64 s[2:3], 0
	s_cbranch_vccz .LBB19_31
; %bb.19:                               ;   in Loop: Header=BB19_16 Depth=1
	s_mov_b64 s[22:23], exec
	v_readlane_b32 s2, v56, 9
	v_readlane_b32 s3, v56, 10
	s_and_b64 s[2:3], s[22:23], s[2:3]
	s_mov_b64 exec, s[2:3]
	s_cbranch_execz .LBB19_76
; %bb.20:                               ;   in Loop: Header=BB19_16 Depth=1
	v_readlane_b32 s2, v56, 13
	v_readlane_b32 s3, v56, 14
	s_nop 4
	global_load_ushort v2, v11, s[2:3]
	global_load_dword v4, v[12:13], off
	s_mov_b64 s[24:25], 0
	s_waitcnt vmcnt(1)
	v_add_u32_e32 v5, v0, v2
	v_mul_lo_u32 v3, s63, v2
	v_mul_lo_u32 v10, s63, v5
	v_mov_b32_e32 v5, v0
	s_branch .LBB19_22
.LBB19_21:                              ;   in Loop: Header=BB19_22 Depth=2
	s_or_b64 exec, exec, s[2:3]
	v_cmp_le_i32_e32 vcc, s60, v5
	v_add_u32_e32 v10, v10, v3
	s_or_b64 s[24:25], vcc, s[24:25]
	v_mov_b32_e32 v4, v9
	s_andn2_b64 exec, exec, s[24:25]
	s_cbranch_execz .LBB19_76
.LBB19_22:                              ;   Parent Loop BB19_16 Depth=1
                                        ; =>  This Inner Loop Header: Depth=2
	v_add_u32_e32 v5, v5, v2
	v_cmp_gt_u32_e32 vcc, s60, v5
	s_waitcnt lgkmcnt(0)
	v_mov_b32_e32 v19, 0
	v_mov_b32_e32 v9, 0
	s_and_saveexec_b64 s[2:3], vcc
	s_cbranch_execz .LBB19_24
; %bb.23:                               ;   in Loop: Header=BB19_22 Depth=2
	v_lshl_add_u64 v[22:23], v[10:11], 2, s[72:73]
	global_load_dword v9, v[22:23], off
.LBB19_24:                              ;   in Loop: Header=BB19_22 Depth=2
	s_or_b64 exec, exec, s[2:3]
	s_waitcnt vmcnt(0)
	v_bitop3_b32 v20, v4, v41, s61 bitop3:0x48
	v_cmp_eq_u32_e32 vcc, v20, v34
	s_cmp_lg_u64 vcc, 0
	s_cselect_b64 s[2:3], -1, 0
	s_and_b64 s[2:3], s[0:1], s[2:3]
	s_and_saveexec_b64 s[26:27], s[2:3]
	s_cbranch_execz .LBB19_28
; %bb.25:                               ;   in Loop: Header=BB19_22 Depth=2
	s_mov_b64 s[30:31], exec
	v_mbcnt_lo_u32_b32 v19, s30, 0
	v_mbcnt_hi_u32_b32 v19, s31, v19
	s_bcnt1_i32_b64 s6, vcc
	v_cmp_eq_u32_e64 s[2:3], 0, v19
                                        ; implicit-def: $vgpr20
	s_and_saveexec_b64 s[28:29], s[2:3]
; %bb.26:                               ;   in Loop: Header=BB19_22 Depth=2
	s_bcnt1_i32_b64 s2, s[30:31]
	s_mul_i32 s2, s6, s2
	v_mov_b32_e32 v20, s2
	ds_add_rtn_u32 v20, v11, v20 offset:4104
; %bb.27:                               ;   in Loop: Header=BB19_22 Depth=2
	s_or_b64 exec, exec, s[28:29]
	s_waitcnt lgkmcnt(0)
	v_readfirstlane_b32 s2, v20
	s_nop 1
	v_mov_b32_e32 v20, s2
	v_mad_u32_u24 v19, s6, v19, v20
.LBB19_28:                              ;   in Loop: Header=BB19_22 Depth=2
	s_or_b64 exec, exec, s[26:27]
	ds_bpermute_b32 v19, v7, v19
	s_and_saveexec_b64 s[2:3], vcc
	s_cbranch_execz .LBB19_21
; %bb.29:                               ;   in Loop: Header=BB19_22 Depth=2
	v_and_b32_e32 v22, vcc_lo, v14
	v_and_b32_e32 v20, vcc_hi, v1
	v_bcnt_u32_b32 v22, v22, 0
	v_bcnt_u32_b32 v20, v20, v22
	v_lshlrev_b32_e32 v20, 2, v20
	s_waitcnt lgkmcnt(0)
	v_lshl_add_u32 v19, v19, 2, v20
	ds_write_b32 v19, v4
	s_branch .LBB19_21
.LBB19_30:                              ;   in Loop: Header=BB19_16 Depth=1
	s_mov_b64 s[20:21], -1
	s_mov_b64 s[2:3], 0
.LBB19_31:                              ;   in Loop: Header=BB19_16 Depth=1
	s_and_b64 vcc, exec, s[20:21]
	s_cbranch_vccz .LBB19_42
.LBB19_32:                              ;   in Loop: Header=BB19_16 Depth=1
	v_mov_b32_e32 v2, 0
	s_mov_b64 s[2:3], exec
	v_readlane_b32 s6, v56, 9
	v_readlane_b32 s7, v56, 10
	s_and_b64 s[6:7], s[2:3], s[6:7]
	s_mov_b64 exec, s[6:7]
	s_cbranch_execz .LBB19_34
; %bb.33:                               ;   in Loop: Header=BB19_16 Depth=1
	global_load_dword v2, v[12:13], off
.LBB19_34:                              ;   in Loop: Header=BB19_16 Depth=1
	s_or_b64 exec, exec, s[2:3]
	s_mov_b64 s[2:3], exec
	v_readlane_b32 s6, v56, 11
	v_readlane_b32 s7, v56, 12
	s_and_b64 s[6:7], s[2:3], s[6:7]
	s_mov_b64 exec, s[6:7]
	s_cbranch_execz .LBB19_39
; %bb.35:                               ;   in Loop: Header=BB19_16 Depth=1
	v_readlane_b32 s6, v56, 13
	v_readlane_b32 s7, v56, 14
	s_mov_b64 s[20:21], 0
	v_mov_b32_e32 v4, v15
	v_mov_b32_e32 v19, v0
	s_nop 1
	global_load_ushort v3, v11, s[6:7]
	s_waitcnt vmcnt(0)
	v_add_u32_e32 v10, v0, v3
	v_lshlrev_b32_e32 v5, 2, v3
	v_mul_lo_u32 v9, s63, v3
	v_mul_lo_u32 v10, s63, v10
	s_branch .LBB19_37
.LBB19_36:                              ;   in Loop: Header=BB19_37 Depth=2
	s_or_b64 exec, exec, s[22:23]
	v_cmp_le_i32_e32 vcc, s60, v19
	ds_write_b32 v4, v2
	v_add_u32_e32 v4, v4, v5
	v_add_u32_e32 v10, v10, v9
	s_or_b64 s[20:21], vcc, s[20:21]
	s_waitcnt vmcnt(0)
	v_mov_b32_e32 v2, v20
	s_andn2_b64 exec, exec, s[20:21]
	s_cbranch_execz .LBB19_39
.LBB19_37:                              ;   Parent Loop BB19_16 Depth=1
                                        ; =>  This Inner Loop Header: Depth=2
	v_add_u32_e32 v19, v19, v3
	v_cmp_gt_u32_e32 vcc, s60, v19
	v_mov_b32_e32 v20, 0
	s_and_saveexec_b64 s[22:23], vcc
	s_cbranch_execz .LBB19_36
; %bb.38:                               ;   in Loop: Header=BB19_37 Depth=2
	v_lshl_add_u64 v[22:23], v[10:11], 2, s[72:73]
	global_load_dword v20, v[22:23], off
	s_branch .LBB19_36
.LBB19_39:                              ;   in Loop: Header=BB19_16 Depth=1
	s_or_b64 exec, exec, s[2:3]
	s_waitcnt lgkmcnt(0)
	s_barrier
	s_and_saveexec_b64 s[2:3], s[18:19]
; %bb.40:                               ;   in Loop: Header=BB19_16 Depth=1
	ds_write_b32 v11, v43 offset:4096
; %bb.41:                               ;   in Loop: Header=BB19_16 Depth=1
	s_or_b64 exec, exec, s[2:3]
	s_mov_b64 s[2:3], -1
	s_waitcnt lgkmcnt(0)
	s_barrier
.LBB19_42:                              ;   in Loop: Header=BB19_16 Depth=1
	s_and_b64 vcc, exec, s[2:3]
	s_cbranch_vccz .LBB19_44
; %bb.43:                               ;   in Loop: Header=BB19_16 Depth=1
	s_waitcnt vmcnt(0)
	ds_read_b32 v2, v11 offset:4096
	s_waitcnt lgkmcnt(0)
	v_readfirstlane_b32 s16, v2
.LBB19_44:                              ;   in Loop: Header=BB19_16 Depth=1
	s_cmp_lt_i32 s16, 1
	s_mov_b64 s[2:3], -1
                                        ; implicit-def: $vgpr5
	s_cbranch_scc1 .LBB19_54
; %bb.45:                               ;   in Loop: Header=BB19_16 Depth=1
	s_and_b64 vcc, exec, s[2:3]
	s_cbranch_vccnz .LBB19_67
.LBB19_46:                              ;   in Loop: Header=BB19_16 Depth=1
	s_waitcnt vmcnt(0)
	v_lshlrev_b32_e32 v10, 6, v40
	s_and_saveexec_b64 s[2:3], s[0:1]
.LBB19_47:                              ;   in Loop: Header=BB19_16 Depth=1
	v_lshl_add_u32 v9, v10, 2, v28
	ds_write_b128 v9, v[2:5]
.LBB19_48:                              ;   in Loop: Header=BB19_16 Depth=1
	s_or_b64 exec, exec, s[2:3]
	s_waitcnt lgkmcnt(0)
	s_barrier
	s_and_saveexec_b64 s[2:3], s[76:77]
	s_cbranch_execz .LBB19_87
; %bb.49:                               ;   in Loop: Header=BB19_16 Depth=1
	v_add_u32_e32 v4, v10, v26
	s_andn2_b64 vcc, exec, s[80:81]
	v_mov_b32_e32 v2, 0
	s_cbranch_vccnz .LBB19_86
; %bb.50:                               ;   in Loop: Header=BB19_16 Depth=1
	v_readlane_b32 s6, v56, 15
	v_readlane_b32 s7, v56, 16
	s_andn2_b64 vcc, exec, s[6:7]
	s_cbranch_vccnz .LBB19_79
; %bb.51:                               ;   in Loop: Header=BB19_16 Depth=1
	v_readlane_b32 s6, v56, 17
	v_readlane_b32 s7, v56, 18
	s_andn2_b64 vcc, exec, s[6:7]
	v_lshl_add_u32 v5, v4, 2, v39
	s_cbranch_vccnz .LBB19_80
; %bb.52:                               ;   in Loop: Header=BB19_16 Depth=1
	s_mov_b32 s21, 1
	s_mov_b32 s20, 0
	v_mov_b32_e32 v2, 0
	v_mov_b32_e32 v3, 0
	v_readlane_b32 s6, v56, 19
.LBB19_53:                              ;   Parent Loop BB19_16 Depth=1
                                        ; =>  This Inner Loop Header: Depth=2
	v_lshl_add_u32 v9, s20, 4, v5
	v_lshl_add_u32 v19, s21, 4, v5
	ds_read2_b32 v[22:23], v9 offset1:8
	ds_read2_b32 v[24:25], v19 offset1:8
	ds_read2_b32 v[44:45], v9 offset0:16 offset1:24
	ds_read2_b32 v[46:47], v19 offset0:16 offset1:24
	;; [unrolled: 1-line block ×6, first 2 shown]
	s_waitcnt lgkmcnt(7)
	v_add3_u32 v2, v22, v2, v23
	s_waitcnt lgkmcnt(6)
	v_add3_u32 v3, v24, v3, v25
	;; [unrolled: 2-line block ×3, first 2 shown]
	v_add3_u32 v2, v44, v2, v45
	s_add_i32 s21, s21, 16
	s_add_i32 s20, s20, 16
	s_add_i32 s6, s6, -8
	s_waitcnt lgkmcnt(3)
	v_add3_u32 v2, v48, v2, v49
	s_waitcnt lgkmcnt(2)
	v_add3_u32 v3, v50, v3, v51
	s_cmp_lg_u32 s6, 0
	s_waitcnt lgkmcnt(0)
	v_add3_u32 v3, v54, v3, v55
	v_add3_u32 v2, v52, v2, v53
	s_cbranch_scc1 .LBB19_53
	s_branch .LBB19_81
.LBB19_54:                              ;   in Loop: Header=BB19_16 Depth=1
	s_waitcnt vmcnt(0)
	v_mov_b32_e32 v2, 0
	v_mov_b32_e32 v3, 0
	v_mov_b32_e32 v4, v2
	v_mov_b32_e32 v5, 0
	s_and_saveexec_b64 s[86:87], s[10:11]
	s_cbranch_execnz .LBB19_57
; %bb.55:                               ;   in Loop: Header=BB19_16 Depth=1
	s_or_b64 exec, exec, s[86:87]
	v_mov_b32_e32 v10, 0
	s_and_saveexec_b64 s[2:3], s[12:13]
	s_cbranch_execnz .LBB19_60
.LBB19_56:                              ;   in Loop: Header=BB19_16 Depth=1
	s_or_b64 exec, exec, s[2:3]
	s_and_saveexec_b64 s[20:21], s[14:15]
	s_cbranch_execnz .LBB19_61
	s_branch .LBB19_66
.LBB19_57:                              ;   in Loop: Header=BB19_16 Depth=1
	s_mov_b32 s17, 0
	s_mov_b64 s[88:89], 0
	s_mov_b32 s91, 0
	s_mov_b32 s82, 0
	;; [unrolled: 1-line block ×4, first 2 shown]
	v_mov_b32_e32 v9, v15
.LBB19_58:                              ;   Parent Loop BB19_16 Depth=1
                                        ; =>  This Inner Loop Header: Depth=2
	v_add_u32_e32 v2, s17, v33
	v_add_u32_e32 v4, s17, v30
	;; [unrolled: 1-line block ×4, first 2 shown]
	v_ashrrev_i32_e32 v3, 31, v2
	v_ashrrev_i32_e32 v5, 31, v4
	;; [unrolled: 1-line block ×4, first 2 shown]
	v_lshl_add_u64 v[2:3], v[2:3], 2, s[72:73]
	v_lshl_add_u64 v[4:5], v[4:5], 2, s[72:73]
	v_lshl_add_u64 v[22:23], v[22:23], 2, s[72:73]
	v_lshl_add_u64 v[24:25], v[24:25], 2, s[72:73]
	global_load_dword v2, v[2:3], off
	s_nop 0
	global_load_dword v3, v[4:5], off
	s_nop 0
	global_load_dword v4, v[22:23], off
	global_load_dword v5, v[24:25], off
	v_add_u32_e32 v9, s66, v9
	s_add_i32 s17, s17, s84
	v_cmp_le_i32_e32 vcc, s9, v9
	s_waitcnt vmcnt(3)
	v_xor_b32_e32 v10, 0x80000000, v2
	v_bitop3_b32 v2, v2, v41, s61 bitop3:0x48
	s_waitcnt vmcnt(2)
	v_xor_b32_e32 v19, 0x80000000, v3
	v_bitop3_b32 v3, v3, v41, s61 bitop3:0x48
	v_cmp_eq_u32_e64 s[2:3], v2, v34
	v_bfe_u32 v2, v10, v38, 2
	s_waitcnt vmcnt(1)
	v_xor_b32_e32 v20, 0x80000000, v4
	v_bitop3_b32 v4, v4, v41, s61 bitop3:0x48
	v_cmp_eq_u32_e64 s[20:21], v3, v34
	v_bfe_u32 v3, v19, v38, 2
	v_cmp_eq_u32_e64 s[26:27], 0, v2
	s_waitcnt vmcnt(0)
	v_xor_b32_e32 v22, 0x80000000, v5
	v_bitop3_b32 v5, v5, v41, s61 bitop3:0x48
	v_cmp_eq_u32_e64 s[22:23], v4, v34
	v_bfe_u32 v4, v20, v38, 2
	v_cmp_eq_u32_e64 s[28:29], 0, v3
	s_and_b64 s[26:27], s[2:3], s[26:27]
	v_cmp_eq_u32_e64 s[24:25], v5, v34
	v_bfe_u32 v5, v22, v38, 2
	v_cmp_eq_u32_e64 s[30:31], 0, v4
	v_cmp_eq_u32_e64 s[36:37], 1, v2
	;; [unrolled: 1-line block ×4, first 2 shown]
	v_cndmask_b32_e64 v2, 0, 1, s[26:27]
	s_and_b64 s[26:27], s[20:21], s[28:29]
	v_cmp_eq_u32_e64 s[34:35], 0, v5
	v_cmp_eq_u32_e64 s[38:39], 1, v3
	;; [unrolled: 1-line block ×4, first 2 shown]
	v_cndmask_b32_e64 v3, 0, 1, s[26:27]
	s_and_b64 s[26:27], s[22:23], s[30:31]
	v_cmp_eq_u32_e64 s[40:41], 1, v4
	v_cmp_eq_u32_e64 s[48:49], 2, v4
	;; [unrolled: 1-line block ×3, first 2 shown]
	v_cndmask_b32_e64 v4, 0, 1, s[26:27]
	s_and_b64 s[26:27], s[24:25], s[34:35]
	v_cmp_eq_u32_e64 s[42:43], 1, v5
	v_cmp_eq_u32_e64 s[50:51], 2, v5
	v_cmp_eq_u32_e64 s[58:59], 3, v5
	v_cndmask_b32_e64 v5, 0, 1, s[26:27]
	s_and_b64 s[26:27], s[2:3], s[36:37]
	v_cndmask_b32_e64 v10, 0, 1, s[26:27]
	s_and_b64 s[26:27], s[20:21], s[38:39]
	;; [unrolled: 2-line block ×5, first 2 shown]
	s_and_b64 s[2:3], s[2:3], s[52:53]
	v_cndmask_b32_e64 v23, 0, 1, s[26:27]
	s_and_b64 s[26:27], s[20:21], s[46:47]
	v_cndmask_b32_e64 v45, 0, 1, s[2:3]
	;; [unrolled: 2-line block ×7, first 2 shown]
	v_cndmask_b32_e64 v48, 0, 1, s[2:3]
	v_cmp_ne_u32_e64 s[2:3], 0, v2
	v_cmp_ne_u32_e64 s[20:21], 0, v3
	;; [unrolled: 1-line block ×11, first 2 shown]
	s_bcnt1_i32_b64 s2, s[2:3]
	s_bcnt1_i32_b64 s3, s[20:21]
	;; [unrolled: 1-line block ×8, first 2 shown]
	v_cmp_ne_u32_e64 s[34:35], 0, v22
	v_cmp_ne_u32_e64 s[40:41], 0, v25
	;; [unrolled: 1-line block ×3, first 2 shown]
	s_bcnt1_i32_b64 s23, s[28:29]
	s_bcnt1_i32_b64 s27, s[38:39]
	;; [unrolled: 1-line block ×3, first 2 shown]
	s_add_i32 s2, s7, s2
	s_add_i32 s6, s6, s22
	s_add_i32 s7, s82, s26
	s_add_i32 s22, s91, s30
	v_cmp_ne_u32_e64 s[42:43], 0, v44
	v_cmp_ne_u32_e64 s[50:51], 0, v48
	s_bcnt1_i32_b64 s25, s[34:35]
	s_bcnt1_i32_b64 s28, s[40:41]
	;; [unrolled: 1-line block ×3, first 2 shown]
	s_add_i32 s2, s2, s3
	s_add_i32 s3, s6, s23
	;; [unrolled: 1-line block ×4, first 2 shown]
	s_bcnt1_i32_b64 s29, s[42:43]
	s_bcnt1_i32_b64 s35, s[50:51]
	s_add_i32 s2, s2, s20
	s_add_i32 s3, s3, s24
	;; [unrolled: 1-line block ×8, first 2 shown]
	s_or_b64 s[88:89], vcc, s[88:89]
	v_mov_b32_e32 v2, s7
	v_mov_b32_e32 v3, s6
	;; [unrolled: 1-line block ×4, first 2 shown]
	s_andn2_b64 exec, exec, s[88:89]
	s_cbranch_execnz .LBB19_58
; %bb.59:                               ;   in Loop: Header=BB19_16 Depth=1
	s_or_b64 exec, exec, s[88:89]
	s_or_b64 exec, exec, s[86:87]
	v_mov_b32_e32 v10, 0
	s_and_saveexec_b64 s[2:3], s[12:13]
	s_cbranch_execz .LBB19_56
.LBB19_60:                              ;   in Loop: Header=BB19_16 Depth=1
	global_load_dword v10, v[16:17], off
	s_or_b64 exec, exec, s[2:3]
	s_and_saveexec_b64 s[20:21], s[14:15]
	s_cbranch_execz .LBB19_66
.LBB19_61:                              ;   in Loop: Header=BB19_16 Depth=1
	s_mov_b64 s[22:23], 0
	v_mov_b32_e32 v22, v35
	v_mov_b32_e32 v9, v29
	s_branch .LBB19_63
.LBB19_62:                              ;   in Loop: Header=BB19_63 Depth=2
	s_or_b64 exec, exec, s[2:3]
	s_waitcnt vmcnt(0)
	v_xor_b32_e32 v20, 0x80000000, v10
	v_bitop3_b32 v10, v10, v41, s61 bitop3:0x48
	v_cmp_eq_u32_e32 vcc, v10, v34
	v_bfe_u32 v10, v20, v38, 2
	v_cmp_eq_u32_e64 s[2:3], 0, v10
	s_and_b64 s[2:3], vcc, s[2:3]
	v_add_u32_e32 v22, s90, v22
	v_cndmask_b32_e64 v20, 0, 1, s[2:3]
	v_cmp_ne_u32_e64 s[2:3], 0, v20
	s_bcnt1_i32_b64 s2, s[2:3]
	s_nop 0
	v_add_u32_e32 v2, s2, v2
	v_cmp_eq_u32_e64 s[2:3], 1, v10
	s_and_b64 s[2:3], vcc, s[2:3]
	s_nop 0
	v_cndmask_b32_e64 v20, 0, 1, s[2:3]
	v_cmp_ne_u32_e64 s[2:3], 0, v20
	s_bcnt1_i32_b64 s2, s[2:3]
	s_nop 0
	v_add_u32_e32 v3, s2, v3
	v_cmp_eq_u32_e64 s[2:3], 2, v10
	s_and_b64 s[2:3], vcc, s[2:3]
	s_nop 0
	;; [unrolled: 8-line block ×3, first 2 shown]
	v_cndmask_b32_e64 v10, 0, 1, s[2:3]
	v_cmp_ne_u32_e32 vcc, 0, v10
	s_bcnt1_i32_b64 s2, vcc
	v_cmp_le_i32_e32 vcc, s60, v9
	v_add_u32_e32 v5, s2, v5
	s_or_b64 s[22:23], vcc, s[22:23]
	v_mov_b32_e32 v10, v19
	s_andn2_b64 exec, exec, s[22:23]
	s_cbranch_execz .LBB19_65
.LBB19_63:                              ;   Parent Loop BB19_16 Depth=1
                                        ; =>  This Inner Loop Header: Depth=2
	v_add_u32_e32 v9, s64, v9
	v_cmp_gt_u32_e32 vcc, s60, v9
	v_mov_b32_e32 v19, 0
	s_and_saveexec_b64 s[2:3], vcc
	s_cbranch_execz .LBB19_62
; %bb.64:                               ;   in Loop: Header=BB19_63 Depth=2
	v_ashrrev_i32_e32 v23, 31, v22
	v_lshl_add_u64 v[24:25], v[22:23], 2, s[72:73]
	global_load_dword v19, v[24:25], off
	s_branch .LBB19_62
.LBB19_65:                              ;   in Loop: Header=BB19_16 Depth=1
	s_or_b64 exec, exec, s[22:23]
.LBB19_66:                              ;   in Loop: Header=BB19_16 Depth=1
	s_or_b64 exec, exec, s[20:21]
	s_branch .LBB19_46
.LBB19_67:                              ;   in Loop: Header=BB19_16 Depth=1
	s_mul_hi_u32 s2, s16, s8
	s_mul_i32 s2, s2, s66
	s_sub_i32 s2, s16, s2
	s_sub_i32 s3, s2, s66
	s_cmp_ge_u32 s2, s66
	s_cselect_b32 s2, s3, s2
	s_sub_i32 s3, s2, s66
	s_cmp_ge_u32 s2, s66
	s_cselect_b32 s2, s3, s2
	s_sub_i32 s17, s16, s2
	v_cmp_gt_u32_e32 vcc, s17, v15
	s_waitcnt vmcnt(0)
	v_mov_b32_e32 v2, 0
	v_mov_b32_e32 v3, 0
	;; [unrolled: 1-line block ×4, first 2 shown]
	s_and_saveexec_b64 s[86:87], vcc
	s_cbranch_execz .LBB19_71
; %bb.68:                               ;   in Loop: Header=BB19_16 Depth=1
	s_mov_b32 s6, 0
	s_mov_b64 s[88:89], 0
	v_mov_b32_e32 v9, v36
	s_mov_b32 s7, 0
	s_mov_b32 s82, 0
	;; [unrolled: 1-line block ×3, first 2 shown]
	v_mov_b32_e32 v10, v15
.LBB19_69:                              ;   Parent Loop BB19_16 Depth=1
                                        ; =>  This Inner Loop Header: Depth=2
	ds_read_b128 v[2:5], v9
	v_add_u32_e32 v10, s66, v10
	v_cmp_le_i32_e32 vcc, s17, v10
	v_add_u32_e32 v9, s85, v9
	s_waitcnt lgkmcnt(0)
	v_xor_b32_e32 v19, 0x80000000, v2
	v_bitop3_b32 v2, v2, v41, s61 bitop3:0x48
	v_xor_b32_e32 v20, 0x80000000, v3
	v_bitop3_b32 v3, v3, v41, s61 bitop3:0x48
	v_cmp_eq_u32_e64 s[2:3], v2, v34
	v_bfe_u32 v2, v19, v38, 2
	v_xor_b32_e32 v22, 0x80000000, v4
	v_bitop3_b32 v4, v4, v41, s61 bitop3:0x48
	v_cmp_eq_u32_e64 s[20:21], v3, v34
	v_bfe_u32 v3, v20, v38, 2
	v_cmp_eq_u32_e64 s[26:27], 0, v2
	v_xor_b32_e32 v23, 0x80000000, v5
	v_bitop3_b32 v5, v5, v41, s61 bitop3:0x48
	v_cmp_eq_u32_e64 s[22:23], v4, v34
	v_bfe_u32 v4, v22, v38, 2
	v_cmp_eq_u32_e64 s[28:29], 0, v3
	s_and_b64 s[26:27], s[2:3], s[26:27]
	v_cmp_eq_u32_e64 s[24:25], v5, v34
	v_bfe_u32 v5, v23, v38, 2
	v_cmp_eq_u32_e64 s[30:31], 0, v4
	v_cmp_eq_u32_e64 s[36:37], 1, v2
	;; [unrolled: 1-line block ×4, first 2 shown]
	v_cndmask_b32_e64 v2, 0, 1, s[26:27]
	s_and_b64 s[26:27], s[20:21], s[28:29]
	v_cmp_eq_u32_e64 s[34:35], 0, v5
	v_cmp_eq_u32_e64 s[38:39], 1, v3
	;; [unrolled: 1-line block ×4, first 2 shown]
	v_cndmask_b32_e64 v3, 0, 1, s[26:27]
	s_and_b64 s[26:27], s[22:23], s[30:31]
	v_cmp_eq_u32_e64 s[40:41], 1, v4
	v_cmp_eq_u32_e64 s[48:49], 2, v4
	;; [unrolled: 1-line block ×3, first 2 shown]
	v_cndmask_b32_e64 v4, 0, 1, s[26:27]
	s_and_b64 s[26:27], s[24:25], s[34:35]
	v_cmp_eq_u32_e64 s[42:43], 1, v5
	v_cmp_eq_u32_e64 s[50:51], 2, v5
	;; [unrolled: 1-line block ×3, first 2 shown]
	v_cndmask_b32_e64 v5, 0, 1, s[26:27]
	s_and_b64 s[26:27], s[2:3], s[36:37]
	v_cndmask_b32_e64 v19, 0, 1, s[26:27]
	s_and_b64 s[26:27], s[20:21], s[38:39]
	;; [unrolled: 2-line block ×5, first 2 shown]
	s_and_b64 s[2:3], s[2:3], s[52:53]
	v_cndmask_b32_e64 v24, 0, 1, s[26:27]
	s_and_b64 s[26:27], s[20:21], s[46:47]
	v_cndmask_b32_e64 v46, 0, 1, s[2:3]
	;; [unrolled: 2-line block ×7, first 2 shown]
	v_cndmask_b32_e64 v49, 0, 1, s[2:3]
	v_cmp_ne_u32_e64 s[2:3], 0, v2
	v_cmp_ne_u32_e64 s[20:21], 0, v3
	;; [unrolled: 1-line block ×11, first 2 shown]
	s_bcnt1_i32_b64 s2, s[2:3]
	s_bcnt1_i32_b64 s3, s[20:21]
	;; [unrolled: 1-line block ×8, first 2 shown]
	v_cmp_ne_u32_e64 s[34:35], 0, v23
	v_cmp_ne_u32_e64 s[40:41], 0, v44
	;; [unrolled: 1-line block ×3, first 2 shown]
	s_bcnt1_i32_b64 s23, s[28:29]
	s_bcnt1_i32_b64 s27, s[38:39]
	;; [unrolled: 1-line block ×3, first 2 shown]
	s_add_i32 s2, s91, s2
	s_add_i32 s22, s82, s22
	;; [unrolled: 1-line block ×4, first 2 shown]
	v_cmp_ne_u32_e64 s[42:43], 0, v45
	v_cmp_ne_u32_e64 s[50:51], 0, v49
	s_bcnt1_i32_b64 s25, s[34:35]
	s_bcnt1_i32_b64 s28, s[40:41]
	;; [unrolled: 1-line block ×3, first 2 shown]
	s_add_i32 s2, s2, s3
	s_add_i32 s3, s22, s23
	;; [unrolled: 1-line block ×4, first 2 shown]
	s_bcnt1_i32_b64 s29, s[42:43]
	s_bcnt1_i32_b64 s35, s[50:51]
	s_add_i32 s2, s2, s20
	s_add_i32 s3, s3, s24
	;; [unrolled: 1-line block ×8, first 2 shown]
	s_or_b64 s[88:89], vcc, s[88:89]
	v_mov_b32_e32 v2, s91
	v_mov_b32_e32 v3, s82
	;; [unrolled: 1-line block ×4, first 2 shown]
	s_andn2_b64 exec, exec, s[88:89]
	s_cbranch_execnz .LBB19_69
; %bb.70:                               ;   in Loop: Header=BB19_16 Depth=1
	s_or_b64 exec, exec, s[88:89]
.LBB19_71:                              ;   in Loop: Header=BB19_16 Depth=1
	s_or_b64 exec, exec, s[86:87]
	v_add_u32_e32 v9, s17, v0
	v_cmp_gt_i32_e32 vcc, s16, v9
	s_and_saveexec_b64 s[28:29], vcc
	s_cbranch_execz .LBB19_75
; %bb.72:                               ;   in Loop: Header=BB19_16 Depth=1
	v_lshlrev_b32_e32 v10, 2, v9
	s_mov_b64 s[30:31], 0
.LBB19_73:                              ;   Parent Loop BB19_16 Depth=1
                                        ; =>  This Inner Loop Header: Depth=2
	ds_read_b32 v19, v10
	v_add_u32_e32 v9, s64, v9
	v_cmp_le_i32_e32 vcc, s16, v9
	v_add_u32_e32 v10, s66, v10
	s_waitcnt lgkmcnt(0)
	v_xor_b32_e32 v20, 0x80000000, v19
	v_bitop3_b32 v19, v19, v41, s61 bitop3:0x48
	v_cmp_eq_u32_e64 s[2:3], v19, v34
	v_bfe_u32 v19, v20, v38, 2
	v_cmp_eq_u32_e64 s[20:21], 0, v19
	v_cmp_eq_u32_e64 s[22:23], 1, v19
	s_and_b64 s[6:7], s[2:3], s[20:21]
	v_cmp_eq_u32_e64 s[24:25], 2, v19
	v_cmp_eq_u32_e64 s[26:27], 3, v19
	v_cndmask_b32_e64 v19, 0, 1, s[6:7]
	s_and_b64 s[6:7], s[2:3], s[22:23]
	v_cndmask_b32_e64 v20, 0, 1, s[6:7]
	s_and_b64 s[6:7], s[2:3], s[24:25]
	s_and_b64 s[2:3], s[2:3], s[26:27]
	v_cndmask_b32_e64 v22, 0, 1, s[6:7]
	v_cndmask_b32_e64 v23, 0, 1, s[2:3]
	v_cmp_ne_u32_e64 s[2:3], 0, v19
	v_cmp_ne_u32_e64 s[20:21], 0, v20
	;; [unrolled: 1-line block ×4, first 2 shown]
	s_bcnt1_i32_b64 s2, s[2:3]
	s_bcnt1_i32_b64 s3, s[20:21]
	;; [unrolled: 1-line block ×4, first 2 shown]
	v_add_u32_e32 v2, s2, v2
	v_add_u32_e32 v3, s3, v3
	;; [unrolled: 1-line block ×3, first 2 shown]
	s_or_b64 s[30:31], vcc, s[30:31]
	v_add_u32_e32 v5, s7, v5
	s_andn2_b64 exec, exec, s[30:31]
	s_cbranch_execnz .LBB19_73
; %bb.74:                               ;   in Loop: Header=BB19_16 Depth=1
	s_or_b64 exec, exec, s[30:31]
.LBB19_75:                              ;   in Loop: Header=BB19_16 Depth=1
	s_or_b64 exec, exec, s[28:29]
	v_lshlrev_b32_e32 v10, 6, v40
	s_and_saveexec_b64 s[2:3], s[0:1]
	s_cbranch_execnz .LBB19_47
	s_branch .LBB19_48
.LBB19_76:                              ;   in Loop: Header=BB19_16 Depth=1
	s_or_b64 exec, exec, s[22:23]
	s_waitcnt lgkmcnt(0)
	s_barrier
	s_and_saveexec_b64 s[2:3], s[18:19]
	s_cbranch_execz .LBB19_78
; %bb.77:                               ;   in Loop: Header=BB19_16 Depth=1
	ds_read_b32 v2, v11 offset:4104
	s_waitcnt lgkmcnt(0)
	ds_write_b32 v11, v2 offset:4096
.LBB19_78:                              ;   in Loop: Header=BB19_16 Depth=1
	s_or_b64 exec, exec, s[2:3]
	s_waitcnt lgkmcnt(0)
	s_barrier
	s_mov_b64 s[2:3], -1
	s_and_b64 vcc, exec, s[20:21]
	s_cbranch_vccnz .LBB19_32
	s_branch .LBB19_42
.LBB19_79:                              ;   in Loop: Header=BB19_16 Depth=1
	v_mov_b32_e32 v2, 0
	s_mov_b32 s6, 0
	s_cbranch_execnz .LBB19_84
	s_branch .LBB19_86
.LBB19_80:                              ;   in Loop: Header=BB19_16 Depth=1
	v_mov_b32_e32 v9, v8
	v_readlane_b32 s20, v56, 5
	v_mov_b64_e32 v[2:3], v[8:9]
	v_readlane_b32 s21, v56, 6
.LBB19_81:                              ;   in Loop: Header=BB19_16 Depth=1
	v_readlane_b32 s6, v56, 21
	v_readlane_b32 s7, v56, 22
	s_andn2_b64 vcc, exec, s[6:7]
	v_readlane_b32 s6, v56, 20
	s_cbranch_vccnz .LBB19_83
.LBB19_82:                              ;   Parent Loop BB19_16 Depth=1
                                        ; =>  This Inner Loop Header: Depth=2
	v_lshl_add_u32 v9, s20, 4, v5
	v_lshl_add_u32 v19, s21, 4, v5
	ds_read_b32 v19, v19
	ds_read_b32 v9, v9
	s_add_i32 s21, s21, 2
	s_add_i32 s20, s20, 2
	s_add_i32 s6, s6, -1
	s_cmp_lg_u32 s6, 0
	s_waitcnt lgkmcnt(1)
	v_add_u32_e32 v3, v19, v3
	s_waitcnt lgkmcnt(0)
	v_add_u32_e32 v2, v9, v2
	s_cbranch_scc1 .LBB19_82
.LBB19_83:                              ;   in Loop: Header=BB19_16 Depth=1
	v_readlane_b32 s20, v56, 25
	v_add_u32_e32 v2, v2, v3
	v_readlane_b32 s6, v56, 24
	v_readlane_b32 s21, v56, 26
	s_and_b64 vcc, exec, s[20:21]
	s_cbranch_vccz .LBB19_86
.LBB19_84:                              ;   in Loop: Header=BB19_16 Depth=1
	v_lshlrev_b32_e32 v3, 8, v40
	s_lshl_b32 s7, s6, 4
	v_add_u32_e32 v3, s7, v3
	v_readlane_b32 s7, v56, 23
	v_add_u32_e32 v3, v37, v3
	s_sub_i32 s6, s7, s6
.LBB19_85:                              ;   Parent Loop BB19_16 Depth=1
                                        ; =>  This Inner Loop Header: Depth=2
	ds_read_b32 v5, v3
	s_add_i32 s6, s6, -1
	v_add_u32_e32 v3, 16, v3
	s_cmp_eq_u32 s6, 0
	s_waitcnt lgkmcnt(0)
	v_add_u32_e32 v2, v5, v2
	s_cbranch_scc0 .LBB19_85
.LBB19_86:                              ;   in Loop: Header=BB19_16 Depth=1
	v_lshlrev_b32_e32 v3, 2, v4
	ds_write_b32 v3, v2 offset:3072
.LBB19_87:                              ;   in Loop: Header=BB19_16 Depth=1
	s_or_b64 exec, exec, s[2:3]
	v_lshlrev_b32_e32 v2, 2, v10
	s_waitcnt lgkmcnt(0)
	s_barrier
	ds_read_b128 v[2:5], v2 offset:3072
	v_cmp_eq_u32_e32 vcc, 1, v42
	s_mov_b64 s[20:21], -1
	s_mov_b64 s[28:29], -1
                                        ; implicit-def: $sgpr26_sgpr27
                                        ; implicit-def: $sgpr24_sgpr25
	s_waitcnt lgkmcnt(0)
	v_readfirstlane_b32 s17, v2
	s_cmp_eq_u32 s17, 1
	v_readfirstlane_b32 s54, v4
	v_lshlrev_b32_e64 v4, v38, 3
	s_cselect_b64 s[2:3], -1, 0
	v_readfirstlane_b32 s16, v3
	v_readfirstlane_b32 s88, v5
	v_not_b32_e32 v9, v4
	s_and_b64 s[22:23], s[2:3], vcc
	s_and_saveexec_b64 s[2:3], s[22:23]
	s_cbranch_execz .LBB19_113
; %bb.88:                               ;   in Loop: Header=BB19_16 Depth=1
	ds_read_b32 v2, v11 offset:4096
	s_waitcnt lgkmcnt(0)
	s_barrier
	v_readfirstlane_b32 s6, v2
	s_and_saveexec_b64 s[24:25], s[4:5]
; %bb.89:                               ;   in Loop: Header=BB19_16 Depth=1
	ds_write_b32 v27, v11
; %bb.90:                               ;   in Loop: Header=BB19_16 Depth=1
	s_or_b64 exec, exec, s[24:25]
	v_and_b32_e32 v34, v34, v9
	v_or_b32_e32 v41, v41, v4
	s_mov_b64 s[24:25], -1
	s_mov_b64 s[26:27], 0
	s_cmp_lt_i32 s6, 1
	s_mov_b64 s[28:29], 0
	s_mov_b64 s[30:31], -1
	s_waitcnt lgkmcnt(0)
	s_barrier
                                        ; implicit-def: $vgpr21
	s_cbranch_scc0 .LBB19_101
; %bb.91:                               ;   in Loop: Header=BB19_16 Depth=1
	s_mov_b64 s[30:31], 0
                                        ; implicit-def: $vgpr21
	s_mov_b64 s[34:35], exec
	v_readlane_b32 s36, v56, 28
	v_readlane_b32 s37, v56, 29
	s_and_b64 s[36:37], s[34:35], s[36:37]
	s_mov_b64 exec, s[36:37]
	s_cbranch_execz .LBB19_100
; %bb.92:                               ;   in Loop: Header=BB19_16 Depth=1
	v_mov_b32_e32 v2, v6
	v_mov_b32_e32 v5, v0
                                        ; implicit-def: $sgpr36_sgpr37
	s_branch .LBB19_95
.LBB19_93:                              ;   in Loop: Header=BB19_95 Depth=2
	s_or_b64 exec, exec, s[38:39]
	s_waitcnt lgkmcnt(0)
	s_barrier
	ds_read_b64 v[20:21], v11 offset:3072
	s_mov_b64 s[38:39], -1
	s_mov_b64 s[40:41], -1
	s_waitcnt lgkmcnt(0)
	s_barrier
	v_cmp_ne_u32_e32 vcc, 0, v20
	s_cbranch_vccz .LBB19_98
.LBB19_94:                              ;   in Loop: Header=BB19_95 Depth=2
	s_and_b64 s[38:39], exec, s[38:39]
	s_or_b64 s[28:29], s[38:39], s[28:29]
	s_andn2_b64 s[36:37], s[36:37], exec
	s_and_b64 s[38:39], s[40:41], exec
	s_or_b64 s[36:37], s[36:37], s[38:39]
	s_andn2_b64 exec, exec, s[28:29]
	s_cbranch_execz .LBB19_99
.LBB19_95:                              ;   Parent Loop BB19_16 Depth=1
                                        ; =>  This Inner Loop Header: Depth=2
	v_cmp_gt_i32_e32 vcc, s60, v5
	s_and_saveexec_b64 s[38:39], vcc
	s_cbranch_execz .LBB19_93
; %bb.96:                               ;   in Loop: Header=BB19_95 Depth=2
	v_ashrrev_i32_e32 v3, 31, v2
	v_lshl_add_u64 v[20:21], v[2:3], 2, s[72:73]
	global_load_dword v19, v[20:21], off
	s_waitcnt vmcnt(0)
	v_bitop3_b32 v3, v19, v41, s61 bitop3:0x48
	v_cmp_eq_u32_e32 vcc, v3, v34
	s_and_b64 exec, exec, vcc
	s_cbranch_execz .LBB19_93
; %bb.97:                               ;   in Loop: Header=BB19_95 Depth=2
	ds_write_b64 v11, v[18:19] offset:3072
	s_branch .LBB19_93
.LBB19_98:                              ;   in Loop: Header=BB19_95 Depth=2
	v_add_u32_e32 v5, s64, v5
	v_cmp_le_i32_e32 vcc, s83, v5
	v_add_u32_e32 v2, s90, v2
	s_mov_b64 s[40:41], 0
	s_orn2_b64 s[38:39], vcc, exec
	s_branch .LBB19_94
.LBB19_99:                              ;   in Loop: Header=BB19_16 Depth=1
	s_or_b64 exec, exec, s[28:29]
	s_and_b64 s[28:29], s[36:37], exec
.LBB19_100:                             ;   in Loop: Header=BB19_16 Depth=1
	s_or_b64 exec, exec, s[34:35]
.LBB19_101:                             ;   in Loop: Header=BB19_16 Depth=1
	s_and_b64 vcc, exec, s[30:31]
	s_cbranch_vccz .LBB19_112
; %bb.102:                              ;   in Loop: Header=BB19_16 Depth=1
	v_readlane_b32 s7, v56, 8
	s_add_i32 s7, s6, s7
	s_abs_i32 s25, s7
	v_readlane_b32 s26, v56, 27
	s_mul_hi_u32 s26, s25, s26
	s_mul_i32 s26, s26, s64
	s_sub_i32 s25, s25, s26
	s_ashr_i32 s24, s7, 31
	s_sub_i32 s26, s25, s64
	s_cmp_ge_u32 s25, s64
	s_cselect_b32 s25, s26, s25
	s_sub_i32 s26, s25, s64
	s_cmp_ge_u32 s25, s64
	s_cselect_b32 s25, s26, s25
	s_xor_b32 s25, s25, s24
	s_sub_i32 s24, s24, s25
	s_add_i32 s7, s7, s24
	v_cmp_gt_i32_e32 vcc, s7, v0
                                        ; implicit-def: $vgpr21
	s_and_saveexec_b64 s[24:25], vcc
	s_cbranch_execz .LBB19_111
; %bb.103:                              ;   in Loop: Header=BB19_16 Depth=1
	s_mov_b64 s[26:27], 0
	v_mov_b32_e32 v2, v15
	v_mov_b32_e32 v3, v0
                                        ; implicit-def: $sgpr30_sgpr31
	s_branch .LBB19_106
.LBB19_104:                             ;   in Loop: Header=BB19_106 Depth=2
	s_or_b64 exec, exec, s[34:35]
	s_waitcnt lgkmcnt(0)
	s_barrier
	ds_read_b64 v[20:21], v11 offset:3072
	s_mov_b64 s[34:35], -1
	s_mov_b64 s[36:37], -1
	s_waitcnt lgkmcnt(0)
	s_barrier
	v_cmp_ne_u32_e32 vcc, 0, v20
	s_cbranch_vccz .LBB19_109
.LBB19_105:                             ;   in Loop: Header=BB19_106 Depth=2
	s_and_b64 s[34:35], exec, s[34:35]
	s_or_b64 s[26:27], s[34:35], s[26:27]
	s_andn2_b64 s[30:31], s[30:31], exec
	s_and_b64 s[34:35], s[36:37], exec
	s_or_b64 s[30:31], s[30:31], s[34:35]
	s_andn2_b64 exec, exec, s[26:27]
	s_cbranch_execz .LBB19_110
.LBB19_106:                             ;   Parent Loop BB19_16 Depth=1
                                        ; =>  This Inner Loop Header: Depth=2
	v_cmp_gt_i32_e32 vcc, s6, v3
	s_and_saveexec_b64 s[34:35], vcc
	s_cbranch_execz .LBB19_104
; %bb.107:                              ;   in Loop: Header=BB19_106 Depth=2
	ds_read_b32 v19, v2
	s_waitcnt lgkmcnt(0)
	v_bitop3_b32 v5, v19, v41, s61 bitop3:0x48
	v_cmp_eq_u32_e32 vcc, v5, v34
	s_and_b64 exec, exec, vcc
	s_cbranch_execz .LBB19_104
; %bb.108:                              ;   in Loop: Header=BB19_106 Depth=2
	ds_write_b64 v11, v[18:19] offset:3072
	s_branch .LBB19_104
.LBB19_109:                             ;   in Loop: Header=BB19_106 Depth=2
	v_add_u32_e32 v3, s64, v3
	v_cmp_le_i32_e32 vcc, s7, v3
	v_add_u32_e32 v2, s66, v2
	s_mov_b64 s[36:37], 0
	s_orn2_b64 s[34:35], vcc, exec
	s_branch .LBB19_105
.LBB19_110:                             ;   in Loop: Header=BB19_16 Depth=1
	s_or_b64 exec, exec, s[26:27]
	s_andn2_b64 s[6:7], s[28:29], exec
	s_and_b64 s[26:27], s[30:31], exec
	s_or_b64 s[28:29], s[6:7], s[26:27]
.LBB19_111:                             ;   in Loop: Header=BB19_16 Depth=1
	s_or_b64 exec, exec, s[24:25]
	s_mov_b64 s[24:25], 0
	s_mov_b64 s[26:27], -1
.LBB19_112:                             ;   in Loop: Header=BB19_16 Depth=1
	s_orn2_b64 s[28:29], s[28:29], exec
.LBB19_113:                             ;   in Loop: Header=BB19_16 Depth=1
	s_or_b64 exec, exec, s[2:3]
	s_andn2_b64 s[2:3], s[74:75], exec
	s_and_b64 s[6:7], s[26:27], exec
	s_or_b64 s[74:75], s[2:3], s[6:7]
	s_andn2_b64 s[2:3], s[70:71], exec
	s_and_b64 s[6:7], s[24:25], exec
	s_andn2_b64 s[68:69], s[68:69], exec
	s_or_b64 s[70:71], s[2:3], s[6:7]
                                        ; implicit-def: $vgpr10
	s_and_saveexec_b64 s[2:3], s[28:29]
	s_cbranch_execz .LBB19_15
; %bb.114:                              ;   in Loop: Header=BB19_16 Depth=1
	s_xor_b64 s[6:7], s[22:23], -1
	s_mov_b64 s[22:23], 0
	v_mov_b32_e32 v10, 1
	v_mov_b32_e32 v5, 1
	s_and_saveexec_b64 s[20:21], s[6:7]
	s_cbranch_execz .LBB19_123
; %bb.115:                              ;   in Loop: Header=BB19_16 Depth=1
	v_cmp_ge_i32_e32 vcc, s17, v42
	s_and_saveexec_b64 s[6:7], vcc
	s_xor_b64 s[22:23], exec, s[6:7]
	s_cbranch_execz .LBB19_120
; %bb.116:                              ;   in Loop: Header=BB19_16 Depth=1
	ds_read_b32 v2, v11 offset:4096
	v_and_b32_e32 v34, v34, v9
	v_or_b32_e32 v41, v41, v4
	s_waitcnt lgkmcnt(0)
	v_cmp_ne_u32_e32 vcc, 0, v2
	s_cbranch_vccnz .LBB19_120
; %bb.117:                              ;   in Loop: Header=BB19_16 Depth=1
	s_and_saveexec_b64 s[24:25], s[18:19]
; %bb.118:                              ;   in Loop: Header=BB19_16 Depth=1
	v_mov_b32_e32 v2, s17
	ds_write_b32 v11, v2 offset:4100
; %bb.119:                              ;   in Loop: Header=BB19_16 Depth=1
	s_or_b64 exec, exec, s[24:25]
	s_waitcnt lgkmcnt(0)
	s_barrier
.LBB19_120:                             ;   in Loop: Header=BB19_16 Depth=1
	s_or_saveexec_b64 s[22:23], s[22:23]
	s_mov_b64 s[24:25], 0
	v_mov_b32_e32 v5, 8
	s_xor_b64 exec, exec, s[22:23]
; %bb.121:                              ;   in Loop: Header=BB19_16 Depth=1
	s_mov_b64 s[24:25], exec
	v_subrev_u32_e32 v42, s17, v42
	v_mov_b32_e32 v5, 0
; %bb.122:                              ;   in Loop: Header=BB19_16 Depth=1
	s_or_b64 exec, exec, s[22:23]
	s_and_b64 s[22:23], s[24:25], exec
	v_mov_b32_e32 v10, v42
.LBB19_123:                             ;   in Loop: Header=BB19_16 Depth=1
	s_or_b64 exec, exec, s[20:21]
	s_mov_b64 s[20:21], -1
	s_mov_b64 s[28:29], -1
                                        ; implicit-def: $sgpr24_sgpr25
                                        ; implicit-def: $sgpr26_sgpr27
	s_and_saveexec_b64 s[6:7], s[22:23]
	s_xor_b64 s[22:23], exec, s[6:7]
	s_cbranch_execz .LBB19_240
; %bb.124:                              ;   in Loop: Header=BB19_16 Depth=1
	s_cmp_eq_u32 s16, 1
	s_cselect_b64 s[6:7], -1, 0
	v_cmp_eq_u32_e32 vcc, 1, v10
	s_and_b64 s[30:31], s[6:7], vcc
	s_mov_b64 s[34:35], -1
                                        ; implicit-def: $sgpr26_sgpr27
                                        ; implicit-def: $sgpr24_sgpr25
	s_and_saveexec_b64 s[28:29], s[30:31]
	s_cbranch_execz .LBB19_150
; %bb.125:                              ;   in Loop: Header=BB19_16 Depth=1
	ds_read_b32 v2, v11 offset:4096
	s_waitcnt lgkmcnt(0)
	s_barrier
	v_readfirstlane_b32 s6, v2
	s_and_saveexec_b64 s[24:25], s[4:5]
; %bb.126:                              ;   in Loop: Header=BB19_16 Depth=1
	ds_write_b32 v27, v11
; %bb.127:                              ;   in Loop: Header=BB19_16 Depth=1
	s_or_b64 exec, exec, s[24:25]
	v_and_b32_e32 v2, v34, v9
	v_lshl_or_b32 v34, 1, v38, v2
	v_or_b32_e32 v41, v41, v4
	s_mov_b64 s[24:25], -1
	s_mov_b64 s[26:27], 0
	s_cmp_gt_i32 s6, 0
	s_mov_b64 s[34:35], 0
	s_mov_b64 s[36:37], -1
	s_waitcnt lgkmcnt(0)
	s_barrier
                                        ; implicit-def: $vgpr21
	s_cbranch_scc1 .LBB19_138
; %bb.128:                              ;   in Loop: Header=BB19_16 Depth=1
	s_mov_b64 s[36:37], 0
                                        ; implicit-def: $vgpr21
	s_mov_b64 s[38:39], exec
	v_readlane_b32 s40, v56, 28
	v_readlane_b32 s41, v56, 29
	s_and_b64 s[40:41], s[38:39], s[40:41]
	s_mov_b64 exec, s[40:41]
	s_cbranch_execz .LBB19_137
; %bb.129:                              ;   in Loop: Header=BB19_16 Depth=1
	v_mov_b32_e32 v2, v6
	v_mov_b32_e32 v22, v0
                                        ; implicit-def: $sgpr40_sgpr41
	s_branch .LBB19_132
.LBB19_130:                             ;   in Loop: Header=BB19_132 Depth=2
	s_or_b64 exec, exec, s[42:43]
	s_waitcnt lgkmcnt(0)
	s_barrier
	ds_read_b64 v[20:21], v11 offset:3072
	s_mov_b64 s[42:43], -1
	s_mov_b64 s[44:45], -1
	s_waitcnt lgkmcnt(0)
	s_barrier
	v_cmp_ne_u32_e32 vcc, 0, v20
	s_cbranch_vccz .LBB19_135
.LBB19_131:                             ;   in Loop: Header=BB19_132 Depth=2
	s_and_b64 s[42:43], exec, s[42:43]
	s_or_b64 s[34:35], s[42:43], s[34:35]
	s_andn2_b64 s[40:41], s[40:41], exec
	s_and_b64 s[42:43], s[44:45], exec
	s_or_b64 s[40:41], s[40:41], s[42:43]
	s_andn2_b64 exec, exec, s[34:35]
	s_cbranch_execz .LBB19_136
.LBB19_132:                             ;   Parent Loop BB19_16 Depth=1
                                        ; =>  This Inner Loop Header: Depth=2
	v_cmp_gt_i32_e32 vcc, s60, v22
	s_and_saveexec_b64 s[42:43], vcc
	s_cbranch_execz .LBB19_130
; %bb.133:                              ;   in Loop: Header=BB19_132 Depth=2
	v_ashrrev_i32_e32 v3, 31, v2
	v_lshl_add_u64 v[20:21], v[2:3], 2, s[72:73]
	global_load_dword v19, v[20:21], off
	s_waitcnt vmcnt(0)
	v_bitop3_b32 v3, v19, v41, s61 bitop3:0x48
	v_cmp_eq_u32_e32 vcc, v3, v34
	s_and_b64 exec, exec, vcc
	s_cbranch_execz .LBB19_130
; %bb.134:                              ;   in Loop: Header=BB19_132 Depth=2
	ds_write_b64 v11, v[18:19] offset:3072
	s_branch .LBB19_130
.LBB19_135:                             ;   in Loop: Header=BB19_132 Depth=2
	v_add_u32_e32 v22, s64, v22
	v_cmp_le_i32_e32 vcc, s83, v22
	v_add_u32_e32 v2, s90, v2
	s_mov_b64 s[44:45], 0
	s_orn2_b64 s[42:43], vcc, exec
	s_branch .LBB19_131
.LBB19_136:                             ;   in Loop: Header=BB19_16 Depth=1
	s_or_b64 exec, exec, s[34:35]
	s_and_b64 s[34:35], s[40:41], exec
.LBB19_137:                             ;   in Loop: Header=BB19_16 Depth=1
	s_or_b64 exec, exec, s[38:39]
.LBB19_138:                             ;   in Loop: Header=BB19_16 Depth=1
	s_and_b64 vcc, exec, s[36:37]
	s_cbranch_vccz .LBB19_149
; %bb.139:                              ;   in Loop: Header=BB19_16 Depth=1
	v_readlane_b32 s7, v56, 8
	s_add_i32 s7, s6, s7
	s_abs_i32 s24, s7
	v_readlane_b32 s25, v56, 27
	s_mul_hi_u32 s25, s24, s25
	s_mul_i32 s25, s25, s64
	s_sub_i32 s24, s24, s25
	s_ashr_i32 s17, s7, 31
	s_sub_i32 s25, s24, s64
	s_cmp_ge_u32 s24, s64
	s_cselect_b32 s24, s25, s24
	s_sub_i32 s25, s24, s64
	s_cmp_ge_u32 s24, s64
	s_cselect_b32 s24, s25, s24
	s_xor_b32 s24, s24, s17
	s_sub_i32 s17, s17, s24
	s_add_i32 s7, s7, s17
	v_cmp_gt_i32_e32 vcc, s7, v0
                                        ; implicit-def: $vgpr21
	s_and_saveexec_b64 s[24:25], vcc
	s_cbranch_execz .LBB19_148
; %bb.140:                              ;   in Loop: Header=BB19_16 Depth=1
	s_mov_b64 s[26:27], 0
	v_mov_b32_e32 v2, v15
	v_mov_b32_e32 v3, v0
                                        ; implicit-def: $sgpr36_sgpr37
	s_branch .LBB19_143
.LBB19_141:                             ;   in Loop: Header=BB19_143 Depth=2
	s_or_b64 exec, exec, s[38:39]
	s_waitcnt lgkmcnt(0)
	s_barrier
	ds_read_b64 v[20:21], v11 offset:3072
	s_mov_b64 s[38:39], -1
	s_mov_b64 s[40:41], -1
	s_waitcnt lgkmcnt(0)
	s_barrier
	v_cmp_eq_u32_e32 vcc, 0, v20
	s_cbranch_vccnz .LBB19_146
.LBB19_142:                             ;   in Loop: Header=BB19_143 Depth=2
	s_and_b64 s[38:39], exec, s[38:39]
	s_or_b64 s[26:27], s[38:39], s[26:27]
	s_andn2_b64 s[36:37], s[36:37], exec
	s_and_b64 s[38:39], s[40:41], exec
	s_or_b64 s[36:37], s[36:37], s[38:39]
	s_andn2_b64 exec, exec, s[26:27]
	s_cbranch_execz .LBB19_147
.LBB19_143:                             ;   Parent Loop BB19_16 Depth=1
                                        ; =>  This Inner Loop Header: Depth=2
	v_cmp_gt_i32_e32 vcc, s6, v3
	s_and_saveexec_b64 s[38:39], vcc
	s_cbranch_execz .LBB19_141
; %bb.144:                              ;   in Loop: Header=BB19_143 Depth=2
	ds_read_b32 v19, v2
	s_waitcnt lgkmcnt(0)
	v_bitop3_b32 v20, v19, v41, s61 bitop3:0x48
	v_cmp_eq_u32_e32 vcc, v20, v34
	s_and_b64 exec, exec, vcc
	s_cbranch_execz .LBB19_141
; %bb.145:                              ;   in Loop: Header=BB19_143 Depth=2
	ds_write_b64 v11, v[18:19] offset:3072
	s_branch .LBB19_141
.LBB19_146:                             ;   in Loop: Header=BB19_143 Depth=2
	v_add_u32_e32 v3, s64, v3
	v_cmp_le_i32_e32 vcc, s7, v3
	v_add_u32_e32 v2, s66, v2
	s_mov_b64 s[40:41], 0
	s_orn2_b64 s[38:39], vcc, exec
	s_branch .LBB19_142
.LBB19_147:                             ;   in Loop: Header=BB19_16 Depth=1
	s_or_b64 exec, exec, s[26:27]
	s_andn2_b64 s[6:7], s[34:35], exec
	s_and_b64 s[26:27], s[36:37], exec
	s_or_b64 s[34:35], s[6:7], s[26:27]
.LBB19_148:                             ;   in Loop: Header=BB19_16 Depth=1
	s_or_b64 exec, exec, s[24:25]
	s_mov_b64 s[24:25], 0
	s_mov_b64 s[26:27], -1
.LBB19_149:                             ;   in Loop: Header=BB19_16 Depth=1
	s_orn2_b64 s[34:35], s[34:35], exec
.LBB19_150:                             ;   in Loop: Header=BB19_16 Depth=1
	s_or_b64 exec, exec, s[28:29]
	s_mov_b64 s[36:37], 0
	s_and_saveexec_b64 s[28:29], s[34:35]
	s_cbranch_execz .LBB19_239
; %bb.151:                              ;   in Loop: Header=BB19_16 Depth=1
	s_xor_b64 s[6:7], s[30:31], -1
	s_mov_b64 s[40:41], 0
	v_mov_b32_e32 v22, 1
	v_mov_b32_e32 v5, 1
	s_and_saveexec_b64 s[30:31], s[6:7]
	s_cbranch_execz .LBB19_160
; %bb.152:                              ;   in Loop: Header=BB19_16 Depth=1
	v_cmp_ge_i32_e32 vcc, s16, v10
	s_and_saveexec_b64 s[6:7], vcc
	s_xor_b64 s[34:35], exec, s[6:7]
	s_cbranch_execz .LBB19_157
; %bb.153:                              ;   in Loop: Header=BB19_16 Depth=1
	ds_read_b32 v2, v11 offset:4096
	v_and_b32_e32 v3, v34, v9
	v_lshl_or_b32 v34, 1, v38, v3
	v_or_b32_e32 v41, v41, v4
	s_waitcnt lgkmcnt(0)
	v_cmp_ne_u32_e32 vcc, 0, v2
	s_cbranch_vccnz .LBB19_157
; %bb.154:                              ;   in Loop: Header=BB19_16 Depth=1
	s_and_saveexec_b64 s[36:37], s[18:19]
; %bb.155:                              ;   in Loop: Header=BB19_16 Depth=1
	v_mov_b32_e32 v2, s16
	ds_write_b32 v11, v2 offset:4100
; %bb.156:                              ;   in Loop: Header=BB19_16 Depth=1
	s_or_b64 exec, exec, s[36:37]
	s_waitcnt lgkmcnt(0)
	s_barrier
.LBB19_157:                             ;   in Loop: Header=BB19_16 Depth=1
	s_or_saveexec_b64 s[34:35], s[34:35]
	s_mov_b64 s[36:37], 0
	v_mov_b32_e32 v5, 8
	s_xor_b64 exec, exec, s[34:35]
; %bb.158:                              ;   in Loop: Header=BB19_16 Depth=1
	s_mov_b64 s[36:37], exec
	v_subrev_u32_e32 v10, s16, v10
	v_mov_b32_e32 v5, 0
; %bb.159:                              ;   in Loop: Header=BB19_16 Depth=1
	s_or_b64 exec, exec, s[34:35]
	s_and_b64 s[40:41], s[36:37], exec
	v_mov_b32_e32 v22, v10
.LBB19_160:                             ;   in Loop: Header=BB19_16 Depth=1
	s_or_b64 exec, exec, s[30:31]
	s_mov_b64 s[38:39], -1
                                        ; implicit-def: $sgpr34_sgpr35
                                        ; implicit-def: $sgpr36_sgpr37
	s_and_saveexec_b64 s[30:31], s[40:41]
	s_cbranch_execz .LBB19_238
; %bb.161:                              ;   in Loop: Header=BB19_16 Depth=1
	s_cmp_eq_u32 s54, 1
	s_cselect_b64 s[6:7], -1, 0
	v_cmp_eq_u32_e32 vcc, 1, v22
	s_and_b64 s[40:41], s[6:7], vcc
	s_mov_b64 s[42:43], -1
                                        ; implicit-def: $sgpr36_sgpr37
                                        ; implicit-def: $sgpr34_sgpr35
	s_and_saveexec_b64 s[38:39], s[40:41]
	s_cbranch_execz .LBB19_187
; %bb.162:                              ;   in Loop: Header=BB19_16 Depth=1
	ds_read_b32 v2, v11 offset:4096
	s_waitcnt lgkmcnt(0)
	s_barrier
	v_readfirstlane_b32 s6, v2
	s_and_saveexec_b64 s[34:35], s[4:5]
; %bb.163:                              ;   in Loop: Header=BB19_16 Depth=1
	ds_write_b32 v27, v11
; %bb.164:                              ;   in Loop: Header=BB19_16 Depth=1
	s_or_b64 exec, exec, s[34:35]
	v_and_b32_e32 v2, v34, v9
	v_lshl_or_b32 v34, 2, v38, v2
	v_or_b32_e32 v41, v41, v4
	s_mov_b64 s[34:35], -1
	s_mov_b64 s[36:37], 0
	s_cmp_gt_i32 s6, 0
	s_mov_b64 s[42:43], 0
	s_mov_b64 s[44:45], -1
	s_waitcnt lgkmcnt(0)
	s_barrier
                                        ; implicit-def: $vgpr21
	s_cbranch_scc1 .LBB19_175
; %bb.165:                              ;   in Loop: Header=BB19_16 Depth=1
	s_mov_b64 s[44:45], 0
                                        ; implicit-def: $vgpr21
	s_mov_b64 s[46:47], exec
	v_readlane_b32 s16, v56, 28
	v_readlane_b32 s17, v56, 29
	s_and_b64 s[16:17], s[46:47], s[16:17]
	s_mov_b64 exec, s[16:17]
	s_cbranch_execz .LBB19_174
; %bb.166:                              ;   in Loop: Header=BB19_16 Depth=1
	v_mov_b32_e32 v2, v6
	v_mov_b32_e32 v10, v0
                                        ; implicit-def: $sgpr48_sgpr49
	s_branch .LBB19_169
.LBB19_167:                             ;   in Loop: Header=BB19_169 Depth=2
	s_or_b64 exec, exec, s[50:51]
	s_waitcnt lgkmcnt(0)
	s_barrier
	ds_read_b64 v[20:21], v11 offset:3072
	s_mov_b64 s[50:51], -1
	s_mov_b64 s[52:53], -1
	s_waitcnt lgkmcnt(0)
	s_barrier
	v_cmp_ne_u32_e32 vcc, 0, v20
	s_cbranch_vccz .LBB19_172
.LBB19_168:                             ;   in Loop: Header=BB19_169 Depth=2
	s_and_b64 s[16:17], exec, s[50:51]
	s_or_b64 s[42:43], s[16:17], s[42:43]
	s_andn2_b64 s[16:17], s[48:49], exec
	s_and_b64 s[48:49], s[52:53], exec
	s_or_b64 s[48:49], s[16:17], s[48:49]
	s_andn2_b64 exec, exec, s[42:43]
	s_cbranch_execz .LBB19_173
.LBB19_169:                             ;   Parent Loop BB19_16 Depth=1
                                        ; =>  This Inner Loop Header: Depth=2
	v_cmp_gt_i32_e32 vcc, s60, v10
	s_and_saveexec_b64 s[50:51], vcc
	s_cbranch_execz .LBB19_167
; %bb.170:                              ;   in Loop: Header=BB19_169 Depth=2
	v_ashrrev_i32_e32 v3, 31, v2
	v_lshl_add_u64 v[20:21], v[2:3], 2, s[72:73]
	global_load_dword v19, v[20:21], off
	s_waitcnt vmcnt(0)
	v_bitop3_b32 v3, v19, v41, s61 bitop3:0x48
	v_cmp_eq_u32_e32 vcc, v3, v34
	s_and_b64 exec, exec, vcc
	s_cbranch_execz .LBB19_167
; %bb.171:                              ;   in Loop: Header=BB19_169 Depth=2
	ds_write_b64 v11, v[18:19] offset:3072
	s_branch .LBB19_167
.LBB19_172:                             ;   in Loop: Header=BB19_169 Depth=2
	v_add_u32_e32 v10, s64, v10
	v_cmp_le_i32_e32 vcc, s83, v10
	v_add_u32_e32 v2, s90, v2
	s_mov_b64 s[52:53], 0
	s_orn2_b64 s[50:51], vcc, exec
	s_branch .LBB19_168
.LBB19_173:                             ;   in Loop: Header=BB19_16 Depth=1
	s_or_b64 exec, exec, s[42:43]
	s_and_b64 s[42:43], s[48:49], exec
.LBB19_174:                             ;   in Loop: Header=BB19_16 Depth=1
	s_or_b64 exec, exec, s[46:47]
.LBB19_175:                             ;   in Loop: Header=BB19_16 Depth=1
	s_and_b64 vcc, exec, s[44:45]
	s_cbranch_vccz .LBB19_186
; %bb.176:                              ;   in Loop: Header=BB19_16 Depth=1
	v_readlane_b32 s7, v56, 8
	s_add_i32 s7, s6, s7
	s_abs_i32 s17, s7
	v_readlane_b32 s34, v56, 27
	s_mul_hi_u32 s34, s17, s34
	s_mul_i32 s34, s34, s64
	s_sub_i32 s17, s17, s34
	s_ashr_i32 s16, s7, 31
	s_sub_i32 s34, s17, s64
	s_cmp_ge_u32 s17, s64
	s_cselect_b32 s17, s34, s17
	s_sub_i32 s34, s17, s64
	s_cmp_ge_u32 s17, s64
	s_cselect_b32 s17, s34, s17
	s_xor_b32 s17, s17, s16
	s_sub_i32 s16, s16, s17
	s_add_i32 s7, s7, s16
	v_cmp_gt_i32_e32 vcc, s7, v0
                                        ; implicit-def: $vgpr21
	s_and_saveexec_b64 s[34:35], vcc
	s_cbranch_execz .LBB19_185
; %bb.177:                              ;   in Loop: Header=BB19_16 Depth=1
	s_mov_b64 s[36:37], 0
	v_mov_b32_e32 v2, v15
	v_mov_b32_e32 v3, v0
                                        ; implicit-def: $sgpr44_sgpr45
	s_branch .LBB19_180
.LBB19_178:                             ;   in Loop: Header=BB19_180 Depth=2
	s_or_b64 exec, exec, s[46:47]
	s_waitcnt lgkmcnt(0)
	s_barrier
	ds_read_b64 v[20:21], v11 offset:3072
	s_mov_b64 s[46:47], -1
	s_mov_b64 s[48:49], -1
	s_waitcnt lgkmcnt(0)
	s_barrier
	v_cmp_eq_u32_e32 vcc, 0, v20
	s_cbranch_vccnz .LBB19_183
.LBB19_179:                             ;   in Loop: Header=BB19_180 Depth=2
	s_and_b64 s[16:17], exec, s[46:47]
	s_or_b64 s[36:37], s[16:17], s[36:37]
	s_andn2_b64 s[16:17], s[44:45], exec
	s_and_b64 s[44:45], s[48:49], exec
	s_or_b64 s[44:45], s[16:17], s[44:45]
	s_andn2_b64 exec, exec, s[36:37]
	s_cbranch_execz .LBB19_184
.LBB19_180:                             ;   Parent Loop BB19_16 Depth=1
                                        ; =>  This Inner Loop Header: Depth=2
	v_cmp_gt_i32_e32 vcc, s6, v3
	s_and_saveexec_b64 s[46:47], vcc
	s_cbranch_execz .LBB19_178
; %bb.181:                              ;   in Loop: Header=BB19_180 Depth=2
	ds_read_b32 v19, v2
	s_waitcnt lgkmcnt(0)
	v_bitop3_b32 v10, v19, v41, s61 bitop3:0x48
	v_cmp_eq_u32_e32 vcc, v10, v34
	s_and_b64 exec, exec, vcc
	s_cbranch_execz .LBB19_178
; %bb.182:                              ;   in Loop: Header=BB19_180 Depth=2
	ds_write_b64 v11, v[18:19] offset:3072
	s_branch .LBB19_178
.LBB19_183:                             ;   in Loop: Header=BB19_180 Depth=2
	v_add_u32_e32 v3, s64, v3
	v_cmp_le_i32_e32 vcc, s7, v3
	v_add_u32_e32 v2, s66, v2
	s_mov_b64 s[48:49], 0
	s_orn2_b64 s[46:47], vcc, exec
	s_branch .LBB19_179
.LBB19_184:                             ;   in Loop: Header=BB19_16 Depth=1
	s_or_b64 exec, exec, s[36:37]
	s_andn2_b64 s[6:7], s[42:43], exec
	s_and_b64 s[16:17], s[44:45], exec
	s_or_b64 s[42:43], s[6:7], s[16:17]
.LBB19_185:                             ;   in Loop: Header=BB19_16 Depth=1
	s_or_b64 exec, exec, s[34:35]
	s_mov_b64 s[34:35], 0
	s_mov_b64 s[36:37], -1
.LBB19_186:                             ;   in Loop: Header=BB19_16 Depth=1
	s_orn2_b64 s[42:43], s[42:43], exec
.LBB19_187:                             ;   in Loop: Header=BB19_16 Depth=1
	s_or_b64 exec, exec, s[38:39]
	s_mov_b64 s[44:45], 0
	s_and_saveexec_b64 s[38:39], s[42:43]
	s_cbranch_execz .LBB19_237
; %bb.188:                              ;   in Loop: Header=BB19_16 Depth=1
	s_xor_b64 s[6:7], s[40:41], -1
	s_mov_b64 s[48:49], 0
	v_mov_b32_e32 v10, 1
	v_mov_b32_e32 v5, 1
	s_and_saveexec_b64 s[40:41], s[6:7]
	s_cbranch_execz .LBB19_197
; %bb.189:                              ;   in Loop: Header=BB19_16 Depth=1
	v_cmp_ge_i32_e32 vcc, s54, v22
	s_and_saveexec_b64 s[6:7], vcc
	s_xor_b64 s[42:43], exec, s[6:7]
	s_cbranch_execz .LBB19_194
; %bb.190:                              ;   in Loop: Header=BB19_16 Depth=1
	ds_read_b32 v2, v11 offset:4096
	v_and_b32_e32 v3, v34, v9
	v_lshl_or_b32 v34, 2, v38, v3
	v_or_b32_e32 v41, v41, v4
	s_waitcnt lgkmcnt(0)
	v_cmp_ne_u32_e32 vcc, 0, v2
	s_cbranch_vccnz .LBB19_194
; %bb.191:                              ;   in Loop: Header=BB19_16 Depth=1
	s_and_saveexec_b64 s[44:45], s[18:19]
; %bb.192:                              ;   in Loop: Header=BB19_16 Depth=1
	v_mov_b32_e32 v2, s54
	ds_write_b32 v11, v2 offset:4100
; %bb.193:                              ;   in Loop: Header=BB19_16 Depth=1
	s_or_b64 exec, exec, s[44:45]
	s_waitcnt lgkmcnt(0)
	s_barrier
.LBB19_194:                             ;   in Loop: Header=BB19_16 Depth=1
	s_or_saveexec_b64 s[42:43], s[42:43]
	s_mov_b64 s[44:45], 0
	v_mov_b32_e32 v5, 8
	s_xor_b64 exec, exec, s[42:43]
; %bb.195:                              ;   in Loop: Header=BB19_16 Depth=1
	s_mov_b64 s[44:45], exec
	v_subrev_u32_e32 v22, s54, v22
	v_mov_b32_e32 v5, 0
; %bb.196:                              ;   in Loop: Header=BB19_16 Depth=1
	s_or_b64 exec, exec, s[42:43]
	s_and_b64 s[48:49], s[44:45], exec
	v_mov_b32_e32 v10, v22
.LBB19_197:                             ;   in Loop: Header=BB19_16 Depth=1
	s_or_b64 exec, exec, s[40:41]
	s_mov_b64 s[42:43], -1
                                        ; implicit-def: $sgpr46_sgpr47
                                        ; implicit-def: $sgpr44_sgpr45
	s_and_saveexec_b64 s[40:41], s[48:49]
	s_cbranch_execz .LBB19_236
; %bb.198:                              ;   in Loop: Header=BB19_16 Depth=1
	s_cmp_eq_u32 s88, 1
	s_cselect_b64 s[6:7], -1, 0
	v_cmp_eq_u32_e32 vcc, 1, v10
	s_and_b64 s[42:43], s[6:7], vcc
	s_mov_b64 s[50:51], -1
                                        ; implicit-def: $sgpr46_sgpr47
                                        ; implicit-def: $sgpr44_sgpr45
	s_and_saveexec_b64 s[48:49], s[42:43]
	s_cbranch_execz .LBB19_224
; %bb.199:                              ;   in Loop: Header=BB19_16 Depth=1
	ds_read_b32 v2, v11 offset:4096
	s_waitcnt lgkmcnt(0)
	s_barrier
	v_readfirstlane_b32 s6, v2
	s_and_saveexec_b64 s[44:45], s[4:5]
; %bb.200:                              ;   in Loop: Header=BB19_16 Depth=1
	ds_write_b32 v27, v11
; %bb.201:                              ;   in Loop: Header=BB19_16 Depth=1
	s_or_b64 exec, exec, s[44:45]
	v_or_b32_e32 v34, v34, v4
	v_or_b32_e32 v41, v41, v4
	s_mov_b64 s[44:45], -1
	s_mov_b64 s[46:47], 0
	s_cmp_gt_i32 s6, 0
	s_mov_b64 s[50:51], 0
	s_mov_b64 s[52:53], -1
	s_waitcnt lgkmcnt(0)
	s_barrier
                                        ; implicit-def: $vgpr21
	s_cbranch_scc1 .LBB19_212
; %bb.202:                              ;   in Loop: Header=BB19_16 Depth=1
	s_mov_b64 s[52:53], 0
                                        ; implicit-def: $vgpr21
	s_mov_b64 s[54:55], exec
	v_readlane_b32 s16, v56, 28
	v_readlane_b32 s17, v56, 29
	s_and_b64 s[16:17], s[54:55], s[16:17]
	s_mov_b64 exec, s[16:17]
	s_cbranch_execz .LBB19_211
; %bb.203:                              ;   in Loop: Header=BB19_16 Depth=1
	v_mov_b32_e32 v2, v6
	v_mov_b32_e32 v9, v0
                                        ; implicit-def: $sgpr56_sgpr57
	s_branch .LBB19_206
.LBB19_204:                             ;   in Loop: Header=BB19_206 Depth=2
	s_or_b64 exec, exec, s[58:59]
	s_waitcnt lgkmcnt(0)
	s_barrier
	ds_read_b64 v[20:21], v11 offset:3072
	s_mov_b64 s[58:59], -1
	s_mov_b64 s[86:87], -1
	s_waitcnt lgkmcnt(0)
	s_barrier
	v_cmp_ne_u32_e32 vcc, 0, v20
	s_cbranch_vccz .LBB19_209
.LBB19_205:                             ;   in Loop: Header=BB19_206 Depth=2
	s_and_b64 s[16:17], exec, s[58:59]
	s_or_b64 s[50:51], s[16:17], s[50:51]
	s_andn2_b64 s[16:17], s[56:57], exec
	s_and_b64 s[56:57], s[86:87], exec
	s_or_b64 s[56:57], s[16:17], s[56:57]
	s_andn2_b64 exec, exec, s[50:51]
	s_cbranch_execz .LBB19_210
.LBB19_206:                             ;   Parent Loop BB19_16 Depth=1
                                        ; =>  This Inner Loop Header: Depth=2
	v_cmp_gt_i32_e32 vcc, s60, v9
	s_and_saveexec_b64 s[58:59], vcc
	s_cbranch_execz .LBB19_204
; %bb.207:                              ;   in Loop: Header=BB19_206 Depth=2
	v_ashrrev_i32_e32 v3, 31, v2
	v_lshl_add_u64 v[20:21], v[2:3], 2, s[72:73]
	global_load_dword v19, v[20:21], off
	s_waitcnt vmcnt(0)
	v_bitop3_b32 v3, v19, v41, s61 bitop3:0x48
	v_cmp_eq_u32_e32 vcc, v3, v34
	s_and_b64 exec, exec, vcc
	s_cbranch_execz .LBB19_204
; %bb.208:                              ;   in Loop: Header=BB19_206 Depth=2
	ds_write_b64 v11, v[18:19] offset:3072
	s_branch .LBB19_204
.LBB19_209:                             ;   in Loop: Header=BB19_206 Depth=2
	v_add_u32_e32 v9, s64, v9
	v_cmp_le_i32_e32 vcc, s83, v9
	v_add_u32_e32 v2, s90, v2
	s_mov_b64 s[86:87], 0
	s_orn2_b64 s[58:59], vcc, exec
	s_branch .LBB19_205
.LBB19_210:                             ;   in Loop: Header=BB19_16 Depth=1
	s_or_b64 exec, exec, s[50:51]
	s_and_b64 s[50:51], s[56:57], exec
.LBB19_211:                             ;   in Loop: Header=BB19_16 Depth=1
	s_or_b64 exec, exec, s[54:55]
.LBB19_212:                             ;   in Loop: Header=BB19_16 Depth=1
	s_and_b64 vcc, exec, s[52:53]
	s_cbranch_vccz .LBB19_223
; %bb.213:                              ;   in Loop: Header=BB19_16 Depth=1
	v_readlane_b32 s7, v56, 8
	s_add_i32 s7, s6, s7
	s_abs_i32 s17, s7
	v_readlane_b32 s44, v56, 27
	s_mul_hi_u32 s44, s17, s44
	s_mul_i32 s44, s44, s64
	s_sub_i32 s17, s17, s44
	s_ashr_i32 s16, s7, 31
	s_sub_i32 s44, s17, s64
	s_cmp_ge_u32 s17, s64
	s_cselect_b32 s17, s44, s17
	s_sub_i32 s44, s17, s64
	s_cmp_ge_u32 s17, s64
	s_cselect_b32 s17, s44, s17
	s_xor_b32 s17, s17, s16
	s_sub_i32 s16, s16, s17
	s_add_i32 s7, s7, s16
	v_cmp_gt_i32_e32 vcc, s7, v0
                                        ; implicit-def: $vgpr21
	s_and_saveexec_b64 s[44:45], vcc
	s_cbranch_execz .LBB19_222
; %bb.214:                              ;   in Loop: Header=BB19_16 Depth=1
	s_mov_b64 s[46:47], 0
	v_mov_b32_e32 v2, v15
	v_mov_b32_e32 v3, v0
                                        ; implicit-def: $sgpr52_sgpr53
	s_branch .LBB19_217
.LBB19_215:                             ;   in Loop: Header=BB19_217 Depth=2
	s_or_b64 exec, exec, s[54:55]
	s_waitcnt lgkmcnt(0)
	s_barrier
	ds_read_b64 v[20:21], v11 offset:3072
	s_mov_b64 s[54:55], -1
	s_mov_b64 s[56:57], -1
	s_waitcnt lgkmcnt(0)
	s_barrier
	v_cmp_eq_u32_e32 vcc, 0, v20
	s_cbranch_vccnz .LBB19_220
.LBB19_216:                             ;   in Loop: Header=BB19_217 Depth=2
	s_and_b64 s[16:17], exec, s[54:55]
	s_or_b64 s[46:47], s[16:17], s[46:47]
	s_andn2_b64 s[16:17], s[52:53], exec
	s_and_b64 s[52:53], s[56:57], exec
	s_or_b64 s[52:53], s[16:17], s[52:53]
	s_andn2_b64 exec, exec, s[46:47]
	s_cbranch_execz .LBB19_221
.LBB19_217:                             ;   Parent Loop BB19_16 Depth=1
                                        ; =>  This Inner Loop Header: Depth=2
	v_cmp_gt_i32_e32 vcc, s6, v3
	s_and_saveexec_b64 s[54:55], vcc
	s_cbranch_execz .LBB19_215
; %bb.218:                              ;   in Loop: Header=BB19_217 Depth=2
	ds_read_b32 v19, v2
	s_waitcnt lgkmcnt(0)
	v_bitop3_b32 v9, v19, v41, s61 bitop3:0x48
	v_cmp_eq_u32_e32 vcc, v9, v34
	s_and_b64 exec, exec, vcc
	s_cbranch_execz .LBB19_215
; %bb.219:                              ;   in Loop: Header=BB19_217 Depth=2
	ds_write_b64 v11, v[18:19] offset:3072
	s_branch .LBB19_215
.LBB19_220:                             ;   in Loop: Header=BB19_217 Depth=2
	v_add_u32_e32 v3, s64, v3
	v_cmp_le_i32_e32 vcc, s7, v3
	v_add_u32_e32 v2, s66, v2
	s_mov_b64 s[56:57], 0
	s_orn2_b64 s[54:55], vcc, exec
	s_branch .LBB19_216
.LBB19_221:                             ;   in Loop: Header=BB19_16 Depth=1
	s_or_b64 exec, exec, s[46:47]
	s_andn2_b64 s[6:7], s[50:51], exec
	s_and_b64 s[16:17], s[52:53], exec
	s_or_b64 s[50:51], s[6:7], s[16:17]
.LBB19_222:                             ;   in Loop: Header=BB19_16 Depth=1
	s_or_b64 exec, exec, s[44:45]
	s_mov_b64 s[44:45], 0
	s_mov_b64 s[46:47], -1
.LBB19_223:                             ;   in Loop: Header=BB19_16 Depth=1
	s_orn2_b64 s[50:51], s[50:51], exec
.LBB19_224:                             ;   in Loop: Header=BB19_16 Depth=1
	s_or_b64 exec, exec, s[48:49]
	s_mov_b64 s[52:53], 0
	s_and_saveexec_b64 s[48:49], s[50:51]
	s_cbranch_execz .LBB19_235
; %bb.225:                              ;   in Loop: Header=BB19_16 Depth=1
	s_xor_b64 s[6:7], s[42:43], -1
	v_mov_b32_e32 v5, 1
	v_mov_b32_e32 v2, 1
	s_and_saveexec_b64 s[42:43], s[6:7]
	s_cbranch_execz .LBB19_234
; %bb.226:                              ;   in Loop: Header=BB19_16 Depth=1
	v_cmp_ge_i32_e32 vcc, s88, v10
	s_and_saveexec_b64 s[6:7], vcc
	s_xor_b64 s[50:51], exec, s[6:7]
	s_cbranch_execz .LBB19_231
; %bb.227:                              ;   in Loop: Header=BB19_16 Depth=1
	ds_read_b32 v2, v11 offset:4096
	v_or_b32_e32 v34, v34, v4
	v_or_b32_e32 v41, v41, v4
	s_waitcnt lgkmcnt(0)
	v_cmp_ne_u32_e32 vcc, 0, v2
	s_cbranch_vccnz .LBB19_231
; %bb.228:                              ;   in Loop: Header=BB19_16 Depth=1
	s_and_saveexec_b64 s[52:53], s[18:19]
; %bb.229:                              ;   in Loop: Header=BB19_16 Depth=1
	v_mov_b32_e32 v2, s88
	ds_write_b32 v11, v2 offset:4100
; %bb.230:                              ;   in Loop: Header=BB19_16 Depth=1
	s_or_b64 exec, exec, s[52:53]
	s_waitcnt lgkmcnt(0)
	s_barrier
.LBB19_231:                             ;   in Loop: Header=BB19_16 Depth=1
	s_andn2_saveexec_b64 s[50:51], s[50:51]
; %bb.232:                              ;   in Loop: Header=BB19_16 Depth=1
	v_subrev_u32_e32 v10, s88, v10
; %bb.233:                              ;   in Loop: Header=BB19_16 Depth=1
	s_or_b64 exec, exec, s[50:51]
	v_mov_b32_e32 v5, 8
	v_mov_b32_e32 v2, v10
.LBB19_234:                             ;   in Loop: Header=BB19_16 Depth=1
	s_or_b64 exec, exec, s[42:43]
	s_mov_b64 s[52:53], exec
	v_mov_b32_e32 v10, v2
.LBB19_235:                             ;   in Loop: Header=BB19_16 Depth=1
	s_or_b64 exec, exec, s[48:49]
	s_orn2_b64 s[42:43], s[52:53], exec
.LBB19_236:                             ;   in Loop: Header=BB19_16 Depth=1
	s_or_b64 exec, exec, s[40:41]
	s_andn2_b64 s[6:7], s[36:37], exec
	s_and_b64 s[16:17], s[46:47], exec
	s_or_b64 s[36:37], s[6:7], s[16:17]
	s_andn2_b64 s[6:7], s[34:35], exec
	s_and_b64 s[16:17], s[44:45], exec
	s_or_b64 s[34:35], s[6:7], s[16:17]
	s_and_b64 s[44:45], s[42:43], exec
	v_mov_b32_e32 v22, v10
.LBB19_237:                             ;   in Loop: Header=BB19_16 Depth=1
	s_or_b64 exec, exec, s[38:39]
	s_orn2_b64 s[38:39], s[44:45], exec
.LBB19_238:                             ;   in Loop: Header=BB19_16 Depth=1
	s_or_b64 exec, exec, s[30:31]
	s_andn2_b64 s[6:7], s[26:27], exec
	s_and_b64 s[16:17], s[36:37], exec
	s_or_b64 s[26:27], s[6:7], s[16:17]
	s_andn2_b64 s[6:7], s[24:25], exec
	s_and_b64 s[16:17], s[34:35], exec
	s_or_b64 s[24:25], s[6:7], s[16:17]
	s_and_b64 s[36:37], s[38:39], exec
	v_mov_b32_e32 v10, v22
.LBB19_239:                             ;   in Loop: Header=BB19_16 Depth=1
	s_or_b64 exec, exec, s[28:29]
	s_orn2_b64 s[28:29], s[36:37], exec
.LBB19_240:                             ;   in Loop: Header=BB19_16 Depth=1
	s_or_b64 exec, exec, s[22:23]
	s_mov_b64 s[30:31], 0
	s_and_saveexec_b64 s[6:7], s[28:29]
	s_xor_b64 s[22:23], exec, s[6:7]
	s_cbranch_execz .LBB19_14
; %bb.241:                              ;   in Loop: Header=BB19_16 Depth=1
	v_and_b32_e32 v2, 7, v5
	v_cmp_eq_u32_e32 vcc, 0, v2
	s_mov_b64 s[20:21], -1
	s_mov_b64 s[28:29], -1
	s_and_saveexec_b64 s[30:31], vcc
	s_cbranch_execz .LBB19_13
; %bb.242:                              ;   in Loop: Header=BB19_16 Depth=1
	v_add_u32_e32 v2, -2, v38
	v_cmp_eq_u32_e32 vcc, 0, v38
	v_xor_b32_e32 v40, 1, v40
	s_xor_b64 s[28:29], exec, -1
	s_orn2_b64 s[20:21], vcc, exec
	v_mov_b32_e32 v38, v2
	s_branch .LBB19_13
.LBB19_243:
	s_or_b64 exec, exec, s[92:93]
	s_xor_b64 s[6:7], s[98:99], -1
	s_xor_b64 s[0:1], s[94:95], -1
	;; [unrolled: 1-line block ×3, first 2 shown]
	s_mov_b64 s[2:3], 0
	s_and_saveexec_b64 s[8:9], s[0:1]
	s_xor_b64 s[0:1], exec, s[8:9]
	s_cbranch_execnz .LBB19_248
; %bb.244:
	s_andn2_saveexec_b64 s[0:1], s[0:1]
	s_cbranch_execnz .LBB19_268
.LBB19_245:
	s_or_b64 exec, exec, s[0:1]
	s_and_saveexec_b64 s[0:1], s[2:3]
.LBB19_246:
	; divergent unreachable
.LBB19_247:
	s_endpgm
.LBB19_248:
	s_and_saveexec_b64 s[2:3], s[6:7]
	s_xor_b64 s[2:3], exec, s[2:3]
	s_cbranch_execz .LBB19_266
; %bb.249:
	s_and_saveexec_b64 s[6:7], s[4:5]
	s_xor_b64 s[4:5], exec, s[6:7]
; %bb.250:
	v_xor_b32_e32 v21, 0x80000000, v34
; %bb.251:
	s_or_b64 exec, exec, s[4:5]
	s_and_saveexec_b64 s[4:5], s[18:19]
; %bb.252:
	v_mov_b32_e32 v1, 0
	v_mov_b32_e32 v2, s60
	ds_write_b32 v1, v2 offset:4108
; %bb.253:
	s_or_b64 exec, exec, s[4:5]
	v_mov_b32_e32 v1, 0
	s_waitcnt lgkmcnt(0)
	s_barrier
	ds_read_b32 v1, v1 offset:4108
	s_waitcnt lgkmcnt(0)
	v_min_i32_e32 v2, s60, v1
	v_cmp_lt_i32_e32 vcc, v0, v2
	s_and_saveexec_b64 s[4:5], vcc
	s_cbranch_execz .LBB19_263
; %bb.254:
	s_mov_b64 s[6:7], 0
                                        ; implicit-def: $sgpr8_sgpr9
                                        ; implicit-def: $sgpr12_sgpr13
                                        ; implicit-def: $sgpr10_sgpr11
	s_branch .LBB19_256
.LBB19_255:                             ;   in Loop: Header=BB19_256 Depth=1
	s_or_b64 exec, exec, s[14:15]
	s_and_b64 s[14:15], exec, s[12:13]
	s_or_b64 s[6:7], s[14:15], s[6:7]
	s_andn2_b64 s[8:9], s[8:9], exec
	s_and_b64 s[14:15], s[10:11], exec
	s_or_b64 s[8:9], s[8:9], s[14:15]
	s_andn2_b64 exec, exec, s[6:7]
	s_cbranch_execz .LBB19_258
.LBB19_256:                             ; =>This Inner Loop Header: Depth=1
	v_ashrrev_i32_e32 v7, 31, v6
	v_lshl_add_u64 v[4:5], v[6:7], 2, s[72:73]
	global_load_dword v3, v[4:5], off
	v_mov_b32_e32 v1, v0
	s_or_b64 s[10:11], s[10:11], exec
	s_or_b64 s[12:13], s[12:13], exec
                                        ; implicit-def: $vgpr0
	s_waitcnt vmcnt(0)
	v_cmp_ne_u32_e32 vcc, v3, v21
	s_and_saveexec_b64 s[14:15], vcc
	s_cbranch_execz .LBB19_255
; %bb.257:                              ;   in Loop: Header=BB19_256 Depth=1
	v_add_u32_e32 v0, s64, v1
	v_cmp_ge_i32_e32 vcc, v0, v2
	s_andn2_b64 s[12:13], s[12:13], exec
	s_and_b64 s[16:17], vcc, exec
	v_add_u32_e32 v6, s90, v6
	s_andn2_b64 s[10:11], s[10:11], exec
	s_or_b64 s[12:13], s[12:13], s[16:17]
	s_branch .LBB19_255
.LBB19_258:
	s_or_b64 exec, exec, s[6:7]
	s_and_saveexec_b64 s[6:7], s[8:9]
	s_xor_b64 s[6:7], exec, s[6:7]
	s_cbranch_execz .LBB19_263
; %bb.259:
	s_mov_b64 s[6:7], exec
	s_brev_b32 s8, -2
.LBB19_260:                             ; =>This Inner Loop Header: Depth=1
	s_ff1_i32_b64 s9, s[6:7]
	v_readlane_b32 s12, v1, s9
	s_lshl_b64 s[10:11], 1, s9
	s_min_i32 s8, s8, s12
	s_andn2_b64 s[6:7], s[6:7], s[10:11]
	s_cmp_lg_u64 s[6:7], 0
	s_cbranch_scc1 .LBB19_260
; %bb.261:
	v_mbcnt_lo_u32_b32 v0, exec_lo, 0
	v_mbcnt_hi_u32_b32 v0, exec_hi, v0
	v_cmp_eq_u32_e32 vcc, 0, v0
	s_and_saveexec_b64 s[6:7], vcc
	s_xor_b64 s[6:7], exec, s[6:7]
; %bb.262:
	v_mov_b32_e32 v0, 0
	v_mov_b32_e32 v1, s8
	ds_min_i32 v0, v1 offset:4108
.LBB19_263:
	s_or_b64 exec, exec, s[4:5]
	s_waitcnt lgkmcnt(0)
	s_barrier
	s_and_saveexec_b64 s[4:5], s[18:19]
	s_cbranch_execz .LBB19_265
; %bb.264:
	v_readlane_b32 s6, v56, 0
	s_mul_i32 s6, s6, s62
	v_readlane_b32 s7, v56, 7
	s_add_i32 s6, s6, s65
	s_mul_i32 s7, s7, s33
	s_add_i32 s8, s7, s67
	s_ashr_i32 s7, s6, 31
	v_mov_b32_e32 v2, 0
	s_lshl_b64 s[6:7], s[6:7], 2
	v_readlane_b32 s10, v56, 1
	ds_read_b32 v0, v2 offset:4108
	v_readlane_b32 s11, v56, 2
	s_add_u32 s6, s10, s6
	s_addc_u32 s7, s11, s7
	s_ashr_i32 s9, s8, 31
	s_lshl_b64 s[8:9], s[8:9], 3
	v_readlane_b32 s10, v56, 3
	v_readlane_b32 s11, v56, 4
	s_add_u32 s8, s10, s8
	s_addc_u32 s9, s11, s9
	s_waitcnt lgkmcnt(0)
	v_ashrrev_i32_e32 v1, 31, v0
	global_store_dwordx2 v2, v[0:1], s[8:9]
	global_store_dword v2, v21, s[6:7]
.LBB19_265:
	s_or_b64 exec, exec, s[4:5]
.LBB19_266:
	s_or_saveexec_b64 s[2:3], s[2:3]
	s_mov_b64 s[4:5], 0
	s_xor_b64 exec, exec, s[2:3]
	s_cbranch_execnz .LBB19_269
.LBB19_267:
	s_or_b64 exec, exec, s[2:3]
	s_and_b64 s[2:3], s[4:5], exec
	s_andn2_saveexec_b64 s[0:1], s[0:1]
	s_cbranch_execz .LBB19_245
.LBB19_268:
	s_or_b64 s[2:3], s[2:3], exec
	s_trap 2
	s_or_b64 exec, exec, s[0:1]
	s_and_saveexec_b64 s[0:1], s[2:3]
	s_cbranch_execnz .LBB19_246
	s_branch .LBB19_247
.LBB19_269:
	s_mov_b64 s[4:5], exec
	s_trap 2
	s_branch .LBB19_267
	.section	.rodata,"a",@progbits
	.p2align	6, 0x0
	.amdhsa_kernel _ZN2at6native12_GLOBAL__N_114gatherKthValueIiiLin1EEEvNS_4cuda6detail10TensorInfoIKT_T0_EES8_S8_S8_S8_NS5_IS6_S8_EENS5_IlS8_EE
		.amdhsa_group_segment_fixed_size 4112
		.amdhsa_private_segment_fixed_size 0
		.amdhsa_kernarg_size 920
		.amdhsa_user_sgpr_count 2
		.amdhsa_user_sgpr_dispatch_ptr 0
		.amdhsa_user_sgpr_queue_ptr 0
		.amdhsa_user_sgpr_kernarg_segment_ptr 1
		.amdhsa_user_sgpr_dispatch_id 0
		.amdhsa_user_sgpr_kernarg_preload_length 0
		.amdhsa_user_sgpr_kernarg_preload_offset 0
		.amdhsa_user_sgpr_private_segment_size 0
		.amdhsa_uses_dynamic_stack 0
		.amdhsa_enable_private_segment 0
		.amdhsa_system_sgpr_workgroup_id_x 1
		.amdhsa_system_sgpr_workgroup_id_y 1
		.amdhsa_system_sgpr_workgroup_id_z 1
		.amdhsa_system_sgpr_workgroup_info 0
		.amdhsa_system_vgpr_workitem_id 0
		.amdhsa_next_free_vgpr 57
		.amdhsa_next_free_sgpr 100
		.amdhsa_accum_offset 60
		.amdhsa_reserve_vcc 1
		.amdhsa_float_round_mode_32 0
		.amdhsa_float_round_mode_16_64 0
		.amdhsa_float_denorm_mode_32 3
		.amdhsa_float_denorm_mode_16_64 3
		.amdhsa_dx10_clamp 1
		.amdhsa_ieee_mode 1
		.amdhsa_fp16_overflow 0
		.amdhsa_tg_split 0
		.amdhsa_exception_fp_ieee_invalid_op 0
		.amdhsa_exception_fp_denorm_src 0
		.amdhsa_exception_fp_ieee_div_zero 0
		.amdhsa_exception_fp_ieee_overflow 0
		.amdhsa_exception_fp_ieee_underflow 0
		.amdhsa_exception_fp_ieee_inexact 0
		.amdhsa_exception_int_div_zero 0
	.end_amdhsa_kernel
	.section	.text._ZN2at6native12_GLOBAL__N_114gatherKthValueIiiLin1EEEvNS_4cuda6detail10TensorInfoIKT_T0_EES8_S8_S8_S8_NS5_IS6_S8_EENS5_IlS8_EE,"axG",@progbits,_ZN2at6native12_GLOBAL__N_114gatherKthValueIiiLin1EEEvNS_4cuda6detail10TensorInfoIKT_T0_EES8_S8_S8_S8_NS5_IS6_S8_EENS5_IlS8_EE,comdat
.Lfunc_end19:
	.size	_ZN2at6native12_GLOBAL__N_114gatherKthValueIiiLin1EEEvNS_4cuda6detail10TensorInfoIKT_T0_EES8_S8_S8_S8_NS5_IS6_S8_EENS5_IlS8_EE, .Lfunc_end19-_ZN2at6native12_GLOBAL__N_114gatherKthValueIiiLin1EEEvNS_4cuda6detail10TensorInfoIKT_T0_EES8_S8_S8_S8_NS5_IS6_S8_EENS5_IlS8_EE
                                        ; -- End function
	.set _ZN2at6native12_GLOBAL__N_114gatherKthValueIiiLin1EEEvNS_4cuda6detail10TensorInfoIKT_T0_EES8_S8_S8_S8_NS5_IS6_S8_EENS5_IlS8_EE.num_vgpr, 57
	.set _ZN2at6native12_GLOBAL__N_114gatherKthValueIiiLin1EEEvNS_4cuda6detail10TensorInfoIKT_T0_EES8_S8_S8_S8_NS5_IS6_S8_EENS5_IlS8_EE.num_agpr, 0
	.set _ZN2at6native12_GLOBAL__N_114gatherKthValueIiiLin1EEEvNS_4cuda6detail10TensorInfoIKT_T0_EES8_S8_S8_S8_NS5_IS6_S8_EENS5_IlS8_EE.numbered_sgpr, 100
	.set _ZN2at6native12_GLOBAL__N_114gatherKthValueIiiLin1EEEvNS_4cuda6detail10TensorInfoIKT_T0_EES8_S8_S8_S8_NS5_IS6_S8_EENS5_IlS8_EE.num_named_barrier, 0
	.set _ZN2at6native12_GLOBAL__N_114gatherKthValueIiiLin1EEEvNS_4cuda6detail10TensorInfoIKT_T0_EES8_S8_S8_S8_NS5_IS6_S8_EENS5_IlS8_EE.private_seg_size, 0
	.set _ZN2at6native12_GLOBAL__N_114gatherKthValueIiiLin1EEEvNS_4cuda6detail10TensorInfoIKT_T0_EES8_S8_S8_S8_NS5_IS6_S8_EENS5_IlS8_EE.uses_vcc, 1
	.set _ZN2at6native12_GLOBAL__N_114gatherKthValueIiiLin1EEEvNS_4cuda6detail10TensorInfoIKT_T0_EES8_S8_S8_S8_NS5_IS6_S8_EENS5_IlS8_EE.uses_flat_scratch, 0
	.set _ZN2at6native12_GLOBAL__N_114gatherKthValueIiiLin1EEEvNS_4cuda6detail10TensorInfoIKT_T0_EES8_S8_S8_S8_NS5_IS6_S8_EENS5_IlS8_EE.has_dyn_sized_stack, 0
	.set _ZN2at6native12_GLOBAL__N_114gatherKthValueIiiLin1EEEvNS_4cuda6detail10TensorInfoIKT_T0_EES8_S8_S8_S8_NS5_IS6_S8_EENS5_IlS8_EE.has_recursion, 0
	.set _ZN2at6native12_GLOBAL__N_114gatherKthValueIiiLin1EEEvNS_4cuda6detail10TensorInfoIKT_T0_EES8_S8_S8_S8_NS5_IS6_S8_EENS5_IlS8_EE.has_indirect_call, 0
	.section	.AMDGPU.csdata,"",@progbits
; Kernel info:
; codeLenInByte = 9828
; TotalNumSgprs: 106
; NumVgprs: 57
; NumAgprs: 0
; TotalNumVgprs: 57
; ScratchSize: 0
; MemoryBound: 0
; FloatMode: 240
; IeeeMode: 1
; LDSByteSize: 4112 bytes/workgroup (compile time only)
; SGPRBlocks: 13
; VGPRBlocks: 7
; NumSGPRsForWavesPerEU: 106
; NumVGPRsForWavesPerEU: 57
; AccumOffset: 60
; Occupancy: 7
; WaveLimiterHint : 1
; COMPUTE_PGM_RSRC2:SCRATCH_EN: 0
; COMPUTE_PGM_RSRC2:USER_SGPR: 2
; COMPUTE_PGM_RSRC2:TRAP_HANDLER: 0
; COMPUTE_PGM_RSRC2:TGID_X_EN: 1
; COMPUTE_PGM_RSRC2:TGID_Y_EN: 1
; COMPUTE_PGM_RSRC2:TGID_Z_EN: 1
; COMPUTE_PGM_RSRC2:TIDIG_COMP_CNT: 0
; COMPUTE_PGM_RSRC3_GFX90A:ACCUM_OFFSET: 14
; COMPUTE_PGM_RSRC3_GFX90A:TG_SPLIT: 0
	.section	.text._ZN2at6native12_GLOBAL__N_114gatherKthValueIilLi1EEEvNS_4cuda6detail10TensorInfoIKT_T0_EES8_S8_S8_S8_NS5_IS6_S8_EENS5_IlS8_EE,"axG",@progbits,_ZN2at6native12_GLOBAL__N_114gatherKthValueIilLi1EEEvNS_4cuda6detail10TensorInfoIKT_T0_EES8_S8_S8_S8_NS5_IS6_S8_EENS5_IlS8_EE,comdat
	.globl	_ZN2at6native12_GLOBAL__N_114gatherKthValueIilLi1EEEvNS_4cuda6detail10TensorInfoIKT_T0_EES8_S8_S8_S8_NS5_IS6_S8_EENS5_IlS8_EE ; -- Begin function _ZN2at6native12_GLOBAL__N_114gatherKthValueIilLi1EEEvNS_4cuda6detail10TensorInfoIKT_T0_EES8_S8_S8_S8_NS5_IS6_S8_EENS5_IlS8_EE
	.p2align	8
	.type	_ZN2at6native12_GLOBAL__N_114gatherKthValueIilLi1EEEvNS_4cuda6detail10TensorInfoIKT_T0_EES8_S8_S8_S8_NS5_IS6_S8_EENS5_IlS8_EE,@function
_ZN2at6native12_GLOBAL__N_114gatherKthValueIilLi1EEEvNS_4cuda6detail10TensorInfoIKT_T0_EES8_S8_S8_S8_NS5_IS6_S8_EENS5_IlS8_EE: ; @_ZN2at6native12_GLOBAL__N_114gatherKthValueIilLi1EEEvNS_4cuda6detail10TensorInfoIKT_T0_EES8_S8_S8_S8_NS5_IS6_S8_EENS5_IlS8_EE
; %bb.0:
	s_load_dwordx2 s[10:11], s[0:1], 0x500
	s_load_dwordx8 s[60:67], s[0:1], 0x1a0
	s_add_u32 s8, s0, 0x500
	s_addc_u32 s9, s1, 0
	s_mov_b32 s15, 0
	s_waitcnt lgkmcnt(0)
	s_mul_i32 s4, s11, s4
	s_add_i32 s3, s4, s3
	s_mul_i32 s3, s3, s10
	s_add_i32 s14, s3, s2
	v_mov_b64_e32 v[2:3], s[14:15]
	v_cmp_le_i64_e32 vcc, s[64:65], v[2:3]
	s_cbranch_vccnz .LBB20_275
; %bb.1:
	s_load_dwordx2 s[4:5], s[0:1], 0x430
                                        ; implicit-def: $vgpr62 : SGPR spill to VGPR lane
	v_cmp_eq_u32_e64 s[12:13], 0, v0
	s_waitcnt lgkmcnt(0)
	v_writelane_b32 v62, s4, 0
	s_nop 1
	v_writelane_b32 v62, s5, 1
	s_load_dwordx2 s[4:5], s[0:1], 0x360
	s_waitcnt lgkmcnt(0)
	v_writelane_b32 v62, s4, 2
	s_nop 1
	v_writelane_b32 v62, s5, 3
	s_load_dwordx2 s[4:5], s[0:1], 0x290
	;; [unrolled: 5-line block ×4, first 2 shown]
	s_load_dwordx2 s[4:5], s[0:1], 0x0
	s_mov_b64 s[0:1], exec
	v_writelane_b32 v62, s12, 8
	s_nop 1
	v_writelane_b32 v62, s13, 9
	s_and_b64 s[12:13], s[0:1], s[12:13]
	s_mov_b64 exec, s[12:13]
	s_cbranch_execz .LBB20_3
; %bb.2:
	v_mov_b32_e32 v2, 0
	v_mov_b32_e32 v4, s60
	v_mov_b32_e32 v5, s61
	v_mov_b32_e32 v3, v2
	ds_write_b32 v2, v2 offset:5136
	ds_write_b128 v2, v[2:5] offset:5120
.LBB20_3:
	s_or_b64 exec, exec, s[0:1]
	s_waitcnt lgkmcnt(0)
	s_mul_i32 s0, s7, s14
	s_mul_hi_u32 s1, s6, s14
	s_add_i32 s1, s1, s0
	s_mov_b32 s0, s14
	v_writelane_b32 v62, s0, 10
	v_mbcnt_lo_u32_b32 v1, -1, 0
	v_mbcnt_hi_u32_b32 v42, -1, v1
	v_writelane_b32 v62, s1, 11
	s_mul_i32 s0, s6, s14
	s_lshl_b64 s[0:1], s[0:1], 2
	s_add_u32 s82, s4, s0
	v_cmp_gt_u32_e32 vcc, 64, v0
	v_cmp_gt_i32_e64 s[6:7], 4, v42
	s_addc_u32 s83, s5, s1
	s_and_b64 s[78:79], vcc, s[6:7]
	v_cmp_gt_u32_e64 s[6:7], 2, v0
	v_mov_b64_e32 v[4:5], 0x300
	v_mov_b32_e32 v3, 0
	v_writelane_b32 v62, s6, 12
	v_mov_b32_e32 v1, v3
	s_nop 0
	v_writelane_b32 v62, s7, 13
	v_cmp_gt_i64_e64 s[6:7], s[60:61], v[4:5]
	s_barrier
	s_nop 0
	v_writelane_b32 v62, s6, 14
	s_load_dword s3, s[8:9], 0xc
	v_mov_b32_e32 v9, -1
	v_writelane_b32 v62, s7, 15
	v_cmp_gt_u64_e64 s[6:7], s[60:61], v[0:1]
	v_not_b32_e32 v8, v0
	s_waitcnt lgkmcnt(0)
	s_and_b32 s74, s3, 0xffff
	v_writelane_b32 v62, s6, 16
	s_bfe_u32 s3, s3, 0xa0006
	s_cmp_gt_u32 s74, 63
	v_writelane_b32 v62, s7, 17
	v_mad_u64_u32 v[4:5], s[6:7], s66, v0, 0
	v_mov_b32_e32 v2, v5
	v_mad_u64_u32 v[6:7], s[6:7], s67, v0, v[2:3]
	v_cmp_gt_i64_e64 s[6:7], s[60:61], v[0:1]
	v_lshlrev_b32_e32 v2, 2, v42
	v_and_b32_e32 v44, 0x100, v2
	v_writelane_b32 v62, s6, 18
	v_lshrrev_b32_e32 v2, 1, v0
	v_and_b32_e32 v2, 0x1e0, v2
	v_writelane_b32 v62, s7, 19
	s_cselect_b64 s[6:7], -1, 0
	v_mov_b32_e32 v5, v6
	v_lshlrev_b64 v[6:7], v42, -1
	v_writelane_b32 v62, s6, 20
	v_or_b32_e32 v45, 0xc00, v2
	v_add_u32_e32 v2, 2, v0
	v_not_b32_e32 v16, v6
	v_writelane_b32 v62, s7, 21
	s_add_u32 s6, s74, -1
	v_mov_b32_e32 v6, s61
	v_cmp_gt_i64_e32 vcc, s[60:61], v[2:3]
	v_not_b32_e32 v17, v7
	s_addc_u32 s7, 0, -1
	v_cndmask_b32_e32 v7, 0, v6, vcc
	v_mov_b32_e32 v6, s60
	v_writelane_b32 v62, s6, 22
	s_add_u32 s6, s6, s60
	v_cndmask_b32_e32 v6, v2, v6, vcc
	v_writelane_b32 v62, s6, 23
	s_addc_u32 s69, s7, s61
	v_lshl_add_u64 v[6:7], v[6:7], 0, v[8:9]
	v_writelane_b32 v62, s7, 24
	s_cmp_lt_u32 s2, s10
	v_cmp_lt_u64_e64 s[6:7], 1, v[6:7]
	s_cselect_b32 s2, 12, 18
	v_and_b32_e32 v18, -2, v6
	v_writelane_b32 v62, s6, 25
	v_mov_b32_e32 v19, v7
	s_add_u32 s0, s8, s2
	v_writelane_b32 v62, s7, 26
	v_cmp_ne_u64_e64 s[6:7], v[6:7], v[18:19]
	s_addc_u32 s1, s9, 0
	s_add_i32 s2, s3, -1
	v_writelane_b32 v62, s6, 27
	s_and_b32 s2, s2, 0xffff
	v_lshlrev_b32_e32 v46, 4, v0
	v_writelane_b32 v62, s7, 28
	s_bfe_u32 s6, s74, 0x30006
	s_cmp_gt_u32 s2, 6
	s_cselect_b64 s[8:9], -1, 0
	v_writelane_b32 v62, s8, 29
	s_and_b32 s88, s3, 0x3f8
	s_cmp_lg_u32 s6, 0
	v_writelane_b32 v62, s9, 30
	v_writelane_b32 v62, s6, 31
	s_cselect_b64 s[2:3], -1, 0
	v_writelane_b32 v62, s2, 32
	v_or_b32_e32 v6, 12, v46
	v_lshl_add_u64 v[12:13], v[4:5], 2, s[82:83]
	v_writelane_b32 v62, s3, 33
	s_lshl_b64 s[2:3], s[66:67], 2
	v_writelane_b32 v62, s2, 34
	s_mov_b32 s81, 0
	v_lshlrev_b32_e32 v14, 2, v0
	v_writelane_b32 v62, s3, 35
	v_mad_u64_u32 v[22:23], s[2:3], s66, v6, 0
	v_mov_b32_e32 v2, v23
	v_mad_u64_u32 v[6:7], s[2:3], s67, v6, v[2:3]
	v_mov_b32_e32 v23, v6
	v_or_b32_e32 v6, 8, v46
	v_mad_u64_u32 v[24:25], s[2:3], s66, v6, 0
	v_mov_b32_e32 v2, v25
	v_mad_u64_u32 v[6:7], s[2:3], s67, v6, v[2:3]
	v_mov_b32_e32 v25, v6
	v_or_b32_e32 v6, 4, v46
	v_mad_u64_u32 v[26:27], s[2:3], s66, v6, 0
	v_writelane_b32 v62, s78, 36
	v_mov_b32_e32 v2, v27
	v_mad_u64_u32 v[6:7], s[2:3], s67, v6, v[2:3]
	v_writelane_b32 v62, s79, 37
	v_writelane_b32 v62, s82, 38
	s_mul_i32 s2, s67, s74
	s_mul_hi_u32 s3, s66, s74
	v_writelane_b32 v62, s83, 39
	v_mov_b32_e32 v2, 0xc00
	s_add_i32 s3, s3, s2
	s_mul_i32 s2, s66, s74
	v_writelane_b32 v62, s0, 40
	v_cmp_eq_u32_e64 s[4:5], 0, v42
	v_add_u32_e32 v43, 0xc00, v14
	v_mov_b32_e32 v15, v3
	s_mov_b32 s75, s81
	v_lshl_add_u64 v[20:21], v[18:19], 0, v[0:1]
	s_mov_b32 s33, s66
	s_mov_b32 s84, s67
	s_lshl_b64 s[96:97], s[66:67], 4
	v_mov_b32_e32 v27, v6
	v_lshlrev_b64 v[28:29], 4, v[4:5]
	v_lshl_add_u64 v[30:31], s[60:61], 0, v[0:1]
	v_lshl_or_b32 v47, v42, 3, v2
	s_lshl_b64 s[94:95], s[2:3], 2
	s_lshl_b32 s89, s74, 2
	s_mov_b32 s87, 30
	s_mov_b64 s[98:99], 0
	v_mov_b64_e32 v[36:37], s[62:63]
	s_brev_b32 s86, 1
	v_mov_b64_e32 v[52:53], s[60:61]
	v_mov_b32_e32 v32, 1
	v_mov_b32_e32 v35, 0
	;; [unrolled: 1-line block ×5, first 2 shown]
	v_writelane_b32 v62, s1, 41
                                        ; implicit-def: $sgpr62_sgpr63
                                        ; implicit-def: $sgpr64_sgpr65
                                        ; implicit-def: $sgpr58_sgpr59
                                        ; implicit-def: $sgpr72_sgpr73
                                        ; implicit-def: $sgpr14_sgpr15
                                        ; implicit-def: $sgpr70_sgpr71
	v_writelane_b32 v62, s84, 42
	s_branch .LBB20_7
.LBB20_4:                               ;   in Loop: Header=BB20_7 Depth=1
	s_or_b64 exec, exec, s[12:13]
	s_and_b64 s[8:9], s[8:9], exec
	s_andn2_b64 s[26:27], s[26:27], exec
	s_andn2_b64 s[2:3], s[2:3], exec
	s_orn2_b64 s[20:21], s[10:11], exec
.LBB20_5:                               ;   in Loop: Header=BB20_7 Depth=1
	s_or_b64 exec, exec, s[6:7]
	s_andn2_b64 s[6:7], s[70:71], exec
	s_and_b64 s[8:9], s[8:9], exec
	s_or_b64 s[70:71], s[6:7], s[8:9]
	s_andn2_b64 s[6:7], s[14:15], exec
	s_and_b64 s[8:9], s[26:27], exec
	s_or_b64 s[14:15], s[6:7], s[8:9]
	;; [unrolled: 3-line block ×3, first 2 shown]
	s_orn2_b64 s[2:3], s[20:21], exec
.LBB20_6:                               ;   in Loop: Header=BB20_7 Depth=1
	s_or_b64 exec, exec, s[18:19]
	s_and_b64 s[2:3], exec, s[2:3]
	s_or_b64 s[98:99], s[2:3], s[98:99]
	s_andn2_b64 s[2:3], s[58:59], exec
	s_and_b64 s[6:7], s[70:71], exec
	s_or_b64 s[58:59], s[2:3], s[6:7]
	s_andn2_b64 s[2:3], s[64:65], exec
	s_and_b64 s[6:7], s[14:15], exec
	s_or_b64 s[64:65], s[2:3], s[6:7]
	s_andn2_b64 s[2:3], s[62:63], exec
	s_and_b64 s[6:7], s[72:73], exec
	s_or_b64 s[62:63], s[2:3], s[6:7]
	v_mov_b64_e32 v[36:37], v[8:9]
	s_andn2_b64 exec, exec, s[98:99]
	s_cbranch_execz .LBB20_271
.LBB20_7:                               ; =>This Loop Header: Depth=1
                                        ;     Child Loop BB20_13 Depth 2
                                        ;     Child Loop BB20_27 Depth 2
	;; [unrolled: 1-line block ×17, first 2 shown]
	ds_read_b128 v[4:7], v3 offset:5120
	s_waitcnt lgkmcnt(0)
	v_readfirstlane_b32 s13, v5
	v_readfirstlane_b32 s12, v4
	s_nop 1
	v_cmp_gt_i64_e64 s[2:3], s[12:13], 0
	s_and_b64 vcc, exec, s[2:3]
	s_cbranch_vccnz .LBB20_40
; %bb.8:                                ;   in Loop: Header=BB20_7 Depth=1
	v_readlane_b32 s2, v62, 14
	v_readlane_b32 s3, v62, 15
	s_and_b64 vcc, exec, s[2:3]
	s_cbranch_vccz .LBB20_21
; %bb.9:                                ;   in Loop: Header=BB20_7 Depth=1
	s_mov_b64 s[2:3], 0x301
	v_cmp_gt_i64_e32 vcc, s[2:3], v[6:7]
	s_mov_b64 s[6:7], 0
	s_mov_b64 s[2:3], 0
	s_cbranch_vccz .LBB20_22
; %bb.10:                               ;   in Loop: Header=BB20_7 Depth=1
	s_mov_b64 s[8:9], exec
	v_readlane_b32 s2, v62, 16
	v_readlane_b32 s3, v62, 17
	s_and_b64 s[2:3], s[8:9], s[2:3]
	s_mov_b64 exec, s[2:3]
	s_cbranch_execz .LBB20_74
; %bb.11:                               ;   in Loop: Header=BB20_7 Depth=1
	global_load_ushort v6, v3, s[0:1]
	global_load_dword v8, v[12:13], off
	v_mov_b64_e32 v[4:5], s[82:83]
	v_readlane_b32 s16, v62, 34
	v_readlane_b32 s17, v62, 35
	s_mov_b64 s[10:11], 0
	s_waitcnt vmcnt(1)
	v_and_b32_e32 v2, 0xffff, v6
	v_readfirstlane_b32 s2, v6
	v_lshl_add_u64 v[6:7], v[0:1], 0, v[2:3]
	s_and_b32 s13, 0xffff, s2
	v_mad_u64_u32 v[4:5], s[2:3], s16, v6, v[4:5]
	v_mul_lo_u32 v7, s16, v7
	v_mul_lo_u32 v9, s17, v6
	s_mul_i32 s2, s17, s13
	s_mul_hi_u32 s3, s16, s13
	s_mul_i32 s18, s16, s13
	v_add3_u32 v5, v9, v5, v7
	s_add_i32 s19, s3, s2
	v_mov_b64_e32 v[6:7], v[0:1]
	s_branch .LBB20_13
.LBB20_12:                              ;   in Loop: Header=BB20_13 Depth=2
	s_or_b64 exec, exec, s[2:3]
	v_lshl_add_u64 v[4:5], v[4:5], 0, s[18:19]
	v_mov_b32_e32 v8, v9
	s_andn2_b64 exec, exec, s[10:11]
	s_cbranch_execz .LBB20_74
.LBB20_13:                              ;   Parent Loop BB20_7 Depth=1
                                        ; =>  This Inner Loop Header: Depth=2
	v_lshl_add_u64 v[6:7], v[6:7], 0, v[2:3]
	v_cmp_gt_i64_e64 s[2:3], s[60:61], v[6:7]
	v_cmp_le_i64_e32 vcc, s[60:61], v[6:7]
	s_waitcnt lgkmcnt(0)
	v_mov_b32_e32 v10, 0
	v_mov_b32_e32 v9, 0
	s_and_saveexec_b64 s[16:17], s[2:3]
	s_cbranch_execz .LBB20_15
; %bb.14:                               ;   in Loop: Header=BB20_13 Depth=2
	global_load_dword v9, v[4:5], off
.LBB20_15:                              ;   in Loop: Header=BB20_13 Depth=2
	s_or_b64 exec, exec, s[16:17]
	s_waitcnt vmcnt(0)
	v_bitop3_b32 v11, v8, v50, s86 bitop3:0x48
	v_cmp_eq_u32_e64 s[16:17], v11, v48
	s_cmp_lg_u64 s[16:17], 0
	s_cselect_b64 s[2:3], -1, 0
	s_and_b64 s[2:3], s[4:5], s[2:3]
	s_and_saveexec_b64 s[20:21], s[2:3]
	s_cbranch_execz .LBB20_19
; %bb.16:                               ;   in Loop: Header=BB20_13 Depth=2
	s_mov_b64 s[24:25], exec
	v_mbcnt_lo_u32_b32 v10, s24, 0
	v_mbcnt_hi_u32_b32 v10, s25, v10
	s_bcnt1_i32_b64 s13, s[16:17]
	v_cmp_eq_u32_e64 s[2:3], 0, v10
                                        ; implicit-def: $vgpr11
	s_and_saveexec_b64 s[22:23], s[2:3]
; %bb.17:                               ;   in Loop: Header=BB20_13 Depth=2
	s_bcnt1_i32_b64 s2, s[24:25]
	s_mul_i32 s2, s13, s2
	v_mov_b32_e32 v11, s2
	ds_add_rtn_u32 v11, v3, v11 offset:5136
; %bb.18:                               ;   in Loop: Header=BB20_13 Depth=2
	s_or_b64 exec, exec, s[22:23]
	s_waitcnt lgkmcnt(0)
	v_readfirstlane_b32 s2, v11
	s_nop 1
	v_mov_b32_e32 v11, s2
	v_mad_u32_u24 v10, s13, v10, v11
.LBB20_19:                              ;   in Loop: Header=BB20_13 Depth=2
	s_or_b64 exec, exec, s[20:21]
	ds_bpermute_b32 v10, v44, v10
	s_and_b64 s[2:3], exec, vcc
	s_or_b64 s[10:11], s[2:3], s[10:11]
	s_and_saveexec_b64 s[2:3], s[16:17]
	s_cbranch_execz .LBB20_12
; %bb.20:                               ;   in Loop: Header=BB20_13 Depth=2
	v_and_b32_e32 v33, s16, v16
	v_and_b32_e32 v11, s17, v17
	v_bcnt_u32_b32 v33, v33, 0
	v_bcnt_u32_b32 v11, v11, v33
	v_lshlrev_b32_e32 v11, 2, v11
	s_waitcnt lgkmcnt(0)
	v_lshl_add_u32 v10, v10, 2, v11
	ds_write_b32 v10, v8
	s_branch .LBB20_12
.LBB20_21:                              ;   in Loop: Header=BB20_7 Depth=1
	s_mov_b64 s[6:7], -1
	s_mov_b64 s[2:3], 0
.LBB20_22:                              ;   in Loop: Header=BB20_7 Depth=1
	s_and_b64 vcc, exec, s[6:7]
	s_cbranch_vccz .LBB20_38
.LBB20_23:                              ;   in Loop: Header=BB20_7 Depth=1
	s_mov_b64 s[2:3], exec
	v_readlane_b32 s6, v62, 18
	v_readlane_b32 s7, v62, 19
	s_and_b64 s[6:7], s[2:3], s[6:7]
	s_mov_b64 exec, s[6:7]
	s_cbranch_execz .LBB20_35
; %bb.24:                               ;   in Loop: Header=BB20_7 Depth=1
	global_load_ushort v2, v3, s[0:1]
	global_load_dword v10, v[12:13], off
	v_mov_b32_e32 v8, v0
	s_waitcnt vmcnt(1)
	v_readfirstlane_b32 s8, v2
	v_add_u32_sdwa v2, v2, v0 dst_sel:DWORD dst_unused:UNUSED_PAD src0_sel:WORD_0 src1_sel:DWORD
	v_cmp_gt_i64_e32 vcc, s[60:61], v[2:3]
	s_and_saveexec_b64 s[6:7], vcc
	s_cbranch_execz .LBB20_34
; %bb.25:                               ;   in Loop: Header=BB20_7 Depth=1
	s_and_b32 s80, s8, 0xffff
	s_cmp_eq_u32 s80, 1
	v_readlane_b32 s10, v62, 25
	s_cselect_b64 s[8:9], -1, 0
	v_readlane_b32 s11, v62, 26
	s_and_b64 s[16:17], s[10:11], s[8:9]
	s_mov_b64 s[10:11], -1
	v_mov_b64_e32 v[6:7], v[0:1]
	v_mov_b64_e32 v[4:5], v[2:3]
                                        ; implicit-def: $vgpr11
                                        ; implicit-def: $vgpr8_vgpr9
	s_and_saveexec_b64 s[8:9], s[16:17]
	s_cbranch_execz .LBB20_29
; %bb.26:                               ;   in Loop: Header=BB20_7 Depth=1
	v_lshl_add_u64 v[4:5], v[2:3], 0, 1
	v_mov_b64_e32 v[6:7], v[4:5]
	s_mov_b64 s[10:11], 0
	v_mov_b64_e32 v[8:9], v[18:19]
	v_mov_b32_e32 v33, v14
	v_mov_b64_e32 v[4:5], v[2:3]
.LBB20_27:                              ;   Parent Loop BB20_7 Depth=1
                                        ; =>  This Inner Loop Header: Depth=2
	v_mul_lo_u32 v51, v5, s33
	v_mul_lo_u32 v54, v4, s84
	v_mad_u64_u32 v[40:41], s[16:17], v4, s33, 0
	v_mul_lo_u32 v11, v7, s66
	v_mul_lo_u32 v34, v6, s67
	v_mad_u64_u32 v[38:39], s[16:17], v6, s66, 0
	v_add3_u32 v41, v41, v54, v51
	v_add3_u32 v39, v39, v34, v11
	v_lshl_add_u64 v[40:41], v[40:41], 2, s[82:83]
	v_lshl_add_u64 v[38:39], v[38:39], 2, s[82:83]
	global_load_dword v34, v[40:41], off
	global_load_dword v11, v[38:39], off
	v_lshl_add_u64 v[8:9], v[8:9], 0, -2
	v_cmp_eq_u64_e32 vcc, 0, v[8:9]
	v_lshl_add_u64 v[6:7], v[6:7], 0, 2
	v_lshl_add_u64 v[4:5], v[4:5], 0, 2
	s_or_b64 s[10:11], vcc, s[10:11]
	s_waitcnt vmcnt(1)
	ds_write2_b32 v33, v10, v34 offset1:1
	v_add_u32_e32 v33, 8, v33
	s_waitcnt vmcnt(0)
	v_mov_b32_e32 v10, v11
	s_andn2_b64 exec, exec, s[10:11]
	s_cbranch_execnz .LBB20_27
; %bb.28:                               ;   in Loop: Header=BB20_7 Depth=1
	s_or_b64 exec, exec, s[10:11]
	v_readlane_b32 s10, v62, 27
	v_lshl_add_u64 v[4:5], v[2:3], 0, v[18:19]
	v_readlane_b32 s11, v62, 28
	v_lshl_add_u64 v[8:9], v[4:5], 0, -1
	s_orn2_b64 s[10:11], s[10:11], exec
	v_mov_b32_e32 v10, v11
	v_mov_b64_e32 v[6:7], v[20:21]
.LBB20_29:                              ;   in Loop: Header=BB20_7 Depth=1
	s_or_b64 exec, exec, s[8:9]
	s_and_saveexec_b64 s[8:9], s[10:11]
	s_cbranch_execz .LBB20_33
; %bb.30:                               ;   in Loop: Header=BB20_7 Depth=1
	v_mov_b64_e32 v[8:9], s[82:83]
	v_readlane_b32 s20, v62, 34
	v_readlane_b32 s21, v62, 35
	s_sub_u32 s10, 0, s80
	v_mad_u64_u32 v[8:9], s[18:19], s20, v4, v[8:9]
	v_mul_lo_u32 v2, s20, v5
	v_mul_lo_u32 v7, s21, v4
	s_mul_i32 s13, s21, s80
	s_mul_hi_u32 s18, s20, s80
	s_mov_b64 s[16:17], 0
	s_subb_u32 s11, 0, 0
	v_add3_u32 v9, v7, v9, v2
	s_add_i32 s19, s18, s13
	s_mul_i32 s18, s20, s80
.LBB20_31:                              ;   Parent Loop BB20_7 Depth=1
                                        ; =>  This Inner Loop Header: Depth=2
	global_load_dword v11, v[8:9], off
	v_mov_b64_e32 v[38:39], v[4:5]
	v_lshl_add_u64 v[4:5], v[38:39], 0, s[80:81]
	v_lshlrev_b32_e32 v2, 2, v6
	v_cmp_le_i64_e32 vcc, s[60:61], v[4:5]
	v_lshl_add_u64 v[8:9], v[8:9], 0, s[18:19]
	s_waitcnt vmcnt(1)
	ds_write_b32 v2, v10
	v_mov_b64_e32 v[6:7], v[38:39]
	s_or_b64 s[16:17], vcc, s[16:17]
	s_waitcnt vmcnt(0)
	v_mov_b32_e32 v10, v11
	s_andn2_b64 exec, exec, s[16:17]
	s_cbranch_execnz .LBB20_31
; %bb.32:                               ;   in Loop: Header=BB20_7 Depth=1
	s_or_b64 exec, exec, s[16:17]
	v_lshl_add_u64 v[8:9], s[10:11], 0, v[4:5]
.LBB20_33:                              ;   in Loop: Header=BB20_7 Depth=1
	s_or_b64 exec, exec, s[8:9]
	s_waitcnt vmcnt(0)
	v_mov_b32_e32 v10, v11
.LBB20_34:                              ;   in Loop: Header=BB20_7 Depth=1
	s_or_b64 exec, exec, s[6:7]
	v_lshlrev_b32_e32 v2, 2, v8
	s_waitcnt vmcnt(0)
	ds_write_b32 v2, v10
.LBB20_35:                              ;   in Loop: Header=BB20_7 Depth=1
	s_or_b64 exec, exec, s[2:3]
	s_waitcnt lgkmcnt(0)
	s_barrier
	s_mov_b64 s[2:3], exec
	v_readlane_b32 s6, v62, 8
	v_readlane_b32 s7, v62, 9
	s_and_b64 s[6:7], s[2:3], s[6:7]
	s_mov_b64 exec, s[6:7]
; %bb.36:                               ;   in Loop: Header=BB20_7 Depth=1
	ds_write_b64 v3, v[52:53] offset:5120
; %bb.37:                               ;   in Loop: Header=BB20_7 Depth=1
	s_or_b64 exec, exec, s[2:3]
	s_mov_b64 s[2:3], -1
	s_waitcnt lgkmcnt(0)
	s_barrier
.LBB20_38:                              ;   in Loop: Header=BB20_7 Depth=1
	s_and_b64 vcc, exec, s[2:3]
	s_cbranch_vccz .LBB20_40
; %bb.39:                               ;   in Loop: Header=BB20_7 Depth=1
	ds_read_b64 v[4:5], v3 offset:5120
	s_waitcnt lgkmcnt(0)
	v_readfirstlane_b32 s12, v4
.LBB20_40:                              ;   in Loop: Header=BB20_7 Depth=1
	s_cmp_lt_i32 s12, 1
	s_mov_b64 s[2:3], -1
                                        ; implicit-def: $vgpr4_vgpr5
                                        ; implicit-def: $vgpr8_vgpr9
	s_cbranch_scc1 .LBB20_50
; %bb.41:                               ;   in Loop: Header=BB20_7 Depth=1
	s_and_b64 vcc, exec, s[2:3]
	s_cbranch_vccnz .LBB20_64
.LBB20_42:                              ;   in Loop: Header=BB20_7 Depth=1
	v_lshlrev_b32_e32 v2, 6, v49
	s_and_saveexec_b64 s[2:3], s[4:5]
	s_cbranch_execz .LBB20_44
.LBB20_43:                              ;   in Loop: Header=BB20_7 Depth=1
	v_lshl_add_u32 v33, v2, 3, v45
	ds_write_b128 v33, v[4:7]
	ds_write_b128 v33, v[8:11] offset:16
.LBB20_44:                              ;   in Loop: Header=BB20_7 Depth=1
	s_or_b64 exec, exec, s[2:3]
	s_waitcnt lgkmcnt(0)
	s_barrier
	s_and_saveexec_b64 s[2:3], s[78:79]
	s_cbranch_execz .LBB20_82
; %bb.45:                               ;   in Loop: Header=BB20_7 Depth=1
	v_readlane_b32 s6, v62, 20
	v_readlane_b32 s7, v62, 21
	s_andn2_b64 vcc, exec, s[6:7]
	v_mov_b64_e32 v[4:5], 0
	s_cbranch_vccnz .LBB20_81
; %bb.46:                               ;   in Loop: Header=BB20_7 Depth=1
	v_readlane_b32 s6, v62, 29
	v_readlane_b32 s7, v62, 30
	s_andn2_b64 vcc, exec, s[6:7]
	s_cbranch_vccnz .LBB20_77
; %bb.47:                               ;   in Loop: Header=BB20_7 Depth=1
	v_lshl_add_u32 v6, v49, 9, v47
	v_mov_b64_e32 v[4:5], 0
	s_mov_b32 s6, 0
.LBB20_48:                              ;   Parent Loop BB20_7 Depth=1
                                        ; =>  This Inner Loop Header: Depth=2
	ds_read2_b64 v[8:11], v6 offset1:4
	ds_read2_b64 v[38:41], v6 offset0:8 offset1:12
	ds_read2_b64 v[54:57], v6 offset0:16 offset1:20
	;; [unrolled: 1-line block ×3, first 2 shown]
	s_add_i32 s6, s6, 8
	s_waitcnt lgkmcnt(3)
	v_lshl_add_u64 v[4:5], v[8:9], 0, v[4:5]
	v_lshl_add_u64 v[4:5], v[10:11], 0, v[4:5]
	s_waitcnt lgkmcnt(2)
	v_lshl_add_u64 v[4:5], v[38:39], 0, v[4:5]
	v_lshl_add_u64 v[4:5], v[40:41], 0, v[4:5]
	;; [unrolled: 3-line block ×3, first 2 shown]
	s_waitcnt lgkmcnt(0)
	v_lshl_add_u64 v[4:5], v[58:59], 0, v[4:5]
	v_add_u32_e32 v6, 0x100, v6
	s_cmp_eq_u32 s88, s6
	v_lshl_add_u64 v[4:5], v[60:61], 0, v[4:5]
	s_cbranch_scc0 .LBB20_48
; %bb.49:                               ;   in Loop: Header=BB20_7 Depth=1
	s_mov_b32 s6, s88
	s_branch .LBB20_78
.LBB20_50:                              ;   in Loop: Header=BB20_7 Depth=1
	global_load_ushort v2, v3, s[0:1]
	s_mov_b32 s2, s81
	s_waitcnt vmcnt(0)
	v_readfirstlane_b32 s3, v2
	s_and_b32 s10, s3, 0xffff
	s_lshl_b32 s80, s10, 2
	s_mov_b32 s3, s61
	s_cmp_lg_u64 s[2:3], 0
	s_cbranch_scc0 .LBB20_73
; %bb.51:                               ;   in Loop: Header=BB20_7 Depth=1
	s_add_u32 s2, s80, 0
	s_addc_u32 s3, 0, 0
	s_xor_b64 s[2:3], s[2:3], 0
	v_cvt_f32_u32_e32 v2, s2
	v_cvt_f32_u32_e32 v4, s3
	s_sub_u32 s8, 0, s2
	s_subb_u32 s9, 0, s3
	v_fmac_f32_e32 v2, 0x4f800000, v4
	v_rcp_f32_e32 v2, v2
	s_nop 0
	v_mul_f32_e32 v2, 0x5f7ffffc, v2
	v_mul_f32_e32 v4, 0x2f800000, v2
	v_trunc_f32_e32 v4, v4
	v_fmac_f32_e32 v2, 0xcf800000, v4
	v_cvt_u32_f32_e32 v4, v4
	v_cvt_u32_f32_e32 v2, v2
	v_readfirstlane_b32 s11, v4
	v_readfirstlane_b32 s6, v2
	s_mul_i32 s7, s8, s11
	s_mul_hi_u32 s16, s8, s6
	s_mul_i32 s13, s9, s6
	s_add_i32 s7, s16, s7
	s_mul_i32 s17, s8, s6
	s_add_i32 s7, s7, s13
	s_mul_i32 s16, s6, s7
	s_mul_hi_u32 s18, s6, s17
	s_mul_hi_u32 s13, s6, s7
	s_add_u32 s16, s18, s16
	s_addc_u32 s13, 0, s13
	s_mul_hi_u32 s19, s11, s17
	s_mul_i32 s17, s11, s17
	s_add_u32 s16, s16, s17
	s_mul_hi_u32 s18, s11, s7
	s_addc_u32 s13, s13, s19
	s_addc_u32 s16, s18, 0
	s_mul_i32 s7, s11, s7
	s_add_u32 s7, s13, s7
	s_addc_u32 s13, 0, s16
	s_add_u32 s16, s6, s7
	s_cselect_b64 s[6:7], -1, 0
	s_cmp_lg_u64 s[6:7], 0
	s_addc_u32 s11, s11, s13
	s_mul_i32 s6, s8, s11
	s_mul_hi_u32 s7, s8, s16
	s_add_i32 s6, s7, s6
	s_mul_i32 s9, s9, s16
	s_add_i32 s6, s6, s9
	s_mul_i32 s8, s8, s16
	s_mul_hi_u32 s9, s11, s8
	s_mul_i32 s13, s11, s8
	s_mul_i32 s18, s16, s6
	s_mul_hi_u32 s8, s16, s8
	s_mul_hi_u32 s17, s16, s6
	s_add_u32 s8, s8, s18
	s_addc_u32 s17, 0, s17
	s_add_u32 s8, s8, s13
	s_mul_hi_u32 s7, s11, s6
	s_addc_u32 s8, s17, s9
	s_addc_u32 s7, s7, 0
	s_mul_i32 s6, s11, s6
	s_add_u32 s6, s8, s6
	s_addc_u32 s8, 0, s7
	s_add_u32 s13, s16, s6
	s_cselect_b64 s[6:7], -1, 0
	s_cmp_lg_u64 s[6:7], 0
	s_addc_u32 s11, s11, s8
	s_ashr_i32 s6, s61, 31
	s_add_u32 s8, s60, s6
	s_mov_b32 s7, s6
	s_addc_u32 s9, s61, s6
	s_xor_b64 s[8:9], s[8:9], s[6:7]
	s_mul_i32 s17, s8, s11
	s_mul_hi_u32 s18, s8, s13
	s_mul_hi_u32 s16, s8, s11
	s_add_u32 s17, s18, s17
	s_addc_u32 s16, 0, s16
	s_mul_hi_u32 s19, s9, s13
	s_mul_i32 s13, s9, s13
	s_add_u32 s13, s17, s13
	s_mul_hi_u32 s18, s9, s11
	s_addc_u32 s13, s16, s19
	s_addc_u32 s16, s18, 0
	s_mul_i32 s11, s9, s11
	s_add_u32 s11, s13, s11
	s_addc_u32 s13, 0, s16
	s_mul_i32 s13, s2, s13
	s_mul_hi_u32 s16, s2, s11
	s_add_i32 s13, s16, s13
	s_mul_i32 s16, s3, s11
	s_add_i32 s13, s13, s16
	s_sub_i32 s18, s9, s13
	s_mul_i32 s11, s2, s11
	s_sub_u32 s8, s8, s11
	s_cselect_b64 s[16:17], -1, 0
	s_cmp_lg_u64 s[16:17], 0
	s_subb_u32 s11, s18, s3
	s_sub_u32 s20, s8, s2
	s_cselect_b64 s[18:19], -1, 0
	s_cmp_lg_u64 s[18:19], 0
	s_subb_u32 s21, s11, 0
	s_cmp_ge_u32 s21, s3
	s_cselect_b32 s22, -1, 0
	s_cmp_ge_u32 s20, s2
	s_cselect_b32 s23, -1, 0
	s_cmp_eq_u32 s21, s3
	s_cselect_b32 s22, s23, s22
	s_cmp_lg_u64 s[18:19], 0
	s_subb_u32 s11, s11, s3
	s_sub_u32 s23, s20, s2
	s_cselect_b64 s[18:19], -1, 0
	s_cmp_lg_u64 s[18:19], 0
	s_subb_u32 s11, s11, 0
	s_cmp_lg_u32 s22, 0
	s_cselect_b32 s18, s23, s20
	s_cselect_b32 s11, s11, s21
	s_cmp_lg_u64 s[16:17], 0
	s_subb_u32 s9, s9, s13
	s_cmp_ge_u32 s9, s3
	s_cselect_b32 s13, -1, 0
	s_cmp_ge_u32 s8, s2
	s_cselect_b32 s2, -1, 0
	s_cmp_eq_u32 s9, s3
	s_cselect_b32 s2, s2, s13
	s_cmp_lg_u32 s2, 0
	s_cselect_b32 s3, s11, s9
	s_cselect_b32 s2, s18, s8
	s_xor_b64 s[2:3], s[2:3], s[6:7]
	s_sub_u32 s90, s2, s6
	s_subb_u32 s91, s3, s6
	s_cbranch_execnz .LBB20_53
.LBB20_52:                              ;   in Loop: Header=BB20_7 Depth=1
	v_cvt_f32_u32_e32 v2, s80
	s_sub_i32 s2, 0, s80
	s_mov_b32 s91, s81
	v_rcp_iflag_f32_e32 v2, v2
	s_nop 0
	v_mul_f32_e32 v2, 0x4f7ffffe, v2
	v_cvt_u32_f32_e32 v2, v2
	s_nop 0
	v_readfirstlane_b32 s3, v2
	s_mul_i32 s2, s2, s3
	s_mul_hi_u32 s2, s3, s2
	s_add_i32 s3, s3, s2
	s_mul_hi_u32 s2, s60, s3
	s_mul_i32 s2, s2, s80
	s_sub_i32 s2, s60, s2
	s_sub_i32 s3, s2, s80
	s_cmp_ge_u32 s2, s80
	s_cselect_b32 s2, s3, s2
	s_sub_i32 s3, s2, s80
	s_cmp_ge_u32 s2, s80
	s_cselect_b32 s90, s3, s2
.LBB20_53:                              ;   in Loop: Header=BB20_7 Depth=1
	s_sub_u32 s92, s60, s90
	s_subb_u32 s93, s61, s91
	s_mov_b32 s11, s81
	v_cmp_gt_i64_e32 vcc, s[92:93], v[14:15]
	v_mov_b64_e32 v[4:5], 0
	v_mov_b64_e32 v[6:7], 0
	;; [unrolled: 1-line block ×4, first 2 shown]
	s_and_saveexec_b64 s[34:35], vcc
	s_cbranch_execz .LBB20_57
; %bb.54:                               ;   in Loop: Header=BB20_7 Depth=1
	s_mul_i32 s2, s97, s10
	s_mul_hi_u32 s3, s96, s10
	s_mov_b32 s1, s69
	s_add_i32 s13, s3, s2
	s_mov_b64 s[68:69], 0
	s_mov_b64 s[78:79], s[82:83]
	;; [unrolled: 1-line block ×6, first 2 shown]
	v_mov_b64_e32 v[38:39], v[14:15]
.LBB20_55:                              ;   Parent Loop BB20_7 Depth=1
                                        ; =>  This Inner Loop Header: Depth=2
	v_lshl_add_u64 v[4:5], s[78:79], 0, v[28:29]
	v_lshl_add_u64 v[6:7], s[78:79], 0, v[26:27]
	;; [unrolled: 1-line block ×4, first 2 shown]
	global_load_dword v2, v[4:5], off
	s_nop 0
	global_load_dword v4, v[6:7], off
	global_load_dword v5, v[8:9], off
	s_nop 0
	global_load_dword v6, v[10:11], off
	s_mul_i32 s76, s96, s10
	v_lshl_add_u64 v[38:39], v[38:39], 0, s[80:81]
	v_cmp_le_i64_e32 vcc, s[92:93], v[38:39]
	s_waitcnt vmcnt(3)
	v_xor_b32_e32 v7, 0x80000000, v2
	v_bitop3_b32 v2, v2, v50, s86 bitop3:0x48
	s_waitcnt vmcnt(2)
	v_xor_b32_e32 v8, 0x80000000, v4
	v_bitop3_b32 v4, v4, v50, s86 bitop3:0x48
	v_cmp_eq_u32_e64 s[2:3], v2, v48
	v_bfe_u32 v2, v7, s87, 2
	s_waitcnt vmcnt(1)
	v_xor_b32_e32 v9, 0x80000000, v5
	v_bitop3_b32 v5, v5, v50, s86 bitop3:0x48
	v_cmp_eq_u32_e64 s[18:19], v4, v48
	v_bfe_u32 v4, v8, s87, 2
	v_cmp_eq_u32_e64 s[22:23], 0, v2
	s_waitcnt vmcnt(0)
	v_xor_b32_e32 v10, 0x80000000, v6
	v_bitop3_b32 v6, v6, v50, s86 bitop3:0x48
	v_cmp_eq_u32_e64 s[20:21], v5, v48
	v_bfe_u32 v5, v9, s87, 2
	v_cmp_eq_u32_e64 s[24:25], 0, v4
	s_and_b64 s[22:23], s[2:3], s[22:23]
	v_cmp_eq_u32_e64 s[16:17], v6, v48
	v_bfe_u32 v6, v10, s87, 2
	v_cmp_eq_u32_e64 s[26:27], 0, v5
	v_cmp_eq_u32_e64 s[30:31], 1, v2
	;; [unrolled: 1-line block ×4, first 2 shown]
	v_cndmask_b32_e64 v2, 0, 1, s[22:23]
	s_and_b64 s[22:23], s[18:19], s[24:25]
	v_cmp_eq_u32_e64 s[28:29], 0, v6
	v_cmp_eq_u32_e64 s[36:37], 1, v4
	;; [unrolled: 1-line block ×4, first 2 shown]
	v_cndmask_b32_e64 v4, 0, 1, s[22:23]
	s_and_b64 s[22:23], s[20:21], s[26:27]
	v_cmp_eq_u32_e64 s[38:39], 1, v5
	v_cmp_eq_u32_e64 s[46:47], 2, v5
	;; [unrolled: 1-line block ×3, first 2 shown]
	v_cndmask_b32_e64 v5, 0, 1, s[22:23]
	s_and_b64 s[22:23], s[16:17], s[28:29]
	v_cmp_eq_u32_e64 s[40:41], 1, v6
	v_cmp_eq_u32_e64 s[48:49], 2, v6
	;; [unrolled: 1-line block ×3, first 2 shown]
	v_cndmask_b32_e64 v6, 0, 1, s[22:23]
	v_cmp_ne_u32_e64 s[22:23], 0, v2
	v_cmp_ne_u32_e64 s[24:25], 0, v4
	v_cmp_ne_u32_e64 s[26:27], 0, v5
	v_cmp_ne_u32_e64 s[28:29], 0, v6
	s_bcnt1_i32_b64 s22, s[22:23]
	s_bcnt1_i32_b64 s23, s[24:25]
	s_bcnt1_i32_b64 s24, s[26:27]
	s_bcnt1_i32_b64 s25, s[28:29]
	s_add_u32 s22, s22, s82
	s_addc_u32 s26, 0, s83
	s_add_u32 s22, s22, s23
	s_addc_u32 s23, s26, 0
	s_add_u32 s22, s22, s24
	s_addc_u32 s23, s23, 0
	s_add_u32 s82, s22, s25
	s_addc_u32 s83, s23, 0
	s_and_b64 s[22:23], s[2:3], s[30:31]
	v_cndmask_b32_e64 v2, 0, 1, s[22:23]
	s_and_b64 s[22:23], s[18:19], s[36:37]
	v_cndmask_b32_e64 v6, 0, 1, s[22:23]
	s_and_b64 s[22:23], s[20:21], s[38:39]
	v_cndmask_b32_e64 v7, 0, 1, s[22:23]
	s_and_b64 s[22:23], s[16:17], s[40:41]
	v_cndmask_b32_e64 v8, 0, 1, s[22:23]
	v_cmp_ne_u32_e64 s[22:23], 0, v2
	v_cmp_ne_u32_e64 s[24:25], 0, v6
	v_cmp_ne_u32_e64 s[26:27], 0, v7
	v_cmp_ne_u32_e64 s[28:29], 0, v8
	s_bcnt1_i32_b64 s22, s[22:23]
	s_bcnt1_i32_b64 s23, s[24:25]
	s_bcnt1_i32_b64 s24, s[26:27]
	s_bcnt1_i32_b64 s25, s[28:29]
	s_add_u32 s6, s22, s6
	s_addc_u32 s7, 0, s7
	s_add_u32 s6, s6, s23
	s_addc_u32 s7, s7, 0
	s_add_u32 s6, s6, s24
	s_addc_u32 s7, s7, 0
	s_add_u32 s6, s6, s25
	s_addc_u32 s7, s7, 0
	s_and_b64 s[22:23], s[2:3], s[42:43]
	v_cndmask_b32_e64 v2, 0, 1, s[22:23]
	s_and_b64 s[22:23], s[18:19], s[44:45]
	v_cndmask_b32_e64 v8, 0, 1, s[22:23]
	s_and_b64 s[22:23], s[20:21], s[46:47]
	v_cndmask_b32_e64 v9, 0, 1, s[22:23]
	s_and_b64 s[22:23], s[16:17], s[48:49]
	;; [unrolled: 24-line block ×3, first 2 shown]
	v_cndmask_b32_e64 v33, 0, 1, s[2:3]
	v_cmp_ne_u32_e64 s[2:3], 0, v2
	v_cmp_ne_u32_e64 s[16:17], 0, v10
	;; [unrolled: 1-line block ×4, first 2 shown]
	s_bcnt1_i32_b64 s2, s[2:3]
	s_bcnt1_i32_b64 s3, s[16:17]
	;; [unrolled: 1-line block ×4, first 2 shown]
	s_add_u32 s2, s2, s8
	s_addc_u32 s8, 0, s9
	s_add_u32 s2, s2, s3
	s_addc_u32 s3, s8, 0
	;; [unrolled: 2-line block ×5, first 2 shown]
	v_mov_b64_e32 v[4:5], s[82:83]
	v_mov_b64_e32 v[6:7], s[6:7]
	;; [unrolled: 1-line block ×3, first 2 shown]
	s_or_b64 s[68:69], vcc, s[68:69]
	v_mov_b64_e32 v[10:11], s[8:9]
	s_andn2_b64 exec, exec, s[68:69]
	s_cbranch_execnz .LBB20_55
; %bb.56:                               ;   in Loop: Header=BB20_7 Depth=1
	s_or_b64 exec, exec, s[68:69]
	v_readlane_b32 s78, v62, 36
	s_mov_b32 s69, s1
	v_readlane_b32 s82, v62, 38
	v_readlane_b32 s0, v62, 40
	;; [unrolled: 1-line block ×6, first 2 shown]
.LBB20_57:                              ;   in Loop: Header=BB20_7 Depth=1
	s_or_b64 exec, exec, s[34:35]
	v_lshl_add_u64 v[38:39], s[92:93], 0, v[0:1]
	v_cmp_gt_i64_e32 vcc, s[60:61], v[38:39]
	s_and_saveexec_b64 s[6:7], vcc
	s_cbranch_execz .LBB20_63
; %bb.58:                               ;   in Loop: Header=BB20_7 Depth=1
	v_mul_lo_u32 v2, v39, s66
	v_mul_lo_u32 v33, v38, s67
	v_mad_u64_u32 v[40:41], s[2:3], v38, s66, 0
	v_add3_u32 v41, v41, v33, v2
	v_lshl_add_u64 v[40:41], v[40:41], 2, s[82:83]
	global_load_dword v2, v[40:41], off
	v_lshl_add_u64 v[40:41], v[30:31], 0, s[10:11]
	v_mov_b32_e32 v33, s91
	v_subrev_co_u32_e32 v34, vcc, s90, v40
	v_readlane_b32 s8, v62, 34
	s_nop 0
	v_subb_co_u32_e32 v33, vcc, v41, v33, vcc
	v_mov_b64_e32 v[40:41], s[82:83]
	v_readlane_b32 s9, v62, 35
	v_mad_u64_u32 v[40:41], s[2:3], s8, v34, v[40:41]
	v_mul_lo_u32 v33, s8, v33
	v_mul_lo_u32 v51, s9, v34
	s_mul_i32 s2, s9, s10
	s_mul_hi_u32 s3, s8, s10
	v_add3_u32 v41, v51, v41, v33
	s_add_i32 s9, s3, s2
	s_mul_i32 s8, s8, s10
	s_mov_b64 s[16:17], 0
	s_branch .LBB20_60
.LBB20_59:                              ;   in Loop: Header=BB20_60 Depth=2
	s_or_b64 exec, exec, s[18:19]
	s_waitcnt vmcnt(0)
	v_xor_b32_e32 v34, 0x80000000, v2
	v_bitop3_b32 v2, v2, v50, s86 bitop3:0x48
	s_and_b64 s[2:3], exec, vcc
	v_cmp_eq_u32_e32 vcc, v2, v48
	v_bfe_u32 v2, v34, s87, 2
	s_or_b64 s[16:17], s[2:3], s[16:17]
	v_cmp_eq_u32_e64 s[2:3], 0, v2
	s_and_b64 s[2:3], vcc, s[2:3]
	v_lshl_add_u64 v[40:41], v[40:41], 0, s[8:9]
	v_cndmask_b32_e64 v34, 0, 1, s[2:3]
	v_cmp_ne_u32_e64 s[2:3], 0, v34
	s_bcnt1_i32_b64 s80, s[2:3]
	v_cmp_eq_u32_e64 s[2:3], 1, v2
	s_and_b64 s[2:3], vcc, s[2:3]
	v_lshl_add_u64 v[4:5], s[80:81], 0, v[4:5]
	v_cndmask_b32_e64 v34, 0, 1, s[2:3]
	v_cmp_ne_u32_e64 s[2:3], 0, v34
	s_bcnt1_i32_b64 s80, s[2:3]
	;; [unrolled: 6-line block ×3, first 2 shown]
	v_cmp_eq_u32_e64 s[2:3], 3, v2
	s_and_b64 s[2:3], vcc, s[2:3]
	v_lshl_add_u64 v[8:9], s[80:81], 0, v[8:9]
	v_cndmask_b32_e64 v2, 0, 1, s[2:3]
	v_cmp_ne_u32_e32 vcc, 0, v2
	s_bcnt1_i32_b64 s80, vcc
	v_lshl_add_u64 v[10:11], s[80:81], 0, v[10:11]
	v_mov_b32_e32 v2, v33
	s_andn2_b64 exec, exec, s[16:17]
	s_cbranch_execz .LBB20_62
.LBB20_60:                              ;   Parent Loop BB20_7 Depth=1
                                        ; =>  This Inner Loop Header: Depth=2
	v_lshl_add_u64 v[38:39], v[38:39], 0, s[10:11]
	v_cmp_gt_i64_e64 s[2:3], s[60:61], v[38:39]
	v_cmp_le_i64_e32 vcc, s[60:61], v[38:39]
	v_mov_b32_e32 v33, 0
	s_and_saveexec_b64 s[18:19], s[2:3]
	s_cbranch_execz .LBB20_59
; %bb.61:                               ;   in Loop: Header=BB20_60 Depth=2
	global_load_dword v33, v[40:41], off
	s_branch .LBB20_59
.LBB20_62:                              ;   in Loop: Header=BB20_7 Depth=1
	s_or_b64 exec, exec, s[16:17]
.LBB20_63:                              ;   in Loop: Header=BB20_7 Depth=1
	s_or_b64 exec, exec, s[6:7]
	s_branch .LBB20_42
.LBB20_64:                              ;   in Loop: Header=BB20_7 Depth=1
	global_load_ushort v2, v3, s[0:1]
	v_mov_b64_e32 v[8:9], 0
	s_waitcnt vmcnt(0)
	v_readfirstlane_b32 s2, v2
	s_and_b32 s2, 0xffff, s2
	s_lshl_b32 s10, s2, 2
	v_cvt_f32_u32_e32 v4, s10
	s_sub_i32 s3, 0, s10
	v_rcp_iflag_f32_e32 v6, v4
	v_mov_b64_e32 v[4:5], 0
	v_mul_f32_e32 v6, 0x4f7ffffe, v6
	v_cvt_u32_f32_e32 v10, v6
	v_mov_b64_e32 v[6:7], 0
	v_readfirstlane_b32 s6, v10
	s_mul_i32 s3, s3, s6
	s_mul_hi_u32 s3, s6, s3
	s_add_i32 s6, s6, s3
	s_mul_hi_u32 s3, s12, s6
	s_mul_i32 s6, s3, s10
	s_sub_i32 s6, s12, s6
	s_add_i32 s7, s3, 1
	s_sub_i32 s8, s6, s10
	s_cmp_ge_u32 s6, s10
	s_cselect_b32 s3, s7, s3
	s_cselect_b32 s6, s8, s6
	s_add_i32 s7, s3, 1
	s_cmp_ge_u32 s6, s10
	s_cselect_b32 s3, s7, s3
	s_mul_hi_u32 s7, s2, s3
	s_mul_i32 s6, s2, s3
	s_lshl_b64 s[8:9], s[6:7], 2
	v_cmp_gt_u64_e32 vcc, s[8:9], v[14:15]
	v_mov_b64_e32 v[10:11], 0
	s_and_saveexec_b64 s[34:35], vcc
	s_cbranch_execz .LBB20_68
; %bb.65:                               ;   in Loop: Header=BB20_7 Depth=1
	s_mov_b32 s11, s81
	s_mov_b32 s1, s69
	s_lshl_b32 s7, s2, 4
	s_mov_b64 s[68:69], 0
	v_mov_b32_e32 v33, v46
	s_mov_b64 s[78:79], 0
	s_mov_b64 s[82:83], 0
	;; [unrolled: 1-line block ×4, first 2 shown]
	v_mov_b64_e32 v[38:39], v[14:15]
.LBB20_66:                              ;   Parent Loop BB20_7 Depth=1
                                        ; =>  This Inner Loop Header: Depth=2
	ds_read_b128 v[4:7], v33
	v_lshl_add_u64 v[38:39], v[38:39], 0, s[10:11]
	v_cmp_le_u64_e32 vcc, s[8:9], v[38:39]
	v_add_u32_e32 v33, s7, v33
	s_waitcnt lgkmcnt(0)
	v_xor_b32_e32 v8, 0x80000000, v4
	v_bitop3_b32 v4, v4, v50, s86 bitop3:0x48
	v_xor_b32_e32 v9, 0x80000000, v5
	v_bitop3_b32 v5, v5, v50, s86 bitop3:0x48
	v_cmp_eq_u32_e64 s[22:23], v4, v48
	v_bfe_u32 v4, v8, s87, 2
	v_xor_b32_e32 v10, 0x80000000, v6
	v_bitop3_b32 v6, v6, v50, s86 bitop3:0x48
	v_cmp_eq_u32_e64 s[20:21], v5, v48
	v_bfe_u32 v5, v9, s87, 2
	v_cmp_eq_u32_e64 s[2:3], 0, v4
	v_xor_b32_e32 v11, 0x80000000, v7
	v_bitop3_b32 v7, v7, v50, s86 bitop3:0x48
	v_cmp_eq_u32_e64 s[18:19], v6, v48
	v_bfe_u32 v6, v10, s87, 2
	v_cmp_eq_u32_e64 s[36:37], 0, v5
	s_and_b64 s[2:3], s[22:23], s[2:3]
	v_cmp_eq_u32_e64 s[16:17], v7, v48
	v_bfe_u32 v7, v11, s87, 2
	v_cmp_eq_u32_e64 s[38:39], 0, v6
	v_cmp_eq_u32_e64 s[42:43], 1, v4
	;; [unrolled: 1-line block ×4, first 2 shown]
	v_cndmask_b32_e64 v4, 0, 1, s[2:3]
	s_and_b64 s[2:3], s[20:21], s[36:37]
	v_cmp_eq_u32_e64 s[40:41], 0, v7
	v_cmp_eq_u32_e64 s[44:45], 1, v5
	;; [unrolled: 1-line block ×4, first 2 shown]
	v_cndmask_b32_e64 v5, 0, 1, s[2:3]
	s_and_b64 s[2:3], s[18:19], s[38:39]
	v_cmp_eq_u32_e64 s[46:47], 1, v6
	v_cmp_eq_u32_e64 s[54:55], 2, v6
	;; [unrolled: 1-line block ×3, first 2 shown]
	v_cndmask_b32_e64 v6, 0, 1, s[2:3]
	s_and_b64 s[2:3], s[16:17], s[40:41]
	v_cmp_eq_u32_e64 s[48:49], 1, v7
	v_cmp_eq_u32_e64 s[56:57], 2, v7
	;; [unrolled: 1-line block ×3, first 2 shown]
	v_cndmask_b32_e64 v7, 0, 1, s[2:3]
	v_cmp_ne_u32_e64 s[2:3], 0, v4
	v_cmp_ne_u32_e64 s[36:37], 0, v5
	v_cmp_ne_u32_e64 s[38:39], 0, v6
	v_cmp_ne_u32_e64 s[40:41], 0, v7
	s_bcnt1_i32_b64 s2, s[2:3]
	s_bcnt1_i32_b64 s3, s[36:37]
	s_bcnt1_i32_b64 s13, s[38:39]
	s_bcnt1_i32_b64 s36, s[40:41]
	s_add_u32 s2, s2, s90
	s_addc_u32 s37, 0, s91
	s_add_u32 s2, s2, s3
	s_addc_u32 s3, s37, 0
	s_add_u32 s2, s2, s13
	s_addc_u32 s3, s3, 0
	s_add_u32 s90, s2, s36
	s_addc_u32 s91, s3, 0
	s_and_b64 s[2:3], s[22:23], s[42:43]
	v_cndmask_b32_e64 v6, 0, 1, s[2:3]
	s_and_b64 s[2:3], s[20:21], s[44:45]
	v_cndmask_b32_e64 v7, 0, 1, s[2:3]
	s_and_b64 s[2:3], s[18:19], s[46:47]
	v_cndmask_b32_e64 v8, 0, 1, s[2:3]
	s_and_b64 s[2:3], s[16:17], s[48:49]
	v_cndmask_b32_e64 v9, 0, 1, s[2:3]
	v_cmp_ne_u32_e64 s[2:3], 0, v6
	v_cmp_ne_u32_e64 s[36:37], 0, v7
	v_cmp_ne_u32_e64 s[38:39], 0, v8
	v_cmp_ne_u32_e64 s[40:41], 0, v9
	s_bcnt1_i32_b64 s2, s[2:3]
	s_bcnt1_i32_b64 s3, s[36:37]
	s_bcnt1_i32_b64 s13, s[38:39]
	s_bcnt1_i32_b64 s36, s[40:41]
	s_add_u32 s2, s2, s84
	s_addc_u32 s37, 0, s85
	s_add_u32 s2, s2, s3
	s_addc_u32 s3, s37, 0
	s_add_u32 s2, s2, s13
	s_addc_u32 s3, s3, 0
	s_add_u32 s84, s2, s36
	s_addc_u32 s85, s3, 0
	s_and_b64 s[2:3], s[22:23], s[50:51]
	v_cndmask_b32_e64 v8, 0, 1, s[2:3]
	s_and_b64 s[2:3], s[20:21], s[52:53]
	v_cndmask_b32_e64 v9, 0, 1, s[2:3]
	s_and_b64 s[2:3], s[18:19], s[54:55]
	v_cndmask_b32_e64 v10, 0, 1, s[2:3]
	s_and_b64 s[2:3], s[16:17], s[56:57]
	;; [unrolled: 24-line block ×3, first 2 shown]
	v_cndmask_b32_e64 v40, 0, 1, s[2:3]
	v_cmp_ne_u32_e64 s[2:3], 0, v10
	v_cmp_ne_u32_e64 s[16:17], 0, v11
	;; [unrolled: 1-line block ×4, first 2 shown]
	s_bcnt1_i32_b64 s2, s[2:3]
	s_bcnt1_i32_b64 s3, s[16:17]
	;; [unrolled: 1-line block ×4, first 2 shown]
	s_add_u32 s2, s2, s78
	s_addc_u32 s17, 0, s79
	s_add_u32 s2, s2, s3
	s_addc_u32 s3, s17, 0
	;; [unrolled: 2-line block ×4, first 2 shown]
	v_mov_b64_e32 v[4:5], s[90:91]
	v_mov_b64_e32 v[6:7], s[84:85]
	;; [unrolled: 1-line block ×3, first 2 shown]
	s_or_b64 s[68:69], vcc, s[68:69]
	v_mov_b64_e32 v[10:11], s[78:79]
	s_andn2_b64 exec, exec, s[68:69]
	s_cbranch_execnz .LBB20_66
; %bb.67:                               ;   in Loop: Header=BB20_7 Depth=1
	s_or_b64 exec, exec, s[68:69]
	v_readlane_b32 s78, v62, 36
	s_mov_b32 s69, s1
	v_readlane_b32 s82, v62, 38
	v_readlane_b32 s0, v62, 40
	;; [unrolled: 1-line block ×6, first 2 shown]
.LBB20_68:                              ;   in Loop: Header=BB20_7 Depth=1
	s_or_b64 exec, exec, s[34:35]
	s_bitset0_b32 s12, 31
	s_mov_b32 s13, s81
	v_lshl_add_u64 v[38:39], s[8:9], 0, v[0:1]
	v_and_b32_e32 v2, 0xffff, v2
	v_cmp_gt_u64_e32 vcc, s[12:13], v[38:39]
	s_and_saveexec_b64 s[8:9], vcc
	s_cbranch_execz .LBB20_72
; %bb.69:                               ;   in Loop: Header=BB20_7 Depth=1
	v_lshl_add_u32 v33, s6, 4, v14
	s_mov_b64 s[6:7], 0
.LBB20_70:                              ;   Parent Loop BB20_7 Depth=1
                                        ; =>  This Inner Loop Header: Depth=2
	ds_read_b32 v34, v33
	v_lshl_add_u64 v[38:39], v[38:39], 0, v[2:3]
	v_cmp_le_u64_e32 vcc, s[12:13], v[38:39]
	v_add_u32_e32 v33, s10, v33
	s_waitcnt lgkmcnt(0)
	v_xor_b32_e32 v40, 0x80000000, v34
	v_bitop3_b32 v34, v34, v50, s86 bitop3:0x48
	v_cmp_eq_u32_e64 s[2:3], v34, v48
	v_bfe_u32 v34, v40, s87, 2
	v_cmp_eq_u32_e64 s[16:17], 0, v34
	v_cmp_eq_u32_e64 s[18:19], 1, v34
	s_and_b64 s[16:17], s[2:3], s[16:17]
	v_cmp_eq_u32_e64 s[20:21], 2, v34
	v_cmp_eq_u32_e64 s[22:23], 3, v34
	v_cndmask_b32_e64 v34, 0, 1, s[16:17]
	s_and_b64 s[16:17], s[2:3], s[18:19]
	v_cndmask_b32_e64 v40, 0, 1, s[16:17]
	s_and_b64 s[16:17], s[2:3], s[20:21]
	s_and_b64 s[2:3], s[2:3], s[22:23]
	v_cndmask_b32_e64 v51, 0, 1, s[2:3]
	v_cmp_ne_u32_e64 s[2:3], 0, v34
	v_cndmask_b32_e64 v41, 0, 1, s[16:17]
	v_cmp_ne_u32_e64 s[16:17], 0, v40
	s_bcnt1_i32_b64 s80, s[2:3]
	v_cmp_ne_u32_e64 s[18:19], 0, v41
	v_lshl_add_u64 v[4:5], s[80:81], 0, v[4:5]
	s_bcnt1_i32_b64 s80, s[16:17]
	v_cmp_ne_u32_e64 s[20:21], 0, v51
	v_lshl_add_u64 v[6:7], s[80:81], 0, v[6:7]
	s_bcnt1_i32_b64 s80, s[18:19]
	v_lshl_add_u64 v[8:9], s[80:81], 0, v[8:9]
	s_bcnt1_i32_b64 s80, s[20:21]
	s_or_b64 s[6:7], vcc, s[6:7]
	v_lshl_add_u64 v[10:11], s[80:81], 0, v[10:11]
	s_andn2_b64 exec, exec, s[6:7]
	s_cbranch_execnz .LBB20_70
; %bb.71:                               ;   in Loop: Header=BB20_7 Depth=1
	s_or_b64 exec, exec, s[6:7]
.LBB20_72:                              ;   in Loop: Header=BB20_7 Depth=1
	s_or_b64 exec, exec, s[8:9]
	v_lshlrev_b32_e32 v2, 6, v49
	s_and_saveexec_b64 s[2:3], s[4:5]
	s_cbranch_execnz .LBB20_43
	s_branch .LBB20_44
.LBB20_73:                              ;   in Loop: Header=BB20_7 Depth=1
                                        ; implicit-def: $sgpr90_sgpr91
	s_branch .LBB20_52
.LBB20_74:                              ;   in Loop: Header=BB20_7 Depth=1
	s_or_b64 exec, exec, s[8:9]
	s_waitcnt lgkmcnt(0)
	s_barrier
	s_mov_b64 s[2:3], exec
	v_readlane_b32 s8, v62, 8
	v_readlane_b32 s9, v62, 9
	s_and_b64 s[8:9], s[2:3], s[8:9]
	s_mov_b64 exec, s[8:9]
	s_cbranch_execz .LBB20_76
; %bb.75:                               ;   in Loop: Header=BB20_7 Depth=1
	ds_read_b32 v4, v3 offset:5136
	s_waitcnt lgkmcnt(0)
	v_ashrrev_i32_e32 v5, 31, v4
	ds_write_b64 v3, v[4:5] offset:5120
.LBB20_76:                              ;   in Loop: Header=BB20_7 Depth=1
	s_or_b64 exec, exec, s[2:3]
	s_waitcnt lgkmcnt(0)
	s_barrier
	s_mov_b64 s[2:3], -1
	s_and_b64 vcc, exec, s[6:7]
	s_cbranch_vccnz .LBB20_23
	s_branch .LBB20_38
.LBB20_77:                              ;   in Loop: Header=BB20_7 Depth=1
	s_mov_b32 s6, 0
	v_mov_b64_e32 v[4:5], 0
.LBB20_78:                              ;   in Loop: Header=BB20_7 Depth=1
	v_readlane_b32 s8, v62, 32
	v_readlane_b32 s9, v62, 33
	s_andn2_b64 vcc, exec, s[8:9]
	s_cbranch_vccnz .LBB20_81
; %bb.79:                               ;   in Loop: Header=BB20_7 Depth=1
	v_lshlrev_b32_e32 v6, 9, v49
	s_lshl_b32 s6, s6, 5
	v_add_u32_e32 v6, s6, v6
	v_add_u32_e32 v6, v47, v6
	v_readlane_b32 s6, v62, 31
.LBB20_80:                              ;   Parent Loop BB20_7 Depth=1
                                        ; =>  This Inner Loop Header: Depth=2
	ds_read_b64 v[8:9], v6
	s_add_i32 s6, s6, -1
	v_add_u32_e32 v6, 32, v6
	s_cmp_lg_u32 s6, 0
	s_waitcnt lgkmcnt(0)
	v_lshl_add_u64 v[4:5], v[8:9], 0, v[4:5]
	s_cbranch_scc1 .LBB20_80
.LBB20_81:                              ;   in Loop: Header=BB20_7 Depth=1
	v_add_lshl_u32 v6, v2, v42, 3
	ds_write_b64 v6, v[4:5] offset:3072
.LBB20_82:                              ;   in Loop: Header=BB20_7 Depth=1
	s_or_b64 exec, exec, s[2:3]
	v_lshlrev_b32_e32 v2, 3, v2
	s_waitcnt lgkmcnt(0)
	s_barrier
	ds_read_b128 v[8:11], v2 offset:3088
	ds_read_b128 v[4:7], v2 offset:3072
	s_lshl_b32 s56, 3, s87
	v_cmp_eq_u64_e64 s[2:3], 1, v[36:37]
	s_not_b32 s50, s56
	s_waitcnt lgkmcnt(1)
	v_readfirstlane_b32 s24, v8
	s_waitcnt lgkmcnt(0)
	v_cmp_eq_u64_e32 vcc, 1, v[4:5]
	v_readfirstlane_b32 s25, v9
	v_readfirstlane_b32 s16, v10
	;; [unrolled: 1-line block ×3, first 2 shown]
	s_and_b64 s[10:11], vcc, s[2:3]
	s_mov_b64 s[2:3], -1
	s_mov_b64 s[20:21], -1
                                        ; implicit-def: $sgpr8_sgpr9
                                        ; implicit-def: $sgpr6_sgpr7
	s_and_saveexec_b64 s[12:13], s[10:11]
	s_cbranch_execz .LBB20_114
; %bb.83:                               ;   in Loop: Header=BB20_7 Depth=1
	ds_read_b64 v[8:9], v3 offset:5120
	s_waitcnt lgkmcnt(0)
	s_barrier
	v_readfirstlane_b32 s18, v8
	v_readfirstlane_b32 s19, v9
	s_mov_b64 s[6:7], exec
	v_readlane_b32 s8, v62, 12
	v_readlane_b32 s9, v62, 13
	s_and_b64 s[8:9], s[6:7], s[8:9]
	s_mov_b64 exec, s[8:9]
; %bb.84:                               ;   in Loop: Header=BB20_7 Depth=1
	ds_write_b32 v43, v3
; %bb.85:                               ;   in Loop: Header=BB20_7 Depth=1
	s_or_b64 exec, exec, s[6:7]
	v_cmp_lt_i64_e64 s[20:21], s[18:19], 1
	v_and_b32_e32 v48, s50, v48
	v_or_b32_e32 v50, s56, v50
	s_mov_b64 s[6:7], -1
	s_mov_b64 s[8:9], 0
	s_and_b64 vcc, exec, s[20:21]
	s_mov_b64 s[20:21], 0
	s_mov_b64 s[22:23], -1
	s_waitcnt lgkmcnt(0)
	s_barrier
                                        ; implicit-def: $vgpr35
	s_cbranch_vccz .LBB20_99
; %bb.86:                               ;   in Loop: Header=BB20_7 Depth=1
	s_mov_b32 s68, s81
	s_cmp_lg_u64 s[68:69], 0
	s_cbranch_scc0 .LBB20_140
; %bb.87:                               ;   in Loop: Header=BB20_7 Depth=1
	s_add_u32 s20, s74, 0
	s_addc_u32 s21, 0, 0
	s_xor_b64 s[20:21], s[20:21], 0
	v_cvt_f32_u32_e32 v2, s20
	v_cvt_f32_u32_e32 v8, s21
	s_sub_u32 s26, 0, s20
	s_subb_u32 s27, 0, s21
	v_fmac_f32_e32 v2, 0x4f800000, v8
	v_rcp_f32_e32 v2, v2
	s_nop 0
	v_mul_f32_e32 v2, 0x5f7ffffc, v2
	v_mul_f32_e32 v8, 0x2f800000, v2
	v_trunc_f32_e32 v8, v8
	v_fmac_f32_e32 v2, 0xcf800000, v8
	v_cvt_u32_f32_e32 v8, v8
	v_cvt_u32_f32_e32 v2, v2
	v_readfirstlane_b32 s28, v8
	v_readfirstlane_b32 s22, v2
	s_mul_i32 s23, s26, s28
	s_mul_hi_u32 s30, s26, s22
	s_mul_i32 s29, s27, s22
	s_add_i32 s23, s30, s23
	s_mul_i32 s31, s26, s22
	s_add_i32 s23, s23, s29
	s_mul_i32 s30, s22, s23
	s_mul_hi_u32 s34, s22, s31
	s_mul_hi_u32 s29, s22, s23
	s_add_u32 s30, s34, s30
	s_addc_u32 s29, 0, s29
	s_mul_hi_u32 s35, s28, s31
	s_mul_i32 s31, s28, s31
	s_add_u32 s30, s30, s31
	s_mul_hi_u32 s34, s28, s23
	s_addc_u32 s29, s29, s35
	s_addc_u32 s30, s34, 0
	s_mul_i32 s23, s28, s23
	s_add_u32 s23, s29, s23
	s_addc_u32 s29, 0, s30
	s_add_u32 s30, s22, s23
	s_cselect_b64 s[22:23], -1, 0
	s_cmp_lg_u64 s[22:23], 0
	s_addc_u32 s28, s28, s29
	s_mul_i32 s22, s26, s28
	s_mul_hi_u32 s23, s26, s30
	s_add_i32 s22, s23, s22
	s_mul_i32 s27, s27, s30
	s_add_i32 s22, s22, s27
	s_mul_i32 s26, s26, s30
	s_mul_hi_u32 s27, s28, s26
	s_mul_i32 s29, s28, s26
	s_mul_i32 s34, s30, s22
	s_mul_hi_u32 s26, s30, s26
	s_mul_hi_u32 s31, s30, s22
	s_add_u32 s26, s26, s34
	s_addc_u32 s31, 0, s31
	s_add_u32 s26, s26, s29
	s_mul_hi_u32 s23, s28, s22
	s_addc_u32 s26, s31, s27
	s_addc_u32 s23, s23, 0
	s_mul_i32 s22, s28, s22
	s_add_u32 s22, s26, s22
	s_addc_u32 s26, 0, s23
	s_add_u32 s29, s30, s22
	s_cselect_b64 s[22:23], -1, 0
	s_cmp_lg_u64 s[22:23], 0
	s_addc_u32 s28, s28, s26
	s_ashr_i32 s22, s69, 31
	v_readlane_b32 s26, v62, 23
	s_add_u32 s26, s26, s22
	s_mov_b32 s23, s22
	s_addc_u32 s27, s69, s22
	s_xor_b64 s[26:27], s[26:27], s[22:23]
	s_mul_i32 s31, s26, s28
	s_mul_hi_u32 s34, s26, s29
	s_mul_hi_u32 s30, s26, s28
	s_add_u32 s31, s34, s31
	s_addc_u32 s30, 0, s30
	s_mul_hi_u32 s35, s27, s29
	s_mul_i32 s29, s27, s29
	s_add_u32 s29, s31, s29
	s_mul_hi_u32 s34, s27, s28
	s_addc_u32 s29, s30, s35
	s_addc_u32 s30, s34, 0
	s_mul_i32 s28, s27, s28
	s_add_u32 s28, s29, s28
	s_addc_u32 s29, 0, s30
	s_mul_i32 s29, s20, s29
	s_mul_hi_u32 s30, s20, s28
	s_add_i32 s29, s30, s29
	s_mul_i32 s30, s21, s28
	s_add_i32 s34, s29, s30
	s_sub_i32 s30, s27, s34
	s_mul_i32 s28, s20, s28
	s_sub_u32 s26, s26, s28
	s_cselect_b64 s[28:29], -1, 0
	s_cmp_lg_u64 s[28:29], 0
	s_subb_u32 s35, s30, s21
	s_sub_u32 s36, s26, s20
	s_cselect_b64 s[30:31], -1, 0
	s_cmp_lg_u64 s[30:31], 0
	s_subb_u32 s37, s35, 0
	s_cmp_ge_u32 s37, s21
	s_cselect_b32 s38, -1, 0
	s_cmp_ge_u32 s36, s20
	s_cselect_b32 s39, -1, 0
	s_cmp_eq_u32 s37, s21
	s_cselect_b32 s38, s39, s38
	s_cmp_lg_u64 s[30:31], 0
	s_subb_u32 s35, s35, s21
	s_sub_u32 s39, s36, s20
	s_cselect_b64 s[30:31], -1, 0
	s_cmp_lg_u64 s[30:31], 0
	s_subb_u32 s30, s35, 0
	s_cmp_lg_u32 s38, 0
	s_cselect_b32 s31, s39, s36
	s_cselect_b32 s30, s30, s37
	s_cmp_lg_u64 s[28:29], 0
	s_subb_u32 s27, s27, s34
	s_cmp_ge_u32 s27, s21
	s_cselect_b32 s28, -1, 0
	s_cmp_ge_u32 s26, s20
	s_cselect_b32 s20, -1, 0
	s_cmp_eq_u32 s27, s21
	s_cselect_b32 s20, s20, s28
	s_cmp_lg_u32 s20, 0
	s_cselect_b32 s21, s30, s27
	s_cselect_b32 s20, s31, s26
	s_xor_b64 s[20:21], s[20:21], s[22:23]
	s_sub_u32 s20, s20, s22
	s_subb_u32 s21, s21, s22
	s_cbranch_execnz .LBB20_89
.LBB20_88:                              ;   in Loop: Header=BB20_7 Depth=1
	v_cvt_f32_u32_e32 v2, s74
	s_sub_i32 s20, 0, s74
	v_readlane_b32 s22, v62, 23
	v_rcp_iflag_f32_e32 v2, v2
	s_nop 0
	v_mul_f32_e32 v2, 0x4f7ffffe, v2
	v_cvt_u32_f32_e32 v2, v2
	s_nop 0
	v_readfirstlane_b32 s21, v2
	s_mul_i32 s20, s20, s21
	s_mul_hi_u32 s20, s21, s20
	s_add_i32 s21, s21, s20
	s_mul_hi_u32 s20, s22, s21
	s_mul_i32 s20, s20, s74
	s_sub_i32 s20, s22, s20
	s_sub_i32 s21, s20, s74
	s_cmp_ge_u32 s20, s74
	s_cselect_b32 s20, s21, s20
	s_sub_i32 s21, s20, s74
	s_cmp_ge_u32 s20, s74
	s_cselect_b32 s80, s21, s20
	s_mov_b64 s[20:21], s[80:81]
.LBB20_89:                              ;   in Loop: Header=BB20_7 Depth=1
	v_readlane_b32 s22, v62, 23
	s_sub_u32 s28, s22, s20
	s_subb_u32 s29, s69, s21
	v_cmp_gt_i64_e32 vcc, s[28:29], v[0:1]
	s_mov_b64 s[22:23], 0
	s_mov_b64 s[20:21], 0
                                        ; implicit-def: $vgpr35
	s_and_saveexec_b64 s[26:27], vcc
	s_cbranch_execz .LBB20_98
; %bb.90:                               ;   in Loop: Header=BB20_7 Depth=1
	v_mov_b64_e32 v[8:9], v[12:13]
	v_mov_b64_e32 v[10:11], v[0:1]
                                        ; implicit-def: $sgpr30_sgpr31
	s_branch .LBB20_93
.LBB20_91:                              ;   in Loop: Header=BB20_93 Depth=2
	s_or_b64 exec, exec, s[34:35]
	s_waitcnt lgkmcnt(0)
	s_barrier
	ds_read_b64 v[34:35], v3 offset:3072
	s_mov_b64 s[34:35], -1
	s_mov_b64 s[36:37], -1
	s_waitcnt lgkmcnt(0)
	s_barrier
	v_cmp_ne_u32_e32 vcc, 0, v34
	s_cbranch_vccz .LBB20_96
.LBB20_92:                              ;   in Loop: Header=BB20_93 Depth=2
	s_and_b64 s[34:35], exec, s[34:35]
	s_or_b64 s[20:21], s[34:35], s[20:21]
	s_andn2_b64 s[30:31], s[30:31], exec
	s_and_b64 s[34:35], s[36:37], exec
	s_or_b64 s[30:31], s[30:31], s[34:35]
	s_andn2_b64 exec, exec, s[20:21]
	s_cbranch_execz .LBB20_97
.LBB20_93:                              ;   Parent Loop BB20_7 Depth=1
                                        ; =>  This Inner Loop Header: Depth=2
	v_cmp_gt_i64_e32 vcc, s[60:61], v[10:11]
	s_and_saveexec_b64 s[34:35], vcc
	s_cbranch_execz .LBB20_91
; %bb.94:                               ;   in Loop: Header=BB20_93 Depth=2
	global_load_dword v33, v[8:9], off
	s_waitcnt vmcnt(0)
	v_bitop3_b32 v2, v33, v50, s86 bitop3:0x48
	v_cmp_eq_u32_e32 vcc, v2, v48
	s_and_b64 exec, exec, vcc
	s_cbranch_execz .LBB20_91
; %bb.95:                               ;   in Loop: Header=BB20_93 Depth=2
	ds_write_b64 v3, v[32:33] offset:3072
	s_branch .LBB20_91
.LBB20_96:                              ;   in Loop: Header=BB20_93 Depth=2
	v_lshl_add_u64 v[10:11], v[10:11], 0, s[74:75]
	v_cmp_le_i64_e32 vcc, s[28:29], v[10:11]
	v_lshl_add_u64 v[8:9], v[8:9], 0, s[94:95]
	s_mov_b64 s[36:37], 0
	s_orn2_b64 s[34:35], vcc, exec
	s_branch .LBB20_92
.LBB20_97:                              ;   in Loop: Header=BB20_7 Depth=1
	s_or_b64 exec, exec, s[20:21]
	s_and_b64 s[20:21], s[30:31], exec
.LBB20_98:                              ;   in Loop: Header=BB20_7 Depth=1
	s_or_b64 exec, exec, s[26:27]
.LBB20_99:                              ;   in Loop: Header=BB20_7 Depth=1
	s_and_b64 vcc, exec, s[22:23]
	s_cbranch_vccz .LBB20_113
; %bb.100:                              ;   in Loop: Header=BB20_7 Depth=1
	v_readlane_b32 s6, v62, 22
	s_add_u32 s26, s18, s6
	v_readlane_b32 s6, v62, 24
	s_addc_u32 s7, s19, s6
	s_mov_b32 s6, s81
	s_cmp_lg_u64 s[6:7], 0
	s_cbranch_scc0 .LBB20_141
; %bb.101:                              ;   in Loop: Header=BB20_7 Depth=1
	s_add_u32 s8, s74, 0
	s_addc_u32 s9, 0, 0
	s_xor_b64 s[8:9], s[8:9], 0
	v_cvt_f32_u32_e32 v2, s8
	v_cvt_f32_u32_e32 v8, s9
	s_sub_u32 s6, 0, s8
	s_subb_u32 s27, 0, s9
	v_fmac_f32_e32 v2, 0x4f800000, v8
	v_rcp_f32_e32 v2, v2
	s_nop 0
	v_mul_f32_e32 v2, 0x5f7ffffc, v2
	v_mul_f32_e32 v8, 0x2f800000, v2
	v_trunc_f32_e32 v8, v8
	v_fmac_f32_e32 v2, 0xcf800000, v8
	v_cvt_u32_f32_e32 v8, v8
	v_cvt_u32_f32_e32 v2, v2
	v_readfirstlane_b32 s28, v8
	v_readfirstlane_b32 s22, v2
	s_mul_i32 s23, s6, s28
	s_mul_hi_u32 s30, s6, s22
	s_mul_i32 s29, s27, s22
	s_add_i32 s23, s30, s23
	s_mul_i32 s31, s6, s22
	s_add_i32 s23, s23, s29
	s_mul_i32 s30, s22, s23
	s_mul_hi_u32 s34, s22, s31
	s_mul_hi_u32 s29, s22, s23
	s_add_u32 s30, s34, s30
	s_addc_u32 s29, 0, s29
	s_mul_hi_u32 s35, s28, s31
	s_mul_i32 s31, s28, s31
	s_add_u32 s30, s30, s31
	s_mul_hi_u32 s34, s28, s23
	s_addc_u32 s29, s29, s35
	s_addc_u32 s30, s34, 0
	s_mul_i32 s23, s28, s23
	s_add_u32 s23, s29, s23
	s_addc_u32 s29, 0, s30
	s_add_u32 s30, s22, s23
	s_cselect_b64 s[22:23], -1, 0
	s_cmp_lg_u64 s[22:23], 0
	s_addc_u32 s28, s28, s29
	s_mul_i32 s22, s6, s28
	s_mul_hi_u32 s23, s6, s30
	s_add_i32 s22, s23, s22
	s_mul_i32 s27, s27, s30
	s_add_i32 s22, s22, s27
	s_mul_i32 s6, s6, s30
	s_mul_hi_u32 s27, s28, s6
	s_mul_i32 s29, s28, s6
	s_mul_i32 s34, s30, s22
	s_mul_hi_u32 s6, s30, s6
	s_mul_hi_u32 s31, s30, s22
	s_add_u32 s6, s6, s34
	s_addc_u32 s31, 0, s31
	s_add_u32 s6, s6, s29
	s_mul_hi_u32 s23, s28, s22
	s_addc_u32 s6, s31, s27
	s_addc_u32 s23, s23, 0
	s_mul_i32 s22, s28, s22
	s_add_u32 s6, s6, s22
	s_addc_u32 s27, 0, s23
	s_add_u32 s6, s30, s6
	s_cselect_b64 s[22:23], -1, 0
	s_cmp_lg_u64 s[22:23], 0
	s_addc_u32 s27, s28, s27
	s_ashr_i32 s22, s7, 31
	s_add_u32 s28, s26, s22
	s_mov_b32 s23, s22
	s_addc_u32 s29, s7, s22
	s_xor_b64 s[28:29], s[28:29], s[22:23]
	s_mul_i32 s31, s28, s27
	s_mul_hi_u32 s34, s28, s6
	s_mul_hi_u32 s30, s28, s27
	s_add_u32 s31, s34, s31
	s_addc_u32 s30, 0, s30
	s_mul_hi_u32 s35, s29, s6
	s_mul_i32 s6, s29, s6
	s_add_u32 s6, s31, s6
	s_mul_hi_u32 s34, s29, s27
	s_addc_u32 s6, s30, s35
	s_addc_u32 s30, s34, 0
	s_mul_i32 s27, s29, s27
	s_add_u32 s6, s6, s27
	s_addc_u32 s27, 0, s30
	s_mul_i32 s27, s8, s27
	s_mul_hi_u32 s30, s8, s6
	s_add_i32 s27, s30, s27
	s_mul_i32 s30, s9, s6
	s_add_i32 s27, s27, s30
	s_sub_i32 s34, s29, s27
	s_mul_i32 s6, s8, s6
	s_sub_u32 s6, s28, s6
	s_cselect_b64 s[30:31], -1, 0
	s_cmp_lg_u64 s[30:31], 0
	s_subb_u32 s28, s34, s9
	s_sub_u32 s36, s6, s8
	s_cselect_b64 s[34:35], -1, 0
	s_cmp_lg_u64 s[34:35], 0
	s_subb_u32 s37, s28, 0
	s_cmp_ge_u32 s37, s9
	s_cselect_b32 s38, -1, 0
	s_cmp_ge_u32 s36, s8
	s_cselect_b32 s39, -1, 0
	s_cmp_eq_u32 s37, s9
	s_cselect_b32 s38, s39, s38
	s_cmp_lg_u64 s[34:35], 0
	s_subb_u32 s28, s28, s9
	s_sub_u32 s39, s36, s8
	s_cselect_b64 s[34:35], -1, 0
	s_cmp_lg_u64 s[34:35], 0
	s_subb_u32 s28, s28, 0
	s_cmp_lg_u32 s38, 0
	s_cselect_b32 s34, s39, s36
	s_cselect_b32 s28, s28, s37
	s_cmp_lg_u64 s[30:31], 0
	s_subb_u32 s27, s29, s27
	s_cmp_ge_u32 s27, s9
	s_cselect_b32 s29, -1, 0
	s_cmp_ge_u32 s6, s8
	s_cselect_b32 s8, -1, 0
	s_cmp_eq_u32 s27, s9
	s_cselect_b32 s8, s8, s29
	s_cmp_lg_u32 s8, 0
	s_cselect_b32 s9, s28, s27
	s_cselect_b32 s8, s34, s6
	s_xor_b64 s[8:9], s[8:9], s[22:23]
	s_sub_u32 s8, s8, s22
	s_subb_u32 s9, s9, s22
	s_cbranch_execnz .LBB20_103
.LBB20_102:                             ;   in Loop: Header=BB20_7 Depth=1
	v_cvt_f32_u32_e32 v2, s74
	s_sub_i32 s6, 0, s74
	v_rcp_iflag_f32_e32 v2, v2
	s_nop 0
	v_mul_f32_e32 v2, 0x4f7ffffe, v2
	v_cvt_u32_f32_e32 v2, v2
	s_nop 0
	v_readfirstlane_b32 s8, v2
	s_mul_i32 s6, s6, s8
	s_mul_hi_u32 s6, s8, s6
	s_add_i32 s8, s8, s6
	s_mul_hi_u32 s6, s26, s8
	s_mul_i32 s6, s6, s74
	s_sub_i32 s6, s26, s6
	s_sub_i32 s8, s6, s74
	s_cmp_ge_u32 s6, s74
	s_cselect_b32 s6, s8, s6
	s_sub_i32 s8, s6, s74
	s_cmp_ge_u32 s6, s74
	s_cselect_b32 s80, s8, s6
	s_mov_b64 s[8:9], s[80:81]
.LBB20_103:                             ;   in Loop: Header=BB20_7 Depth=1
	s_sub_u32 s8, s26, s8
	s_subb_u32 s9, s7, s9
	v_cmp_gt_i64_e32 vcc, s[8:9], v[0:1]
                                        ; implicit-def: $vgpr35
	s_and_saveexec_b64 s[6:7], vcc
	s_cbranch_execz .LBB20_112
; %bb.104:                              ;   in Loop: Header=BB20_7 Depth=1
	s_mov_b64 s[22:23], 0
	v_mov_b32_e32 v2, v14
	v_mov_b64_e32 v[8:9], v[0:1]
                                        ; implicit-def: $sgpr26_sgpr27
	s_branch .LBB20_107
.LBB20_105:                             ;   in Loop: Header=BB20_107 Depth=2
	s_or_b64 exec, exec, s[28:29]
	s_waitcnt lgkmcnt(0)
	s_barrier
	ds_read_b64 v[34:35], v3 offset:3072
	s_mov_b64 s[28:29], -1
	s_mov_b64 s[30:31], -1
	s_waitcnt lgkmcnt(0)
	s_barrier
	v_cmp_ne_u32_e32 vcc, 0, v34
	s_cbranch_vccz .LBB20_110
.LBB20_106:                             ;   in Loop: Header=BB20_107 Depth=2
	s_and_b64 s[28:29], exec, s[28:29]
	s_or_b64 s[22:23], s[28:29], s[22:23]
	s_andn2_b64 s[26:27], s[26:27], exec
	s_and_b64 s[28:29], s[30:31], exec
	s_or_b64 s[26:27], s[26:27], s[28:29]
	s_andn2_b64 exec, exec, s[22:23]
	s_cbranch_execz .LBB20_111
.LBB20_107:                             ;   Parent Loop BB20_7 Depth=1
                                        ; =>  This Inner Loop Header: Depth=2
	v_cmp_gt_u64_e32 vcc, s[18:19], v[8:9]
	s_and_saveexec_b64 s[28:29], vcc
	s_cbranch_execz .LBB20_105
; %bb.108:                              ;   in Loop: Header=BB20_107 Depth=2
	ds_read_b32 v33, v2
	s_waitcnt lgkmcnt(0)
	v_bitop3_b32 v10, v33, v50, s86 bitop3:0x48
	v_cmp_eq_u32_e32 vcc, v10, v48
	s_and_b64 exec, exec, vcc
	s_cbranch_execz .LBB20_105
; %bb.109:                              ;   in Loop: Header=BB20_107 Depth=2
	ds_write_b64 v3, v[32:33] offset:3072
	s_branch .LBB20_105
.LBB20_110:                             ;   in Loop: Header=BB20_107 Depth=2
	v_lshl_add_u64 v[8:9], v[8:9], 0, s[74:75]
	v_cmp_le_i64_e32 vcc, s[8:9], v[8:9]
	v_add_u32_e32 v2, s89, v2
	s_mov_b64 s[30:31], 0
	s_orn2_b64 s[28:29], vcc, exec
	s_branch .LBB20_106
.LBB20_111:                             ;   in Loop: Header=BB20_7 Depth=1
	s_or_b64 exec, exec, s[22:23]
	s_andn2_b64 s[8:9], s[20:21], exec
	s_and_b64 s[18:19], s[26:27], exec
	s_or_b64 s[20:21], s[8:9], s[18:19]
.LBB20_112:                             ;   in Loop: Header=BB20_7 Depth=1
	s_or_b64 exec, exec, s[6:7]
	s_mov_b64 s[6:7], 0
	s_mov_b64 s[8:9], -1
.LBB20_113:                             ;   in Loop: Header=BB20_7 Depth=1
	s_orn2_b64 s[20:21], s[20:21], exec
.LBB20_114:                             ;   in Loop: Header=BB20_7 Depth=1
	s_or_b64 exec, exec, s[12:13]
	s_andn2_b64 s[12:13], s[14:15], exec
	s_and_b64 s[8:9], s[8:9], exec
	s_or_b64 s[14:15], s[12:13], s[8:9]
	s_andn2_b64 s[8:9], s[72:73], exec
	s_and_b64 s[6:7], s[6:7], exec
	s_andn2_b64 s[70:71], s[70:71], exec
	s_or_b64 s[72:73], s[8:9], s[6:7]
                                        ; implicit-def: $vgpr8_vgpr9
	s_and_saveexec_b64 s[18:19], s[20:21]
	s_cbranch_execz .LBB20_6
; %bb.115:                              ;   in Loop: Header=BB20_7 Depth=1
	s_xor_b64 s[6:7], s[10:11], -1
	v_mov_b32_e32 v2, 1
	s_mov_b64 s[8:9], 0
	v_mov_b64_e32 v[8:9], 1
	s_and_saveexec_b64 s[2:3], s[6:7]
	s_cbranch_execz .LBB20_124
; %bb.116:                              ;   in Loop: Header=BB20_7 Depth=1
	v_cmp_le_i64_e32 vcc, v[36:37], v[4:5]
	s_and_saveexec_b64 s[6:7], vcc
	s_xor_b64 s[6:7], exec, s[6:7]
	s_cbranch_execz .LBB20_121
; %bb.117:                              ;   in Loop: Header=BB20_7 Depth=1
	ds_read_b64 v[8:9], v3 offset:5120
	v_and_b32_e32 v48, s50, v48
	v_or_b32_e32 v50, s56, v50
	s_waitcnt lgkmcnt(0)
	v_cmp_ne_u64_e32 vcc, 0, v[8:9]
	s_cbranch_vccnz .LBB20_121
; %bb.118:                              ;   in Loop: Header=BB20_7 Depth=1
	s_mov_b64 s[8:9], exec
	v_readlane_b32 s10, v62, 8
	v_readlane_b32 s11, v62, 9
	s_and_b64 s[10:11], s[8:9], s[10:11]
	s_mov_b64 exec, s[10:11]
; %bb.119:                              ;   in Loop: Header=BB20_7 Depth=1
	ds_write_b64 v3, v[4:5] offset:5128
; %bb.120:                              ;   in Loop: Header=BB20_7 Depth=1
	s_or_b64 exec, exec, s[8:9]
	s_waitcnt lgkmcnt(0)
	s_barrier
.LBB20_121:                             ;   in Loop: Header=BB20_7 Depth=1
	s_or_saveexec_b64 s[6:7], s[6:7]
	s_mov_b64 s[8:9], 0
	v_mov_b32_e32 v2, 8
	s_xor_b64 exec, exec, s[6:7]
; %bb.122:                              ;   in Loop: Header=BB20_7 Depth=1
	v_sub_co_u32_e32 v36, vcc, v36, v4
	s_mov_b64 s[8:9], exec
	s_nop 0
	v_subb_co_u32_e32 v37, vcc, v37, v5, vcc
	v_mov_b32_e32 v2, 0
; %bb.123:                              ;   in Loop: Header=BB20_7 Depth=1
	s_or_b64 exec, exec, s[6:7]
	s_and_b64 s[8:9], s[8:9], exec
	v_mov_b64_e32 v[8:9], v[36:37]
.LBB20_124:                             ;   in Loop: Header=BB20_7 Depth=1
	s_or_b64 exec, exec, s[2:3]
	s_mov_b64 s[20:21], -1
	s_mov_b64 s[6:7], -1
                                        ; implicit-def: $sgpr2_sgpr3
                                        ; implicit-def: $sgpr26_sgpr27
	s_and_saveexec_b64 s[10:11], s[8:9]
	s_xor_b64 s[22:23], exec, s[10:11]
	s_cbranch_execz .LBB20_266
; %bb.125:                              ;   in Loop: Header=BB20_7 Depth=1
	v_cmp_eq_u64_e32 vcc, 1, v[6:7]
	v_cmp_eq_u64_e64 s[2:3], 1, v[8:9]
	s_and_b64 s[10:11], vcc, s[2:3]
                                        ; implicit-def: $sgpr26_sgpr27
                                        ; implicit-def: $sgpr2_sgpr3
	s_and_saveexec_b64 s[12:13], s[10:11]
	s_cbranch_execz .LBB20_159
; %bb.126:                              ;   in Loop: Header=BB20_7 Depth=1
	ds_read_b64 v[4:5], v3 offset:5120
	s_waitcnt lgkmcnt(0)
	s_barrier
	v_readfirstlane_b32 s28, v4
	v_readfirstlane_b32 s29, v5
	s_mov_b64 s[2:3], exec
	v_readlane_b32 s6, v62, 12
	v_readlane_b32 s7, v62, 13
	s_and_b64 s[6:7], s[2:3], s[6:7]
	s_mov_b64 exec, s[6:7]
; %bb.127:                              ;   in Loop: Header=BB20_7 Depth=1
	ds_write_b32 v43, v3
; %bb.128:                              ;   in Loop: Header=BB20_7 Depth=1
	s_or_b64 exec, exec, s[2:3]
	v_and_b32_e32 v4, s50, v48
	v_cmp_gt_i64_e64 s[6:7], s[28:29], 0
	v_lshl_or_b32 v48, 1, s87, v4
	v_or_b32_e32 v50, s56, v50
	s_mov_b64 s[2:3], -1
	s_mov_b64 s[26:27], 0
	s_and_b64 vcc, exec, s[6:7]
	s_mov_b64 s[6:7], 0
	s_mov_b64 s[8:9], -1
	s_waitcnt lgkmcnt(0)
	s_barrier
                                        ; implicit-def: $vgpr35
	s_cbranch_vccnz .LBB20_144
; %bb.129:                              ;   in Loop: Header=BB20_7 Depth=1
	s_mov_b32 s68, s81
	s_cmp_lg_u64 s[68:69], 0
	s_cbranch_scc0 .LBB20_186
; %bb.130:                              ;   in Loop: Header=BB20_7 Depth=1
	s_add_u32 s6, s74, 0
	s_addc_u32 s7, 0, 0
	s_xor_b64 s[6:7], s[6:7], 0
	v_cvt_f32_u32_e32 v4, s6
	v_cvt_f32_u32_e32 v5, s7
	s_sub_u32 s30, 0, s6
	s_subb_u32 s31, 0, s7
	v_fmac_f32_e32 v4, 0x4f800000, v5
	v_rcp_f32_e32 v4, v4
	s_nop 0
	v_mul_f32_e32 v4, 0x5f7ffffc, v4
	v_mul_f32_e32 v5, 0x2f800000, v4
	v_trunc_f32_e32 v5, v5
	v_fmac_f32_e32 v4, 0xcf800000, v5
	v_cvt_u32_f32_e32 v5, v5
	v_cvt_u32_f32_e32 v4, v4
	v_readfirstlane_b32 s34, v5
	v_readfirstlane_b32 s8, v4
	s_mul_i32 s9, s30, s34
	s_mul_hi_u32 s36, s30, s8
	s_mul_i32 s35, s31, s8
	s_add_i32 s9, s36, s9
	s_mul_i32 s37, s30, s8
	s_add_i32 s9, s9, s35
	s_mul_i32 s36, s8, s9
	s_mul_hi_u32 s38, s8, s37
	s_mul_hi_u32 s35, s8, s9
	s_add_u32 s36, s38, s36
	s_addc_u32 s35, 0, s35
	s_mul_hi_u32 s39, s34, s37
	s_mul_i32 s37, s34, s37
	s_add_u32 s36, s36, s37
	s_mul_hi_u32 s38, s34, s9
	s_addc_u32 s35, s35, s39
	s_addc_u32 s36, s38, 0
	s_mul_i32 s9, s34, s9
	s_add_u32 s9, s35, s9
	s_addc_u32 s35, 0, s36
	s_add_u32 s36, s8, s9
	s_cselect_b64 s[8:9], -1, 0
	s_cmp_lg_u64 s[8:9], 0
	s_addc_u32 s34, s34, s35
	s_mul_i32 s8, s30, s34
	s_mul_hi_u32 s9, s30, s36
	s_add_i32 s8, s9, s8
	s_mul_i32 s31, s31, s36
	s_add_i32 s8, s8, s31
	s_mul_i32 s30, s30, s36
	s_mul_hi_u32 s31, s34, s30
	s_mul_i32 s35, s34, s30
	s_mul_i32 s38, s36, s8
	s_mul_hi_u32 s30, s36, s30
	s_mul_hi_u32 s37, s36, s8
	s_add_u32 s30, s30, s38
	s_addc_u32 s37, 0, s37
	s_add_u32 s30, s30, s35
	s_mul_hi_u32 s9, s34, s8
	s_addc_u32 s30, s37, s31
	s_addc_u32 s9, s9, 0
	s_mul_i32 s8, s34, s8
	s_add_u32 s8, s30, s8
	s_addc_u32 s30, 0, s9
	s_add_u32 s35, s36, s8
	s_cselect_b64 s[8:9], -1, 0
	s_cmp_lg_u64 s[8:9], 0
	s_addc_u32 s34, s34, s30
	s_ashr_i32 s8, s69, 31
	v_readlane_b32 s30, v62, 23
	s_add_u32 s30, s30, s8
	s_mov_b32 s9, s8
	s_addc_u32 s31, s69, s8
	s_xor_b64 s[30:31], s[30:31], s[8:9]
	s_mul_i32 s37, s30, s34
	s_mul_hi_u32 s38, s30, s35
	s_mul_hi_u32 s36, s30, s34
	s_add_u32 s37, s38, s37
	s_addc_u32 s36, 0, s36
	s_mul_hi_u32 s39, s31, s35
	s_mul_i32 s35, s31, s35
	s_add_u32 s35, s37, s35
	s_mul_hi_u32 s38, s31, s34
	s_addc_u32 s35, s36, s39
	s_addc_u32 s36, s38, 0
	s_mul_i32 s34, s31, s34
	s_add_u32 s34, s35, s34
	s_addc_u32 s35, 0, s36
	s_mul_i32 s35, s6, s35
	s_mul_hi_u32 s36, s6, s34
	s_add_i32 s35, s36, s35
	s_mul_i32 s36, s7, s34
	s_add_i32 s38, s35, s36
	s_sub_i32 s36, s31, s38
	s_mul_i32 s34, s6, s34
	s_sub_u32 s30, s30, s34
	s_cselect_b64 s[34:35], -1, 0
	s_cmp_lg_u64 s[34:35], 0
	s_subb_u32 s39, s36, s7
	s_sub_u32 s40, s30, s6
	s_cselect_b64 s[36:37], -1, 0
	s_cmp_lg_u64 s[36:37], 0
	s_subb_u32 s41, s39, 0
	s_cmp_ge_u32 s41, s7
	s_cselect_b32 s42, -1, 0
	s_cmp_ge_u32 s40, s6
	s_cselect_b32 s43, -1, 0
	s_cmp_eq_u32 s41, s7
	s_cselect_b32 s42, s43, s42
	s_cmp_lg_u64 s[36:37], 0
	s_subb_u32 s39, s39, s7
	s_sub_u32 s43, s40, s6
	s_cselect_b64 s[36:37], -1, 0
	s_cmp_lg_u64 s[36:37], 0
	s_subb_u32 s36, s39, 0
	s_cmp_lg_u32 s42, 0
	s_cselect_b32 s37, s43, s40
	s_cselect_b32 s36, s36, s41
	s_cmp_lg_u64 s[34:35], 0
	s_subb_u32 s31, s31, s38
	s_cmp_ge_u32 s31, s7
	s_cselect_b32 s34, -1, 0
	s_cmp_ge_u32 s30, s6
	s_cselect_b32 s6, -1, 0
	s_cmp_eq_u32 s31, s7
	s_cselect_b32 s6, s6, s34
	s_cmp_lg_u32 s6, 0
	s_cselect_b32 s7, s36, s31
	s_cselect_b32 s6, s37, s30
	s_xor_b64 s[6:7], s[6:7], s[8:9]
	s_sub_u32 s6, s6, s8
	s_subb_u32 s7, s7, s8
	s_cbranch_execnz .LBB20_132
.LBB20_131:                             ;   in Loop: Header=BB20_7 Depth=1
	v_cvt_f32_u32_e32 v4, s74
	s_sub_i32 s6, 0, s74
	v_readlane_b32 s8, v62, 23
	v_rcp_iflag_f32_e32 v4, v4
	s_nop 0
	v_mul_f32_e32 v4, 0x4f7ffffe, v4
	v_cvt_u32_f32_e32 v4, v4
	s_nop 0
	v_readfirstlane_b32 s7, v4
	s_mul_i32 s6, s6, s7
	s_mul_hi_u32 s6, s7, s6
	s_add_i32 s7, s7, s6
	s_mul_hi_u32 s6, s8, s7
	s_mul_i32 s6, s6, s74
	s_sub_i32 s6, s8, s6
	s_sub_i32 s7, s6, s74
	s_cmp_ge_u32 s6, s74
	s_cselect_b32 s6, s7, s6
	s_sub_i32 s7, s6, s74
	s_cmp_ge_u32 s6, s74
	s_cselect_b32 s80, s7, s6
	s_mov_b64 s[6:7], s[80:81]
.LBB20_132:                             ;   in Loop: Header=BB20_7 Depth=1
	v_readlane_b32 s8, v62, 23
	s_sub_u32 s34, s8, s6
	s_subb_u32 s35, s69, s7
	v_cmp_gt_i64_e32 vcc, s[34:35], v[0:1]
	s_mov_b64 s[8:9], 0
	s_mov_b64 s[6:7], 0
                                        ; implicit-def: $vgpr35
	s_and_saveexec_b64 s[30:31], vcc
	s_cbranch_execz .LBB20_143
; %bb.133:                              ;   in Loop: Header=BB20_7 Depth=1
	v_mov_b64_e32 v[4:5], v[12:13]
	v_mov_b64_e32 v[10:11], v[0:1]
                                        ; implicit-def: $sgpr36_sgpr37
	s_branch .LBB20_136
.LBB20_134:                             ;   in Loop: Header=BB20_136 Depth=2
	s_or_b64 exec, exec, s[38:39]
	s_waitcnt lgkmcnt(0)
	s_barrier
	ds_read_b64 v[34:35], v3 offset:3072
	s_mov_b64 s[38:39], -1
	s_mov_b64 s[40:41], -1
	s_waitcnt lgkmcnt(0)
	s_barrier
	v_cmp_ne_u32_e32 vcc, 0, v34
	s_cbranch_vccz .LBB20_139
.LBB20_135:                             ;   in Loop: Header=BB20_136 Depth=2
	s_and_b64 s[38:39], exec, s[38:39]
	s_or_b64 s[6:7], s[38:39], s[6:7]
	s_andn2_b64 s[36:37], s[36:37], exec
	s_and_b64 s[38:39], s[40:41], exec
	s_or_b64 s[36:37], s[36:37], s[38:39]
	s_andn2_b64 exec, exec, s[6:7]
	s_cbranch_execz .LBB20_142
.LBB20_136:                             ;   Parent Loop BB20_7 Depth=1
                                        ; =>  This Inner Loop Header: Depth=2
	v_cmp_gt_i64_e32 vcc, s[60:61], v[10:11]
	s_and_saveexec_b64 s[38:39], vcc
	s_cbranch_execz .LBB20_134
; %bb.137:                              ;   in Loop: Header=BB20_136 Depth=2
	global_load_dword v33, v[4:5], off
	s_waitcnt vmcnt(0)
	v_bitop3_b32 v34, v33, v50, s86 bitop3:0x48
	v_cmp_eq_u32_e32 vcc, v34, v48
	s_and_b64 exec, exec, vcc
	s_cbranch_execz .LBB20_134
; %bb.138:                              ;   in Loop: Header=BB20_136 Depth=2
	ds_write_b64 v3, v[32:33] offset:3072
	s_branch .LBB20_134
.LBB20_139:                             ;   in Loop: Header=BB20_136 Depth=2
	v_lshl_add_u64 v[10:11], v[10:11], 0, s[74:75]
	v_cmp_le_i64_e32 vcc, s[34:35], v[10:11]
	v_lshl_add_u64 v[4:5], v[4:5], 0, s[94:95]
	s_mov_b64 s[40:41], 0
	s_orn2_b64 s[38:39], vcc, exec
	s_branch .LBB20_135
.LBB20_140:                             ;   in Loop: Header=BB20_7 Depth=1
                                        ; implicit-def: $sgpr20_sgpr21
	s_andn2_b64 vcc, exec, s[22:23]
	s_cbranch_vccz .LBB20_88
	s_branch .LBB20_89
.LBB20_141:                             ;   in Loop: Header=BB20_7 Depth=1
                                        ; implicit-def: $sgpr8_sgpr9
	s_branch .LBB20_102
.LBB20_142:                             ;   in Loop: Header=BB20_7 Depth=1
	s_or_b64 exec, exec, s[6:7]
	s_and_b64 s[6:7], s[36:37], exec
.LBB20_143:                             ;   in Loop: Header=BB20_7 Depth=1
	s_or_b64 exec, exec, s[30:31]
.LBB20_144:                             ;   in Loop: Header=BB20_7 Depth=1
	s_and_b64 vcc, exec, s[8:9]
	s_cbranch_vccz .LBB20_158
; %bb.145:                              ;   in Loop: Header=BB20_7 Depth=1
	v_readlane_b32 s2, v62, 22
	s_add_u32 s30, s28, s2
	v_readlane_b32 s2, v62, 24
	s_addc_u32 s3, s29, s2
	s_mov_b32 s2, s81
	s_cmp_lg_u64 s[2:3], 0
	s_cbranch_scc0 .LBB20_187
; %bb.146:                              ;   in Loop: Header=BB20_7 Depth=1
	s_add_u32 s8, s74, 0
	s_addc_u32 s9, 0, 0
	s_xor_b64 s[8:9], s[8:9], 0
	v_cvt_f32_u32_e32 v4, s8
	v_cvt_f32_u32_e32 v5, s9
	s_sub_u32 s2, 0, s8
	s_subb_u32 s31, 0, s9
	v_fmac_f32_e32 v4, 0x4f800000, v5
	v_rcp_f32_e32 v4, v4
	s_nop 0
	v_mul_f32_e32 v4, 0x5f7ffffc, v4
	v_mul_f32_e32 v5, 0x2f800000, v4
	v_trunc_f32_e32 v5, v5
	v_fmac_f32_e32 v4, 0xcf800000, v5
	v_cvt_u32_f32_e32 v5, v5
	v_cvt_u32_f32_e32 v4, v4
	v_readfirstlane_b32 s34, v5
	v_readfirstlane_b32 s26, v4
	s_mul_i32 s27, s2, s34
	s_mul_hi_u32 s36, s2, s26
	s_mul_i32 s35, s31, s26
	s_add_i32 s27, s36, s27
	s_mul_i32 s37, s2, s26
	s_add_i32 s27, s27, s35
	s_mul_i32 s36, s26, s27
	s_mul_hi_u32 s38, s26, s37
	s_mul_hi_u32 s35, s26, s27
	s_add_u32 s36, s38, s36
	s_addc_u32 s35, 0, s35
	s_mul_hi_u32 s39, s34, s37
	s_mul_i32 s37, s34, s37
	s_add_u32 s36, s36, s37
	s_mul_hi_u32 s38, s34, s27
	s_addc_u32 s35, s35, s39
	s_addc_u32 s36, s38, 0
	s_mul_i32 s27, s34, s27
	s_add_u32 s27, s35, s27
	s_addc_u32 s35, 0, s36
	s_add_u32 s36, s26, s27
	s_cselect_b64 s[26:27], -1, 0
	s_cmp_lg_u64 s[26:27], 0
	s_addc_u32 s34, s34, s35
	s_mul_i32 s26, s2, s34
	s_mul_hi_u32 s27, s2, s36
	s_add_i32 s26, s27, s26
	s_mul_i32 s31, s31, s36
	s_add_i32 s26, s26, s31
	s_mul_i32 s2, s2, s36
	s_mul_hi_u32 s31, s34, s2
	s_mul_i32 s35, s34, s2
	s_mul_i32 s38, s36, s26
	s_mul_hi_u32 s2, s36, s2
	s_mul_hi_u32 s37, s36, s26
	s_add_u32 s2, s2, s38
	s_addc_u32 s37, 0, s37
	s_add_u32 s2, s2, s35
	s_mul_hi_u32 s27, s34, s26
	s_addc_u32 s2, s37, s31
	s_addc_u32 s27, s27, 0
	s_mul_i32 s26, s34, s26
	s_add_u32 s2, s2, s26
	s_addc_u32 s31, 0, s27
	s_add_u32 s2, s36, s2
	s_cselect_b64 s[26:27], -1, 0
	s_cmp_lg_u64 s[26:27], 0
	s_addc_u32 s31, s34, s31
	s_ashr_i32 s26, s3, 31
	s_add_u32 s34, s30, s26
	s_mov_b32 s27, s26
	s_addc_u32 s35, s3, s26
	s_xor_b64 s[34:35], s[34:35], s[26:27]
	s_mul_i32 s37, s34, s31
	s_mul_hi_u32 s38, s34, s2
	s_mul_hi_u32 s36, s34, s31
	s_add_u32 s37, s38, s37
	s_addc_u32 s36, 0, s36
	s_mul_hi_u32 s39, s35, s2
	s_mul_i32 s2, s35, s2
	s_add_u32 s2, s37, s2
	s_mul_hi_u32 s38, s35, s31
	s_addc_u32 s2, s36, s39
	s_addc_u32 s36, s38, 0
	s_mul_i32 s31, s35, s31
	s_add_u32 s2, s2, s31
	s_addc_u32 s31, 0, s36
	s_mul_i32 s31, s8, s31
	s_mul_hi_u32 s36, s8, s2
	s_add_i32 s31, s36, s31
	s_mul_i32 s36, s9, s2
	s_add_i32 s31, s31, s36
	s_sub_i32 s38, s35, s31
	s_mul_i32 s2, s8, s2
	s_sub_u32 s2, s34, s2
	s_cselect_b64 s[36:37], -1, 0
	s_cmp_lg_u64 s[36:37], 0
	s_subb_u32 s34, s38, s9
	s_sub_u32 s40, s2, s8
	s_cselect_b64 s[38:39], -1, 0
	s_cmp_lg_u64 s[38:39], 0
	s_subb_u32 s41, s34, 0
	s_cmp_ge_u32 s41, s9
	s_cselect_b32 s42, -1, 0
	s_cmp_ge_u32 s40, s8
	s_cselect_b32 s43, -1, 0
	s_cmp_eq_u32 s41, s9
	s_cselect_b32 s42, s43, s42
	s_cmp_lg_u64 s[38:39], 0
	s_subb_u32 s34, s34, s9
	s_sub_u32 s43, s40, s8
	s_cselect_b64 s[38:39], -1, 0
	s_cmp_lg_u64 s[38:39], 0
	s_subb_u32 s34, s34, 0
	s_cmp_lg_u32 s42, 0
	s_cselect_b32 s38, s43, s40
	s_cselect_b32 s34, s34, s41
	s_cmp_lg_u64 s[36:37], 0
	s_subb_u32 s31, s35, s31
	s_cmp_ge_u32 s31, s9
	s_cselect_b32 s35, -1, 0
	s_cmp_ge_u32 s2, s8
	s_cselect_b32 s8, -1, 0
	s_cmp_eq_u32 s31, s9
	s_cselect_b32 s8, s8, s35
	s_cmp_lg_u32 s8, 0
	s_cselect_b32 s9, s34, s31
	s_cselect_b32 s8, s38, s2
	s_xor_b64 s[8:9], s[8:9], s[26:27]
	s_sub_u32 s8, s8, s26
	s_subb_u32 s9, s9, s26
	s_cbranch_execnz .LBB20_148
.LBB20_147:                             ;   in Loop: Header=BB20_7 Depth=1
	v_cvt_f32_u32_e32 v4, s74
	s_sub_i32 s2, 0, s74
	v_rcp_iflag_f32_e32 v4, v4
	s_nop 0
	v_mul_f32_e32 v4, 0x4f7ffffe, v4
	v_cvt_u32_f32_e32 v4, v4
	s_nop 0
	v_readfirstlane_b32 s8, v4
	s_mul_i32 s2, s2, s8
	s_mul_hi_u32 s2, s8, s2
	s_add_i32 s8, s8, s2
	s_mul_hi_u32 s2, s30, s8
	s_mul_i32 s2, s2, s74
	s_sub_i32 s2, s30, s2
	s_sub_i32 s8, s2, s74
	s_cmp_ge_u32 s2, s74
	s_cselect_b32 s2, s8, s2
	s_sub_i32 s8, s2, s74
	s_cmp_ge_u32 s2, s74
	s_cselect_b32 s80, s8, s2
	s_mov_b64 s[8:9], s[80:81]
.LBB20_148:                             ;   in Loop: Header=BB20_7 Depth=1
	s_sub_u32 s8, s30, s8
	s_subb_u32 s9, s3, s9
	v_cmp_gt_i64_e32 vcc, s[8:9], v[0:1]
                                        ; implicit-def: $vgpr35
	s_and_saveexec_b64 s[2:3], vcc
	s_cbranch_execz .LBB20_157
; %bb.149:                              ;   in Loop: Header=BB20_7 Depth=1
	s_mov_b64 s[26:27], 0
	v_mov_b32_e32 v10, v14
	v_mov_b64_e32 v[4:5], v[0:1]
                                        ; implicit-def: $sgpr30_sgpr31
	s_branch .LBB20_152
.LBB20_150:                             ;   in Loop: Header=BB20_152 Depth=2
	s_or_b64 exec, exec, s[34:35]
	s_waitcnt lgkmcnt(0)
	s_barrier
	ds_read_b64 v[34:35], v3 offset:3072
	s_mov_b64 s[34:35], -1
	s_mov_b64 s[36:37], -1
	s_waitcnt lgkmcnt(0)
	s_barrier
	v_cmp_eq_u32_e32 vcc, 0, v34
	s_cbranch_vccnz .LBB20_155
.LBB20_151:                             ;   in Loop: Header=BB20_152 Depth=2
	s_and_b64 s[34:35], exec, s[34:35]
	s_or_b64 s[26:27], s[34:35], s[26:27]
	s_andn2_b64 s[30:31], s[30:31], exec
	s_and_b64 s[34:35], s[36:37], exec
	s_or_b64 s[30:31], s[30:31], s[34:35]
	s_andn2_b64 exec, exec, s[26:27]
	s_cbranch_execz .LBB20_156
.LBB20_152:                             ;   Parent Loop BB20_7 Depth=1
                                        ; =>  This Inner Loop Header: Depth=2
	v_cmp_gt_u64_e32 vcc, s[28:29], v[4:5]
	s_and_saveexec_b64 s[34:35], vcc
	s_cbranch_execz .LBB20_150
; %bb.153:                              ;   in Loop: Header=BB20_152 Depth=2
	ds_read_b32 v33, v10
	s_waitcnt lgkmcnt(0)
	v_bitop3_b32 v11, v33, v50, s86 bitop3:0x48
	v_cmp_eq_u32_e32 vcc, v11, v48
	s_and_b64 exec, exec, vcc
	s_cbranch_execz .LBB20_150
; %bb.154:                              ;   in Loop: Header=BB20_152 Depth=2
	ds_write_b64 v3, v[32:33] offset:3072
	s_branch .LBB20_150
.LBB20_155:                             ;   in Loop: Header=BB20_152 Depth=2
	v_lshl_add_u64 v[4:5], v[4:5], 0, s[74:75]
	v_cmp_le_i64_e32 vcc, s[8:9], v[4:5]
	v_add_u32_e32 v10, s89, v10
	s_mov_b64 s[36:37], 0
	s_orn2_b64 s[34:35], vcc, exec
	s_branch .LBB20_151
.LBB20_156:                             ;   in Loop: Header=BB20_7 Depth=1
	s_or_b64 exec, exec, s[26:27]
	s_andn2_b64 s[6:7], s[6:7], exec
	s_and_b64 s[8:9], s[30:31], exec
	s_or_b64 s[6:7], s[6:7], s[8:9]
.LBB20_157:                             ;   in Loop: Header=BB20_7 Depth=1
	s_or_b64 exec, exec, s[2:3]
	s_mov_b64 s[2:3], 0
	s_mov_b64 s[26:27], -1
.LBB20_158:                             ;   in Loop: Header=BB20_7 Depth=1
	s_orn2_b64 s[6:7], s[6:7], exec
.LBB20_159:                             ;   in Loop: Header=BB20_7 Depth=1
	s_or_b64 exec, exec, s[12:13]
	s_mov_b64 s[8:9], 0
	s_and_saveexec_b64 s[28:29], s[6:7]
	s_cbranch_execz .LBB20_265
; %bb.160:                              ;   in Loop: Header=BB20_7 Depth=1
	s_xor_b64 s[10:11], s[10:11], -1
	v_mov_b32_e32 v2, 1
	v_mov_b64_e32 v[4:5], 1
	s_and_saveexec_b64 s[6:7], s[10:11]
	s_cbranch_execz .LBB20_170
; %bb.161:                              ;   in Loop: Header=BB20_7 Depth=1
	v_cmp_le_i64_e32 vcc, v[8:9], v[6:7]
	s_and_saveexec_b64 s[8:9], vcc
	s_xor_b64 s[8:9], exec, s[8:9]
	s_cbranch_execz .LBB20_167
; %bb.162:                              ;   in Loop: Header=BB20_7 Depth=1
	ds_read_b64 v[4:5], v3 offset:5120
	v_and_b32_e32 v2, s50, v48
	v_lshl_or_b32 v48, 1, s87, v2
	v_or_b32_e32 v50, s56, v50
	s_waitcnt lgkmcnt(0)
	v_cmp_ne_u64_e32 vcc, 0, v[4:5]
	s_cbranch_vccnz .LBB20_166
; %bb.163:                              ;   in Loop: Header=BB20_7 Depth=1
	s_mov_b64 s[10:11], exec
	v_readlane_b32 s12, v62, 8
	v_readlane_b32 s13, v62, 9
	s_and_b64 s[12:13], s[10:11], s[12:13]
	s_mov_b64 exec, s[12:13]
; %bb.164:                              ;   in Loop: Header=BB20_7 Depth=1
	ds_write_b64 v3, v[6:7] offset:5128
; %bb.165:                              ;   in Loop: Header=BB20_7 Depth=1
	s_or_b64 exec, exec, s[10:11]
	s_waitcnt lgkmcnt(0)
	s_barrier
.LBB20_166:                             ;   in Loop: Header=BB20_7 Depth=1
                                        ; implicit-def: $vgpr4_vgpr5_vgpr6_vgpr7
.LBB20_167:                             ;   in Loop: Header=BB20_7 Depth=1
	s_or_saveexec_b64 s[8:9], s[8:9]
	s_mov_b64 s[10:11], 0
	v_mov_b32_e32 v2, 8
	s_xor_b64 exec, exec, s[8:9]
; %bb.168:                              ;   in Loop: Header=BB20_7 Depth=1
	v_sub_co_u32_e32 v8, vcc, v8, v6
	s_mov_b64 s[10:11], exec
	s_nop 0
	v_subb_co_u32_e32 v9, vcc, v9, v7, vcc
	v_mov_b32_e32 v2, 0
; %bb.169:                              ;   in Loop: Header=BB20_7 Depth=1
	s_or_b64 exec, exec, s[8:9]
	s_and_b64 s[8:9], s[10:11], exec
	v_mov_b64_e32 v[4:5], v[8:9]
.LBB20_170:                             ;   in Loop: Header=BB20_7 Depth=1
	s_or_b64 exec, exec, s[6:7]
	s_mov_b64 s[6:7], -1
                                        ; implicit-def: $sgpr30_sgpr31
                                        ; implicit-def: $sgpr36_sgpr37
	s_and_saveexec_b64 s[12:13], s[8:9]
	s_cbranch_execz .LBB20_264
; %bb.171:                              ;   in Loop: Header=BB20_7 Depth=1
	s_cmp_eq_u64 s[24:25], 1
	s_cselect_b64 s[6:7], -1, 0
	v_cmp_eq_u64_e32 vcc, 1, v[4:5]
	s_and_b64 s[10:11], s[6:7], vcc
	s_mov_b64 s[6:7], -1
                                        ; implicit-def: $sgpr36_sgpr37
                                        ; implicit-def: $sgpr30_sgpr31
	s_and_saveexec_b64 s[38:39], s[10:11]
	s_cbranch_execz .LBB20_205
; %bb.172:                              ;   in Loop: Header=BB20_7 Depth=1
	ds_read_b64 v[6:7], v3 offset:5120
	s_waitcnt lgkmcnt(0)
	s_barrier
	v_readfirstlane_b32 s40, v6
	v_readfirstlane_b32 s41, v7
	s_mov_b64 s[6:7], exec
	v_readlane_b32 s8, v62, 12
	v_readlane_b32 s9, v62, 13
	s_and_b64 s[8:9], s[6:7], s[8:9]
	s_mov_b64 exec, s[8:9]
; %bb.173:                              ;   in Loop: Header=BB20_7 Depth=1
	ds_write_b32 v43, v3
; %bb.174:                              ;   in Loop: Header=BB20_7 Depth=1
	s_or_b64 exec, exec, s[6:7]
	v_and_b32_e32 v6, s50, v48
	v_cmp_gt_i64_e64 s[6:7], s[40:41], 0
	v_lshl_or_b32 v48, 2, s87, v6
	v_or_b32_e32 v50, s56, v50
	s_mov_b64 s[30:31], -1
	s_mov_b64 s[36:37], 0
	s_and_b64 vcc, exec, s[6:7]
	s_mov_b64 s[6:7], 0
	s_mov_b64 s[8:9], -1
	s_waitcnt lgkmcnt(0)
	s_barrier
                                        ; implicit-def: $vgpr35
	s_cbranch_vccnz .LBB20_190
; %bb.175:                              ;   in Loop: Header=BB20_7 Depth=1
	s_mov_b32 s68, s81
	s_cmp_lg_u64 s[68:69], 0
	s_cbranch_scc0 .LBB20_231
; %bb.176:                              ;   in Loop: Header=BB20_7 Depth=1
	s_add_u32 s6, s74, 0
	s_addc_u32 s7, 0, 0
	s_xor_b64 s[6:7], s[6:7], 0
	v_cvt_f32_u32_e32 v6, s6
	v_cvt_f32_u32_e32 v7, s7
	s_sub_u32 s34, 0, s6
	s_subb_u32 s35, 0, s7
	v_fmac_f32_e32 v6, 0x4f800000, v7
	v_rcp_f32_e32 v6, v6
	s_nop 0
	v_mul_f32_e32 v6, 0x5f7ffffc, v6
	v_mul_f32_e32 v7, 0x2f800000, v6
	v_trunc_f32_e32 v7, v7
	v_fmac_f32_e32 v6, 0xcf800000, v7
	v_cvt_u32_f32_e32 v7, v7
	v_cvt_u32_f32_e32 v6, v6
	v_readfirstlane_b32 s42, v7
	v_readfirstlane_b32 s8, v6
	s_mul_i32 s9, s34, s42
	s_mul_hi_u32 s44, s34, s8
	s_mul_i32 s43, s35, s8
	s_add_i32 s9, s44, s9
	s_mul_i32 s45, s34, s8
	s_add_i32 s9, s9, s43
	s_mul_i32 s44, s8, s9
	s_mul_hi_u32 s46, s8, s45
	s_mul_hi_u32 s43, s8, s9
	s_add_u32 s44, s46, s44
	s_addc_u32 s43, 0, s43
	s_mul_hi_u32 s47, s42, s45
	s_mul_i32 s45, s42, s45
	s_add_u32 s44, s44, s45
	s_mul_hi_u32 s46, s42, s9
	s_addc_u32 s43, s43, s47
	s_addc_u32 s44, s46, 0
	s_mul_i32 s9, s42, s9
	s_add_u32 s9, s43, s9
	s_addc_u32 s43, 0, s44
	s_add_u32 s44, s8, s9
	s_cselect_b64 s[8:9], -1, 0
	s_cmp_lg_u64 s[8:9], 0
	s_addc_u32 s42, s42, s43
	s_mul_i32 s8, s34, s42
	s_mul_hi_u32 s9, s34, s44
	s_add_i32 s8, s9, s8
	s_mul_i32 s35, s35, s44
	s_add_i32 s8, s8, s35
	s_mul_i32 s34, s34, s44
	s_mul_hi_u32 s35, s42, s34
	s_mul_i32 s43, s42, s34
	s_mul_i32 s46, s44, s8
	s_mul_hi_u32 s34, s44, s34
	s_mul_hi_u32 s45, s44, s8
	s_add_u32 s34, s34, s46
	s_addc_u32 s45, 0, s45
	s_add_u32 s34, s34, s43
	s_mul_hi_u32 s9, s42, s8
	s_addc_u32 s34, s45, s35
	s_addc_u32 s9, s9, 0
	s_mul_i32 s8, s42, s8
	s_add_u32 s8, s34, s8
	s_addc_u32 s34, 0, s9
	s_add_u32 s43, s44, s8
	s_cselect_b64 s[8:9], -1, 0
	s_cmp_lg_u64 s[8:9], 0
	s_addc_u32 s42, s42, s34
	s_ashr_i32 s8, s69, 31
	v_readlane_b32 s34, v62, 23
	s_add_u32 s34, s34, s8
	s_mov_b32 s9, s8
	s_addc_u32 s35, s69, s8
	s_xor_b64 s[34:35], s[34:35], s[8:9]
	s_mul_i32 s45, s34, s42
	s_mul_hi_u32 s46, s34, s43
	s_mul_hi_u32 s44, s34, s42
	s_add_u32 s45, s46, s45
	s_addc_u32 s44, 0, s44
	s_mul_hi_u32 s47, s35, s43
	s_mul_i32 s43, s35, s43
	s_add_u32 s43, s45, s43
	s_mul_hi_u32 s46, s35, s42
	s_addc_u32 s43, s44, s47
	s_addc_u32 s44, s46, 0
	s_mul_i32 s42, s35, s42
	s_add_u32 s42, s43, s42
	s_addc_u32 s43, 0, s44
	s_mul_i32 s43, s6, s43
	s_mul_hi_u32 s44, s6, s42
	s_add_i32 s43, s44, s43
	s_mul_i32 s44, s7, s42
	s_add_i32 s46, s43, s44
	s_sub_i32 s44, s35, s46
	s_mul_i32 s42, s6, s42
	s_sub_u32 s34, s34, s42
	s_cselect_b64 s[42:43], -1, 0
	s_cmp_lg_u64 s[42:43], 0
	s_subb_u32 s47, s44, s7
	s_sub_u32 s48, s34, s6
	s_cselect_b64 s[44:45], -1, 0
	s_cmp_lg_u64 s[44:45], 0
	s_subb_u32 s49, s47, 0
	s_cmp_ge_u32 s49, s7
	s_cselect_b32 s51, -1, 0
	s_cmp_ge_u32 s48, s6
	s_cselect_b32 s52, -1, 0
	s_cmp_eq_u32 s49, s7
	s_cselect_b32 s51, s52, s51
	s_cmp_lg_u64 s[44:45], 0
	s_subb_u32 s47, s47, s7
	s_sub_u32 s52, s48, s6
	s_cselect_b64 s[44:45], -1, 0
	s_cmp_lg_u64 s[44:45], 0
	s_subb_u32 s44, s47, 0
	s_cmp_lg_u32 s51, 0
	s_cselect_b32 s45, s52, s48
	s_cselect_b32 s44, s44, s49
	s_cmp_lg_u64 s[42:43], 0
	s_subb_u32 s35, s35, s46
	s_cmp_ge_u32 s35, s7
	s_cselect_b32 s42, -1, 0
	s_cmp_ge_u32 s34, s6
	s_cselect_b32 s6, -1, 0
	s_cmp_eq_u32 s35, s7
	s_cselect_b32 s6, s6, s42
	s_cmp_lg_u32 s6, 0
	s_cselect_b32 s7, s44, s35
	s_cselect_b32 s6, s45, s34
	s_xor_b64 s[6:7], s[6:7], s[8:9]
	s_sub_u32 s6, s6, s8
	s_subb_u32 s7, s7, s8
	s_cbranch_execnz .LBB20_178
.LBB20_177:                             ;   in Loop: Header=BB20_7 Depth=1
	v_cvt_f32_u32_e32 v6, s74
	s_sub_i32 s6, 0, s74
	v_readlane_b32 s8, v62, 23
	v_rcp_iflag_f32_e32 v6, v6
	s_nop 0
	v_mul_f32_e32 v6, 0x4f7ffffe, v6
	v_cvt_u32_f32_e32 v6, v6
	s_nop 0
	v_readfirstlane_b32 s7, v6
	s_mul_i32 s6, s6, s7
	s_mul_hi_u32 s6, s7, s6
	s_add_i32 s7, s7, s6
	s_mul_hi_u32 s6, s8, s7
	s_mul_i32 s6, s6, s74
	s_sub_i32 s6, s8, s6
	s_sub_i32 s7, s6, s74
	s_cmp_ge_u32 s6, s74
	s_cselect_b32 s6, s7, s6
	s_sub_i32 s7, s6, s74
	s_cmp_ge_u32 s6, s74
	s_cselect_b32 s80, s7, s6
	s_mov_b64 s[6:7], s[80:81]
.LBB20_178:                             ;   in Loop: Header=BB20_7 Depth=1
	v_readlane_b32 s8, v62, 23
	s_sub_u32 s42, s8, s6
	s_subb_u32 s43, s69, s7
	v_cmp_gt_i64_e32 vcc, s[42:43], v[0:1]
	s_mov_b64 s[8:9], 0
	s_mov_b64 s[6:7], 0
                                        ; implicit-def: $vgpr35
	s_and_saveexec_b64 s[34:35], vcc
	s_cbranch_execz .LBB20_189
; %bb.179:                              ;   in Loop: Header=BB20_7 Depth=1
	v_mov_b64_e32 v[6:7], v[12:13]
	v_mov_b64_e32 v[8:9], v[0:1]
                                        ; implicit-def: $sgpr44_sgpr45
	s_branch .LBB20_182
.LBB20_180:                             ;   in Loop: Header=BB20_182 Depth=2
	s_or_b64 exec, exec, s[46:47]
	s_waitcnt lgkmcnt(0)
	s_barrier
	ds_read_b64 v[34:35], v3 offset:3072
	s_mov_b64 s[46:47], -1
	s_mov_b64 s[48:49], -1
	s_waitcnt lgkmcnt(0)
	s_barrier
	v_cmp_ne_u32_e32 vcc, 0, v34
	s_cbranch_vccz .LBB20_185
.LBB20_181:                             ;   in Loop: Header=BB20_182 Depth=2
	s_and_b64 s[46:47], exec, s[46:47]
	s_or_b64 s[6:7], s[46:47], s[6:7]
	s_andn2_b64 s[44:45], s[44:45], exec
	s_and_b64 s[46:47], s[48:49], exec
	s_or_b64 s[44:45], s[44:45], s[46:47]
	s_andn2_b64 exec, exec, s[6:7]
	s_cbranch_execz .LBB20_188
.LBB20_182:                             ;   Parent Loop BB20_7 Depth=1
                                        ; =>  This Inner Loop Header: Depth=2
	v_cmp_gt_i64_e32 vcc, s[60:61], v[8:9]
	s_and_saveexec_b64 s[46:47], vcc
	s_cbranch_execz .LBB20_180
; %bb.183:                              ;   in Loop: Header=BB20_182 Depth=2
	global_load_dword v33, v[6:7], off
	s_waitcnt vmcnt(0)
	v_bitop3_b32 v10, v33, v50, s86 bitop3:0x48
	v_cmp_eq_u32_e32 vcc, v10, v48
	s_and_b64 exec, exec, vcc
	s_cbranch_execz .LBB20_180
; %bb.184:                              ;   in Loop: Header=BB20_182 Depth=2
	ds_write_b64 v3, v[32:33] offset:3072
	s_branch .LBB20_180
.LBB20_185:                             ;   in Loop: Header=BB20_182 Depth=2
	v_lshl_add_u64 v[8:9], v[8:9], 0, s[74:75]
	v_cmp_le_i64_e32 vcc, s[42:43], v[8:9]
	v_lshl_add_u64 v[6:7], v[6:7], 0, s[94:95]
	s_mov_b64 s[48:49], 0
	s_orn2_b64 s[46:47], vcc, exec
	s_branch .LBB20_181
.LBB20_186:                             ;   in Loop: Header=BB20_7 Depth=1
                                        ; implicit-def: $sgpr6_sgpr7
	s_andn2_b64 vcc, exec, s[8:9]
	s_cbranch_vccz .LBB20_131
	s_branch .LBB20_132
.LBB20_187:                             ;   in Loop: Header=BB20_7 Depth=1
                                        ; implicit-def: $sgpr8_sgpr9
	s_branch .LBB20_147
.LBB20_188:                             ;   in Loop: Header=BB20_7 Depth=1
	s_or_b64 exec, exec, s[6:7]
	s_and_b64 s[6:7], s[44:45], exec
.LBB20_189:                             ;   in Loop: Header=BB20_7 Depth=1
	s_or_b64 exec, exec, s[34:35]
.LBB20_190:                             ;   in Loop: Header=BB20_7 Depth=1
	s_and_b64 vcc, exec, s[8:9]
	s_cbranch_vccz .LBB20_204
; %bb.191:                              ;   in Loop: Header=BB20_7 Depth=1
	v_readlane_b32 s8, v62, 22
	s_add_u32 s36, s40, s8
	v_readlane_b32 s8, v62, 24
	s_addc_u32 s9, s41, s8
	s_mov_b32 s8, s81
	s_cmp_lg_u64 s[8:9], 0
	s_cbranch_scc0 .LBB20_232
; %bb.192:                              ;   in Loop: Header=BB20_7 Depth=1
	s_add_u32 s30, s74, 0
	s_addc_u32 s31, 0, 0
	s_xor_b64 s[30:31], s[30:31], 0
	v_cvt_f32_u32_e32 v6, s30
	v_cvt_f32_u32_e32 v7, s31
	s_sub_u32 s8, 0, s30
	s_subb_u32 s37, 0, s31
	v_fmac_f32_e32 v6, 0x4f800000, v7
	v_rcp_f32_e32 v6, v6
	s_nop 0
	v_mul_f32_e32 v6, 0x5f7ffffc, v6
	v_mul_f32_e32 v7, 0x2f800000, v6
	v_trunc_f32_e32 v7, v7
	v_fmac_f32_e32 v6, 0xcf800000, v7
	v_cvt_u32_f32_e32 v7, v7
	v_cvt_u32_f32_e32 v6, v6
	v_readfirstlane_b32 s42, v7
	v_readfirstlane_b32 s34, v6
	s_mul_i32 s35, s8, s42
	s_mul_hi_u32 s44, s8, s34
	s_mul_i32 s43, s37, s34
	s_add_i32 s35, s44, s35
	s_mul_i32 s45, s8, s34
	s_add_i32 s35, s35, s43
	s_mul_i32 s44, s34, s35
	s_mul_hi_u32 s46, s34, s45
	s_mul_hi_u32 s43, s34, s35
	s_add_u32 s44, s46, s44
	s_addc_u32 s43, 0, s43
	s_mul_hi_u32 s47, s42, s45
	s_mul_i32 s45, s42, s45
	s_add_u32 s44, s44, s45
	s_mul_hi_u32 s46, s42, s35
	s_addc_u32 s43, s43, s47
	s_addc_u32 s44, s46, 0
	s_mul_i32 s35, s42, s35
	s_add_u32 s35, s43, s35
	s_addc_u32 s43, 0, s44
	s_add_u32 s44, s34, s35
	s_cselect_b64 s[34:35], -1, 0
	s_cmp_lg_u64 s[34:35], 0
	s_addc_u32 s42, s42, s43
	s_mul_i32 s34, s8, s42
	s_mul_hi_u32 s35, s8, s44
	s_add_i32 s34, s35, s34
	s_mul_i32 s37, s37, s44
	s_add_i32 s34, s34, s37
	s_mul_i32 s8, s8, s44
	s_mul_hi_u32 s37, s42, s8
	s_mul_i32 s43, s42, s8
	s_mul_i32 s46, s44, s34
	s_mul_hi_u32 s8, s44, s8
	s_mul_hi_u32 s45, s44, s34
	s_add_u32 s8, s8, s46
	s_addc_u32 s45, 0, s45
	s_add_u32 s8, s8, s43
	s_mul_hi_u32 s35, s42, s34
	s_addc_u32 s8, s45, s37
	s_addc_u32 s35, s35, 0
	s_mul_i32 s34, s42, s34
	s_add_u32 s8, s8, s34
	s_addc_u32 s37, 0, s35
	s_add_u32 s8, s44, s8
	s_cselect_b64 s[34:35], -1, 0
	s_cmp_lg_u64 s[34:35], 0
	s_addc_u32 s37, s42, s37
	s_ashr_i32 s34, s9, 31
	s_add_u32 s42, s36, s34
	s_mov_b32 s35, s34
	s_addc_u32 s43, s9, s34
	s_xor_b64 s[42:43], s[42:43], s[34:35]
	s_mul_i32 s45, s42, s37
	s_mul_hi_u32 s46, s42, s8
	s_mul_hi_u32 s44, s42, s37
	s_add_u32 s45, s46, s45
	s_addc_u32 s44, 0, s44
	s_mul_hi_u32 s47, s43, s8
	s_mul_i32 s8, s43, s8
	s_add_u32 s8, s45, s8
	s_mul_hi_u32 s46, s43, s37
	s_addc_u32 s8, s44, s47
	s_addc_u32 s44, s46, 0
	s_mul_i32 s37, s43, s37
	s_add_u32 s8, s8, s37
	s_addc_u32 s37, 0, s44
	s_mul_i32 s37, s30, s37
	s_mul_hi_u32 s44, s30, s8
	s_add_i32 s37, s44, s37
	s_mul_i32 s44, s31, s8
	s_add_i32 s37, s37, s44
	s_sub_i32 s46, s43, s37
	s_mul_i32 s8, s30, s8
	s_sub_u32 s8, s42, s8
	s_cselect_b64 s[44:45], -1, 0
	s_cmp_lg_u64 s[44:45], 0
	s_subb_u32 s42, s46, s31
	s_sub_u32 s48, s8, s30
	s_cselect_b64 s[46:47], -1, 0
	s_cmp_lg_u64 s[46:47], 0
	s_subb_u32 s49, s42, 0
	s_cmp_ge_u32 s49, s31
	s_cselect_b32 s51, -1, 0
	s_cmp_ge_u32 s48, s30
	s_cselect_b32 s52, -1, 0
	s_cmp_eq_u32 s49, s31
	s_cselect_b32 s51, s52, s51
	s_cmp_lg_u64 s[46:47], 0
	s_subb_u32 s42, s42, s31
	s_sub_u32 s52, s48, s30
	s_cselect_b64 s[46:47], -1, 0
	s_cmp_lg_u64 s[46:47], 0
	s_subb_u32 s42, s42, 0
	s_cmp_lg_u32 s51, 0
	s_cselect_b32 s46, s52, s48
	s_cselect_b32 s42, s42, s49
	s_cmp_lg_u64 s[44:45], 0
	s_subb_u32 s37, s43, s37
	s_cmp_ge_u32 s37, s31
	s_cselect_b32 s43, -1, 0
	s_cmp_ge_u32 s8, s30
	s_cselect_b32 s30, -1, 0
	s_cmp_eq_u32 s37, s31
	s_cselect_b32 s30, s30, s43
	s_cmp_lg_u32 s30, 0
	s_cselect_b32 s31, s42, s37
	s_cselect_b32 s30, s46, s8
	s_xor_b64 s[30:31], s[30:31], s[34:35]
	s_sub_u32 s30, s30, s34
	s_subb_u32 s31, s31, s34
	s_cbranch_execnz .LBB20_194
.LBB20_193:                             ;   in Loop: Header=BB20_7 Depth=1
	v_cvt_f32_u32_e32 v6, s74
	s_sub_i32 s8, 0, s74
	v_rcp_iflag_f32_e32 v6, v6
	s_nop 0
	v_mul_f32_e32 v6, 0x4f7ffffe, v6
	v_cvt_u32_f32_e32 v6, v6
	s_nop 0
	v_readfirstlane_b32 s30, v6
	s_mul_i32 s8, s8, s30
	s_mul_hi_u32 s8, s30, s8
	s_add_i32 s30, s30, s8
	s_mul_hi_u32 s8, s36, s30
	s_mul_i32 s8, s8, s74
	s_sub_i32 s8, s36, s8
	s_sub_i32 s30, s8, s74
	s_cmp_ge_u32 s8, s74
	s_cselect_b32 s8, s30, s8
	s_sub_i32 s30, s8, s74
	s_cmp_ge_u32 s8, s74
	s_cselect_b32 s80, s30, s8
	s_mov_b64 s[30:31], s[80:81]
.LBB20_194:                             ;   in Loop: Header=BB20_7 Depth=1
	s_sub_u32 s30, s36, s30
	s_subb_u32 s31, s9, s31
	v_cmp_gt_i64_e32 vcc, s[30:31], v[0:1]
                                        ; implicit-def: $vgpr35
	s_and_saveexec_b64 s[8:9], vcc
	s_cbranch_execz .LBB20_203
; %bb.195:                              ;   in Loop: Header=BB20_7 Depth=1
	s_mov_b64 s[34:35], 0
	v_mov_b32_e32 v8, v14
	v_mov_b64_e32 v[6:7], v[0:1]
                                        ; implicit-def: $sgpr36_sgpr37
	s_branch .LBB20_198
.LBB20_196:                             ;   in Loop: Header=BB20_198 Depth=2
	s_or_b64 exec, exec, s[42:43]
	s_waitcnt lgkmcnt(0)
	s_barrier
	ds_read_b64 v[34:35], v3 offset:3072
	s_mov_b64 s[42:43], -1
	s_mov_b64 s[44:45], -1
	s_waitcnt lgkmcnt(0)
	s_barrier
	v_cmp_eq_u32_e32 vcc, 0, v34
	s_cbranch_vccnz .LBB20_201
.LBB20_197:                             ;   in Loop: Header=BB20_198 Depth=2
	s_and_b64 s[42:43], exec, s[42:43]
	s_or_b64 s[34:35], s[42:43], s[34:35]
	s_andn2_b64 s[36:37], s[36:37], exec
	s_and_b64 s[42:43], s[44:45], exec
	s_or_b64 s[36:37], s[36:37], s[42:43]
	s_andn2_b64 exec, exec, s[34:35]
	s_cbranch_execz .LBB20_202
.LBB20_198:                             ;   Parent Loop BB20_7 Depth=1
                                        ; =>  This Inner Loop Header: Depth=2
	v_cmp_gt_u64_e32 vcc, s[40:41], v[6:7]
	s_and_saveexec_b64 s[42:43], vcc
	s_cbranch_execz .LBB20_196
; %bb.199:                              ;   in Loop: Header=BB20_198 Depth=2
	ds_read_b32 v33, v8
	s_waitcnt lgkmcnt(0)
	v_bitop3_b32 v9, v33, v50, s86 bitop3:0x48
	v_cmp_eq_u32_e32 vcc, v9, v48
	s_and_b64 exec, exec, vcc
	s_cbranch_execz .LBB20_196
; %bb.200:                              ;   in Loop: Header=BB20_198 Depth=2
	ds_write_b64 v3, v[32:33] offset:3072
	s_branch .LBB20_196
.LBB20_201:                             ;   in Loop: Header=BB20_198 Depth=2
	v_lshl_add_u64 v[6:7], v[6:7], 0, s[74:75]
	v_cmp_le_i64_e32 vcc, s[30:31], v[6:7]
	v_add_u32_e32 v8, s89, v8
	s_mov_b64 s[44:45], 0
	s_orn2_b64 s[42:43], vcc, exec
	s_branch .LBB20_197
.LBB20_202:                             ;   in Loop: Header=BB20_7 Depth=1
	s_or_b64 exec, exec, s[34:35]
	s_andn2_b64 s[6:7], s[6:7], exec
	s_and_b64 s[30:31], s[36:37], exec
	s_or_b64 s[6:7], s[6:7], s[30:31]
.LBB20_203:                             ;   in Loop: Header=BB20_7 Depth=1
	s_or_b64 exec, exec, s[8:9]
	s_mov_b64 s[30:31], 0
	s_mov_b64 s[36:37], -1
.LBB20_204:                             ;   in Loop: Header=BB20_7 Depth=1
	s_orn2_b64 s[6:7], s[6:7], exec
.LBB20_205:                             ;   in Loop: Header=BB20_7 Depth=1
	s_or_b64 exec, exec, s[38:39]
	s_mov_b64 s[8:9], 0
	s_and_saveexec_b64 s[38:39], s[6:7]
	s_cbranch_execz .LBB20_263
; %bb.206:                              ;   in Loop: Header=BB20_7 Depth=1
	s_xor_b64 s[10:11], s[10:11], -1
	v_mov_b32_e32 v2, 1
	v_mov_b64_e32 v[6:7], 1
	s_and_saveexec_b64 s[6:7], s[10:11]
	s_cbranch_execz .LBB20_215
; %bb.207:                              ;   in Loop: Header=BB20_7 Depth=1
	v_cmp_ge_i64_e32 vcc, s[24:25], v[4:5]
	s_and_saveexec_b64 s[8:9], vcc
	s_xor_b64 s[8:9], exec, s[8:9]
	s_cbranch_execz .LBB20_212
; %bb.208:                              ;   in Loop: Header=BB20_7 Depth=1
	ds_read_b64 v[6:7], v3 offset:5120
	v_and_b32_e32 v2, s50, v48
	v_lshl_or_b32 v48, 2, s87, v2
	v_or_b32_e32 v50, s56, v50
	s_waitcnt lgkmcnt(0)
	v_cmp_ne_u64_e32 vcc, 0, v[6:7]
	s_cbranch_vccnz .LBB20_212
; %bb.209:                              ;   in Loop: Header=BB20_7 Depth=1
	s_mov_b64 s[10:11], exec
	v_readlane_b32 s34, v62, 8
	v_readlane_b32 s35, v62, 9
	s_and_b64 s[34:35], s[10:11], s[34:35]
	s_mov_b64 exec, s[34:35]
; %bb.210:                              ;   in Loop: Header=BB20_7 Depth=1
	v_mov_b64_e32 v[6:7], s[24:25]
	ds_write_b64 v3, v[6:7] offset:5128
; %bb.211:                              ;   in Loop: Header=BB20_7 Depth=1
	s_or_b64 exec, exec, s[10:11]
	s_waitcnt lgkmcnt(0)
	s_barrier
.LBB20_212:                             ;   in Loop: Header=BB20_7 Depth=1
	s_or_saveexec_b64 s[8:9], s[8:9]
	s_mov_b64 s[10:11], 0
	v_mov_b32_e32 v2, 8
	s_xor_b64 exec, exec, s[8:9]
; %bb.213:                              ;   in Loop: Header=BB20_7 Depth=1
	v_mov_b32_e32 v2, s25
	v_subrev_co_u32_e32 v4, vcc, s24, v4
	s_mov_b64 s[10:11], exec
	s_nop 0
	v_subb_co_u32_e32 v5, vcc, v5, v2, vcc
	v_mov_b32_e32 v2, 0
; %bb.214:                              ;   in Loop: Header=BB20_7 Depth=1
	s_or_b64 exec, exec, s[8:9]
	s_and_b64 s[8:9], s[10:11], exec
	v_mov_b64_e32 v[6:7], v[4:5]
.LBB20_215:                             ;   in Loop: Header=BB20_7 Depth=1
	s_or_b64 exec, exec, s[6:7]
	s_mov_b64 s[6:7], -1
                                        ; implicit-def: $sgpr46_sgpr47
                                        ; implicit-def: $sgpr44_sgpr45
	s_and_saveexec_b64 s[10:11], s[8:9]
	s_cbranch_execz .LBB20_262
; %bb.216:                              ;   in Loop: Header=BB20_7 Depth=1
	s_cmp_eq_u64 s[16:17], 1
	s_cselect_b64 s[6:7], -1, 0
	v_cmp_eq_u64_e32 vcc, 1, v[6:7]
	s_and_b64 s[24:25], s[6:7], vcc
	s_mov_b64 s[8:9], -1
                                        ; implicit-def: $sgpr46_sgpr47
                                        ; implicit-def: $sgpr44_sgpr45
	s_and_saveexec_b64 s[40:41], s[24:25]
	s_cbranch_execz .LBB20_250
; %bb.217:                              ;   in Loop: Header=BB20_7 Depth=1
	ds_read_b64 v[4:5], v3 offset:5120
	s_waitcnt lgkmcnt(0)
	s_barrier
	v_readfirstlane_b32 s42, v4
	v_readfirstlane_b32 s43, v5
	s_mov_b64 s[6:7], exec
	v_readlane_b32 s8, v62, 12
	v_readlane_b32 s9, v62, 13
	s_and_b64 s[8:9], s[6:7], s[8:9]
	s_mov_b64 exec, s[8:9]
; %bb.218:                              ;   in Loop: Header=BB20_7 Depth=1
	ds_write_b32 v43, v3
; %bb.219:                              ;   in Loop: Header=BB20_7 Depth=1
	s_or_b64 exec, exec, s[6:7]
	v_cmp_gt_i64_e64 s[6:7], s[42:43], 0
	v_or_b32_e32 v48, s56, v48
	v_or_b32_e32 v50, s56, v50
	s_mov_b64 s[44:45], -1
	s_mov_b64 s[46:47], 0
	s_and_b64 vcc, exec, s[6:7]
	s_mov_b64 s[6:7], 0
	s_mov_b64 s[8:9], -1
	s_waitcnt lgkmcnt(0)
	s_barrier
                                        ; implicit-def: $vgpr35
	s_cbranch_vccnz .LBB20_235
; %bb.220:                              ;   in Loop: Header=BB20_7 Depth=1
	s_mov_b32 s68, s81
	s_cmp_lg_u64 s[68:69], 0
	s_cbranch_scc0 .LBB20_269
; %bb.221:                              ;   in Loop: Header=BB20_7 Depth=1
	s_add_u32 s6, s74, 0
	s_addc_u32 s7, 0, 0
	s_xor_b64 s[6:7], s[6:7], 0
	v_cvt_f32_u32_e32 v4, s6
	v_cvt_f32_u32_e32 v5, s7
	s_sub_u32 s34, 0, s6
	s_subb_u32 s35, 0, s7
	v_fmac_f32_e32 v4, 0x4f800000, v5
	v_rcp_f32_e32 v4, v4
	s_nop 0
	v_mul_f32_e32 v4, 0x5f7ffffc, v4
	v_mul_f32_e32 v5, 0x2f800000, v4
	v_trunc_f32_e32 v5, v5
	v_fmac_f32_e32 v4, 0xcf800000, v5
	v_cvt_u32_f32_e32 v5, v5
	v_cvt_u32_f32_e32 v4, v4
	v_readfirstlane_b32 s48, v5
	v_readfirstlane_b32 s8, v4
	s_mul_i32 s9, s34, s48
	s_mul_hi_u32 s50, s34, s8
	s_mul_i32 s49, s35, s8
	s_add_i32 s9, s50, s9
	s_mul_i32 s51, s34, s8
	s_add_i32 s9, s9, s49
	s_mul_i32 s50, s8, s9
	s_mul_hi_u32 s52, s8, s51
	s_mul_hi_u32 s49, s8, s9
	s_add_u32 s50, s52, s50
	s_addc_u32 s49, 0, s49
	s_mul_hi_u32 s53, s48, s51
	s_mul_i32 s51, s48, s51
	s_add_u32 s50, s50, s51
	s_mul_hi_u32 s52, s48, s9
	s_addc_u32 s49, s49, s53
	s_addc_u32 s50, s52, 0
	s_mul_i32 s9, s48, s9
	s_add_u32 s9, s49, s9
	s_addc_u32 s49, 0, s50
	s_add_u32 s50, s8, s9
	s_cselect_b64 s[8:9], -1, 0
	s_cmp_lg_u64 s[8:9], 0
	s_addc_u32 s48, s48, s49
	s_mul_i32 s8, s34, s48
	s_mul_hi_u32 s9, s34, s50
	s_add_i32 s8, s9, s8
	s_mul_i32 s35, s35, s50
	s_add_i32 s8, s8, s35
	s_mul_i32 s34, s34, s50
	s_mul_hi_u32 s35, s48, s34
	s_mul_i32 s49, s48, s34
	s_mul_i32 s52, s50, s8
	s_mul_hi_u32 s34, s50, s34
	s_mul_hi_u32 s51, s50, s8
	s_add_u32 s34, s34, s52
	s_addc_u32 s51, 0, s51
	s_add_u32 s34, s34, s49
	s_mul_hi_u32 s9, s48, s8
	s_addc_u32 s34, s51, s35
	s_addc_u32 s9, s9, 0
	s_mul_i32 s8, s48, s8
	s_add_u32 s8, s34, s8
	s_addc_u32 s34, 0, s9
	s_add_u32 s49, s50, s8
	s_cselect_b64 s[8:9], -1, 0
	s_cmp_lg_u64 s[8:9], 0
	s_addc_u32 s48, s48, s34
	s_ashr_i32 s8, s69, 31
	v_readlane_b32 s34, v62, 23
	s_add_u32 s34, s34, s8
	s_mov_b32 s9, s8
	s_addc_u32 s35, s69, s8
	s_xor_b64 s[34:35], s[34:35], s[8:9]
	s_mul_i32 s51, s34, s48
	s_mul_hi_u32 s52, s34, s49
	s_mul_hi_u32 s50, s34, s48
	s_add_u32 s51, s52, s51
	s_addc_u32 s50, 0, s50
	s_mul_hi_u32 s53, s35, s49
	s_mul_i32 s49, s35, s49
	s_add_u32 s49, s51, s49
	s_mul_hi_u32 s52, s35, s48
	s_addc_u32 s49, s50, s53
	s_addc_u32 s50, s52, 0
	s_mul_i32 s48, s35, s48
	s_add_u32 s48, s49, s48
	s_addc_u32 s49, 0, s50
	s_mul_i32 s49, s6, s49
	s_mul_hi_u32 s50, s6, s48
	s_add_i32 s49, s50, s49
	s_mul_i32 s50, s7, s48
	s_add_i32 s52, s49, s50
	s_sub_i32 s50, s35, s52
	s_mul_i32 s48, s6, s48
	s_sub_u32 s34, s34, s48
	s_cselect_b64 s[48:49], -1, 0
	s_cmp_lg_u64 s[48:49], 0
	s_subb_u32 s53, s50, s7
	s_sub_u32 s54, s34, s6
	s_cselect_b64 s[50:51], -1, 0
	s_cmp_lg_u64 s[50:51], 0
	s_subb_u32 s55, s53, 0
	s_cmp_ge_u32 s55, s7
	s_cselect_b32 s57, -1, 0
	s_cmp_ge_u32 s54, s6
	s_cselect_b32 s68, -1, 0
	s_cmp_eq_u32 s55, s7
	s_cselect_b32 s57, s68, s57
	s_cmp_lg_u64 s[50:51], 0
	s_subb_u32 s53, s53, s7
	s_sub_u32 s68, s54, s6
	s_cselect_b64 s[50:51], -1, 0
	s_cmp_lg_u64 s[50:51], 0
	s_subb_u32 s50, s53, 0
	s_cmp_lg_u32 s57, 0
	s_cselect_b32 s51, s68, s54
	s_cselect_b32 s50, s50, s55
	s_cmp_lg_u64 s[48:49], 0
	s_subb_u32 s35, s35, s52
	s_cmp_ge_u32 s35, s7
	s_cselect_b32 s48, -1, 0
	s_cmp_ge_u32 s34, s6
	s_cselect_b32 s6, -1, 0
	s_cmp_eq_u32 s35, s7
	s_cselect_b32 s6, s6, s48
	s_cmp_lg_u32 s6, 0
	s_cselect_b32 s7, s50, s35
	s_cselect_b32 s6, s51, s34
	s_xor_b64 s[6:7], s[6:7], s[8:9]
	s_sub_u32 s6, s6, s8
	s_subb_u32 s7, s7, s8
	s_cbranch_execnz .LBB20_223
.LBB20_222:                             ;   in Loop: Header=BB20_7 Depth=1
	v_cvt_f32_u32_e32 v4, s74
	s_sub_i32 s6, 0, s74
	v_readlane_b32 s8, v62, 23
	v_rcp_iflag_f32_e32 v4, v4
	s_nop 0
	v_mul_f32_e32 v4, 0x4f7ffffe, v4
	v_cvt_u32_f32_e32 v4, v4
	s_nop 0
	v_readfirstlane_b32 s7, v4
	s_mul_i32 s6, s6, s7
	s_mul_hi_u32 s6, s7, s6
	s_add_i32 s7, s7, s6
	s_mul_hi_u32 s6, s8, s7
	s_mul_i32 s6, s6, s74
	s_sub_i32 s6, s8, s6
	s_sub_i32 s7, s6, s74
	s_cmp_ge_u32 s6, s74
	s_cselect_b32 s6, s7, s6
	s_sub_i32 s7, s6, s74
	s_cmp_ge_u32 s6, s74
	s_cselect_b32 s80, s7, s6
	s_mov_b64 s[6:7], s[80:81]
.LBB20_223:                             ;   in Loop: Header=BB20_7 Depth=1
	v_readlane_b32 s8, v62, 23
	s_sub_u32 s48, s8, s6
	s_subb_u32 s49, s69, s7
	v_cmp_gt_i64_e32 vcc, s[48:49], v[0:1]
	s_mov_b64 s[8:9], 0
	s_mov_b64 s[6:7], 0
                                        ; implicit-def: $vgpr35
	s_and_saveexec_b64 s[34:35], vcc
	s_cbranch_execz .LBB20_234
; %bb.224:                              ;   in Loop: Header=BB20_7 Depth=1
	v_mov_b64_e32 v[4:5], v[12:13]
	v_mov_b64_e32 v[8:9], v[0:1]
                                        ; implicit-def: $sgpr50_sgpr51
	s_branch .LBB20_227
.LBB20_225:                             ;   in Loop: Header=BB20_227 Depth=2
	s_or_b64 exec, exec, s[52:53]
	s_waitcnt lgkmcnt(0)
	s_barrier
	ds_read_b64 v[34:35], v3 offset:3072
	s_mov_b64 s[52:53], -1
	s_mov_b64 s[54:55], -1
	s_waitcnt lgkmcnt(0)
	s_barrier
	v_cmp_ne_u32_e32 vcc, 0, v34
	s_cbranch_vccz .LBB20_230
.LBB20_226:                             ;   in Loop: Header=BB20_227 Depth=2
	s_and_b64 s[52:53], exec, s[52:53]
	s_or_b64 s[6:7], s[52:53], s[6:7]
	s_andn2_b64 s[50:51], s[50:51], exec
	s_and_b64 s[52:53], s[54:55], exec
	s_or_b64 s[50:51], s[50:51], s[52:53]
	s_andn2_b64 exec, exec, s[6:7]
	s_cbranch_execz .LBB20_233
.LBB20_227:                             ;   Parent Loop BB20_7 Depth=1
                                        ; =>  This Inner Loop Header: Depth=2
	v_cmp_gt_i64_e32 vcc, s[60:61], v[8:9]
	s_and_saveexec_b64 s[52:53], vcc
	s_cbranch_execz .LBB20_225
; %bb.228:                              ;   in Loop: Header=BB20_227 Depth=2
	global_load_dword v33, v[4:5], off
	s_waitcnt vmcnt(0)
	v_bitop3_b32 v10, v33, v50, s86 bitop3:0x48
	v_cmp_eq_u32_e32 vcc, v10, v48
	s_and_b64 exec, exec, vcc
	s_cbranch_execz .LBB20_225
; %bb.229:                              ;   in Loop: Header=BB20_227 Depth=2
	ds_write_b64 v3, v[32:33] offset:3072
	s_branch .LBB20_225
.LBB20_230:                             ;   in Loop: Header=BB20_227 Depth=2
	v_lshl_add_u64 v[8:9], v[8:9], 0, s[74:75]
	v_cmp_le_i64_e32 vcc, s[48:49], v[8:9]
	v_lshl_add_u64 v[4:5], v[4:5], 0, s[94:95]
	s_mov_b64 s[54:55], 0
	s_orn2_b64 s[52:53], vcc, exec
	s_branch .LBB20_226
.LBB20_231:                             ;   in Loop: Header=BB20_7 Depth=1
                                        ; implicit-def: $sgpr6_sgpr7
	s_andn2_b64 vcc, exec, s[8:9]
	s_cbranch_vccz .LBB20_177
	s_branch .LBB20_178
.LBB20_232:                             ;   in Loop: Header=BB20_7 Depth=1
                                        ; implicit-def: $sgpr30_sgpr31
	s_branch .LBB20_193
.LBB20_233:                             ;   in Loop: Header=BB20_7 Depth=1
	s_or_b64 exec, exec, s[6:7]
	s_and_b64 s[6:7], s[50:51], exec
.LBB20_234:                             ;   in Loop: Header=BB20_7 Depth=1
	s_or_b64 exec, exec, s[34:35]
.LBB20_235:                             ;   in Loop: Header=BB20_7 Depth=1
	s_and_b64 vcc, exec, s[8:9]
	s_cbranch_vccz .LBB20_249
; %bb.236:                              ;   in Loop: Header=BB20_7 Depth=1
	v_readlane_b32 s8, v62, 22
	s_add_u32 s46, s42, s8
	v_readlane_b32 s8, v62, 24
	s_addc_u32 s9, s43, s8
	s_mov_b32 s8, s81
	s_cmp_lg_u64 s[8:9], 0
	s_cbranch_scc0 .LBB20_270
; %bb.237:                              ;   in Loop: Header=BB20_7 Depth=1
	s_add_u32 s34, s74, 0
	s_addc_u32 s35, 0, 0
	s_xor_b64 s[34:35], s[34:35], 0
	v_cvt_f32_u32_e32 v4, s34
	v_cvt_f32_u32_e32 v5, s35
	s_sub_u32 s8, 0, s34
	s_subb_u32 s47, 0, s35
	v_fmac_f32_e32 v4, 0x4f800000, v5
	v_rcp_f32_e32 v4, v4
	s_nop 0
	v_mul_f32_e32 v4, 0x5f7ffffc, v4
	v_mul_f32_e32 v5, 0x2f800000, v4
	v_trunc_f32_e32 v5, v5
	v_fmac_f32_e32 v4, 0xcf800000, v5
	v_cvt_u32_f32_e32 v5, v5
	v_cvt_u32_f32_e32 v4, v4
	v_readfirstlane_b32 s48, v5
	v_readfirstlane_b32 s44, v4
	s_mul_i32 s45, s8, s48
	s_mul_hi_u32 s50, s8, s44
	s_mul_i32 s49, s47, s44
	s_add_i32 s45, s50, s45
	s_mul_i32 s51, s8, s44
	s_add_i32 s45, s45, s49
	s_mul_i32 s50, s44, s45
	s_mul_hi_u32 s52, s44, s51
	s_mul_hi_u32 s49, s44, s45
	s_add_u32 s50, s52, s50
	s_addc_u32 s49, 0, s49
	s_mul_hi_u32 s53, s48, s51
	s_mul_i32 s51, s48, s51
	s_add_u32 s50, s50, s51
	s_mul_hi_u32 s52, s48, s45
	s_addc_u32 s49, s49, s53
	s_addc_u32 s50, s52, 0
	s_mul_i32 s45, s48, s45
	s_add_u32 s45, s49, s45
	s_addc_u32 s49, 0, s50
	s_add_u32 s50, s44, s45
	s_cselect_b64 s[44:45], -1, 0
	s_cmp_lg_u64 s[44:45], 0
	s_addc_u32 s48, s48, s49
	s_mul_i32 s44, s8, s48
	s_mul_hi_u32 s45, s8, s50
	s_add_i32 s44, s45, s44
	s_mul_i32 s47, s47, s50
	s_add_i32 s44, s44, s47
	s_mul_i32 s8, s8, s50
	s_mul_hi_u32 s47, s48, s8
	s_mul_i32 s49, s48, s8
	s_mul_i32 s52, s50, s44
	s_mul_hi_u32 s8, s50, s8
	s_mul_hi_u32 s51, s50, s44
	s_add_u32 s8, s8, s52
	s_addc_u32 s51, 0, s51
	s_add_u32 s8, s8, s49
	s_mul_hi_u32 s45, s48, s44
	s_addc_u32 s8, s51, s47
	s_addc_u32 s45, s45, 0
	s_mul_i32 s44, s48, s44
	s_add_u32 s8, s8, s44
	s_addc_u32 s47, 0, s45
	s_add_u32 s8, s50, s8
	s_cselect_b64 s[44:45], -1, 0
	s_cmp_lg_u64 s[44:45], 0
	s_addc_u32 s47, s48, s47
	s_ashr_i32 s44, s9, 31
	s_add_u32 s48, s46, s44
	s_mov_b32 s45, s44
	s_addc_u32 s49, s9, s44
	s_xor_b64 s[48:49], s[48:49], s[44:45]
	s_mul_i32 s51, s48, s47
	s_mul_hi_u32 s52, s48, s8
	s_mul_hi_u32 s50, s48, s47
	s_add_u32 s51, s52, s51
	s_addc_u32 s50, 0, s50
	s_mul_hi_u32 s53, s49, s8
	s_mul_i32 s8, s49, s8
	s_add_u32 s8, s51, s8
	s_mul_hi_u32 s52, s49, s47
	s_addc_u32 s8, s50, s53
	s_addc_u32 s50, s52, 0
	s_mul_i32 s47, s49, s47
	s_add_u32 s8, s8, s47
	s_addc_u32 s47, 0, s50
	s_mul_i32 s47, s34, s47
	s_mul_hi_u32 s50, s34, s8
	s_add_i32 s47, s50, s47
	s_mul_i32 s50, s35, s8
	s_add_i32 s47, s47, s50
	s_sub_i32 s52, s49, s47
	s_mul_i32 s8, s34, s8
	s_sub_u32 s8, s48, s8
	s_cselect_b64 s[50:51], -1, 0
	s_cmp_lg_u64 s[50:51], 0
	s_subb_u32 s48, s52, s35
	s_sub_u32 s54, s8, s34
	s_cselect_b64 s[52:53], -1, 0
	s_cmp_lg_u64 s[52:53], 0
	s_subb_u32 s55, s48, 0
	s_cmp_ge_u32 s55, s35
	s_cselect_b32 s57, -1, 0
	s_cmp_ge_u32 s54, s34
	s_cselect_b32 s68, -1, 0
	s_cmp_eq_u32 s55, s35
	s_cselect_b32 s57, s68, s57
	s_cmp_lg_u64 s[52:53], 0
	s_subb_u32 s48, s48, s35
	s_sub_u32 s68, s54, s34
	s_cselect_b64 s[52:53], -1, 0
	s_cmp_lg_u64 s[52:53], 0
	s_subb_u32 s48, s48, 0
	s_cmp_lg_u32 s57, 0
	s_cselect_b32 s52, s68, s54
	s_cselect_b32 s48, s48, s55
	s_cmp_lg_u64 s[50:51], 0
	s_subb_u32 s47, s49, s47
	s_cmp_ge_u32 s47, s35
	s_cselect_b32 s49, -1, 0
	s_cmp_ge_u32 s8, s34
	s_cselect_b32 s34, -1, 0
	s_cmp_eq_u32 s47, s35
	s_cselect_b32 s34, s34, s49
	s_cmp_lg_u32 s34, 0
	s_cselect_b32 s35, s48, s47
	s_cselect_b32 s34, s52, s8
	s_xor_b64 s[34:35], s[34:35], s[44:45]
	s_sub_u32 s34, s34, s44
	s_subb_u32 s35, s35, s44
	s_cbranch_execnz .LBB20_239
.LBB20_238:                             ;   in Loop: Header=BB20_7 Depth=1
	v_cvt_f32_u32_e32 v4, s74
	s_sub_i32 s8, 0, s74
	v_rcp_iflag_f32_e32 v4, v4
	s_nop 0
	v_mul_f32_e32 v4, 0x4f7ffffe, v4
	v_cvt_u32_f32_e32 v4, v4
	s_nop 0
	v_readfirstlane_b32 s34, v4
	s_mul_i32 s8, s8, s34
	s_mul_hi_u32 s8, s34, s8
	s_add_i32 s34, s34, s8
	s_mul_hi_u32 s8, s46, s34
	s_mul_i32 s8, s8, s74
	s_sub_i32 s8, s46, s8
	s_sub_i32 s34, s8, s74
	s_cmp_ge_u32 s8, s74
	s_cselect_b32 s8, s34, s8
	s_sub_i32 s34, s8, s74
	s_cmp_ge_u32 s8, s74
	s_cselect_b32 s80, s34, s8
	s_mov_b64 s[34:35], s[80:81]
.LBB20_239:                             ;   in Loop: Header=BB20_7 Depth=1
	s_sub_u32 s34, s46, s34
	s_subb_u32 s35, s9, s35
	v_cmp_gt_i64_e32 vcc, s[34:35], v[0:1]
                                        ; implicit-def: $vgpr35
	s_and_saveexec_b64 s[8:9], vcc
	s_cbranch_execz .LBB20_248
; %bb.240:                              ;   in Loop: Header=BB20_7 Depth=1
	s_mov_b64 s[44:45], 0
	v_mov_b32_e32 v8, v14
	v_mov_b64_e32 v[4:5], v[0:1]
                                        ; implicit-def: $sgpr46_sgpr47
	s_branch .LBB20_243
.LBB20_241:                             ;   in Loop: Header=BB20_243 Depth=2
	s_or_b64 exec, exec, s[48:49]
	s_waitcnt lgkmcnt(0)
	s_barrier
	ds_read_b64 v[34:35], v3 offset:3072
	s_mov_b64 s[48:49], -1
	s_mov_b64 s[50:51], -1
	s_waitcnt lgkmcnt(0)
	s_barrier
	v_cmp_eq_u32_e32 vcc, 0, v34
	s_cbranch_vccnz .LBB20_246
.LBB20_242:                             ;   in Loop: Header=BB20_243 Depth=2
	s_and_b64 s[48:49], exec, s[48:49]
	s_or_b64 s[44:45], s[48:49], s[44:45]
	s_andn2_b64 s[46:47], s[46:47], exec
	s_and_b64 s[48:49], s[50:51], exec
	s_or_b64 s[46:47], s[46:47], s[48:49]
	s_andn2_b64 exec, exec, s[44:45]
	s_cbranch_execz .LBB20_247
.LBB20_243:                             ;   Parent Loop BB20_7 Depth=1
                                        ; =>  This Inner Loop Header: Depth=2
	v_cmp_gt_u64_e32 vcc, s[42:43], v[4:5]
	s_and_saveexec_b64 s[48:49], vcc
	s_cbranch_execz .LBB20_241
; %bb.244:                              ;   in Loop: Header=BB20_243 Depth=2
	ds_read_b32 v33, v8
	s_waitcnt lgkmcnt(0)
	v_bitop3_b32 v9, v33, v50, s86 bitop3:0x48
	v_cmp_eq_u32_e32 vcc, v9, v48
	s_and_b64 exec, exec, vcc
	s_cbranch_execz .LBB20_241
; %bb.245:                              ;   in Loop: Header=BB20_243 Depth=2
	ds_write_b64 v3, v[32:33] offset:3072
	s_branch .LBB20_241
.LBB20_246:                             ;   in Loop: Header=BB20_243 Depth=2
	v_lshl_add_u64 v[4:5], v[4:5], 0, s[74:75]
	v_cmp_le_i64_e32 vcc, s[34:35], v[4:5]
	v_add_u32_e32 v8, s89, v8
	s_mov_b64 s[50:51], 0
	s_orn2_b64 s[48:49], vcc, exec
	s_branch .LBB20_242
.LBB20_247:                             ;   in Loop: Header=BB20_7 Depth=1
	s_or_b64 exec, exec, s[44:45]
	s_andn2_b64 s[6:7], s[6:7], exec
	s_and_b64 s[34:35], s[46:47], exec
	s_or_b64 s[6:7], s[6:7], s[34:35]
.LBB20_248:                             ;   in Loop: Header=BB20_7 Depth=1
	s_or_b64 exec, exec, s[8:9]
	s_mov_b64 s[44:45], 0
	s_mov_b64 s[46:47], -1
.LBB20_249:                             ;   in Loop: Header=BB20_7 Depth=1
	s_orn2_b64 s[8:9], s[6:7], exec
.LBB20_250:                             ;   in Loop: Header=BB20_7 Depth=1
	s_or_b64 exec, exec, s[40:41]
	s_mov_b64 s[34:35], 0
	s_and_saveexec_b64 s[6:7], s[8:9]
	s_cbranch_execz .LBB20_261
; %bb.251:                              ;   in Loop: Header=BB20_7 Depth=1
	s_xor_b64 s[24:25], s[24:25], -1
	v_mov_b64_e32 v[4:5], 1
	v_mov_b32_e32 v2, 1
	s_and_saveexec_b64 s[8:9], s[24:25]
	s_cbranch_execz .LBB20_260
; %bb.252:                              ;   in Loop: Header=BB20_7 Depth=1
	v_cmp_ge_i64_e32 vcc, s[16:17], v[6:7]
	s_and_saveexec_b64 s[24:25], vcc
	s_xor_b64 s[24:25], exec, s[24:25]
	s_cbranch_execz .LBB20_257
; %bb.253:                              ;   in Loop: Header=BB20_7 Depth=1
	ds_read_b64 v[4:5], v3 offset:5120
	v_or_b32_e32 v48, s56, v48
	v_or_b32_e32 v50, s56, v50
	s_waitcnt lgkmcnt(0)
	v_cmp_ne_u64_e32 vcc, 0, v[4:5]
	s_cbranch_vccnz .LBB20_257
; %bb.254:                              ;   in Loop: Header=BB20_7 Depth=1
	s_mov_b64 s[34:35], exec
	v_readlane_b32 s40, v62, 8
	v_readlane_b32 s41, v62, 9
	s_and_b64 s[40:41], s[34:35], s[40:41]
	s_mov_b64 exec, s[40:41]
; %bb.255:                              ;   in Loop: Header=BB20_7 Depth=1
	v_mov_b64_e32 v[4:5], s[16:17]
	ds_write_b64 v3, v[4:5] offset:5128
; %bb.256:                              ;   in Loop: Header=BB20_7 Depth=1
	s_or_b64 exec, exec, s[34:35]
	s_waitcnt lgkmcnt(0)
	s_barrier
.LBB20_257:                             ;   in Loop: Header=BB20_7 Depth=1
	s_andn2_saveexec_b64 s[24:25], s[24:25]
; %bb.258:                              ;   in Loop: Header=BB20_7 Depth=1
	v_mov_b32_e32 v2, s17
	v_subrev_co_u32_e32 v6, vcc, s16, v6
	s_nop 1
	v_subb_co_u32_e32 v7, vcc, v7, v2, vcc
; %bb.259:                              ;   in Loop: Header=BB20_7 Depth=1
	s_or_b64 exec, exec, s[24:25]
	v_mov_b32_e32 v2, 8
	v_mov_b64_e32 v[4:5], v[6:7]
.LBB20_260:                             ;   in Loop: Header=BB20_7 Depth=1
	s_or_b64 exec, exec, s[8:9]
	s_mov_b64 s[34:35], exec
	v_mov_b64_e32 v[6:7], v[4:5]
.LBB20_261:                             ;   in Loop: Header=BB20_7 Depth=1
	s_or_b64 exec, exec, s[6:7]
	s_orn2_b64 s[6:7], s[34:35], exec
.LBB20_262:                             ;   in Loop: Header=BB20_7 Depth=1
	s_or_b64 exec, exec, s[10:11]
	s_andn2_b64 s[8:9], s[36:37], exec
	s_and_b64 s[10:11], s[46:47], exec
	s_or_b64 s[36:37], s[8:9], s[10:11]
	s_andn2_b64 s[8:9], s[30:31], exec
	s_and_b64 s[10:11], s[44:45], exec
	s_or_b64 s[30:31], s[8:9], s[10:11]
	s_and_b64 s[8:9], s[6:7], exec
	v_mov_b64_e32 v[4:5], v[6:7]
.LBB20_263:                             ;   in Loop: Header=BB20_7 Depth=1
	s_or_b64 exec, exec, s[38:39]
	s_orn2_b64 s[6:7], s[8:9], exec
.LBB20_264:                             ;   in Loop: Header=BB20_7 Depth=1
	s_or_b64 exec, exec, s[12:13]
	s_andn2_b64 s[8:9], s[26:27], exec
	s_and_b64 s[10:11], s[36:37], exec
	s_or_b64 s[26:27], s[8:9], s[10:11]
	s_andn2_b64 s[2:3], s[2:3], exec
	s_and_b64 s[8:9], s[30:31], exec
	s_or_b64 s[2:3], s[2:3], s[8:9]
	s_and_b64 s[8:9], s[6:7], exec
	v_mov_b64_e32 v[8:9], v[4:5]
.LBB20_265:                             ;   in Loop: Header=BB20_7 Depth=1
	s_or_b64 exec, exec, s[28:29]
	s_orn2_b64 s[6:7], s[8:9], exec
.LBB20_266:                             ;   in Loop: Header=BB20_7 Depth=1
	s_or_b64 exec, exec, s[22:23]
	s_mov_b64 s[8:9], 0
	s_and_saveexec_b64 s[10:11], s[6:7]
	s_xor_b64 s[6:7], exec, s[10:11]
	s_cbranch_execz .LBB20_5
; %bb.267:                              ;   in Loop: Header=BB20_7 Depth=1
	v_and_b32_e32 v2, 7, v2
	v_cmp_eq_u32_e32 vcc, 0, v2
	s_mov_b64 s[10:11], -1
	s_mov_b64 s[8:9], -1
	s_and_saveexec_b64 s[12:13], vcc
	s_cbranch_execz .LBB20_4
; %bb.268:                              ;   in Loop: Header=BB20_7 Depth=1
	s_add_i32 s16, s87, -2
	s_cmp_eq_u32 s87, 0
	s_cselect_b64 s[10:11], -1, 0
	v_xor_b32_e32 v49, 1, v49
	s_xor_b64 s[8:9], exec, -1
	s_orn2_b64 s[10:11], s[10:11], exec
	s_mov_b32 s87, s16
	s_branch .LBB20_4
.LBB20_269:                             ;   in Loop: Header=BB20_7 Depth=1
                                        ; implicit-def: $sgpr6_sgpr7
	s_andn2_b64 vcc, exec, s[8:9]
	s_cbranch_vccz .LBB20_222
	s_branch .LBB20_223
.LBB20_270:                             ;   in Loop: Header=BB20_7 Depth=1
                                        ; implicit-def: $sgpr34_sgpr35
	s_branch .LBB20_238
.LBB20_271:
	s_or_b64 exec, exec, s[98:99]
	s_xor_b64 s[6:7], s[64:65], -1
	s_xor_b64 s[0:1], s[62:63], -1
	;; [unrolled: 1-line block ×3, first 2 shown]
	s_mov_b64 s[2:3], 0
	s_and_saveexec_b64 s[8:9], s[0:1]
	s_xor_b64 s[0:1], exec, s[8:9]
	s_cbranch_execnz .LBB20_276
; %bb.272:
	s_andn2_saveexec_b64 s[0:1], s[0:1]
	s_cbranch_execnz .LBB20_298
.LBB20_273:
	s_or_b64 exec, exec, s[0:1]
	s_and_saveexec_b64 s[0:1], s[2:3]
.LBB20_274:
	; divergent unreachable
.LBB20_275:
	s_endpgm
.LBB20_276:
	s_and_saveexec_b64 s[2:3], s[6:7]
	s_xor_b64 s[2:3], exec, s[2:3]
	s_cbranch_execz .LBB20_296
; %bb.277:
	s_and_saveexec_b64 s[6:7], s[4:5]
	s_xor_b64 s[4:5], exec, s[6:7]
; %bb.278:
	v_xor_b32_e32 v35, 0x80000000, v48
; %bb.279:
	s_or_b64 exec, exec, s[4:5]
	s_mov_b64 s[4:5], exec
	v_readlane_b32 s6, v62, 8
	v_readlane_b32 s7, v62, 9
	s_and_b64 s[6:7], s[4:5], s[6:7]
	v_readlane_b32 s24, v62, 10
	v_readlane_b32 s25, v62, 11
	s_mov_b64 exec, s[6:7]
; %bb.280:
	v_mov_b32_e32 v2, 0
	v_mov_b32_e32 v3, s60
	ds_write_b32 v2, v3 offset:5140
; %bb.281:
	s_or_b64 exec, exec, s[4:5]
	s_waitcnt lgkmcnt(0)
	s_barrier
	s_mov_b64 s[4:5], exec
	v_readlane_b32 s6, v62, 18
	v_readlane_b32 s7, v62, 19
	s_and_b64 s[6:7], s[4:5], s[6:7]
	s_mov_b64 exec, s[6:7]
	s_cbranch_execz .LBB20_293
; %bb.282:
	v_mov_b32_e32 v2, 0
	ds_read_b32 v4, v2 offset:5140
	s_mov_b64 s[6:7], 0
                                        ; implicit-def: $sgpr8_sgpr9
                                        ; implicit-def: $sgpr10_sgpr11
                                        ; implicit-def: $sgpr12_sgpr13
	s_waitcnt lgkmcnt(0)
	v_ashrrev_i32_e32 v5, 31, v4
	s_branch .LBB20_285
.LBB20_283:                             ;   in Loop: Header=BB20_285 Depth=1
	s_or_b64 exec, exec, s[20:21]
	s_andn2_b64 s[12:13], s[12:13], exec
	s_and_b64 s[18:19], s[18:19], exec
	s_andn2_b64 s[10:11], s[10:11], exec
	s_and_b64 s[16:17], s[16:17], exec
	s_or_b64 s[12:13], s[12:13], s[18:19]
	s_or_b64 s[10:11], s[10:11], s[16:17]
.LBB20_284:                             ;   in Loop: Header=BB20_285 Depth=1
	s_or_b64 exec, exec, s[14:15]
	s_and_b64 s[14:15], exec, s[10:11]
	s_or_b64 s[6:7], s[14:15], s[6:7]
	s_andn2_b64 s[8:9], s[8:9], exec
	s_and_b64 s[14:15], s[12:13], exec
	s_or_b64 s[8:9], s[8:9], s[14:15]
	s_andn2_b64 exec, exec, s[6:7]
	s_cbranch_execz .LBB20_288
.LBB20_285:                             ; =>This Inner Loop Header: Depth=1
	v_mov_b64_e32 v[2:3], v[0:1]
	v_cmp_lt_i64_e32 vcc, v[2:3], v[4:5]
	s_or_b64 s[12:13], s[12:13], exec
	s_or_b64 s[10:11], s[10:11], exec
                                        ; implicit-def: $vgpr0_vgpr1
	s_and_saveexec_b64 s[14:15], vcc
	s_cbranch_execz .LBB20_284
; %bb.286:                              ;   in Loop: Header=BB20_285 Depth=1
	global_load_dword v0, v[12:13], off
	s_mov_b64 s[16:17], -1
	s_mov_b64 s[18:19], 0
	s_waitcnt vmcnt(0)
	v_cmp_ne_u32_e32 vcc, v0, v35
                                        ; implicit-def: $vgpr0_vgpr1
	s_and_saveexec_b64 s[20:21], vcc
	s_cbranch_execz .LBB20_283
; %bb.287:                              ;   in Loop: Header=BB20_285 Depth=1
	v_lshl_add_u64 v[0:1], v[2:3], 0, s[74:75]
	v_cmp_le_i64_e32 vcc, s[60:61], v[0:1]
	s_mov_b64 s[18:19], exec
	v_lshl_add_u64 v[12:13], v[12:13], 0, s[94:95]
	s_orn2_b64 s[16:17], vcc, exec
	s_branch .LBB20_283
.LBB20_288:
	s_or_b64 exec, exec, s[6:7]
	s_xor_b64 s[6:7], s[8:9], -1
	s_and_saveexec_b64 s[8:9], s[6:7]
	s_xor_b64 s[8:9], exec, s[8:9]
	s_cbranch_execz .LBB20_293
; %bb.289:
	s_mov_b64 s[6:7], exec
	s_brev_b32 s8, -2
.LBB20_290:                             ; =>This Inner Loop Header: Depth=1
	s_ff1_i32_b64 s9, s[6:7]
	v_readlane_b32 s12, v2, s9
	s_lshl_b64 s[10:11], 1, s9
	s_min_i32 s8, s8, s12
	s_andn2_b64 s[6:7], s[6:7], s[10:11]
	s_cmp_lg_u64 s[6:7], 0
	s_cbranch_scc1 .LBB20_290
; %bb.291:
	v_mbcnt_lo_u32_b32 v0, exec_lo, 0
	v_mbcnt_hi_u32_b32 v0, exec_hi, v0
	v_cmp_eq_u32_e32 vcc, 0, v0
	s_and_saveexec_b64 s[6:7], vcc
	s_xor_b64 s[6:7], exec, s[6:7]
; %bb.292:
	v_mov_b32_e32 v0, 0
	v_mov_b32_e32 v1, s8
	ds_min_i32 v0, v1 offset:5140
.LBB20_293:
	s_or_b64 exec, exec, s[4:5]
	s_waitcnt lgkmcnt(0)
	s_barrier
	s_mov_b64 s[4:5], exec
	v_readlane_b32 s6, v62, 8
	v_readlane_b32 s7, v62, 9
	s_and_b64 s[6:7], s[4:5], s[6:7]
	s_mov_b64 exec, s[6:7]
	s_cbranch_execz .LBB20_295
; %bb.294:
	v_readlane_b32 s8, v62, 4
	v_readlane_b32 s9, v62, 5
	;; [unrolled: 1-line block ×3, first 2 shown]
	s_mul_i32 s6, s9, s24
	s_mul_hi_u32 s7, s8, s24
	v_readlane_b32 s11, v62, 1
	v_mov_b32_e32 v2, 0
	s_add_i32 s7, s7, s6
	s_mul_i32 s6, s8, s24
	s_mul_i32 s8, s11, s24
	s_mul_hi_u32 s9, s10, s24
	ds_read_b32 v0, v2 offset:5140
	s_add_i32 s9, s9, s8
	s_mul_i32 s8, s10, s24
	s_lshl_b64 s[6:7], s[6:7], 2
	v_readlane_b32 s10, v62, 6
	v_readlane_b32 s11, v62, 7
	s_add_u32 s6, s10, s6
	s_addc_u32 s7, s11, s7
	s_lshl_b64 s[8:9], s[8:9], 3
	v_readlane_b32 s10, v62, 2
	v_readlane_b32 s11, v62, 3
	s_add_u32 s8, s10, s8
	s_addc_u32 s9, s11, s9
	s_waitcnt lgkmcnt(0)
	v_ashrrev_i32_e32 v1, 31, v0
	global_store_dwordx2 v2, v[0:1], s[8:9]
	global_store_dword v2, v35, s[6:7]
.LBB20_295:
	s_or_b64 exec, exec, s[4:5]
.LBB20_296:
	s_or_saveexec_b64 s[2:3], s[2:3]
	s_mov_b64 s[4:5], 0
	s_xor_b64 exec, exec, s[2:3]
	s_cbranch_execnz .LBB20_299
.LBB20_297:
	s_or_b64 exec, exec, s[2:3]
	s_and_b64 s[2:3], s[4:5], exec
	s_andn2_saveexec_b64 s[0:1], s[0:1]
	s_cbranch_execz .LBB20_273
.LBB20_298:
	s_or_b64 s[2:3], s[2:3], exec
	s_trap 2
	s_or_b64 exec, exec, s[0:1]
	s_and_saveexec_b64 s[0:1], s[2:3]
	s_cbranch_execnz .LBB20_274
	s_branch .LBB20_275
.LBB20_299:
	s_mov_b64 s[4:5], exec
	s_trap 2
	s_branch .LBB20_297
	.section	.rodata,"a",@progbits
	.p2align	6, 0x0
	.amdhsa_kernel _ZN2at6native12_GLOBAL__N_114gatherKthValueIilLi1EEEvNS_4cuda6detail10TensorInfoIKT_T0_EES8_S8_S8_S8_NS5_IS6_S8_EENS5_IlS8_EE
		.amdhsa_group_segment_fixed_size 5144
		.amdhsa_private_segment_fixed_size 0
		.amdhsa_kernarg_size 1536
		.amdhsa_user_sgpr_count 2
		.amdhsa_user_sgpr_dispatch_ptr 0
		.amdhsa_user_sgpr_queue_ptr 0
		.amdhsa_user_sgpr_kernarg_segment_ptr 1
		.amdhsa_user_sgpr_dispatch_id 0
		.amdhsa_user_sgpr_kernarg_preload_length 0
		.amdhsa_user_sgpr_kernarg_preload_offset 0
		.amdhsa_user_sgpr_private_segment_size 0
		.amdhsa_uses_dynamic_stack 0
		.amdhsa_enable_private_segment 0
		.amdhsa_system_sgpr_workgroup_id_x 1
		.amdhsa_system_sgpr_workgroup_id_y 1
		.amdhsa_system_sgpr_workgroup_id_z 1
		.amdhsa_system_sgpr_workgroup_info 0
		.amdhsa_system_vgpr_workitem_id 0
		.amdhsa_next_free_vgpr 63
		.amdhsa_next_free_sgpr 100
		.amdhsa_accum_offset 64
		.amdhsa_reserve_vcc 1
		.amdhsa_float_round_mode_32 0
		.amdhsa_float_round_mode_16_64 0
		.amdhsa_float_denorm_mode_32 3
		.amdhsa_float_denorm_mode_16_64 3
		.amdhsa_dx10_clamp 1
		.amdhsa_ieee_mode 1
		.amdhsa_fp16_overflow 0
		.amdhsa_tg_split 0
		.amdhsa_exception_fp_ieee_invalid_op 0
		.amdhsa_exception_fp_denorm_src 0
		.amdhsa_exception_fp_ieee_div_zero 0
		.amdhsa_exception_fp_ieee_overflow 0
		.amdhsa_exception_fp_ieee_underflow 0
		.amdhsa_exception_fp_ieee_inexact 0
		.amdhsa_exception_int_div_zero 0
	.end_amdhsa_kernel
	.section	.text._ZN2at6native12_GLOBAL__N_114gatherKthValueIilLi1EEEvNS_4cuda6detail10TensorInfoIKT_T0_EES8_S8_S8_S8_NS5_IS6_S8_EENS5_IlS8_EE,"axG",@progbits,_ZN2at6native12_GLOBAL__N_114gatherKthValueIilLi1EEEvNS_4cuda6detail10TensorInfoIKT_T0_EES8_S8_S8_S8_NS5_IS6_S8_EENS5_IlS8_EE,comdat
.Lfunc_end20:
	.size	_ZN2at6native12_GLOBAL__N_114gatherKthValueIilLi1EEEvNS_4cuda6detail10TensorInfoIKT_T0_EES8_S8_S8_S8_NS5_IS6_S8_EENS5_IlS8_EE, .Lfunc_end20-_ZN2at6native12_GLOBAL__N_114gatherKthValueIilLi1EEEvNS_4cuda6detail10TensorInfoIKT_T0_EES8_S8_S8_S8_NS5_IS6_S8_EENS5_IlS8_EE
                                        ; -- End function
	.set _ZN2at6native12_GLOBAL__N_114gatherKthValueIilLi1EEEvNS_4cuda6detail10TensorInfoIKT_T0_EES8_S8_S8_S8_NS5_IS6_S8_EENS5_IlS8_EE.num_vgpr, 63
	.set _ZN2at6native12_GLOBAL__N_114gatherKthValueIilLi1EEEvNS_4cuda6detail10TensorInfoIKT_T0_EES8_S8_S8_S8_NS5_IS6_S8_EENS5_IlS8_EE.num_agpr, 0
	.set _ZN2at6native12_GLOBAL__N_114gatherKthValueIilLi1EEEvNS_4cuda6detail10TensorInfoIKT_T0_EES8_S8_S8_S8_NS5_IS6_S8_EENS5_IlS8_EE.numbered_sgpr, 100
	.set _ZN2at6native12_GLOBAL__N_114gatherKthValueIilLi1EEEvNS_4cuda6detail10TensorInfoIKT_T0_EES8_S8_S8_S8_NS5_IS6_S8_EENS5_IlS8_EE.num_named_barrier, 0
	.set _ZN2at6native12_GLOBAL__N_114gatherKthValueIilLi1EEEvNS_4cuda6detail10TensorInfoIKT_T0_EES8_S8_S8_S8_NS5_IS6_S8_EENS5_IlS8_EE.private_seg_size, 0
	.set _ZN2at6native12_GLOBAL__N_114gatherKthValueIilLi1EEEvNS_4cuda6detail10TensorInfoIKT_T0_EES8_S8_S8_S8_NS5_IS6_S8_EENS5_IlS8_EE.uses_vcc, 1
	.set _ZN2at6native12_GLOBAL__N_114gatherKthValueIilLi1EEEvNS_4cuda6detail10TensorInfoIKT_T0_EES8_S8_S8_S8_NS5_IS6_S8_EENS5_IlS8_EE.uses_flat_scratch, 0
	.set _ZN2at6native12_GLOBAL__N_114gatherKthValueIilLi1EEEvNS_4cuda6detail10TensorInfoIKT_T0_EES8_S8_S8_S8_NS5_IS6_S8_EENS5_IlS8_EE.has_dyn_sized_stack, 0
	.set _ZN2at6native12_GLOBAL__N_114gatherKthValueIilLi1EEEvNS_4cuda6detail10TensorInfoIKT_T0_EES8_S8_S8_S8_NS5_IS6_S8_EENS5_IlS8_EE.has_recursion, 0
	.set _ZN2at6native12_GLOBAL__N_114gatherKthValueIilLi1EEEvNS_4cuda6detail10TensorInfoIKT_T0_EES8_S8_S8_S8_NS5_IS6_S8_EENS5_IlS8_EE.has_indirect_call, 0
	.section	.AMDGPU.csdata,"",@progbits
; Kernel info:
; codeLenInByte = 16052
; TotalNumSgprs: 106
; NumVgprs: 63
; NumAgprs: 0
; TotalNumVgprs: 63
; ScratchSize: 0
; MemoryBound: 0
; FloatMode: 240
; IeeeMode: 1
; LDSByteSize: 5144 bytes/workgroup (compile time only)
; SGPRBlocks: 13
; VGPRBlocks: 7
; NumSGPRsForWavesPerEU: 106
; NumVGPRsForWavesPerEU: 63
; AccumOffset: 64
; Occupancy: 7
; WaveLimiterHint : 1
; COMPUTE_PGM_RSRC2:SCRATCH_EN: 0
; COMPUTE_PGM_RSRC2:USER_SGPR: 2
; COMPUTE_PGM_RSRC2:TRAP_HANDLER: 0
; COMPUTE_PGM_RSRC2:TGID_X_EN: 1
; COMPUTE_PGM_RSRC2:TGID_Y_EN: 1
; COMPUTE_PGM_RSRC2:TGID_Z_EN: 1
; COMPUTE_PGM_RSRC2:TIDIG_COMP_CNT: 0
; COMPUTE_PGM_RSRC3_GFX90A:ACCUM_OFFSET: 15
; COMPUTE_PGM_RSRC3_GFX90A:TG_SPLIT: 0
	.section	.text._ZN2at6native12_GLOBAL__N_114gatherKthValueIilLi2EEEvNS_4cuda6detail10TensorInfoIKT_T0_EES8_S8_S8_S8_NS5_IS6_S8_EENS5_IlS8_EE,"axG",@progbits,_ZN2at6native12_GLOBAL__N_114gatherKthValueIilLi2EEEvNS_4cuda6detail10TensorInfoIKT_T0_EES8_S8_S8_S8_NS5_IS6_S8_EENS5_IlS8_EE,comdat
	.globl	_ZN2at6native12_GLOBAL__N_114gatherKthValueIilLi2EEEvNS_4cuda6detail10TensorInfoIKT_T0_EES8_S8_S8_S8_NS5_IS6_S8_EENS5_IlS8_EE ; -- Begin function _ZN2at6native12_GLOBAL__N_114gatherKthValueIilLi2EEEvNS_4cuda6detail10TensorInfoIKT_T0_EES8_S8_S8_S8_NS5_IS6_S8_EENS5_IlS8_EE
	.p2align	8
	.type	_ZN2at6native12_GLOBAL__N_114gatherKthValueIilLi2EEEvNS_4cuda6detail10TensorInfoIKT_T0_EES8_S8_S8_S8_NS5_IS6_S8_EENS5_IlS8_EE,@function
_ZN2at6native12_GLOBAL__N_114gatherKthValueIilLi2EEEvNS_4cuda6detail10TensorInfoIKT_T0_EES8_S8_S8_S8_NS5_IS6_S8_EENS5_IlS8_EE: ; @_ZN2at6native12_GLOBAL__N_114gatherKthValueIilLi2EEEvNS_4cuda6detail10TensorInfoIKT_T0_EES8_S8_S8_S8_NS5_IS6_S8_EENS5_IlS8_EE
; %bb.0:
	s_load_dwordx2 s[12:13], s[0:1], 0x500
	s_load_dwordx8 s[60:67], s[0:1], 0x1a0
	s_add_u32 s10, s0, 0x500
	s_addc_u32 s11, s1, 0
	s_mov_b32 s29, 0
	s_waitcnt lgkmcnt(0)
	s_mul_i32 s4, s13, s4
	s_add_i32 s3, s4, s3
	s_mul_i32 s3, s3, s12
	s_add_i32 s28, s3, s2
	v_mov_b64_e32 v[2:3], s[28:29]
	v_cmp_le_i64_e32 vcc, s[64:65], v[2:3]
	s_cbranch_vccnz .LBB21_284
; %bb.1:
	s_load_dwordx2 s[8:9], s[0:1], 0x10
	s_load_dwordx2 s[24:25], s[0:1], 0x1d0
	s_mov_b32 s4, s29
                                        ; implicit-def: $vgpr64 : SGPR spill to VGPR lane
	s_waitcnt lgkmcnt(0)
	s_mov_b32 s5, s9
	s_cmp_lg_u64 s[4:5], 0
	v_writelane_b32 v64, s24, 0
	s_nop 1
	v_writelane_b32 v64, s25, 1
	s_cbranch_scc0 .LBB21_297
; %bb.2:
	s_ashr_i32 s4, s9, 31
	s_add_u32 s6, s8, s4
	s_mov_b32 s5, s4
	s_addc_u32 s7, s9, s4
	s_xor_b64 s[14:15], s[6:7], s[4:5]
	v_cvt_f32_u32_e32 v1, s14
	v_cvt_f32_u32_e32 v2, s15
	s_sub_u32 s3, 0, s14
	s_subb_u32 s13, 0, s15
	v_fmamk_f32 v1, v2, 0x4f800000, v1
	v_rcp_f32_e32 v1, v1
	s_nop 0
	v_mul_f32_e32 v1, 0x5f7ffffc, v1
	v_mul_f32_e32 v2, 0x2f800000, v1
	v_trunc_f32_e32 v2, v2
	v_fmamk_f32 v1, v2, 0xcf800000, v1
	v_cvt_u32_f32_e32 v2, v2
	v_cvt_u32_f32_e32 v1, v1
	v_readfirstlane_b32 s18, v2
	v_readfirstlane_b32 s16, v1
	s_mul_i32 s17, s3, s18
	s_mul_hi_u32 s20, s3, s16
	s_mul_i32 s19, s13, s16
	s_add_i32 s17, s20, s17
	s_add_i32 s17, s17, s19
	s_mul_i32 s21, s3, s16
	s_mul_i32 s20, s16, s17
	s_mul_hi_u32 s22, s16, s21
	s_mul_hi_u32 s19, s16, s17
	s_add_u32 s20, s22, s20
	s_addc_u32 s19, 0, s19
	s_mul_hi_u32 s23, s18, s21
	s_mul_i32 s21, s18, s21
	s_add_u32 s20, s20, s21
	s_mul_hi_u32 s22, s18, s17
	s_addc_u32 s19, s19, s23
	s_addc_u32 s20, s22, 0
	s_mul_i32 s17, s18, s17
	s_add_u32 s17, s19, s17
	s_addc_u32 s19, 0, s20
	s_add_u32 s20, s16, s17
	s_cselect_b64 s[16:17], -1, 0
	s_cmp_lg_u64 s[16:17], 0
	s_addc_u32 s18, s18, s19
	s_mul_i32 s16, s3, s18
	s_mul_hi_u32 s17, s3, s20
	s_add_i32 s16, s17, s16
	s_mul_i32 s13, s13, s20
	s_add_i32 s16, s16, s13
	s_mul_i32 s3, s3, s20
	s_mul_hi_u32 s17, s18, s3
	s_mul_i32 s19, s18, s3
	s_mul_i32 s22, s20, s16
	s_mul_hi_u32 s3, s20, s3
	s_mul_hi_u32 s21, s20, s16
	s_add_u32 s3, s3, s22
	s_addc_u32 s21, 0, s21
	s_add_u32 s3, s3, s19
	s_mul_hi_u32 s13, s18, s16
	s_addc_u32 s3, s21, s17
	s_addc_u32 s13, s13, 0
	s_mul_i32 s16, s18, s16
	s_add_u32 s3, s3, s16
	s_addc_u32 s13, 0, s13
	s_add_u32 s3, s20, s3
	s_cselect_b64 s[16:17], -1, 0
	s_cmp_lg_u64 s[16:17], 0
	s_addc_u32 s13, s18, s13
	s_add_u32 s16, s28, 0
	s_addc_u32 s17, 0, 0
	s_xor_b64 s[16:17], s[16:17], 0
	s_mul_i32 s19, s16, s13
	s_mul_hi_u32 s20, s16, s3
	s_mul_hi_u32 s18, s16, s13
	s_add_u32 s19, s20, s19
	s_addc_u32 s18, 0, s18
	s_mul_hi_u32 s21, s17, s3
	s_mul_i32 s3, s17, s3
	s_add_u32 s3, s19, s3
	s_mul_hi_u32 s20, s17, s13
	s_addc_u32 s3, s18, s21
	s_addc_u32 s18, s20, 0
	s_mul_i32 s13, s17, s13
	s_add_u32 s3, s3, s13
	s_addc_u32 s13, 0, s18
	s_mul_i32 s18, s14, s13
	s_mul_hi_u32 s19, s14, s3
	s_add_i32 s18, s19, s18
	s_mul_i32 s19, s15, s3
	s_add_i32 s22, s18, s19
	s_sub_i32 s20, s17, s22
	s_mul_i32 s18, s14, s3
	s_sub_u32 s16, s16, s18
	s_cselect_b64 s[18:19], -1, 0
	s_cmp_lg_u64 s[18:19], 0
	s_subb_u32 s23, s20, s15
	s_sub_u32 s24, s16, s14
	s_cselect_b64 s[20:21], -1, 0
	s_cmp_lg_u64 s[20:21], 0
	s_subb_u32 s20, s23, 0
	s_cmp_ge_u32 s20, s15
	s_cselect_b32 s21, -1, 0
	s_cmp_ge_u32 s24, s14
	s_cselect_b32 s23, -1, 0
	s_cmp_eq_u32 s20, s15
	s_cselect_b32 s20, s23, s21
	s_add_u32 s21, s3, 1
	s_addc_u32 s23, s13, 0
	s_add_u32 s24, s3, 2
	s_addc_u32 s25, s13, 0
	s_cmp_lg_u32 s20, 0
	s_cselect_b32 s20, s24, s21
	s_cselect_b32 s21, s25, s23
	s_cmp_lg_u64 s[18:19], 0
	s_subb_u32 s17, s17, s22
	s_cmp_ge_u32 s17, s15
	s_cselect_b32 s18, -1, 0
	s_cmp_ge_u32 s16, s14
	s_cselect_b32 s14, -1, 0
	s_cmp_eq_u32 s17, s15
	s_cselect_b32 s14, s14, s18
	s_load_dwordx2 s[24:25], s[0:1], 0x1d0
	s_cmp_lg_u32 s14, 0
	s_cselect_b32 s15, s21, s13
	s_cselect_b32 s14, s20, s3
	s_xor_b64 s[4:5], 0, s[4:5]
	s_xor_b64 s[14:15], s[14:15], s[4:5]
	s_sub_u32 s14, s14, s4
	s_subb_u32 s15, s15, s5
	s_cbranch_execnz .LBB21_4
.LBB21_3:
	v_cvt_f32_u32_e32 v1, s8
	s_sub_i32 s3, 0, s8
	s_mov_b32 s15, 0
	v_rcp_iflag_f32_e32 v1, v1
	s_nop 0
	v_mul_f32_e32 v1, 0x4f7ffffe, v1
	v_cvt_u32_f32_e32 v1, v1
	s_nop 0
	v_readfirstlane_b32 s4, v1
	s_mul_i32 s3, s3, s4
	s_mul_hi_u32 s3, s4, s3
	s_add_i32 s4, s4, s3
	s_mul_hi_u32 s3, s28, s4
	s_mul_i32 s5, s3, s8
	s_sub_i32 s5, s28, s5
	s_add_i32 s4, s3, 1
	s_sub_i32 s6, s5, s8
	s_cmp_ge_u32 s5, s8
	s_cselect_b32 s3, s4, s3
	s_cselect_b32 s5, s6, s5
	s_add_i32 s4, s3, 1
	s_cmp_ge_u32 s5, s8
	s_cselect_b32 s14, s4, s3
.LBB21_4:
	s_load_dwordx2 s[30:31], s[0:1], 0x370
	s_mov_b32 s4, 0
	s_waitcnt lgkmcnt(0)
	s_mov_b32 s5, s25
	s_cmp_lg_u64 s[4:5], 0
	s_cbranch_scc0 .LBB21_298
; %bb.5:
	s_ashr_i32 s4, s25, 31
	s_add_u32 s6, s24, s4
	s_mov_b32 s5, s4
	s_addc_u32 s7, s25, s4
	s_xor_b64 s[16:17], s[6:7], s[4:5]
	v_cvt_f32_u32_e32 v1, s16
	v_cvt_f32_u32_e32 v2, s17
	s_sub_u32 s3, 0, s16
	s_subb_u32 s13, 0, s17
	v_fmamk_f32 v1, v2, 0x4f800000, v1
	v_rcp_f32_e32 v1, v1
	s_nop 0
	v_mul_f32_e32 v1, 0x5f7ffffc, v1
	v_mul_f32_e32 v2, 0x2f800000, v1
	v_trunc_f32_e32 v2, v2
	v_fmamk_f32 v1, v2, 0xcf800000, v1
	v_cvt_u32_f32_e32 v2, v2
	v_cvt_u32_f32_e32 v1, v1
	v_readfirstlane_b32 s20, v2
	v_readfirstlane_b32 s18, v1
	s_mul_i32 s19, s3, s20
	s_mul_hi_u32 s22, s3, s18
	s_mul_i32 s21, s13, s18
	s_add_i32 s19, s22, s19
	s_add_i32 s19, s19, s21
	s_mul_i32 s23, s3, s18
	s_mul_i32 s22, s18, s19
	s_mul_hi_u32 s24, s18, s23
	s_mul_hi_u32 s21, s18, s19
	s_add_u32 s22, s24, s22
	s_addc_u32 s21, 0, s21
	s_mul_hi_u32 s25, s20, s23
	s_mul_i32 s23, s20, s23
	s_add_u32 s22, s22, s23
	s_mul_hi_u32 s24, s20, s19
	s_addc_u32 s21, s21, s25
	s_addc_u32 s22, s24, 0
	s_mul_i32 s19, s20, s19
	s_add_u32 s19, s21, s19
	s_addc_u32 s21, 0, s22
	s_add_u32 s22, s18, s19
	s_cselect_b64 s[18:19], -1, 0
	s_cmp_lg_u64 s[18:19], 0
	s_addc_u32 s20, s20, s21
	s_mul_i32 s18, s3, s20
	s_mul_hi_u32 s19, s3, s22
	s_add_i32 s18, s19, s18
	s_mul_i32 s13, s13, s22
	s_add_i32 s18, s18, s13
	s_mul_i32 s3, s3, s22
	s_mul_hi_u32 s19, s20, s3
	s_mul_i32 s21, s20, s3
	s_mul_i32 s24, s22, s18
	s_mul_hi_u32 s3, s22, s3
	s_mul_hi_u32 s23, s22, s18
	s_add_u32 s3, s3, s24
	s_addc_u32 s23, 0, s23
	s_add_u32 s3, s3, s21
	s_mul_hi_u32 s13, s20, s18
	s_addc_u32 s3, s23, s19
	s_addc_u32 s13, s13, 0
	s_mul_i32 s18, s20, s18
	s_add_u32 s3, s3, s18
	s_addc_u32 s13, 0, s13
	s_add_u32 s3, s22, s3
	s_cselect_b64 s[18:19], -1, 0
	s_cmp_lg_u64 s[18:19], 0
	s_addc_u32 s13, s20, s13
	s_add_u32 s18, s28, 0
	s_addc_u32 s19, 0, 0
	s_xor_b64 s[18:19], s[18:19], 0
	s_mul_i32 s21, s18, s13
	s_mul_hi_u32 s22, s18, s3
	s_mul_hi_u32 s20, s18, s13
	s_add_u32 s21, s22, s21
	s_addc_u32 s20, 0, s20
	s_mul_hi_u32 s23, s19, s3
	s_mul_i32 s3, s19, s3
	s_add_u32 s3, s21, s3
	s_mul_hi_u32 s22, s19, s13
	s_addc_u32 s3, s20, s23
	s_addc_u32 s20, s22, 0
	s_mul_i32 s13, s19, s13
	s_add_u32 s3, s3, s13
	s_addc_u32 s13, 0, s20
	s_mul_i32 s20, s16, s13
	s_mul_hi_u32 s21, s16, s3
	s_add_i32 s20, s21, s20
	s_mul_i32 s21, s17, s3
	s_add_i32 s24, s20, s21
	s_sub_i32 s22, s19, s24
	s_mul_i32 s20, s16, s3
	s_sub_u32 s18, s18, s20
	s_cselect_b64 s[20:21], -1, 0
	s_cmp_lg_u64 s[20:21], 0
	s_subb_u32 s25, s22, s17
	s_sub_u32 s26, s18, s16
	s_cselect_b64 s[22:23], -1, 0
	s_cmp_lg_u64 s[22:23], 0
	s_subb_u32 s22, s25, 0
	s_cmp_ge_u32 s22, s17
	s_cselect_b32 s23, -1, 0
	s_cmp_ge_u32 s26, s16
	s_cselect_b32 s25, -1, 0
	s_cmp_eq_u32 s22, s17
	s_cselect_b32 s22, s25, s23
	s_add_u32 s23, s3, 1
	s_addc_u32 s25, s13, 0
	s_add_u32 s26, s3, 2
	s_addc_u32 s27, s13, 0
	s_cmp_lg_u32 s22, 0
	s_cselect_b32 s22, s26, s23
	s_cselect_b32 s23, s27, s25
	s_cmp_lg_u64 s[20:21], 0
	s_subb_u32 s19, s19, s24
	s_cmp_ge_u32 s19, s17
	s_cselect_b32 s20, -1, 0
	s_cmp_ge_u32 s18, s16
	s_cselect_b32 s16, -1, 0
	s_cmp_eq_u32 s19, s17
	s_cselect_b32 s16, s16, s20
	s_load_dwordx2 s[24:25], s[0:1], 0x1d0
	s_cmp_lg_u32 s16, 0
	s_cselect_b32 s17, s23, s13
	s_cselect_b32 s16, s22, s3
	s_xor_b64 s[4:5], 0, s[4:5]
	s_xor_b64 s[16:17], s[16:17], s[4:5]
	s_sub_u32 s16, s16, s4
	s_subb_u32 s17, s17, s5
	s_cbranch_execnz .LBB21_7
.LBB21_6:
	s_waitcnt lgkmcnt(0)
	v_cvt_f32_u32_e32 v1, s24
	s_sub_i32 s3, 0, s24
	s_mov_b32 s17, 0
	v_rcp_iflag_f32_e32 v1, v1
	s_nop 0
	v_mul_f32_e32 v1, 0x4f7ffffe, v1
	v_cvt_u32_f32_e32 v1, v1
	s_nop 0
	v_readfirstlane_b32 s4, v1
	s_mul_i32 s3, s3, s4
	s_mul_hi_u32 s3, s4, s3
	s_add_i32 s4, s4, s3
	s_mul_hi_u32 s3, s28, s4
	s_mul_i32 s5, s3, s24
	s_sub_i32 s5, s28, s5
	s_add_i32 s4, s3, 1
	s_sub_i32 s6, s5, s24
	s_cmp_ge_u32 s5, s24
	s_cselect_b32 s3, s4, s3
	s_cselect_b32 s5, s6, s5
	s_add_i32 s4, s3, 1
	s_cmp_ge_u32 s5, s24
	s_cselect_b32 s16, s4, s3
.LBB21_7:
	s_mov_b32 s4, 0
	s_mov_b32 s5, s31
	v_writelane_b32 v64, s16, 2
	s_cmp_lg_u64 s[4:5], 0
	s_nop 0
	v_writelane_b32 v64, s17, 3
	s_cbranch_scc0 .LBB21_299
; %bb.8:
	s_ashr_i32 s6, s31, 31
	s_add_u32 s4, s30, s6
	s_mov_b32 s7, s6
	s_addc_u32 s5, s31, s6
	s_xor_b64 s[16:17], s[4:5], s[6:7]
	v_cvt_f32_u32_e32 v1, s16
	v_cvt_f32_u32_e32 v2, s17
	s_sub_u32 s3, 0, s16
	s_subb_u32 s13, 0, s17
	v_fmamk_f32 v1, v2, 0x4f800000, v1
	v_rcp_f32_e32 v1, v1
	s_nop 0
	v_mul_f32_e32 v1, 0x5f7ffffc, v1
	v_mul_f32_e32 v2, 0x2f800000, v1
	v_trunc_f32_e32 v2, v2
	v_fmamk_f32 v1, v2, 0xcf800000, v1
	v_cvt_u32_f32_e32 v2, v2
	v_cvt_u32_f32_e32 v1, v1
	v_readfirstlane_b32 s20, v2
	v_readfirstlane_b32 s18, v1
	s_mul_i32 s19, s3, s20
	s_mul_hi_u32 s22, s3, s18
	s_mul_i32 s21, s13, s18
	s_add_i32 s19, s22, s19
	s_add_i32 s19, s19, s21
	s_mul_i32 s23, s3, s18
	s_mul_i32 s22, s18, s19
	s_waitcnt lgkmcnt(0)
	s_mul_hi_u32 s24, s18, s23
	s_mul_hi_u32 s21, s18, s19
	s_add_u32 s22, s24, s22
	s_addc_u32 s21, 0, s21
	s_mul_hi_u32 s25, s20, s23
	s_mul_i32 s23, s20, s23
	s_add_u32 s22, s22, s23
	s_mul_hi_u32 s24, s20, s19
	s_addc_u32 s21, s21, s25
	s_addc_u32 s22, s24, 0
	s_mul_i32 s19, s20, s19
	s_add_u32 s19, s21, s19
	s_addc_u32 s21, 0, s22
	s_add_u32 s22, s18, s19
	s_cselect_b64 s[18:19], -1, 0
	s_cmp_lg_u64 s[18:19], 0
	s_addc_u32 s20, s20, s21
	s_mul_i32 s18, s3, s20
	s_mul_hi_u32 s19, s3, s22
	s_add_i32 s18, s19, s18
	s_mul_i32 s13, s13, s22
	s_add_i32 s18, s18, s13
	s_mul_i32 s3, s3, s22
	s_mul_hi_u32 s19, s20, s3
	s_mul_i32 s21, s20, s3
	s_mul_i32 s24, s22, s18
	s_mul_hi_u32 s3, s22, s3
	s_mul_hi_u32 s23, s22, s18
	s_add_u32 s3, s3, s24
	s_addc_u32 s23, 0, s23
	s_add_u32 s3, s3, s21
	s_mul_hi_u32 s13, s20, s18
	s_addc_u32 s3, s23, s19
	s_addc_u32 s13, s13, 0
	s_mul_i32 s18, s20, s18
	s_add_u32 s3, s3, s18
	s_addc_u32 s13, 0, s13
	s_add_u32 s3, s22, s3
	s_cselect_b64 s[18:19], -1, 0
	s_cmp_lg_u64 s[18:19], 0
	s_addc_u32 s13, s20, s13
	s_add_u32 s18, s28, 0
	s_addc_u32 s19, 0, 0
	s_xor_b64 s[18:19], s[18:19], 0
	s_mul_i32 s21, s18, s13
	s_mul_hi_u32 s22, s18, s3
	s_mul_hi_u32 s20, s18, s13
	s_add_u32 s21, s22, s21
	s_addc_u32 s20, 0, s20
	s_mul_hi_u32 s23, s19, s3
	s_mul_i32 s3, s19, s3
	s_add_u32 s3, s21, s3
	s_mul_hi_u32 s22, s19, s13
	s_addc_u32 s3, s20, s23
	s_addc_u32 s20, s22, 0
	s_mul_i32 s13, s19, s13
	s_add_u32 s3, s3, s13
	s_addc_u32 s13, 0, s20
	s_mul_i32 s20, s16, s13
	s_mul_hi_u32 s21, s16, s3
	s_add_i32 s20, s21, s20
	s_mul_i32 s21, s17, s3
	s_add_i32 s24, s20, s21
	s_sub_i32 s22, s19, s24
	s_mul_i32 s20, s16, s3
	s_sub_u32 s18, s18, s20
	s_cselect_b64 s[20:21], -1, 0
	s_cmp_lg_u64 s[20:21], 0
	s_subb_u32 s25, s22, s17
	s_sub_u32 s26, s18, s16
	s_cselect_b64 s[22:23], -1, 0
	s_cmp_lg_u64 s[22:23], 0
	s_subb_u32 s22, s25, 0
	s_cmp_ge_u32 s22, s17
	s_cselect_b32 s23, -1, 0
	s_cmp_ge_u32 s26, s16
	s_cselect_b32 s25, -1, 0
	s_cmp_eq_u32 s22, s17
	s_cselect_b32 s22, s25, s23
	s_add_u32 s23, s3, 1
	s_addc_u32 s25, s13, 0
	s_add_u32 s26, s3, 2
	s_addc_u32 s27, s13, 0
	s_cmp_lg_u32 s22, 0
	s_cselect_b32 s22, s26, s23
	s_cselect_b32 s23, s27, s25
	s_cmp_lg_u64 s[20:21], 0
	s_subb_u32 s19, s19, s24
	s_cmp_ge_u32 s19, s17
	s_cselect_b32 s20, -1, 0
	s_cmp_ge_u32 s18, s16
	s_cselect_b32 s16, -1, 0
	s_cmp_eq_u32 s19, s17
	s_cselect_b32 s16, s16, s20
	s_cmp_lg_u32 s16, 0
	s_cselect_b32 s17, s23, s13
	s_cselect_b32 s16, s22, s3
	s_xor_b64 s[6:7], 0, s[6:7]
	s_xor_b64 s[16:17], s[16:17], s[6:7]
	s_sub_u32 s6, s16, s6
	s_subb_u32 s7, s17, s7
	v_writelane_b32 v64, s6, 4
	s_nop 1
	v_writelane_b32 v64, s7, 5
	s_load_dwordx2 s[18:19], s[0:1], 0x0
	s_cbranch_execnz .LBB21_10
.LBB21_9:
	v_cvt_f32_u32_e32 v1, s30
	s_sub_i32 s3, 0, s30
	s_mov_b32 s7, 0
	v_rcp_iflag_f32_e32 v1, v1
	s_nop 0
	v_mul_f32_e32 v1, 0x4f7ffffe, v1
	v_cvt_u32_f32_e32 v1, v1
	s_nop 0
	v_readfirstlane_b32 s4, v1
	s_mul_i32 s3, s3, s4
	s_mul_hi_u32 s3, s4, s3
	s_add_i32 s4, s4, s3
	s_mul_hi_u32 s3, s28, s4
	s_mul_i32 s5, s3, s30
	s_sub_i32 s5, s28, s5
	s_add_i32 s4, s3, 1
	s_sub_i32 s6, s5, s30
	s_cmp_ge_u32 s5, s30
	s_cselect_b32 s3, s4, s3
	s_cselect_b32 s5, s6, s5
	s_add_i32 s4, s3, 1
	s_cmp_ge_u32 s5, s30
	s_cselect_b32 s6, s4, s3
	v_writelane_b32 v64, s6, 4
	s_nop 1
	v_writelane_b32 v64, s7, 5
.LBB21_10:
	s_load_dwordx2 s[4:5], s[0:1], 0x360
	v_writelane_b32 v64, s30, 6
	s_mov_b32 s89, 0
	v_cmp_eq_u32_e64 s[20:21], 0, v0
	v_writelane_b32 v64, s31, 7
	s_waitcnt lgkmcnt(0)
	v_writelane_b32 v64, s4, 8
	s_nop 1
	v_writelane_b32 v64, s5, 9
	s_load_dwordx2 s[4:5], s[0:1], 0x1c0
	s_waitcnt lgkmcnt(0)
	v_writelane_b32 v64, s4, 10
	s_nop 1
	v_writelane_b32 v64, s5, 11
	s_load_dwordx4 s[4:7], s[0:1], 0xd0
	s_mov_b64 s[16:17], exec
	v_writelane_b32 v64, s20, 12
	s_nop 1
	v_writelane_b32 v64, s21, 13
	s_and_b64 s[20:21], s[16:17], s[20:21]
	s_mov_b64 exec, s[20:21]
	s_cbranch_execz .LBB21_12
; %bb.11:
	v_mov_b32_e32 v2, 0
	v_mov_b32_e32 v4, s60
	v_mov_b32_e32 v5, s61
	v_mov_b32_e32 v3, v2
	ds_write_b32 v2, v2 offset:5136
	ds_write_b128 v2, v[2:5] offset:5120
.LBB21_12:
	s_or_b64 exec, exec, s[16:17]
	s_load_dwordx4 s[20:23], s[0:1], 0x430
                                        ; kill: killed $sgpr0 killed $sgpr1
	v_mbcnt_lo_u32_b32 v1, -1, 0
	v_mbcnt_hi_u32_b32 v44, -1, v1
	v_cmp_gt_u32_e32 vcc, 64, v0
	v_mov_b64_e32 v[4:5], 0x300
	s_waitcnt lgkmcnt(0)
	v_writelane_b32 v64, s20, 14
	v_mov_b32_e32 v3, 0
	v_mov_b32_e32 v1, v3
	v_writelane_b32 v64, s21, 15
	v_writelane_b32 v64, s22, 16
	;; [unrolled: 1-line block ×3, first 2 shown]
	s_load_dwordx4 s[20:23], s[0:1], 0x290
	s_mul_i32 s0, s14, s9
	s_mul_hi_u32 s1, s14, s8
	s_add_i32 s0, s1, s0
	s_mul_i32 s1, s15, s8
	s_add_i32 s0, s0, s1
	s_mul_i32 s1, s14, s8
	s_sub_u32 s3, s28, s1
	s_subb_u32 s0, 0, s0
	s_mul_i32 s1, s3, s7
	s_mul_hi_u32 s7, s3, s6
	s_add_i32 s1, s7, s1
	s_mul_i32 s0, s0, s6
	s_waitcnt lgkmcnt(0)
	v_writelane_b32 v64, s20, 18
	s_add_i32 s1, s1, s0
	s_mul_i32 s0, s3, s6
	s_mul_i32 s3, s14, s5
	s_mul_hi_u32 s5, s14, s4
	v_writelane_b32 v64, s21, 19
	s_add_i32 s3, s5, s3
	s_mul_i32 s5, s15, s4
	v_writelane_b32 v64, s22, 20
	s_add_i32 s5, s3, s5
	s_mul_i32 s4, s14, s4
	v_writelane_b32 v64, s23, 21
	s_mov_b32 s8, s28
	s_lshl_b64 s[6:7], s[4:5], 2
	v_writelane_b32 v64, s8, 22
	s_add_u32 s3, s18, s6
	s_addc_u32 s4, s19, s7
	v_writelane_b32 v64, s9, 23
	s_lshl_b64 s[8:9], s[0:1], 2
	s_add_u32 s96, s3, s8
	v_cmp_gt_i32_e64 s[0:1], 4, v44
	s_addc_u32 s97, s4, s9
	s_and_b64 s[72:73], vcc, s[0:1]
	v_cmp_gt_u32_e64 s[0:1], 2, v0
	s_barrier
	s_nop 0
	v_writelane_b32 v64, s0, 24
	v_lshlrev_b64 v[8:9], v44, -1
	s_nop 0
	v_writelane_b32 v64, s1, 25
	v_cmp_gt_i64_e64 s[0:1], s[60:61], v[4:5]
	v_not_b32_e32 v18, v8
	v_mov_b32_e32 v8, s61
	v_writelane_b32 v64, s0, 26
	v_not_b32_e32 v19, v9
	v_mov_b32_e32 v11, -1
	v_writelane_b32 v64, s1, 27
	v_cmp_gt_u64_e64 s[0:1], s[60:61], v[0:1]
	v_not_b32_e32 v10, v0
	v_lshlrev_b32_e32 v48, 4, v0
	v_writelane_b32 v64, s0, 28
	v_cmp_eq_u32_e64 s[4:5], 0, v44
	s_mov_b32 s71, s67
	v_writelane_b32 v64, s1, 29
	v_mad_u64_u32 v[4:5], s[0:1], s66, v0, 0
	v_mov_b32_e32 v2, v5
	v_mad_u64_u32 v[6:7], s[0:1], s67, v0, v[2:3]
	v_cmp_gt_i64_e64 s[0:1], s[60:61], v[0:1]
	v_lshlrev_b32_e32 v2, 2, v44
	v_and_b32_e32 v46, 0x100, v2
	v_writelane_b32 v64, s0, 30
	v_lshrrev_b32_e32 v2, 1, v0
	v_and_b32_e32 v2, 0x1e0, v2
	v_writelane_b32 v64, s1, 31
	s_load_dword s0, s[10:11], 0xc
	v_or_b32_e32 v47, 0xc00, v2
	v_add_u32_e32 v2, 2, v0
	v_cmp_gt_i64_e32 vcc, s[60:61], v[2:3]
	v_mov_b32_e32 v5, v6
	s_waitcnt lgkmcnt(0)
	s_and_b32 s86, s0, 0xffff
	s_bfe_u32 s0, s0, 0xa0006
	s_cmp_gt_u32 s86, 63
	s_cselect_b64 s[14:15], -1, 0
	v_writelane_b32 v64, s14, 32
	s_add_u32 s1, s86, -1
	s_addc_u32 s3, 0, -1
	v_writelane_b32 v64, s15, 33
	v_cndmask_b32_e32 v9, 0, v8, vcc
	v_mov_b32_e32 v8, s60
	v_writelane_b32 v64, s1, 34
	s_add_u32 s1, s1, s60
	v_cndmask_b32_e32 v8, v2, v8, vcc
	v_writelane_b32 v64, s1, 35
	s_addc_u32 s17, s3, s61
	v_lshl_add_u64 v[8:9], v[8:9], 0, v[10:11]
	v_writelane_b32 v64, s3, 36
	s_cmp_lt_u32 s2, s12
	v_cmp_lt_u64_e64 s[2:3], 1, v[8:9]
	s_cselect_b32 s1, 12, 18
	v_and_b32_e32 v20, -2, v8
	v_writelane_b32 v64, s2, 37
	v_mov_b32_e32 v21, v9
	s_add_u32 s10, s10, s1
	v_writelane_b32 v64, s3, 38
	v_cmp_ne_u64_e64 s[2:3], v[8:9], v[20:21]
	s_addc_u32 s11, s11, 0
	s_add_i32 s1, s0, -1
	v_writelane_b32 v64, s2, 39
	s_and_b32 s1, s1, 0xffff
	v_or_b32_e32 v8, 12, v48
	v_writelane_b32 v64, s3, 40
	s_bfe_u32 s2, s86, 0x30006
	s_cmp_gt_u32 s1, 6
	s_cselect_b64 s[12:13], -1, 0
	v_writelane_b32 v64, s12, 41
	s_and_b32 s33, s0, 0x3f8
	s_cmp_lg_u32 s2, 0
	v_writelane_b32 v64, s13, 42
	v_writelane_b32 v64, s2, 43
	s_cselect_b64 s[0:1], -1, 0
	v_writelane_b32 v64, s0, 44
	v_lshlrev_b32_e32 v14, 2, v0
	v_lshlrev_b64 v[6:7], 2, v[4:5]
	v_writelane_b32 v64, s1, 45
	s_add_u32 s0, s6, s8
	s_addc_u32 s1, s7, s9
	s_add_u32 s2, s18, s0
	s_addc_u32 s3, s19, s1
	s_lshl_b64 s[0:1], s[66:67], 2
	v_writelane_b32 v64, s0, 46
	s_mov_b32 s82, s66
	v_mov_b32_e32 v37, 0
	v_writelane_b32 v64, s1, 47
	v_mad_u64_u32 v[24:25], s[0:1], s66, v8, 0
	v_mov_b32_e32 v2, v25
	v_mad_u64_u32 v[8:9], s[0:1], s67, v8, v[2:3]
	v_mov_b32_e32 v25, v8
	v_or_b32_e32 v8, 8, v48
	v_mad_u64_u32 v[26:27], s[0:1], s66, v8, 0
	v_mov_b32_e32 v2, v27
	v_mad_u64_u32 v[8:9], s[0:1], s67, v8, v[2:3]
	v_writelane_b32 v64, s2, 48
	v_mov_b32_e32 v27, v8
	v_or_b32_e32 v8, 4, v48
	v_writelane_b32 v64, s3, 49
	v_mad_u64_u32 v[28:29], s[0:1], s66, v8, 0
	v_writelane_b32 v64, s4, 50
	v_mov_b32_e32 v2, v29
	v_mad_u64_u32 v[8:9], s[0:1], s67, v8, v[2:3]
	v_writelane_b32 v64, s5, 51
	v_writelane_b32 v64, s10, 52
	s_mul_i32 s0, s67, s86
	s_mul_hi_u32 s1, s66, s86
	v_writelane_b32 v64, s11, 53
	v_mov_b32_e32 v2, 0xc00
	s_add_i32 s1, s1, s0
	s_mul_i32 s0, s66, s86
	v_writelane_b32 v64, s71, 54
	v_add_u32_e32 v45, 0xc00, v14
	v_lshl_add_u64 v[16:17], s[96:97], 0, v[6:7]
	v_mov_b32_e32 v15, v3
	s_mov_b32 s87, s89
	v_lshl_add_u64 v[22:23], v[20:21], 0, v[0:1]
	s_lshl_b64 s[74:75], s[66:67], 4
	v_mov_b32_e32 v29, v8
	v_lshlrev_b64 v[30:31], 4, v[4:5]
	v_lshl_add_u64 v[32:33], s[60:61], 0, v[0:1]
	v_lshl_or_b32 v49, v44, 3, v2
	v_lshl_add_u64 v[12:13], s[2:3], 0, v[6:7]
	s_lshl_b64 s[92:93], s[0:1], 2
	s_lshl_b32 s83, s86, 2
	s_mov_b32 s99, 30
	s_mov_b64 s[14:15], 0
	v_mov_b64_e32 v[38:39], s[62:63]
	s_brev_b32 s98, 1
	v_mov_b64_e32 v[54:55], s[60:61]
	v_mov_b32_e32 v34, 1
	v_mov_b32_e32 v51, 0
	;; [unrolled: 1-line block ×4, first 2 shown]
	v_writelane_b32 v64, s82, 55
                                        ; implicit-def: $sgpr62_sgpr63
                                        ; implicit-def: $sgpr12_sgpr13
                                        ; implicit-def: $sgpr78_sgpr79
                                        ; implicit-def: $sgpr90_sgpr91
                                        ; implicit-def: $sgpr64_sgpr65
                                        ; implicit-def: $sgpr80_sgpr81
	v_writelane_b32 v64, s83, 56
	s_branch .LBB21_16
.LBB21_13:                              ;   in Loop: Header=BB21_16 Depth=1
	s_or_b64 exec, exec, s[20:21]
	s_and_b64 s[8:9], s[8:9], exec
	s_andn2_b64 s[26:27], s[26:27], exec
	s_andn2_b64 s[0:1], s[0:1], exec
	s_orn2_b64 s[20:21], s[6:7], exec
.LBB21_14:                              ;   in Loop: Header=BB21_16 Depth=1
	s_or_b64 exec, exec, s[2:3]
	s_andn2_b64 s[2:3], s[80:81], exec
	s_and_b64 s[6:7], s[8:9], exec
	s_or_b64 s[80:81], s[2:3], s[6:7]
	s_andn2_b64 s[2:3], s[64:65], exec
	s_and_b64 s[6:7], s[26:27], exec
	s_or_b64 s[64:65], s[2:3], s[6:7]
	;; [unrolled: 3-line block ×3, first 2 shown]
	s_orn2_b64 s[0:1], s[20:21], exec
.LBB21_15:                              ;   in Loop: Header=BB21_16 Depth=1
	s_or_b64 exec, exec, s[18:19]
	s_and_b64 s[0:1], exec, s[0:1]
	s_or_b64 s[14:15], s[0:1], s[14:15]
	s_andn2_b64 s[0:1], s[78:79], exec
	s_and_b64 s[2:3], s[80:81], exec
	s_or_b64 s[78:79], s[0:1], s[2:3]
	s_andn2_b64 s[0:1], s[12:13], exec
	s_and_b64 s[2:3], s[64:65], exec
	;; [unrolled: 3-line block ×3, first 2 shown]
	s_or_b64 s[62:63], s[0:1], s[2:3]
	v_mov_b64_e32 v[38:39], v[8:9]
	s_andn2_b64 exec, exec, s[14:15]
	s_cbranch_execz .LBB21_280
.LBB21_16:                              ; =>This Loop Header: Depth=1
                                        ;     Child Loop BB21_22 Depth 2
                                        ;     Child Loop BB21_36 Depth 2
	;; [unrolled: 1-line block ×17, first 2 shown]
	ds_read_b128 v[4:7], v3 offset:5120
	s_waitcnt lgkmcnt(0)
	v_readfirstlane_b32 s77, v5
	v_readfirstlane_b32 s76, v4
	s_nop 1
	v_cmp_gt_i64_e64 s[0:1], s[76:77], 0
	s_and_b64 vcc, exec, s[0:1]
	s_cbranch_vccnz .LBB21_49
; %bb.17:                               ;   in Loop: Header=BB21_16 Depth=1
	v_readlane_b32 s0, v64, 26
	v_readlane_b32 s1, v64, 27
	s_and_b64 vcc, exec, s[0:1]
	s_cbranch_vccz .LBB21_30
; %bb.18:                               ;   in Loop: Header=BB21_16 Depth=1
	s_mov_b64 s[0:1], 0x301
	v_cmp_gt_i64_e32 vcc, s[0:1], v[6:7]
	s_mov_b64 s[6:7], 0
	s_mov_b64 s[0:1], 0
	s_cbranch_vccz .LBB21_31
; %bb.19:                               ;   in Loop: Header=BB21_16 Depth=1
	s_mov_b64 s[8:9], exec
	v_readlane_b32 s0, v64, 28
	v_readlane_b32 s1, v64, 29
	s_and_b64 s[0:1], s[8:9], s[0:1]
	s_mov_b64 exec, s[0:1]
	s_cbranch_execz .LBB21_83
; %bb.20:                               ;   in Loop: Header=BB21_16 Depth=1
	global_load_ushort v6, v3, s[10:11]
	global_load_dword v8, v[16:17], off
	v_readlane_b32 s0, v64, 48
	v_readlane_b32 s1, v64, 49
	;; [unrolled: 1-line block ×4, first 2 shown]
	v_mov_b64_e32 v[4:5], s[0:1]
	s_mov_b64 s[18:19], 0
	s_waitcnt vmcnt(1)
	v_and_b32_e32 v2, 0xffff, v6
	v_readfirstlane_b32 s0, v6
	v_lshl_add_u64 v[6:7], v[0:1], 0, v[2:3]
	s_and_b32 s2, 0xffff, s0
	v_mad_u64_u32 v[4:5], s[0:1], s20, v6, v[4:5]
	v_mul_lo_u32 v7, s20, v7
	v_mul_lo_u32 v9, s21, v6
	s_mul_i32 s0, s21, s2
	s_mul_hi_u32 s1, s20, s2
	s_mul_i32 s20, s20, s2
	v_add3_u32 v5, v9, v5, v7
	s_add_i32 s21, s1, s0
	v_mov_b64_e32 v[6:7], v[0:1]
	s_branch .LBB21_22
.LBB21_21:                              ;   in Loop: Header=BB21_22 Depth=2
	s_or_b64 exec, exec, s[2:3]
	v_lshl_add_u64 v[4:5], v[4:5], 0, s[20:21]
	v_mov_b32_e32 v8, v9
	s_andn2_b64 exec, exec, s[18:19]
	s_cbranch_execz .LBB21_83
.LBB21_22:                              ;   Parent Loop BB21_16 Depth=1
                                        ; =>  This Inner Loop Header: Depth=2
	v_lshl_add_u64 v[6:7], v[6:7], 0, v[2:3]
	v_cmp_gt_i64_e64 s[0:1], s[60:61], v[6:7]
	v_cmp_le_i64_e32 vcc, s[60:61], v[6:7]
	s_waitcnt lgkmcnt(0)
	v_mov_b32_e32 v10, 0
	v_mov_b32_e32 v9, 0
	s_and_saveexec_b64 s[2:3], s[0:1]
	s_cbranch_execz .LBB21_24
; %bb.23:                               ;   in Loop: Header=BB21_22 Depth=2
	global_load_dword v9, v[4:5], off
.LBB21_24:                              ;   in Loop: Header=BB21_22 Depth=2
	s_or_b64 exec, exec, s[2:3]
	s_waitcnt vmcnt(0)
	v_bitop3_b32 v11, v8, v52, s98 bitop3:0x48
	v_cmp_eq_u32_e64 s[0:1], v11, v50
	s_cmp_lg_u64 s[0:1], 0
	s_cselect_b64 s[2:3], -1, 0
	s_and_b64 s[2:3], s[4:5], s[2:3]
	s_and_saveexec_b64 s[22:23], s[2:3]
	s_cbranch_execz .LBB21_28
; %bb.25:                               ;   in Loop: Header=BB21_22 Depth=2
	s_mov_b64 s[26:27], exec
	v_mbcnt_lo_u32_b32 v10, s26, 0
	v_mbcnt_hi_u32_b32 v10, s27, v10
	s_bcnt1_i32_b64 s28, s[0:1]
	v_cmp_eq_u32_e64 s[2:3], 0, v10
                                        ; implicit-def: $vgpr11
	s_and_saveexec_b64 s[24:25], s[2:3]
; %bb.26:                               ;   in Loop: Header=BB21_22 Depth=2
	s_bcnt1_i32_b64 s2, s[26:27]
	s_mul_i32 s2, s28, s2
	v_mov_b32_e32 v11, s2
	ds_add_rtn_u32 v11, v3, v11 offset:5136
; %bb.27:                               ;   in Loop: Header=BB21_22 Depth=2
	s_or_b64 exec, exec, s[24:25]
	s_waitcnt lgkmcnt(0)
	v_readfirstlane_b32 s2, v11
	s_nop 1
	v_mov_b32_e32 v11, s2
	v_mad_u32_u24 v10, s28, v10, v11
.LBB21_28:                              ;   in Loop: Header=BB21_22 Depth=2
	s_or_b64 exec, exec, s[22:23]
	ds_bpermute_b32 v10, v46, v10
	s_and_b64 s[2:3], exec, vcc
	s_or_b64 s[18:19], s[2:3], s[18:19]
	s_and_saveexec_b64 s[2:3], s[0:1]
	s_cbranch_execz .LBB21_21
; %bb.29:                               ;   in Loop: Header=BB21_22 Depth=2
	v_and_b32_e32 v35, s0, v18
	v_and_b32_e32 v11, s1, v19
	v_bcnt_u32_b32 v35, v35, 0
	v_bcnt_u32_b32 v11, v11, v35
	v_lshlrev_b32_e32 v11, 2, v11
	s_waitcnt lgkmcnt(0)
	v_lshl_add_u32 v10, v10, 2, v11
	ds_write_b32 v10, v8
	s_branch .LBB21_21
.LBB21_30:                              ;   in Loop: Header=BB21_16 Depth=1
	s_mov_b64 s[6:7], -1
	s_mov_b64 s[0:1], 0
.LBB21_31:                              ;   in Loop: Header=BB21_16 Depth=1
	s_and_b64 vcc, exec, s[6:7]
	s_cbranch_vccz .LBB21_47
.LBB21_32:                              ;   in Loop: Header=BB21_16 Depth=1
	s_mov_b64 s[0:1], exec
	v_readlane_b32 s2, v64, 30
	v_readlane_b32 s3, v64, 31
	s_and_b64 s[2:3], s[0:1], s[2:3]
	s_mov_b64 exec, s[2:3]
	s_cbranch_execz .LBB21_44
; %bb.33:                               ;   in Loop: Header=BB21_16 Depth=1
	global_load_ushort v2, v3, s[10:11]
	global_load_dword v10, v[16:17], off
	v_mov_b32_e32 v8, v0
	s_waitcnt vmcnt(1)
	v_readfirstlane_b32 s6, v2
	v_add_u32_sdwa v2, v2, v0 dst_sel:DWORD dst_unused:UNUSED_PAD src0_sel:WORD_0 src1_sel:DWORD
	v_cmp_gt_i64_e32 vcc, s[60:61], v[2:3]
	s_and_saveexec_b64 s[2:3], vcc
	s_cbranch_execz .LBB21_43
; %bb.34:                               ;   in Loop: Header=BB21_16 Depth=1
	s_and_b32 s88, s6, 0xffff
	s_cmp_eq_u32 s88, 1
	v_readlane_b32 s8, v64, 37
	s_cselect_b64 s[6:7], -1, 0
	v_readlane_b32 s9, v64, 38
	s_and_b64 s[18:19], s[8:9], s[6:7]
	s_mov_b64 s[8:9], -1
	v_mov_b64_e32 v[6:7], v[0:1]
	v_mov_b64_e32 v[4:5], v[2:3]
                                        ; implicit-def: $vgpr11
                                        ; implicit-def: $vgpr8_vgpr9
	s_and_saveexec_b64 s[6:7], s[18:19]
	s_cbranch_execz .LBB21_38
; %bb.35:                               ;   in Loop: Header=BB21_16 Depth=1
	v_lshl_add_u64 v[4:5], v[2:3], 0, 1
	v_mov_b64_e32 v[6:7], v[4:5]
	s_mov_b64 s[8:9], 0
	v_mov_b64_e32 v[8:9], v[20:21]
	v_mov_b32_e32 v35, v14
	v_mov_b64_e32 v[4:5], v[2:3]
.LBB21_36:                              ;   Parent Loop BB21_16 Depth=1
                                        ; =>  This Inner Loop Header: Depth=2
	v_mul_lo_u32 v53, v5, s82
	v_mul_lo_u32 v56, v4, s71
	v_mad_u64_u32 v[42:43], s[18:19], v4, s82, 0
	v_mul_lo_u32 v11, v7, s66
	v_mul_lo_u32 v36, v6, s67
	v_mad_u64_u32 v[40:41], s[18:19], v6, s66, 0
	v_add3_u32 v43, v43, v56, v53
	v_add3_u32 v41, v41, v36, v11
	v_lshl_add_u64 v[42:43], v[42:43], 2, s[96:97]
	v_lshl_add_u64 v[40:41], v[40:41], 2, s[96:97]
	global_load_dword v36, v[42:43], off
	global_load_dword v11, v[40:41], off
	v_lshl_add_u64 v[8:9], v[8:9], 0, -2
	v_cmp_eq_u64_e32 vcc, 0, v[8:9]
	v_lshl_add_u64 v[6:7], v[6:7], 0, 2
	v_lshl_add_u64 v[4:5], v[4:5], 0, 2
	s_or_b64 s[8:9], vcc, s[8:9]
	s_waitcnt vmcnt(1)
	ds_write2_b32 v35, v10, v36 offset1:1
	v_add_u32_e32 v35, 8, v35
	s_waitcnt vmcnt(0)
	v_mov_b32_e32 v10, v11
	s_andn2_b64 exec, exec, s[8:9]
	s_cbranch_execnz .LBB21_36
; %bb.37:                               ;   in Loop: Header=BB21_16 Depth=1
	s_or_b64 exec, exec, s[8:9]
	v_readlane_b32 s8, v64, 39
	v_lshl_add_u64 v[4:5], v[2:3], 0, v[20:21]
	v_readlane_b32 s9, v64, 40
	v_lshl_add_u64 v[8:9], v[4:5], 0, -1
	s_orn2_b64 s[8:9], s[8:9], exec
	v_mov_b32_e32 v10, v11
	v_mov_b64_e32 v[6:7], v[22:23]
.LBB21_38:                              ;   in Loop: Header=BB21_16 Depth=1
	s_or_b64 exec, exec, s[6:7]
	s_and_saveexec_b64 s[6:7], s[8:9]
	s_cbranch_execz .LBB21_42
; %bb.39:                               ;   in Loop: Header=BB21_16 Depth=1
	v_readlane_b32 s20, v64, 48
	v_readlane_b32 s21, v64, 49
	;; [unrolled: 1-line block ×4, first 2 shown]
	v_mov_b64_e32 v[8:9], s[20:21]
	v_mad_u64_u32 v[8:9], s[20:21], s22, v4, v[8:9]
	s_sub_u32 s8, 0, s88
	v_mul_lo_u32 v2, s22, v5
	v_mul_lo_u32 v7, s23, v4
	s_mul_i32 s20, s23, s88
	s_mul_hi_u32 s21, s22, s88
	s_mov_b64 s[18:19], 0
	s_subb_u32 s9, 0, 0
	v_add3_u32 v9, v7, v9, v2
	s_add_i32 s21, s21, s20
	s_mul_i32 s20, s22, s88
.LBB21_40:                              ;   Parent Loop BB21_16 Depth=1
                                        ; =>  This Inner Loop Header: Depth=2
	global_load_dword v11, v[8:9], off
	v_mov_b64_e32 v[40:41], v[4:5]
	v_lshl_add_u64 v[4:5], v[40:41], 0, s[88:89]
	v_lshlrev_b32_e32 v2, 2, v6
	v_cmp_le_i64_e32 vcc, s[60:61], v[4:5]
	v_lshl_add_u64 v[8:9], v[8:9], 0, s[20:21]
	s_waitcnt vmcnt(1)
	ds_write_b32 v2, v10
	v_mov_b64_e32 v[6:7], v[40:41]
	s_or_b64 s[18:19], vcc, s[18:19]
	s_waitcnt vmcnt(0)
	v_mov_b32_e32 v10, v11
	s_andn2_b64 exec, exec, s[18:19]
	s_cbranch_execnz .LBB21_40
; %bb.41:                               ;   in Loop: Header=BB21_16 Depth=1
	s_or_b64 exec, exec, s[18:19]
	v_lshl_add_u64 v[8:9], s[8:9], 0, v[4:5]
.LBB21_42:                              ;   in Loop: Header=BB21_16 Depth=1
	s_or_b64 exec, exec, s[6:7]
	s_waitcnt vmcnt(0)
	v_mov_b32_e32 v10, v11
.LBB21_43:                              ;   in Loop: Header=BB21_16 Depth=1
	s_or_b64 exec, exec, s[2:3]
	v_lshlrev_b32_e32 v2, 2, v8
	s_waitcnt vmcnt(0)
	ds_write_b32 v2, v10
.LBB21_44:                              ;   in Loop: Header=BB21_16 Depth=1
	s_or_b64 exec, exec, s[0:1]
	s_waitcnt lgkmcnt(0)
	s_barrier
	s_mov_b64 s[0:1], exec
	v_readlane_b32 s2, v64, 12
	v_readlane_b32 s3, v64, 13
	s_and_b64 s[2:3], s[0:1], s[2:3]
	s_mov_b64 exec, s[2:3]
; %bb.45:                               ;   in Loop: Header=BB21_16 Depth=1
	ds_write_b64 v3, v[54:55] offset:5120
; %bb.46:                               ;   in Loop: Header=BB21_16 Depth=1
	s_or_b64 exec, exec, s[0:1]
	s_mov_b64 s[0:1], -1
	s_waitcnt lgkmcnt(0)
	s_barrier
.LBB21_47:                              ;   in Loop: Header=BB21_16 Depth=1
	s_and_b64 vcc, exec, s[0:1]
	s_cbranch_vccz .LBB21_49
; %bb.48:                               ;   in Loop: Header=BB21_16 Depth=1
	ds_read_b64 v[4:5], v3 offset:5120
	s_waitcnt lgkmcnt(0)
	v_readfirstlane_b32 s76, v4
.LBB21_49:                              ;   in Loop: Header=BB21_16 Depth=1
	s_cmp_lt_i32 s76, 1
	s_mov_b64 s[0:1], -1
                                        ; implicit-def: $vgpr4_vgpr5
                                        ; implicit-def: $vgpr8_vgpr9
	s_cbranch_scc1 .LBB21_59
; %bb.50:                               ;   in Loop: Header=BB21_16 Depth=1
	s_and_b64 vcc, exec, s[0:1]
	s_cbranch_vccnz .LBB21_73
.LBB21_51:                              ;   in Loop: Header=BB21_16 Depth=1
	v_lshlrev_b32_e32 v2, 6, v51
	s_and_saveexec_b64 s[0:1], s[4:5]
	s_cbranch_execz .LBB21_53
.LBB21_52:                              ;   in Loop: Header=BB21_16 Depth=1
	v_lshl_add_u32 v35, v2, 3, v47
	ds_write_b128 v35, v[4:7]
	ds_write_b128 v35, v[8:11] offset:16
.LBB21_53:                              ;   in Loop: Header=BB21_16 Depth=1
	s_or_b64 exec, exec, s[0:1]
	s_waitcnt lgkmcnt(0)
	s_barrier
	s_and_saveexec_b64 s[0:1], s[72:73]
	s_cbranch_execz .LBB21_91
; %bb.54:                               ;   in Loop: Header=BB21_16 Depth=1
	v_readlane_b32 s2, v64, 32
	v_readlane_b32 s3, v64, 33
	s_andn2_b64 vcc, exec, s[2:3]
	v_mov_b64_e32 v[4:5], 0
	s_cbranch_vccnz .LBB21_90
; %bb.55:                               ;   in Loop: Header=BB21_16 Depth=1
	v_readlane_b32 s2, v64, 41
	v_readlane_b32 s3, v64, 42
	s_andn2_b64 vcc, exec, s[2:3]
	s_cbranch_vccnz .LBB21_86
; %bb.56:                               ;   in Loop: Header=BB21_16 Depth=1
	v_lshl_add_u32 v6, v51, 9, v49
	v_mov_b64_e32 v[4:5], 0
	s_mov_b32 s2, 0
.LBB21_57:                              ;   Parent Loop BB21_16 Depth=1
                                        ; =>  This Inner Loop Header: Depth=2
	ds_read2_b64 v[8:11], v6 offset1:4
	ds_read2_b64 v[40:43], v6 offset0:8 offset1:12
	ds_read2_b64 v[56:59], v6 offset0:16 offset1:20
	;; [unrolled: 1-line block ×3, first 2 shown]
	s_add_i32 s2, s2, 8
	s_waitcnt lgkmcnt(3)
	v_lshl_add_u64 v[4:5], v[8:9], 0, v[4:5]
	v_lshl_add_u64 v[4:5], v[10:11], 0, v[4:5]
	s_waitcnt lgkmcnt(2)
	v_lshl_add_u64 v[4:5], v[40:41], 0, v[4:5]
	v_lshl_add_u64 v[4:5], v[42:43], 0, v[4:5]
	;; [unrolled: 3-line block ×3, first 2 shown]
	s_waitcnt lgkmcnt(0)
	v_lshl_add_u64 v[4:5], v[60:61], 0, v[4:5]
	v_add_u32_e32 v6, 0x100, v6
	s_cmp_eq_u32 s33, s2
	v_lshl_add_u64 v[4:5], v[62:63], 0, v[4:5]
	s_cbranch_scc0 .LBB21_57
; %bb.58:                               ;   in Loop: Header=BB21_16 Depth=1
	s_mov_b32 s2, s33
	s_branch .LBB21_87
.LBB21_59:                              ;   in Loop: Header=BB21_16 Depth=1
	global_load_ushort v2, v3, s[10:11]
	s_mov_b32 s0, s89
	s_waitcnt vmcnt(0)
	v_readfirstlane_b32 s1, v2
	s_and_b32 s84, s1, 0xffff
	s_lshl_b32 s88, s84, 2
	s_mov_b32 s1, s61
	s_cmp_lg_u64 s[0:1], 0
	s_cbranch_scc0 .LBB21_82
; %bb.60:                               ;   in Loop: Header=BB21_16 Depth=1
	s_add_u32 s0, s88, 0
	s_addc_u32 s1, 0, 0
	s_xor_b64 s[0:1], s[0:1], 0
	v_cvt_f32_u32_e32 v2, s0
	v_cvt_f32_u32_e32 v4, s1
	s_sub_u32 s6, 0, s0
	s_subb_u32 s7, 0, s1
	v_fmac_f32_e32 v2, 0x4f800000, v4
	v_rcp_f32_e32 v2, v2
	s_nop 0
	v_mul_f32_e32 v2, 0x5f7ffffc, v2
	v_mul_f32_e32 v4, 0x2f800000, v2
	v_trunc_f32_e32 v4, v4
	v_fmac_f32_e32 v2, 0xcf800000, v4
	v_cvt_u32_f32_e32 v4, v4
	v_cvt_u32_f32_e32 v2, v2
	v_readfirstlane_b32 s8, v4
	v_readfirstlane_b32 s2, v2
	s_mul_i32 s3, s6, s8
	s_mul_hi_u32 s18, s6, s2
	s_mul_i32 s9, s7, s2
	s_add_i32 s3, s18, s3
	s_mul_i32 s19, s6, s2
	s_add_i32 s3, s3, s9
	s_mul_i32 s18, s2, s3
	s_mul_hi_u32 s20, s2, s19
	s_mul_hi_u32 s9, s2, s3
	s_add_u32 s18, s20, s18
	s_addc_u32 s9, 0, s9
	s_mul_hi_u32 s21, s8, s19
	s_mul_i32 s19, s8, s19
	s_add_u32 s18, s18, s19
	s_mul_hi_u32 s20, s8, s3
	s_addc_u32 s9, s9, s21
	s_addc_u32 s18, s20, 0
	s_mul_i32 s3, s8, s3
	s_add_u32 s3, s9, s3
	s_addc_u32 s9, 0, s18
	s_add_u32 s18, s2, s3
	s_cselect_b64 s[2:3], -1, 0
	s_cmp_lg_u64 s[2:3], 0
	s_addc_u32 s8, s8, s9
	s_mul_i32 s2, s6, s8
	s_mul_hi_u32 s3, s6, s18
	s_add_i32 s2, s3, s2
	s_mul_i32 s7, s7, s18
	s_add_i32 s2, s2, s7
	s_mul_i32 s6, s6, s18
	s_mul_hi_u32 s7, s8, s6
	s_mul_i32 s9, s8, s6
	s_mul_i32 s20, s18, s2
	s_mul_hi_u32 s6, s18, s6
	s_mul_hi_u32 s19, s18, s2
	s_add_u32 s6, s6, s20
	s_addc_u32 s19, 0, s19
	s_add_u32 s6, s6, s9
	s_mul_hi_u32 s3, s8, s2
	s_addc_u32 s6, s19, s7
	s_addc_u32 s3, s3, 0
	s_mul_i32 s2, s8, s2
	s_add_u32 s2, s6, s2
	s_addc_u32 s6, 0, s3
	s_add_u32 s9, s18, s2
	s_cselect_b64 s[2:3], -1, 0
	s_cmp_lg_u64 s[2:3], 0
	s_addc_u32 s8, s8, s6
	s_ashr_i32 s2, s61, 31
	s_add_u32 s6, s60, s2
	s_mov_b32 s3, s2
	s_addc_u32 s7, s61, s2
	s_xor_b64 s[6:7], s[6:7], s[2:3]
	s_mul_i32 s19, s6, s8
	s_mul_hi_u32 s20, s6, s9
	s_mul_hi_u32 s18, s6, s8
	s_add_u32 s19, s20, s19
	s_addc_u32 s18, 0, s18
	s_mul_hi_u32 s21, s7, s9
	s_mul_i32 s9, s7, s9
	s_add_u32 s9, s19, s9
	s_mul_hi_u32 s20, s7, s8
	s_addc_u32 s9, s18, s21
	s_addc_u32 s18, s20, 0
	s_mul_i32 s8, s7, s8
	s_add_u32 s8, s9, s8
	s_addc_u32 s9, 0, s18
	s_mul_i32 s9, s0, s9
	s_mul_hi_u32 s18, s0, s8
	s_add_i32 s9, s18, s9
	s_mul_i32 s18, s1, s8
	s_add_i32 s20, s9, s18
	s_sub_i32 s18, s7, s20
	s_mul_i32 s8, s0, s8
	s_sub_u32 s6, s6, s8
	s_cselect_b64 s[8:9], -1, 0
	s_cmp_lg_u64 s[8:9], 0
	s_subb_u32 s21, s18, s1
	s_sub_u32 s22, s6, s0
	s_cselect_b64 s[18:19], -1, 0
	s_cmp_lg_u64 s[18:19], 0
	s_subb_u32 s23, s21, 0
	s_cmp_ge_u32 s23, s1
	s_cselect_b32 s24, -1, 0
	s_cmp_ge_u32 s22, s0
	s_cselect_b32 s25, -1, 0
	s_cmp_eq_u32 s23, s1
	s_cselect_b32 s24, s25, s24
	s_cmp_lg_u64 s[18:19], 0
	s_subb_u32 s21, s21, s1
	s_sub_u32 s25, s22, s0
	s_cselect_b64 s[18:19], -1, 0
	s_cmp_lg_u64 s[18:19], 0
	s_subb_u32 s18, s21, 0
	s_cmp_lg_u32 s24, 0
	s_cselect_b32 s19, s25, s22
	s_cselect_b32 s18, s18, s23
	s_cmp_lg_u64 s[8:9], 0
	s_subb_u32 s7, s7, s20
	s_cmp_ge_u32 s7, s1
	s_cselect_b32 s8, -1, 0
	s_cmp_ge_u32 s6, s0
	s_cselect_b32 s0, -1, 0
	s_cmp_eq_u32 s7, s1
	s_cselect_b32 s0, s0, s8
	s_cmp_lg_u32 s0, 0
	s_cselect_b32 s1, s18, s7
	s_cselect_b32 s0, s19, s6
	s_xor_b64 s[0:1], s[0:1], s[2:3]
	s_sub_u32 s68, s0, s2
	s_subb_u32 s69, s1, s2
	s_cbranch_execnz .LBB21_62
.LBB21_61:                              ;   in Loop: Header=BB21_16 Depth=1
	v_cvt_f32_u32_e32 v2, s88
	s_sub_i32 s0, 0, s88
	s_mov_b32 s69, s89
	v_rcp_iflag_f32_e32 v2, v2
	s_nop 0
	v_mul_f32_e32 v2, 0x4f7ffffe, v2
	v_cvt_u32_f32_e32 v2, v2
	s_nop 0
	v_readfirstlane_b32 s1, v2
	s_mul_i32 s0, s0, s1
	s_mul_hi_u32 s0, s1, s0
	s_add_i32 s1, s1, s0
	s_mul_hi_u32 s0, s60, s1
	s_mul_i32 s0, s0, s88
	s_sub_i32 s0, s60, s0
	s_sub_i32 s1, s0, s88
	s_cmp_ge_u32 s0, s88
	s_cselect_b32 s0, s1, s0
	s_sub_i32 s1, s0, s88
	s_cmp_ge_u32 s0, s88
	s_cselect_b32 s68, s1, s0
.LBB21_62:                              ;   in Loop: Header=BB21_16 Depth=1
	s_sub_u32 s34, s60, s68
	s_subb_u32 s35, s61, s69
	s_mov_b32 s85, s89
	v_cmp_gt_i64_e32 vcc, s[34:35], v[14:15]
	v_mov_b64_e32 v[4:5], 0
	v_mov_b64_e32 v[6:7], 0
	v_mov_b64_e32 v[8:9], 0
	v_mov_b64_e32 v[10:11], 0
	s_and_saveexec_b64 s[58:59], vcc
	s_cbranch_execz .LBB21_66
; %bb.63:                               ;   in Loop: Header=BB21_16 Depth=1
	s_mul_i32 s0, s75, s84
	s_mul_hi_u32 s1, s74, s84
	s_mov_b64 s[82:83], s[78:79]
	s_mov_b64 s[78:79], s[12:13]
	s_mov_b64 s[12:13], s[62:63]
	s_mov_b64 s[62:63], s[64:65]
	s_mov_b64 s[64:65], s[80:81]
	s_mov_b64 s[80:81], s[90:91]
	s_mov_b32 s11, s17
	s_mov_b64 s[16:17], s[72:73]
	s_mov_b64 s[72:73], s[92:93]
	s_add_i32 s77, s1, s0
	s_mov_b64 s[70:71], 0
	s_mov_b64 s[4:5], s[96:97]
	;; [unrolled: 1-line block ×7, first 2 shown]
	v_mov_b64_e32 v[40:41], v[14:15]
.LBB21_64:                              ;   Parent Loop BB21_16 Depth=1
                                        ; =>  This Inner Loop Header: Depth=2
	v_lshl_add_u64 v[4:5], s[90:91], 0, v[30:31]
	v_lshl_add_u64 v[6:7], s[90:91], 0, v[28:29]
	;; [unrolled: 1-line block ×4, first 2 shown]
	global_load_dword v2, v[4:5], off
	s_nop 0
	global_load_dword v4, v[6:7], off
	global_load_dword v5, v[8:9], off
	s_nop 0
	global_load_dword v6, v[10:11], off
	s_mul_i32 s92, s74, s84
	v_lshl_add_u64 v[40:41], v[40:41], 0, s[88:89]
	v_cmp_le_i64_e32 vcc, s[34:35], v[40:41]
	s_waitcnt vmcnt(3)
	v_xor_b32_e32 v7, 0x80000000, v2
	v_bitop3_b32 v2, v2, v52, s98 bitop3:0x48
	s_waitcnt vmcnt(2)
	v_xor_b32_e32 v8, 0x80000000, v4
	v_bitop3_b32 v4, v4, v52, s98 bitop3:0x48
	v_cmp_eq_u32_e64 s[2:3], v2, v50
	v_bfe_u32 v2, v7, s99, 2
	s_waitcnt vmcnt(1)
	v_xor_b32_e32 v9, 0x80000000, v5
	v_bitop3_b32 v5, v5, v52, s98 bitop3:0x48
	v_cmp_eq_u32_e64 s[18:19], v4, v50
	v_bfe_u32 v4, v8, s99, 2
	v_cmp_eq_u32_e64 s[22:23], 0, v2
	s_waitcnt vmcnt(0)
	v_xor_b32_e32 v10, 0x80000000, v6
	v_bitop3_b32 v6, v6, v52, s98 bitop3:0x48
	v_cmp_eq_u32_e64 s[20:21], v5, v50
	v_bfe_u32 v5, v9, s99, 2
	v_cmp_eq_u32_e64 s[24:25], 0, v4
	s_and_b64 s[22:23], s[2:3], s[22:23]
	v_cmp_eq_u32_e64 s[0:1], v6, v50
	v_bfe_u32 v6, v10, s99, 2
	v_cmp_eq_u32_e64 s[26:27], 0, v5
	v_cmp_eq_u32_e64 s[30:31], 1, v2
	;; [unrolled: 1-line block ×4, first 2 shown]
	v_cndmask_b32_e64 v2, 0, 1, s[22:23]
	s_and_b64 s[22:23], s[18:19], s[24:25]
	v_cmp_eq_u32_e64 s[28:29], 0, v6
	v_cmp_eq_u32_e64 s[36:37], 1, v4
	;; [unrolled: 1-line block ×4, first 2 shown]
	v_cndmask_b32_e64 v4, 0, 1, s[22:23]
	s_and_b64 s[22:23], s[20:21], s[26:27]
	v_cmp_eq_u32_e64 s[38:39], 1, v5
	v_cmp_eq_u32_e64 s[46:47], 2, v5
	;; [unrolled: 1-line block ×3, first 2 shown]
	v_cndmask_b32_e64 v5, 0, 1, s[22:23]
	s_and_b64 s[22:23], s[0:1], s[28:29]
	v_cmp_eq_u32_e64 s[40:41], 1, v6
	v_cmp_eq_u32_e64 s[48:49], 2, v6
	v_cmp_eq_u32_e64 s[56:57], 3, v6
	v_cndmask_b32_e64 v6, 0, 1, s[22:23]
	v_cmp_ne_u32_e64 s[22:23], 0, v2
	v_cmp_ne_u32_e64 s[24:25], 0, v4
	;; [unrolled: 1-line block ×4, first 2 shown]
	s_bcnt1_i32_b64 s22, s[22:23]
	s_bcnt1_i32_b64 s23, s[24:25]
	;; [unrolled: 1-line block ×4, first 2 shown]
	s_add_u32 s22, s22, s94
	s_addc_u32 s26, 0, s95
	s_add_u32 s22, s22, s23
	s_addc_u32 s23, s26, 0
	;; [unrolled: 2-line block ×4, first 2 shown]
	s_and_b64 s[22:23], s[2:3], s[30:31]
	v_cndmask_b32_e64 v2, 0, 1, s[22:23]
	s_and_b64 s[22:23], s[18:19], s[36:37]
	v_cndmask_b32_e64 v6, 0, 1, s[22:23]
	;; [unrolled: 2-line block ×4, first 2 shown]
	v_cmp_ne_u32_e64 s[22:23], 0, v2
	v_cmp_ne_u32_e64 s[24:25], 0, v6
	;; [unrolled: 1-line block ×4, first 2 shown]
	s_bcnt1_i32_b64 s22, s[22:23]
	s_bcnt1_i32_b64 s23, s[24:25]
	;; [unrolled: 1-line block ×4, first 2 shown]
	s_add_u32 s6, s22, s6
	s_addc_u32 s7, 0, s7
	s_add_u32 s6, s6, s23
	s_addc_u32 s7, s7, 0
	s_add_u32 s6, s6, s24
	s_addc_u32 s7, s7, 0
	s_add_u32 s6, s6, s25
	s_addc_u32 s7, s7, 0
	s_and_b64 s[22:23], s[2:3], s[42:43]
	v_cndmask_b32_e64 v2, 0, 1, s[22:23]
	s_and_b64 s[22:23], s[18:19], s[44:45]
	v_cndmask_b32_e64 v8, 0, 1, s[22:23]
	s_and_b64 s[22:23], s[20:21], s[46:47]
	v_cndmask_b32_e64 v9, 0, 1, s[22:23]
	s_and_b64 s[22:23], s[0:1], s[48:49]
	v_cndmask_b32_e64 v10, 0, 1, s[22:23]
	v_cmp_ne_u32_e64 s[22:23], 0, v2
	v_cmp_ne_u32_e64 s[24:25], 0, v8
	;; [unrolled: 1-line block ×4, first 2 shown]
	s_bcnt1_i32_b64 s22, s[22:23]
	s_bcnt1_i32_b64 s23, s[24:25]
	;; [unrolled: 1-line block ×4, first 2 shown]
	s_add_u32 s22, s22, s96
	s_addc_u32 s26, 0, s97
	s_add_u32 s22, s22, s23
	s_addc_u32 s23, s26, 0
	;; [unrolled: 2-line block ×4, first 2 shown]
	s_and_b64 s[2:3], s[2:3], s[50:51]
	v_cndmask_b32_e64 v2, 0, 1, s[2:3]
	s_and_b64 s[2:3], s[18:19], s[52:53]
	v_cndmask_b32_e64 v10, 0, 1, s[2:3]
	s_and_b64 s[2:3], s[20:21], s[54:55]
	s_and_b64 s[0:1], s[0:1], s[56:57]
	v_cndmask_b32_e64 v11, 0, 1, s[2:3]
	v_cndmask_b32_e64 v35, 0, 1, s[0:1]
	v_cmp_ne_u32_e64 s[0:1], 0, v2
	v_cmp_ne_u32_e64 s[2:3], 0, v10
	;; [unrolled: 1-line block ×4, first 2 shown]
	s_bcnt1_i32_b64 s0, s[0:1]
	s_bcnt1_i32_b64 s1, s[2:3]
	;; [unrolled: 1-line block ×4, first 2 shown]
	s_add_u32 s0, s0, s8
	s_addc_u32 s8, 0, s9
	s_add_u32 s0, s0, s1
	s_addc_u32 s1, s8, 0
	;; [unrolled: 2-line block ×5, first 2 shown]
	v_mov_b64_e32 v[4:5], s[94:95]
	v_mov_b64_e32 v[6:7], s[6:7]
	;; [unrolled: 1-line block ×3, first 2 shown]
	s_or_b64 s[70:71], vcc, s[70:71]
	v_mov_b64_e32 v[10:11], s[8:9]
	s_andn2_b64 exec, exec, s[70:71]
	s_cbranch_execnz .LBB21_64
; %bb.65:                               ;   in Loop: Header=BB21_16 Depth=1
	s_or_b64 exec, exec, s[70:71]
	s_mov_b64 s[92:93], s[72:73]
	s_mov_b64 s[72:73], s[16:17]
	;; [unrolled: 1-line block ×3, first 2 shown]
	v_readlane_b32 s4, v64, 50
	s_mov_b32 s17, s11
	v_readlane_b32 s10, v64, 52
	v_readlane_b32 s5, v64, 51
	;; [unrolled: 1-line block ×4, first 2 shown]
	s_mov_b64 s[90:91], s[80:81]
	s_mov_b64 s[80:81], s[64:65]
	;; [unrolled: 1-line block ×6, first 2 shown]
	v_readlane_b32 s82, v64, 55
	v_readlane_b32 s83, v64, 56
.LBB21_66:                              ;   in Loop: Header=BB21_16 Depth=1
	s_or_b64 exec, exec, s[58:59]
	v_lshl_add_u64 v[40:41], s[34:35], 0, v[0:1]
	v_cmp_gt_i64_e32 vcc, s[60:61], v[40:41]
	s_and_saveexec_b64 s[2:3], vcc
	s_cbranch_execz .LBB21_72
; %bb.67:                               ;   in Loop: Header=BB21_16 Depth=1
	v_mul_lo_u32 v2, v41, s66
	v_mul_lo_u32 v35, v40, s67
	v_mad_u64_u32 v[42:43], s[0:1], v40, s66, 0
	v_add3_u32 v43, v43, v35, v2
	v_lshl_add_u64 v[42:43], v[42:43], 2, s[96:97]
	global_load_dword v2, v[42:43], off
	v_lshl_add_u64 v[42:43], v[32:33], 0, s[84:85]
	v_readlane_b32 s0, v64, 48
	v_mov_b32_e32 v35, s69
	v_subrev_co_u32_e32 v36, vcc, s68, v42
	v_readlane_b32 s1, v64, 49
	s_nop 0
	v_subb_co_u32_e32 v35, vcc, v43, v35, vcc
	v_readlane_b32 s6, v64, 46
	v_mov_b64_e32 v[42:43], s[0:1]
	v_readlane_b32 s7, v64, 47
	v_mad_u64_u32 v[42:43], s[0:1], s6, v36, v[42:43]
	v_mul_lo_u32 v35, s6, v35
	v_mul_lo_u32 v53, s7, v36
	s_mul_i32 s0, s7, s84
	s_mul_hi_u32 s1, s6, s84
	v_add3_u32 v43, v53, v43, v35
	s_add_i32 s7, s1, s0
	s_mul_i32 s6, s6, s84
	s_mov_b64 s[8:9], 0
	s_branch .LBB21_69
.LBB21_68:                              ;   in Loop: Header=BB21_69 Depth=2
	s_or_b64 exec, exec, s[18:19]
	s_waitcnt vmcnt(0)
	v_xor_b32_e32 v36, 0x80000000, v2
	v_bitop3_b32 v2, v2, v52, s98 bitop3:0x48
	s_and_b64 s[0:1], exec, vcc
	v_cmp_eq_u32_e32 vcc, v2, v50
	v_bfe_u32 v2, v36, s99, 2
	s_or_b64 s[8:9], s[0:1], s[8:9]
	v_cmp_eq_u32_e64 s[0:1], 0, v2
	s_and_b64 s[0:1], vcc, s[0:1]
	v_lshl_add_u64 v[42:43], v[42:43], 0, s[6:7]
	v_cndmask_b32_e64 v36, 0, 1, s[0:1]
	v_cmp_ne_u32_e64 s[0:1], 0, v36
	s_bcnt1_i32_b64 s88, s[0:1]
	v_cmp_eq_u32_e64 s[0:1], 1, v2
	s_and_b64 s[0:1], vcc, s[0:1]
	v_lshl_add_u64 v[4:5], s[88:89], 0, v[4:5]
	v_cndmask_b32_e64 v36, 0, 1, s[0:1]
	v_cmp_ne_u32_e64 s[0:1], 0, v36
	s_bcnt1_i32_b64 s88, s[0:1]
	;; [unrolled: 6-line block ×3, first 2 shown]
	v_cmp_eq_u32_e64 s[0:1], 3, v2
	s_and_b64 s[0:1], vcc, s[0:1]
	v_lshl_add_u64 v[8:9], s[88:89], 0, v[8:9]
	v_cndmask_b32_e64 v2, 0, 1, s[0:1]
	v_cmp_ne_u32_e32 vcc, 0, v2
	s_bcnt1_i32_b64 s88, vcc
	v_lshl_add_u64 v[10:11], s[88:89], 0, v[10:11]
	v_mov_b32_e32 v2, v35
	s_andn2_b64 exec, exec, s[8:9]
	s_cbranch_execz .LBB21_71
.LBB21_69:                              ;   Parent Loop BB21_16 Depth=1
                                        ; =>  This Inner Loop Header: Depth=2
	v_lshl_add_u64 v[40:41], v[40:41], 0, s[84:85]
	v_cmp_gt_i64_e64 s[0:1], s[60:61], v[40:41]
	v_cmp_le_i64_e32 vcc, s[60:61], v[40:41]
	v_mov_b32_e32 v35, 0
	s_and_saveexec_b64 s[18:19], s[0:1]
	s_cbranch_execz .LBB21_68
; %bb.70:                               ;   in Loop: Header=BB21_69 Depth=2
	global_load_dword v35, v[42:43], off
	s_branch .LBB21_68
.LBB21_71:                              ;   in Loop: Header=BB21_16 Depth=1
	s_or_b64 exec, exec, s[8:9]
.LBB21_72:                              ;   in Loop: Header=BB21_16 Depth=1
	s_or_b64 exec, exec, s[2:3]
	s_branch .LBB21_51
.LBB21_73:                              ;   in Loop: Header=BB21_16 Depth=1
	global_load_ushort v2, v3, s[10:11]
	v_mov_b64_e32 v[8:9], 0
	s_waitcnt vmcnt(0)
	v_readfirstlane_b32 s0, v2
	s_and_b32 s0, 0xffff, s0
	s_lshl_b32 s68, s0, 2
	v_cvt_f32_u32_e32 v4, s68
	s_sub_i32 s1, 0, s68
	v_rcp_iflag_f32_e32 v6, v4
	v_mov_b64_e32 v[4:5], 0
	v_mul_f32_e32 v6, 0x4f7ffffe, v6
	v_cvt_u32_f32_e32 v10, v6
	v_mov_b64_e32 v[6:7], 0
	v_readfirstlane_b32 s2, v10
	s_mul_i32 s1, s1, s2
	s_mul_hi_u32 s1, s2, s1
	s_add_i32 s2, s2, s1
	s_mul_hi_u32 s1, s76, s2
	s_mul_i32 s2, s1, s68
	s_sub_i32 s2, s76, s2
	s_add_i32 s3, s1, 1
	s_sub_i32 s6, s2, s68
	s_cmp_ge_u32 s2, s68
	s_cselect_b32 s1, s3, s1
	s_cselect_b32 s2, s6, s2
	s_add_i32 s3, s1, 1
	s_cmp_ge_u32 s2, s68
	s_cselect_b32 s1, s3, s1
	s_mul_hi_u32 s7, s0, s1
	s_mul_i32 s6, s0, s1
	s_lshl_b64 s[8:9], s[6:7], 2
	v_cmp_gt_u64_e32 vcc, s[8:9], v[14:15]
	v_mov_b64_e32 v[10:11], 0
	s_and_saveexec_b64 s[34:35], vcc
	s_cbranch_execz .LBB21_77
; %bb.74:                               ;   in Loop: Header=BB21_16 Depth=1
	s_mov_b32 s69, s89
	s_mov_b64 s[82:83], s[78:79]
	s_mov_b64 s[78:79], s[12:13]
	;; [unrolled: 1-line block ×6, first 2 shown]
	s_lshl_b32 s7, s0, 4
	s_mov_b64 s[58:59], 0
	v_mov_b32_e32 v35, v48
	s_mov_b64 s[70:71], 0
	s_mov_b64 s[84:85], 0
	;; [unrolled: 1-line block ×4, first 2 shown]
	v_mov_b64_e32 v[40:41], v[14:15]
.LBB21_75:                              ;   Parent Loop BB21_16 Depth=1
                                        ; =>  This Inner Loop Header: Depth=2
	ds_read_b128 v[4:7], v35
	v_lshl_add_u64 v[40:41], v[40:41], 0, s[68:69]
	v_cmp_le_u64_e32 vcc, s[8:9], v[40:41]
	v_add_u32_e32 v35, s7, v35
	s_waitcnt lgkmcnt(0)
	v_xor_b32_e32 v8, 0x80000000, v4
	v_bitop3_b32 v4, v4, v52, s98 bitop3:0x48
	v_xor_b32_e32 v9, 0x80000000, v5
	v_bitop3_b32 v5, v5, v52, s98 bitop3:0x48
	v_cmp_eq_u32_e64 s[22:23], v4, v50
	v_bfe_u32 v4, v8, s99, 2
	v_xor_b32_e32 v10, 0x80000000, v6
	v_bitop3_b32 v6, v6, v52, s98 bitop3:0x48
	v_cmp_eq_u32_e64 s[20:21], v5, v50
	v_bfe_u32 v5, v9, s99, 2
	v_cmp_eq_u32_e64 s[2:3], 0, v4
	v_xor_b32_e32 v11, 0x80000000, v7
	v_bitop3_b32 v7, v7, v52, s98 bitop3:0x48
	v_cmp_eq_u32_e64 s[18:19], v6, v50
	v_bfe_u32 v6, v10, s99, 2
	v_cmp_eq_u32_e64 s[36:37], 0, v5
	s_and_b64 s[2:3], s[22:23], s[2:3]
	v_cmp_eq_u32_e64 s[0:1], v7, v50
	v_bfe_u32 v7, v11, s99, 2
	v_cmp_eq_u32_e64 s[38:39], 0, v6
	v_cmp_eq_u32_e64 s[42:43], 1, v4
	;; [unrolled: 1-line block ×4, first 2 shown]
	v_cndmask_b32_e64 v4, 0, 1, s[2:3]
	s_and_b64 s[2:3], s[20:21], s[36:37]
	v_cmp_eq_u32_e64 s[40:41], 0, v7
	v_cmp_eq_u32_e64 s[44:45], 1, v5
	;; [unrolled: 1-line block ×4, first 2 shown]
	v_cndmask_b32_e64 v5, 0, 1, s[2:3]
	s_and_b64 s[2:3], s[18:19], s[38:39]
	v_cmp_eq_u32_e64 s[46:47], 1, v6
	v_cmp_eq_u32_e64 s[54:55], 2, v6
	;; [unrolled: 1-line block ×3, first 2 shown]
	v_cndmask_b32_e64 v6, 0, 1, s[2:3]
	s_and_b64 s[2:3], s[0:1], s[40:41]
	v_cmp_eq_u32_e64 s[48:49], 1, v7
	v_cmp_eq_u32_e64 s[56:57], 2, v7
	;; [unrolled: 1-line block ×3, first 2 shown]
	v_cndmask_b32_e64 v7, 0, 1, s[2:3]
	v_cmp_ne_u32_e64 s[2:3], 0, v4
	v_cmp_ne_u32_e64 s[36:37], 0, v5
	;; [unrolled: 1-line block ×4, first 2 shown]
	s_bcnt1_i32_b64 s2, s[2:3]
	s_bcnt1_i32_b64 s3, s[36:37]
	;; [unrolled: 1-line block ×4, first 2 shown]
	s_add_u32 s2, s2, s94
	s_addc_u32 s38, 0, s95
	s_add_u32 s2, s2, s3
	s_addc_u32 s3, s38, 0
	;; [unrolled: 2-line block ×4, first 2 shown]
	s_and_b64 s[2:3], s[22:23], s[42:43]
	v_cndmask_b32_e64 v6, 0, 1, s[2:3]
	s_and_b64 s[2:3], s[20:21], s[44:45]
	v_cndmask_b32_e64 v7, 0, 1, s[2:3]
	;; [unrolled: 2-line block ×4, first 2 shown]
	v_cmp_ne_u32_e64 s[2:3], 0, v6
	v_cmp_ne_u32_e64 s[36:37], 0, v7
	;; [unrolled: 1-line block ×4, first 2 shown]
	s_bcnt1_i32_b64 s2, s[2:3]
	s_bcnt1_i32_b64 s3, s[36:37]
	;; [unrolled: 1-line block ×4, first 2 shown]
	s_add_u32 s2, s2, s90
	s_addc_u32 s38, 0, s91
	s_add_u32 s2, s2, s3
	s_addc_u32 s3, s38, 0
	;; [unrolled: 2-line block ×4, first 2 shown]
	s_and_b64 s[2:3], s[22:23], s[50:51]
	v_cndmask_b32_e64 v8, 0, 1, s[2:3]
	s_and_b64 s[2:3], s[20:21], s[52:53]
	v_cndmask_b32_e64 v9, 0, 1, s[2:3]
	;; [unrolled: 2-line block ×4, first 2 shown]
	v_cmp_ne_u32_e64 s[2:3], 0, v8
	v_cmp_ne_u32_e64 s[36:37], 0, v9
	;; [unrolled: 1-line block ×4, first 2 shown]
	s_bcnt1_i32_b64 s2, s[2:3]
	s_bcnt1_i32_b64 s3, s[36:37]
	;; [unrolled: 1-line block ×4, first 2 shown]
	s_add_u32 s2, s2, s84
	s_addc_u32 s38, 0, s85
	s_add_u32 s2, s2, s3
	s_addc_u32 s3, s38, 0
	;; [unrolled: 2-line block ×4, first 2 shown]
	s_and_b64 s[2:3], s[22:23], s[30:31]
	v_cndmask_b32_e64 v10, 0, 1, s[2:3]
	s_and_b64 s[2:3], s[20:21], s[28:29]
	v_cndmask_b32_e64 v11, 0, 1, s[2:3]
	s_and_b64 s[2:3], s[18:19], s[26:27]
	s_and_b64 s[0:1], s[0:1], s[24:25]
	v_cndmask_b32_e64 v36, 0, 1, s[2:3]
	v_cndmask_b32_e64 v42, 0, 1, s[0:1]
	v_cmp_ne_u32_e64 s[0:1], 0, v10
	v_cmp_ne_u32_e64 s[2:3], 0, v11
	v_cmp_ne_u32_e64 s[18:19], 0, v36
	v_cmp_ne_u32_e64 s[20:21], 0, v42
	s_bcnt1_i32_b64 s0, s[0:1]
	s_bcnt1_i32_b64 s1, s[2:3]
	;; [unrolled: 1-line block ×4, first 2 shown]
	s_add_u32 s0, s0, s70
	s_addc_u32 s18, 0, s71
	s_add_u32 s0, s0, s1
	s_addc_u32 s1, s18, 0
	;; [unrolled: 2-line block ×4, first 2 shown]
	v_mov_b64_e32 v[4:5], s[94:95]
	v_mov_b64_e32 v[6:7], s[90:91]
	;; [unrolled: 1-line block ×3, first 2 shown]
	s_or_b64 s[58:59], vcc, s[58:59]
	v_mov_b64_e32 v[10:11], s[70:71]
	s_andn2_b64 exec, exec, s[58:59]
	s_cbranch_execnz .LBB21_75
; %bb.76:                               ;   in Loop: Header=BB21_16 Depth=1
	s_or_b64 exec, exec, s[58:59]
	v_readlane_b32 s4, v64, 50
	v_readlane_b32 s10, v64, 52
	v_readlane_b32 s5, v64, 51
	v_readlane_b32 s11, v64, 53
	v_readlane_b32 s71, v64, 54
	s_mov_b64 s[90:91], s[80:81]
	s_mov_b64 s[80:81], s[64:65]
	;; [unrolled: 1-line block ×6, first 2 shown]
	v_readlane_b32 s82, v64, 55
	v_readlane_b32 s83, v64, 56
.LBB21_77:                              ;   in Loop: Header=BB21_16 Depth=1
	s_or_b64 exec, exec, s[34:35]
	s_and_b32 s24, s76, 0x7fffffff
	s_mov_b32 s25, s89
	v_lshl_add_u64 v[40:41], s[8:9], 0, v[0:1]
	v_and_b32_e32 v2, 0xffff, v2
	v_cmp_gt_u64_e32 vcc, s[24:25], v[40:41]
	s_and_saveexec_b64 s[8:9], vcc
	s_cbranch_execz .LBB21_81
; %bb.78:                               ;   in Loop: Header=BB21_16 Depth=1
	v_lshl_add_u32 v35, s6, 4, v14
	s_mov_b64 s[6:7], 0
.LBB21_79:                              ;   Parent Loop BB21_16 Depth=1
                                        ; =>  This Inner Loop Header: Depth=2
	ds_read_b32 v36, v35
	v_lshl_add_u64 v[40:41], v[40:41], 0, v[2:3]
	v_cmp_le_u64_e32 vcc, s[24:25], v[40:41]
	v_add_u32_e32 v35, s68, v35
	s_waitcnt lgkmcnt(0)
	v_xor_b32_e32 v42, 0x80000000, v36
	v_bitop3_b32 v36, v36, v52, s98 bitop3:0x48
	v_cmp_eq_u32_e64 s[0:1], v36, v50
	v_bfe_u32 v36, v42, s99, 2
	v_cmp_eq_u32_e64 s[2:3], 0, v36
	v_cmp_eq_u32_e64 s[18:19], 1, v36
	s_and_b64 s[2:3], s[0:1], s[2:3]
	v_cmp_eq_u32_e64 s[20:21], 2, v36
	v_cmp_eq_u32_e64 s[22:23], 3, v36
	v_cndmask_b32_e64 v36, 0, 1, s[2:3]
	s_and_b64 s[2:3], s[0:1], s[18:19]
	v_cndmask_b32_e64 v42, 0, 1, s[2:3]
	s_and_b64 s[2:3], s[0:1], s[20:21]
	s_and_b64 s[0:1], s[0:1], s[22:23]
	v_cndmask_b32_e64 v53, 0, 1, s[0:1]
	v_cmp_ne_u32_e64 s[0:1], 0, v36
	v_cndmask_b32_e64 v43, 0, 1, s[2:3]
	v_cmp_ne_u32_e64 s[2:3], 0, v42
	s_bcnt1_i32_b64 s88, s[0:1]
	v_cmp_ne_u32_e64 s[18:19], 0, v43
	v_lshl_add_u64 v[4:5], s[88:89], 0, v[4:5]
	s_bcnt1_i32_b64 s88, s[2:3]
	v_cmp_ne_u32_e64 s[20:21], 0, v53
	v_lshl_add_u64 v[6:7], s[88:89], 0, v[6:7]
	s_bcnt1_i32_b64 s88, s[18:19]
	v_lshl_add_u64 v[8:9], s[88:89], 0, v[8:9]
	s_bcnt1_i32_b64 s88, s[20:21]
	s_or_b64 s[6:7], vcc, s[6:7]
	v_lshl_add_u64 v[10:11], s[88:89], 0, v[10:11]
	s_andn2_b64 exec, exec, s[6:7]
	s_cbranch_execnz .LBB21_79
; %bb.80:                               ;   in Loop: Header=BB21_16 Depth=1
	s_or_b64 exec, exec, s[6:7]
.LBB21_81:                              ;   in Loop: Header=BB21_16 Depth=1
	s_or_b64 exec, exec, s[8:9]
	v_lshlrev_b32_e32 v2, 6, v51
	s_and_saveexec_b64 s[0:1], s[4:5]
	s_cbranch_execnz .LBB21_52
	s_branch .LBB21_53
.LBB21_82:                              ;   in Loop: Header=BB21_16 Depth=1
                                        ; implicit-def: $sgpr68_sgpr69
	s_branch .LBB21_61
.LBB21_83:                              ;   in Loop: Header=BB21_16 Depth=1
	s_or_b64 exec, exec, s[8:9]
	s_waitcnt lgkmcnt(0)
	s_barrier
	s_mov_b64 s[0:1], exec
	v_readlane_b32 s2, v64, 12
	v_readlane_b32 s3, v64, 13
	s_and_b64 s[2:3], s[0:1], s[2:3]
	s_mov_b64 exec, s[2:3]
	s_cbranch_execz .LBB21_85
; %bb.84:                               ;   in Loop: Header=BB21_16 Depth=1
	ds_read_b32 v4, v3 offset:5136
	s_waitcnt lgkmcnt(0)
	v_ashrrev_i32_e32 v5, 31, v4
	ds_write_b64 v3, v[4:5] offset:5120
.LBB21_85:                              ;   in Loop: Header=BB21_16 Depth=1
	s_or_b64 exec, exec, s[0:1]
	s_waitcnt lgkmcnt(0)
	s_barrier
	s_mov_b64 s[0:1], -1
	s_and_b64 vcc, exec, s[6:7]
	s_cbranch_vccnz .LBB21_32
	s_branch .LBB21_47
.LBB21_86:                              ;   in Loop: Header=BB21_16 Depth=1
	s_mov_b32 s2, 0
	v_mov_b64_e32 v[4:5], 0
.LBB21_87:                              ;   in Loop: Header=BB21_16 Depth=1
	v_readlane_b32 s6, v64, 44
	v_readlane_b32 s7, v64, 45
	s_andn2_b64 vcc, exec, s[6:7]
	s_cbranch_vccnz .LBB21_90
; %bb.88:                               ;   in Loop: Header=BB21_16 Depth=1
	v_lshlrev_b32_e32 v6, 9, v51
	s_lshl_b32 s2, s2, 5
	v_add_u32_e32 v6, s2, v6
	v_add_u32_e32 v6, v49, v6
	v_readlane_b32 s2, v64, 43
.LBB21_89:                              ;   Parent Loop BB21_16 Depth=1
                                        ; =>  This Inner Loop Header: Depth=2
	ds_read_b64 v[8:9], v6
	s_add_i32 s2, s2, -1
	v_add_u32_e32 v6, 32, v6
	s_cmp_lg_u32 s2, 0
	s_waitcnt lgkmcnt(0)
	v_lshl_add_u64 v[4:5], v[8:9], 0, v[4:5]
	s_cbranch_scc1 .LBB21_89
.LBB21_90:                              ;   in Loop: Header=BB21_16 Depth=1
	v_add_lshl_u32 v6, v2, v44, 3
	ds_write_b64 v6, v[4:5] offset:3072
.LBB21_91:                              ;   in Loop: Header=BB21_16 Depth=1
	s_or_b64 exec, exec, s[0:1]
	v_lshlrev_b32_e32 v2, 3, v2
	s_waitcnt lgkmcnt(0)
	s_barrier
	ds_read_b128 v[8:11], v2 offset:3088
	ds_read_b128 v[4:7], v2 offset:3072
	s_lshl_b32 s68, 3, s99
	v_cmp_eq_u64_e64 s[0:1], 1, v[38:39]
	s_not_b32 s54, s68
	s_waitcnt lgkmcnt(1)
	v_readfirstlane_b32 s24, v8
	s_waitcnt lgkmcnt(0)
	v_cmp_eq_u64_e32 vcc, 1, v[4:5]
	v_readfirstlane_b32 s25, v9
	v_readfirstlane_b32 s2, v10
	;; [unrolled: 1-line block ×3, first 2 shown]
	s_and_b64 s[20:21], vcc, s[0:1]
	s_mov_b64 s[0:1], -1
	s_mov_b64 s[22:23], -1
                                        ; implicit-def: $sgpr8_sgpr9
                                        ; implicit-def: $sgpr6_sgpr7
	s_and_saveexec_b64 s[18:19], s[20:21]
	s_cbranch_execz .LBB21_123
; %bb.92:                               ;   in Loop: Header=BB21_16 Depth=1
	ds_read_b64 v[8:9], v3 offset:5120
	s_waitcnt lgkmcnt(0)
	s_barrier
	v_readfirstlane_b32 s22, v8
	v_readfirstlane_b32 s23, v9
	s_mov_b64 s[6:7], exec
	v_readlane_b32 s8, v64, 24
	v_readlane_b32 s9, v64, 25
	s_and_b64 s[8:9], s[6:7], s[8:9]
	s_mov_b64 exec, s[8:9]
; %bb.93:                               ;   in Loop: Header=BB21_16 Depth=1
	ds_write_b32 v45, v3
; %bb.94:                               ;   in Loop: Header=BB21_16 Depth=1
	s_or_b64 exec, exec, s[6:7]
	v_cmp_lt_i64_e64 s[26:27], s[22:23], 1
	v_and_b32_e32 v50, s54, v50
	v_or_b32_e32 v52, s68, v52
	s_mov_b64 s[6:7], -1
	s_mov_b64 s[8:9], 0
	s_and_b64 vcc, exec, s[26:27]
	s_mov_b64 s[26:27], 0
	s_mov_b64 s[28:29], -1
	s_waitcnt lgkmcnt(0)
	s_barrier
                                        ; implicit-def: $vgpr37
	s_cbranch_vccz .LBB21_108
; %bb.95:                               ;   in Loop: Header=BB21_16 Depth=1
	s_mov_b32 s16, s89
	s_cmp_lg_u64 s[16:17], 0
	s_cbranch_scc0 .LBB21_149
; %bb.96:                               ;   in Loop: Header=BB21_16 Depth=1
	s_add_u32 s26, s86, 0
	s_addc_u32 s27, 0, 0
	s_xor_b64 s[26:27], s[26:27], 0
	v_cvt_f32_u32_e32 v2, s26
	v_cvt_f32_u32_e32 v8, s27
	s_sub_u32 s30, 0, s26
	s_subb_u32 s31, 0, s27
	v_readlane_b32 s16, v64, 35
	v_fmac_f32_e32 v2, 0x4f800000, v8
	v_rcp_f32_e32 v2, v2
	s_nop 0
	v_mul_f32_e32 v2, 0x5f7ffffc, v2
	v_mul_f32_e32 v8, 0x2f800000, v2
	v_trunc_f32_e32 v8, v8
	v_fmac_f32_e32 v2, 0xcf800000, v8
	v_cvt_u32_f32_e32 v8, v8
	v_cvt_u32_f32_e32 v2, v2
	v_readfirstlane_b32 s34, v8
	v_readfirstlane_b32 s28, v2
	s_mul_i32 s29, s30, s34
	s_mul_hi_u32 s36, s30, s28
	s_mul_i32 s35, s31, s28
	s_add_i32 s29, s36, s29
	s_mul_i32 s37, s30, s28
	s_add_i32 s29, s29, s35
	s_mul_i32 s36, s28, s29
	s_mul_hi_u32 s38, s28, s37
	s_mul_hi_u32 s35, s28, s29
	s_add_u32 s36, s38, s36
	s_addc_u32 s35, 0, s35
	s_mul_hi_u32 s39, s34, s37
	s_mul_i32 s37, s34, s37
	s_add_u32 s36, s36, s37
	s_mul_hi_u32 s38, s34, s29
	s_addc_u32 s35, s35, s39
	s_addc_u32 s36, s38, 0
	s_mul_i32 s29, s34, s29
	s_add_u32 s29, s35, s29
	s_addc_u32 s35, 0, s36
	s_add_u32 s36, s28, s29
	s_cselect_b64 s[28:29], -1, 0
	s_cmp_lg_u64 s[28:29], 0
	s_addc_u32 s34, s34, s35
	s_mul_i32 s28, s30, s34
	s_mul_hi_u32 s29, s30, s36
	s_add_i32 s28, s29, s28
	s_mul_i32 s31, s31, s36
	s_add_i32 s28, s28, s31
	s_mul_i32 s30, s30, s36
	s_mul_hi_u32 s31, s34, s30
	s_mul_i32 s35, s34, s30
	s_mul_i32 s38, s36, s28
	s_mul_hi_u32 s30, s36, s30
	s_mul_hi_u32 s37, s36, s28
	s_add_u32 s30, s30, s38
	s_addc_u32 s37, 0, s37
	s_add_u32 s30, s30, s35
	s_mul_hi_u32 s29, s34, s28
	s_addc_u32 s30, s37, s31
	s_addc_u32 s29, s29, 0
	s_mul_i32 s28, s34, s28
	s_add_u32 s28, s30, s28
	s_addc_u32 s30, 0, s29
	s_add_u32 s35, s36, s28
	s_cselect_b64 s[28:29], -1, 0
	s_cmp_lg_u64 s[28:29], 0
	s_addc_u32 s34, s34, s30
	s_ashr_i32 s28, s17, 31
	s_add_u32 s30, s16, s28
	s_mov_b32 s29, s28
	s_addc_u32 s31, s17, s28
	s_xor_b64 s[30:31], s[30:31], s[28:29]
	s_mul_i32 s37, s30, s34
	s_mul_hi_u32 s38, s30, s35
	s_mul_hi_u32 s36, s30, s34
	s_add_u32 s37, s38, s37
	s_addc_u32 s36, 0, s36
	s_mul_hi_u32 s39, s31, s35
	s_mul_i32 s35, s31, s35
	s_add_u32 s35, s37, s35
	s_mul_hi_u32 s38, s31, s34
	s_addc_u32 s35, s36, s39
	s_addc_u32 s36, s38, 0
	s_mul_i32 s34, s31, s34
	s_add_u32 s34, s35, s34
	s_addc_u32 s35, 0, s36
	s_mul_i32 s35, s26, s35
	s_mul_hi_u32 s36, s26, s34
	s_add_i32 s35, s36, s35
	s_mul_i32 s36, s27, s34
	s_add_i32 s38, s35, s36
	s_sub_i32 s36, s31, s38
	s_mul_i32 s34, s26, s34
	s_sub_u32 s30, s30, s34
	s_cselect_b64 s[34:35], -1, 0
	s_cmp_lg_u64 s[34:35], 0
	s_subb_u32 s39, s36, s27
	s_sub_u32 s40, s30, s26
	s_cselect_b64 s[36:37], -1, 0
	s_cmp_lg_u64 s[36:37], 0
	s_subb_u32 s41, s39, 0
	s_cmp_ge_u32 s41, s27
	s_cselect_b32 s42, -1, 0
	s_cmp_ge_u32 s40, s26
	s_cselect_b32 s43, -1, 0
	s_cmp_eq_u32 s41, s27
	s_cselect_b32 s42, s43, s42
	s_cmp_lg_u64 s[36:37], 0
	s_subb_u32 s39, s39, s27
	s_sub_u32 s43, s40, s26
	s_cselect_b64 s[36:37], -1, 0
	s_cmp_lg_u64 s[36:37], 0
	s_subb_u32 s36, s39, 0
	s_cmp_lg_u32 s42, 0
	s_cselect_b32 s37, s43, s40
	s_cselect_b32 s36, s36, s41
	s_cmp_lg_u64 s[34:35], 0
	s_subb_u32 s31, s31, s38
	s_cmp_ge_u32 s31, s27
	s_cselect_b32 s34, -1, 0
	s_cmp_ge_u32 s30, s26
	s_cselect_b32 s26, -1, 0
	s_cmp_eq_u32 s31, s27
	s_cselect_b32 s26, s26, s34
	s_cmp_lg_u32 s26, 0
	s_cselect_b32 s27, s36, s31
	s_cselect_b32 s26, s37, s30
	s_xor_b64 s[26:27], s[26:27], s[28:29]
	s_sub_u32 s26, s26, s28
	s_subb_u32 s27, s27, s28
	s_cbranch_execnz .LBB21_98
.LBB21_97:                              ;   in Loop: Header=BB21_16 Depth=1
	v_cvt_f32_u32_e32 v2, s86
	s_sub_i32 s26, 0, s86
	v_readlane_b32 s16, v64, 35
	v_rcp_iflag_f32_e32 v2, v2
	s_nop 0
	v_mul_f32_e32 v2, 0x4f7ffffe, v2
	v_cvt_u32_f32_e32 v2, v2
	s_nop 0
	v_readfirstlane_b32 s27, v2
	s_mul_i32 s26, s26, s27
	s_mul_hi_u32 s26, s27, s26
	s_add_i32 s27, s27, s26
	s_mul_hi_u32 s26, s16, s27
	s_mul_i32 s26, s26, s86
	s_sub_i32 s26, s16, s26
	s_sub_i32 s27, s26, s86
	s_cmp_ge_u32 s26, s86
	s_cselect_b32 s26, s27, s26
	s_sub_i32 s27, s26, s86
	s_cmp_ge_u32 s26, s86
	s_cselect_b32 s88, s27, s26
	s_mov_b64 s[26:27], s[88:89]
.LBB21_98:                              ;   in Loop: Header=BB21_16 Depth=1
	v_readlane_b32 s16, v64, 35
	s_sub_u32 s34, s16, s26
	s_subb_u32 s35, s17, s27
	v_cmp_gt_i64_e32 vcc, s[34:35], v[0:1]
	s_mov_b64 s[28:29], 0
	s_mov_b64 s[26:27], 0
                                        ; implicit-def: $vgpr37
	s_and_saveexec_b64 s[30:31], vcc
	s_cbranch_execz .LBB21_107
; %bb.99:                               ;   in Loop: Header=BB21_16 Depth=1
	v_mov_b64_e32 v[8:9], v[12:13]
	v_mov_b64_e32 v[10:11], v[0:1]
                                        ; implicit-def: $sgpr36_sgpr37
	s_branch .LBB21_102
.LBB21_100:                             ;   in Loop: Header=BB21_102 Depth=2
	s_or_b64 exec, exec, s[38:39]
	s_waitcnt lgkmcnt(0)
	s_barrier
	ds_read_b64 v[36:37], v3 offset:3072
	s_mov_b64 s[38:39], -1
	s_mov_b64 s[40:41], -1
	s_waitcnt lgkmcnt(0)
	s_barrier
	v_cmp_ne_u32_e32 vcc, 0, v36
	s_cbranch_vccz .LBB21_105
.LBB21_101:                             ;   in Loop: Header=BB21_102 Depth=2
	s_and_b64 s[38:39], exec, s[38:39]
	s_or_b64 s[26:27], s[38:39], s[26:27]
	s_andn2_b64 s[36:37], s[36:37], exec
	s_and_b64 s[38:39], s[40:41], exec
	s_or_b64 s[36:37], s[36:37], s[38:39]
	s_andn2_b64 exec, exec, s[26:27]
	s_cbranch_execz .LBB21_106
.LBB21_102:                             ;   Parent Loop BB21_16 Depth=1
                                        ; =>  This Inner Loop Header: Depth=2
	v_cmp_gt_i64_e32 vcc, s[60:61], v[10:11]
	s_and_saveexec_b64 s[38:39], vcc
	s_cbranch_execz .LBB21_100
; %bb.103:                              ;   in Loop: Header=BB21_102 Depth=2
	global_load_dword v35, v[8:9], off
	s_waitcnt vmcnt(0)
	v_bitop3_b32 v2, v35, v52, s98 bitop3:0x48
	v_cmp_eq_u32_e32 vcc, v2, v50
	s_and_b64 exec, exec, vcc
	s_cbranch_execz .LBB21_100
; %bb.104:                              ;   in Loop: Header=BB21_102 Depth=2
	ds_write_b64 v3, v[34:35] offset:3072
	s_branch .LBB21_100
.LBB21_105:                             ;   in Loop: Header=BB21_102 Depth=2
	v_lshl_add_u64 v[10:11], v[10:11], 0, s[86:87]
	v_cmp_le_i64_e32 vcc, s[34:35], v[10:11]
	v_lshl_add_u64 v[8:9], v[8:9], 0, s[92:93]
	s_mov_b64 s[40:41], 0
	s_orn2_b64 s[38:39], vcc, exec
	s_branch .LBB21_101
.LBB21_106:                             ;   in Loop: Header=BB21_16 Depth=1
	s_or_b64 exec, exec, s[26:27]
	s_and_b64 s[26:27], s[36:37], exec
.LBB21_107:                             ;   in Loop: Header=BB21_16 Depth=1
	s_or_b64 exec, exec, s[30:31]
.LBB21_108:                             ;   in Loop: Header=BB21_16 Depth=1
	s_and_b64 vcc, exec, s[28:29]
	s_cbranch_vccz .LBB21_122
; %bb.109:                              ;   in Loop: Header=BB21_16 Depth=1
	v_readlane_b32 s6, v64, 34
	s_add_u32 s30, s22, s6
	v_readlane_b32 s6, v64, 36
	s_addc_u32 s7, s23, s6
	s_mov_b32 s6, s89
	s_cmp_lg_u64 s[6:7], 0
	s_cbranch_scc0 .LBB21_150
; %bb.110:                              ;   in Loop: Header=BB21_16 Depth=1
	s_add_u32 s8, s86, 0
	s_addc_u32 s9, 0, 0
	s_xor_b64 s[8:9], s[8:9], 0
	v_cvt_f32_u32_e32 v2, s8
	v_cvt_f32_u32_e32 v8, s9
	s_sub_u32 s6, 0, s8
	s_subb_u32 s31, 0, s9
	v_fmac_f32_e32 v2, 0x4f800000, v8
	v_rcp_f32_e32 v2, v2
	s_nop 0
	v_mul_f32_e32 v2, 0x5f7ffffc, v2
	v_mul_f32_e32 v8, 0x2f800000, v2
	v_trunc_f32_e32 v8, v8
	v_fmac_f32_e32 v2, 0xcf800000, v8
	v_cvt_u32_f32_e32 v8, v8
	v_cvt_u32_f32_e32 v2, v2
	v_readfirstlane_b32 s34, v8
	v_readfirstlane_b32 s28, v2
	s_mul_i32 s29, s6, s34
	s_mul_hi_u32 s36, s6, s28
	s_mul_i32 s35, s31, s28
	s_add_i32 s29, s36, s29
	s_mul_i32 s37, s6, s28
	s_add_i32 s29, s29, s35
	s_mul_i32 s36, s28, s29
	s_mul_hi_u32 s38, s28, s37
	s_mul_hi_u32 s35, s28, s29
	s_add_u32 s36, s38, s36
	s_addc_u32 s35, 0, s35
	s_mul_hi_u32 s39, s34, s37
	s_mul_i32 s37, s34, s37
	s_add_u32 s36, s36, s37
	s_mul_hi_u32 s38, s34, s29
	s_addc_u32 s35, s35, s39
	s_addc_u32 s36, s38, 0
	s_mul_i32 s29, s34, s29
	s_add_u32 s29, s35, s29
	s_addc_u32 s35, 0, s36
	s_add_u32 s36, s28, s29
	s_cselect_b64 s[28:29], -1, 0
	s_cmp_lg_u64 s[28:29], 0
	s_addc_u32 s34, s34, s35
	s_mul_i32 s28, s6, s34
	s_mul_hi_u32 s29, s6, s36
	s_add_i32 s28, s29, s28
	s_mul_i32 s31, s31, s36
	s_add_i32 s28, s28, s31
	s_mul_i32 s6, s6, s36
	s_mul_hi_u32 s31, s34, s6
	s_mul_i32 s35, s34, s6
	s_mul_i32 s38, s36, s28
	s_mul_hi_u32 s6, s36, s6
	s_mul_hi_u32 s37, s36, s28
	s_add_u32 s6, s6, s38
	s_addc_u32 s37, 0, s37
	s_add_u32 s6, s6, s35
	s_mul_hi_u32 s29, s34, s28
	s_addc_u32 s6, s37, s31
	s_addc_u32 s29, s29, 0
	s_mul_i32 s28, s34, s28
	s_add_u32 s6, s6, s28
	s_addc_u32 s31, 0, s29
	s_add_u32 s6, s36, s6
	s_cselect_b64 s[28:29], -1, 0
	s_cmp_lg_u64 s[28:29], 0
	s_addc_u32 s31, s34, s31
	s_ashr_i32 s28, s7, 31
	s_add_u32 s34, s30, s28
	s_mov_b32 s29, s28
	s_addc_u32 s35, s7, s28
	s_xor_b64 s[34:35], s[34:35], s[28:29]
	s_mul_i32 s37, s34, s31
	s_mul_hi_u32 s38, s34, s6
	s_mul_hi_u32 s36, s34, s31
	s_add_u32 s37, s38, s37
	s_addc_u32 s36, 0, s36
	s_mul_hi_u32 s39, s35, s6
	s_mul_i32 s6, s35, s6
	s_add_u32 s6, s37, s6
	s_mul_hi_u32 s38, s35, s31
	s_addc_u32 s6, s36, s39
	s_addc_u32 s36, s38, 0
	s_mul_i32 s31, s35, s31
	s_add_u32 s6, s6, s31
	s_addc_u32 s31, 0, s36
	s_mul_i32 s31, s8, s31
	s_mul_hi_u32 s36, s8, s6
	s_add_i32 s31, s36, s31
	s_mul_i32 s36, s9, s6
	s_add_i32 s31, s31, s36
	s_sub_i32 s38, s35, s31
	s_mul_i32 s6, s8, s6
	s_sub_u32 s6, s34, s6
	s_cselect_b64 s[36:37], -1, 0
	s_cmp_lg_u64 s[36:37], 0
	s_subb_u32 s34, s38, s9
	s_sub_u32 s40, s6, s8
	s_cselect_b64 s[38:39], -1, 0
	s_cmp_lg_u64 s[38:39], 0
	s_subb_u32 s41, s34, 0
	s_cmp_ge_u32 s41, s9
	s_cselect_b32 s42, -1, 0
	s_cmp_ge_u32 s40, s8
	s_cselect_b32 s43, -1, 0
	s_cmp_eq_u32 s41, s9
	s_cselect_b32 s42, s43, s42
	s_cmp_lg_u64 s[38:39], 0
	s_subb_u32 s34, s34, s9
	s_sub_u32 s43, s40, s8
	s_cselect_b64 s[38:39], -1, 0
	s_cmp_lg_u64 s[38:39], 0
	s_subb_u32 s34, s34, 0
	s_cmp_lg_u32 s42, 0
	s_cselect_b32 s38, s43, s40
	s_cselect_b32 s34, s34, s41
	s_cmp_lg_u64 s[36:37], 0
	s_subb_u32 s31, s35, s31
	s_cmp_ge_u32 s31, s9
	s_cselect_b32 s35, -1, 0
	s_cmp_ge_u32 s6, s8
	s_cselect_b32 s8, -1, 0
	s_cmp_eq_u32 s31, s9
	s_cselect_b32 s8, s8, s35
	s_cmp_lg_u32 s8, 0
	s_cselect_b32 s9, s34, s31
	s_cselect_b32 s8, s38, s6
	s_xor_b64 s[8:9], s[8:9], s[28:29]
	s_sub_u32 s8, s8, s28
	s_subb_u32 s9, s9, s28
	s_cbranch_execnz .LBB21_112
.LBB21_111:                             ;   in Loop: Header=BB21_16 Depth=1
	v_cvt_f32_u32_e32 v2, s86
	s_sub_i32 s6, 0, s86
	v_rcp_iflag_f32_e32 v2, v2
	s_nop 0
	v_mul_f32_e32 v2, 0x4f7ffffe, v2
	v_cvt_u32_f32_e32 v2, v2
	s_nop 0
	v_readfirstlane_b32 s8, v2
	s_mul_i32 s6, s6, s8
	s_mul_hi_u32 s6, s8, s6
	s_add_i32 s8, s8, s6
	s_mul_hi_u32 s6, s30, s8
	s_mul_i32 s6, s6, s86
	s_sub_i32 s6, s30, s6
	s_sub_i32 s8, s6, s86
	s_cmp_ge_u32 s6, s86
	s_cselect_b32 s6, s8, s6
	s_sub_i32 s8, s6, s86
	s_cmp_ge_u32 s6, s86
	s_cselect_b32 s88, s8, s6
	s_mov_b64 s[8:9], s[88:89]
.LBB21_112:                             ;   in Loop: Header=BB21_16 Depth=1
	s_sub_u32 s8, s30, s8
	s_subb_u32 s9, s7, s9
	v_cmp_gt_i64_e32 vcc, s[8:9], v[0:1]
                                        ; implicit-def: $vgpr37
	s_and_saveexec_b64 s[6:7], vcc
	s_cbranch_execz .LBB21_121
; %bb.113:                              ;   in Loop: Header=BB21_16 Depth=1
	s_mov_b64 s[28:29], 0
	v_mov_b32_e32 v2, v14
	v_mov_b64_e32 v[8:9], v[0:1]
                                        ; implicit-def: $sgpr30_sgpr31
	s_branch .LBB21_116
.LBB21_114:                             ;   in Loop: Header=BB21_116 Depth=2
	s_or_b64 exec, exec, s[34:35]
	s_waitcnt lgkmcnt(0)
	s_barrier
	ds_read_b64 v[36:37], v3 offset:3072
	s_mov_b64 s[34:35], -1
	s_mov_b64 s[36:37], -1
	s_waitcnt lgkmcnt(0)
	s_barrier
	v_cmp_ne_u32_e32 vcc, 0, v36
	s_cbranch_vccz .LBB21_119
.LBB21_115:                             ;   in Loop: Header=BB21_116 Depth=2
	s_and_b64 s[34:35], exec, s[34:35]
	s_or_b64 s[28:29], s[34:35], s[28:29]
	s_andn2_b64 s[30:31], s[30:31], exec
	s_and_b64 s[34:35], s[36:37], exec
	s_or_b64 s[30:31], s[30:31], s[34:35]
	s_andn2_b64 exec, exec, s[28:29]
	s_cbranch_execz .LBB21_120
.LBB21_116:                             ;   Parent Loop BB21_16 Depth=1
                                        ; =>  This Inner Loop Header: Depth=2
	v_cmp_gt_u64_e32 vcc, s[22:23], v[8:9]
	s_and_saveexec_b64 s[34:35], vcc
	s_cbranch_execz .LBB21_114
; %bb.117:                              ;   in Loop: Header=BB21_116 Depth=2
	ds_read_b32 v35, v2
	s_waitcnt lgkmcnt(0)
	v_bitop3_b32 v10, v35, v52, s98 bitop3:0x48
	v_cmp_eq_u32_e32 vcc, v10, v50
	s_and_b64 exec, exec, vcc
	s_cbranch_execz .LBB21_114
; %bb.118:                              ;   in Loop: Header=BB21_116 Depth=2
	ds_write_b64 v3, v[34:35] offset:3072
	s_branch .LBB21_114
.LBB21_119:                             ;   in Loop: Header=BB21_116 Depth=2
	v_lshl_add_u64 v[8:9], v[8:9], 0, s[86:87]
	v_cmp_le_i64_e32 vcc, s[8:9], v[8:9]
	v_add_u32_e32 v2, s83, v2
	s_mov_b64 s[36:37], 0
	s_orn2_b64 s[34:35], vcc, exec
	s_branch .LBB21_115
.LBB21_120:                             ;   in Loop: Header=BB21_16 Depth=1
	s_or_b64 exec, exec, s[28:29]
	s_andn2_b64 s[8:9], s[26:27], exec
	s_and_b64 s[22:23], s[30:31], exec
	s_or_b64 s[26:27], s[8:9], s[22:23]
.LBB21_121:                             ;   in Loop: Header=BB21_16 Depth=1
	s_or_b64 exec, exec, s[6:7]
	s_mov_b64 s[6:7], 0
	s_mov_b64 s[8:9], -1
.LBB21_122:                             ;   in Loop: Header=BB21_16 Depth=1
	s_orn2_b64 s[22:23], s[26:27], exec
.LBB21_123:                             ;   in Loop: Header=BB21_16 Depth=1
	s_or_b64 exec, exec, s[18:19]
	s_andn2_b64 s[18:19], s[64:65], exec
	s_and_b64 s[8:9], s[8:9], exec
	s_or_b64 s[64:65], s[18:19], s[8:9]
	s_andn2_b64 s[8:9], s[90:91], exec
	s_and_b64 s[6:7], s[6:7], exec
	s_andn2_b64 s[80:81], s[80:81], exec
	s_or_b64 s[90:91], s[8:9], s[6:7]
                                        ; implicit-def: $vgpr8_vgpr9
	s_and_saveexec_b64 s[18:19], s[22:23]
	s_cbranch_execz .LBB21_15
; %bb.124:                              ;   in Loop: Header=BB21_16 Depth=1
	s_xor_b64 s[6:7], s[20:21], -1
	v_mov_b32_e32 v2, 1
	s_mov_b64 s[8:9], 0
	v_mov_b64_e32 v[8:9], 1
	s_and_saveexec_b64 s[0:1], s[6:7]
	s_cbranch_execz .LBB21_133
; %bb.125:                              ;   in Loop: Header=BB21_16 Depth=1
	v_cmp_le_i64_e32 vcc, v[38:39], v[4:5]
	s_and_saveexec_b64 s[6:7], vcc
	s_xor_b64 s[6:7], exec, s[6:7]
	s_cbranch_execz .LBB21_130
; %bb.126:                              ;   in Loop: Header=BB21_16 Depth=1
	ds_read_b64 v[8:9], v3 offset:5120
	v_and_b32_e32 v50, s54, v50
	v_or_b32_e32 v52, s68, v52
	s_waitcnt lgkmcnt(0)
	v_cmp_ne_u64_e32 vcc, 0, v[8:9]
	s_cbranch_vccnz .LBB21_130
; %bb.127:                              ;   in Loop: Header=BB21_16 Depth=1
	s_mov_b64 s[8:9], exec
	v_readlane_b32 s20, v64, 12
	v_readlane_b32 s21, v64, 13
	s_and_b64 s[20:21], s[8:9], s[20:21]
	s_mov_b64 exec, s[20:21]
; %bb.128:                              ;   in Loop: Header=BB21_16 Depth=1
	ds_write_b64 v3, v[4:5] offset:5128
; %bb.129:                              ;   in Loop: Header=BB21_16 Depth=1
	s_or_b64 exec, exec, s[8:9]
	s_waitcnt lgkmcnt(0)
	s_barrier
.LBB21_130:                             ;   in Loop: Header=BB21_16 Depth=1
	s_or_saveexec_b64 s[6:7], s[6:7]
	s_mov_b64 s[8:9], 0
	v_mov_b32_e32 v2, 8
	s_xor_b64 exec, exec, s[6:7]
; %bb.131:                              ;   in Loop: Header=BB21_16 Depth=1
	v_sub_co_u32_e32 v38, vcc, v38, v4
	s_mov_b64 s[8:9], exec
	s_nop 0
	v_subb_co_u32_e32 v39, vcc, v39, v5, vcc
	v_mov_b32_e32 v2, 0
; %bb.132:                              ;   in Loop: Header=BB21_16 Depth=1
	s_or_b64 exec, exec, s[6:7]
	s_and_b64 s[8:9], s[8:9], exec
	v_mov_b64_e32 v[8:9], v[38:39]
.LBB21_133:                             ;   in Loop: Header=BB21_16 Depth=1
	s_or_b64 exec, exec, s[0:1]
	s_mov_b64 s[20:21], -1
	s_mov_b64 s[6:7], -1
                                        ; implicit-def: $sgpr0_sgpr1
                                        ; implicit-def: $sgpr26_sgpr27
	s_and_saveexec_b64 s[22:23], s[8:9]
	s_xor_b64 s[22:23], exec, s[22:23]
	s_cbranch_execz .LBB21_275
; %bb.134:                              ;   in Loop: Header=BB21_16 Depth=1
	v_cmp_eq_u64_e32 vcc, 1, v[6:7]
	v_cmp_eq_u64_e64 s[0:1], 1, v[8:9]
	s_and_b64 s[30:31], vcc, s[0:1]
                                        ; implicit-def: $sgpr26_sgpr27
                                        ; implicit-def: $sgpr0_sgpr1
	s_and_saveexec_b64 s[28:29], s[30:31]
	s_cbranch_execz .LBB21_168
; %bb.135:                              ;   in Loop: Header=BB21_16 Depth=1
	ds_read_b64 v[4:5], v3 offset:5120
	s_waitcnt lgkmcnt(0)
	s_barrier
	v_readfirstlane_b32 s36, v4
	v_readfirstlane_b32 s37, v5
	s_mov_b64 s[0:1], exec
	v_readlane_b32 s6, v64, 24
	v_readlane_b32 s7, v64, 25
	s_and_b64 s[6:7], s[0:1], s[6:7]
	s_mov_b64 exec, s[6:7]
; %bb.136:                              ;   in Loop: Header=BB21_16 Depth=1
	ds_write_b32 v45, v3
; %bb.137:                              ;   in Loop: Header=BB21_16 Depth=1
	s_or_b64 exec, exec, s[0:1]
	v_and_b32_e32 v4, s54, v50
	v_cmp_gt_i64_e64 s[6:7], s[36:37], 0
	v_lshl_or_b32 v50, 1, s99, v4
	v_or_b32_e32 v52, s68, v52
	s_mov_b64 s[0:1], -1
	s_mov_b64 s[26:27], 0
	s_and_b64 vcc, exec, s[6:7]
	s_mov_b64 s[6:7], 0
	s_mov_b64 s[8:9], -1
	s_waitcnt lgkmcnt(0)
	s_barrier
                                        ; implicit-def: $vgpr37
	s_cbranch_vccnz .LBB21_153
; %bb.138:                              ;   in Loop: Header=BB21_16 Depth=1
	s_mov_b32 s16, s89
	s_cmp_lg_u64 s[16:17], 0
	s_cbranch_scc0 .LBB21_195
; %bb.139:                              ;   in Loop: Header=BB21_16 Depth=1
	s_add_u32 s6, s86, 0
	s_addc_u32 s7, 0, 0
	s_xor_b64 s[6:7], s[6:7], 0
	v_cvt_f32_u32_e32 v4, s6
	v_cvt_f32_u32_e32 v5, s7
	s_sub_u32 s34, 0, s6
	s_subb_u32 s35, 0, s7
	v_readlane_b32 s16, v64, 35
	v_fmac_f32_e32 v4, 0x4f800000, v5
	v_rcp_f32_e32 v4, v4
	s_nop 0
	v_mul_f32_e32 v4, 0x5f7ffffc, v4
	v_mul_f32_e32 v5, 0x2f800000, v4
	v_trunc_f32_e32 v5, v5
	v_fmac_f32_e32 v4, 0xcf800000, v5
	v_cvt_u32_f32_e32 v5, v5
	v_cvt_u32_f32_e32 v4, v4
	v_readfirstlane_b32 s38, v5
	v_readfirstlane_b32 s8, v4
	s_mul_i32 s9, s34, s38
	s_mul_hi_u32 s40, s34, s8
	s_mul_i32 s39, s35, s8
	s_add_i32 s9, s40, s9
	s_mul_i32 s41, s34, s8
	s_add_i32 s9, s9, s39
	s_mul_i32 s40, s8, s9
	s_mul_hi_u32 s42, s8, s41
	s_mul_hi_u32 s39, s8, s9
	s_add_u32 s40, s42, s40
	s_addc_u32 s39, 0, s39
	s_mul_hi_u32 s43, s38, s41
	s_mul_i32 s41, s38, s41
	s_add_u32 s40, s40, s41
	s_mul_hi_u32 s42, s38, s9
	s_addc_u32 s39, s39, s43
	s_addc_u32 s40, s42, 0
	s_mul_i32 s9, s38, s9
	s_add_u32 s9, s39, s9
	s_addc_u32 s39, 0, s40
	s_add_u32 s40, s8, s9
	s_cselect_b64 s[8:9], -1, 0
	s_cmp_lg_u64 s[8:9], 0
	s_addc_u32 s38, s38, s39
	s_mul_i32 s8, s34, s38
	s_mul_hi_u32 s9, s34, s40
	s_add_i32 s8, s9, s8
	s_mul_i32 s35, s35, s40
	s_add_i32 s8, s8, s35
	s_mul_i32 s34, s34, s40
	s_mul_hi_u32 s35, s38, s34
	s_mul_i32 s39, s38, s34
	s_mul_i32 s42, s40, s8
	s_mul_hi_u32 s34, s40, s34
	s_mul_hi_u32 s41, s40, s8
	s_add_u32 s34, s34, s42
	s_addc_u32 s41, 0, s41
	s_add_u32 s34, s34, s39
	s_mul_hi_u32 s9, s38, s8
	s_addc_u32 s34, s41, s35
	s_addc_u32 s9, s9, 0
	s_mul_i32 s8, s38, s8
	s_add_u32 s8, s34, s8
	s_addc_u32 s34, 0, s9
	s_add_u32 s39, s40, s8
	s_cselect_b64 s[8:9], -1, 0
	s_cmp_lg_u64 s[8:9], 0
	s_addc_u32 s38, s38, s34
	s_ashr_i32 s8, s17, 31
	s_add_u32 s34, s16, s8
	s_mov_b32 s9, s8
	s_addc_u32 s35, s17, s8
	s_xor_b64 s[34:35], s[34:35], s[8:9]
	s_mul_i32 s41, s34, s38
	s_mul_hi_u32 s42, s34, s39
	s_mul_hi_u32 s40, s34, s38
	s_add_u32 s41, s42, s41
	s_addc_u32 s40, 0, s40
	s_mul_hi_u32 s43, s35, s39
	s_mul_i32 s39, s35, s39
	s_add_u32 s39, s41, s39
	s_mul_hi_u32 s42, s35, s38
	s_addc_u32 s39, s40, s43
	s_addc_u32 s40, s42, 0
	s_mul_i32 s38, s35, s38
	s_add_u32 s38, s39, s38
	s_addc_u32 s39, 0, s40
	s_mul_i32 s39, s6, s39
	s_mul_hi_u32 s40, s6, s38
	s_add_i32 s39, s40, s39
	s_mul_i32 s40, s7, s38
	s_add_i32 s42, s39, s40
	s_sub_i32 s40, s35, s42
	s_mul_i32 s38, s6, s38
	s_sub_u32 s34, s34, s38
	s_cselect_b64 s[38:39], -1, 0
	s_cmp_lg_u64 s[38:39], 0
	s_subb_u32 s43, s40, s7
	s_sub_u32 s44, s34, s6
	s_cselect_b64 s[40:41], -1, 0
	s_cmp_lg_u64 s[40:41], 0
	s_subb_u32 s45, s43, 0
	s_cmp_ge_u32 s45, s7
	s_cselect_b32 s46, -1, 0
	s_cmp_ge_u32 s44, s6
	s_cselect_b32 s47, -1, 0
	s_cmp_eq_u32 s45, s7
	s_cselect_b32 s46, s47, s46
	s_cmp_lg_u64 s[40:41], 0
	s_subb_u32 s43, s43, s7
	s_sub_u32 s47, s44, s6
	s_cselect_b64 s[40:41], -1, 0
	s_cmp_lg_u64 s[40:41], 0
	s_subb_u32 s40, s43, 0
	s_cmp_lg_u32 s46, 0
	s_cselect_b32 s41, s47, s44
	s_cselect_b32 s40, s40, s45
	s_cmp_lg_u64 s[38:39], 0
	s_subb_u32 s35, s35, s42
	s_cmp_ge_u32 s35, s7
	s_cselect_b32 s38, -1, 0
	s_cmp_ge_u32 s34, s6
	s_cselect_b32 s6, -1, 0
	s_cmp_eq_u32 s35, s7
	s_cselect_b32 s6, s6, s38
	s_cmp_lg_u32 s6, 0
	s_cselect_b32 s7, s40, s35
	s_cselect_b32 s6, s41, s34
	s_xor_b64 s[6:7], s[6:7], s[8:9]
	s_sub_u32 s6, s6, s8
	s_subb_u32 s7, s7, s8
	s_cbranch_execnz .LBB21_141
.LBB21_140:                             ;   in Loop: Header=BB21_16 Depth=1
	v_cvt_f32_u32_e32 v4, s86
	s_sub_i32 s6, 0, s86
	v_readlane_b32 s8, v64, 35
	v_rcp_iflag_f32_e32 v4, v4
	s_nop 0
	v_mul_f32_e32 v4, 0x4f7ffffe, v4
	v_cvt_u32_f32_e32 v4, v4
	s_nop 0
	v_readfirstlane_b32 s7, v4
	s_mul_i32 s6, s6, s7
	s_mul_hi_u32 s6, s7, s6
	s_add_i32 s7, s7, s6
	s_mul_hi_u32 s6, s8, s7
	s_mul_i32 s6, s6, s86
	s_sub_i32 s6, s8, s6
	s_sub_i32 s7, s6, s86
	s_cmp_ge_u32 s6, s86
	s_cselect_b32 s6, s7, s6
	s_sub_i32 s7, s6, s86
	s_cmp_ge_u32 s6, s86
	s_cselect_b32 s88, s7, s6
	s_mov_b64 s[6:7], s[88:89]
.LBB21_141:                             ;   in Loop: Header=BB21_16 Depth=1
	v_readlane_b32 s8, v64, 35
	s_sub_u32 s38, s8, s6
	s_subb_u32 s39, s17, s7
	v_cmp_gt_i64_e32 vcc, s[38:39], v[0:1]
	s_mov_b64 s[8:9], 0
	s_mov_b64 s[6:7], 0
                                        ; implicit-def: $vgpr37
	s_and_saveexec_b64 s[34:35], vcc
	s_cbranch_execz .LBB21_152
; %bb.142:                              ;   in Loop: Header=BB21_16 Depth=1
	v_mov_b64_e32 v[4:5], v[12:13]
	v_mov_b64_e32 v[10:11], v[0:1]
                                        ; implicit-def: $sgpr40_sgpr41
	s_branch .LBB21_145
.LBB21_143:                             ;   in Loop: Header=BB21_145 Depth=2
	s_or_b64 exec, exec, s[42:43]
	s_waitcnt lgkmcnt(0)
	s_barrier
	ds_read_b64 v[36:37], v3 offset:3072
	s_mov_b64 s[42:43], -1
	s_mov_b64 s[44:45], -1
	s_waitcnt lgkmcnt(0)
	s_barrier
	v_cmp_ne_u32_e32 vcc, 0, v36
	s_cbranch_vccz .LBB21_148
.LBB21_144:                             ;   in Loop: Header=BB21_145 Depth=2
	s_and_b64 s[42:43], exec, s[42:43]
	s_or_b64 s[6:7], s[42:43], s[6:7]
	s_andn2_b64 s[40:41], s[40:41], exec
	s_and_b64 s[42:43], s[44:45], exec
	s_or_b64 s[40:41], s[40:41], s[42:43]
	s_andn2_b64 exec, exec, s[6:7]
	s_cbranch_execz .LBB21_151
.LBB21_145:                             ;   Parent Loop BB21_16 Depth=1
                                        ; =>  This Inner Loop Header: Depth=2
	v_cmp_gt_i64_e32 vcc, s[60:61], v[10:11]
	s_and_saveexec_b64 s[42:43], vcc
	s_cbranch_execz .LBB21_143
; %bb.146:                              ;   in Loop: Header=BB21_145 Depth=2
	global_load_dword v35, v[4:5], off
	s_waitcnt vmcnt(0)
	v_bitop3_b32 v36, v35, v52, s98 bitop3:0x48
	v_cmp_eq_u32_e32 vcc, v36, v50
	s_and_b64 exec, exec, vcc
	s_cbranch_execz .LBB21_143
; %bb.147:                              ;   in Loop: Header=BB21_145 Depth=2
	ds_write_b64 v3, v[34:35] offset:3072
	s_branch .LBB21_143
.LBB21_148:                             ;   in Loop: Header=BB21_145 Depth=2
	v_lshl_add_u64 v[10:11], v[10:11], 0, s[86:87]
	v_cmp_le_i64_e32 vcc, s[38:39], v[10:11]
	v_lshl_add_u64 v[4:5], v[4:5], 0, s[92:93]
	s_mov_b64 s[44:45], 0
	s_orn2_b64 s[42:43], vcc, exec
	s_branch .LBB21_144
.LBB21_149:                             ;   in Loop: Header=BB21_16 Depth=1
                                        ; implicit-def: $sgpr26_sgpr27
	s_andn2_b64 vcc, exec, s[28:29]
	s_cbranch_vccz .LBB21_97
	s_branch .LBB21_98
.LBB21_150:                             ;   in Loop: Header=BB21_16 Depth=1
                                        ; implicit-def: $sgpr8_sgpr9
	s_branch .LBB21_111
.LBB21_151:                             ;   in Loop: Header=BB21_16 Depth=1
	s_or_b64 exec, exec, s[6:7]
	s_and_b64 s[6:7], s[40:41], exec
.LBB21_152:                             ;   in Loop: Header=BB21_16 Depth=1
	s_or_b64 exec, exec, s[34:35]
.LBB21_153:                             ;   in Loop: Header=BB21_16 Depth=1
	s_and_b64 vcc, exec, s[8:9]
	s_cbranch_vccz .LBB21_167
; %bb.154:                              ;   in Loop: Header=BB21_16 Depth=1
	v_readlane_b32 s0, v64, 34
	s_add_u32 s34, s36, s0
	v_readlane_b32 s0, v64, 36
	s_addc_u32 s1, s37, s0
	s_mov_b32 s0, s89
	s_cmp_lg_u64 s[0:1], 0
	s_cbranch_scc0 .LBB21_196
; %bb.155:                              ;   in Loop: Header=BB21_16 Depth=1
	s_add_u32 s8, s86, 0
	s_addc_u32 s9, 0, 0
	s_xor_b64 s[8:9], s[8:9], 0
	v_cvt_f32_u32_e32 v4, s8
	v_cvt_f32_u32_e32 v5, s9
	s_sub_u32 s0, 0, s8
	s_subb_u32 s35, 0, s9
	v_fmac_f32_e32 v4, 0x4f800000, v5
	v_rcp_f32_e32 v4, v4
	s_nop 0
	v_mul_f32_e32 v4, 0x5f7ffffc, v4
	v_mul_f32_e32 v5, 0x2f800000, v4
	v_trunc_f32_e32 v5, v5
	v_fmac_f32_e32 v4, 0xcf800000, v5
	v_cvt_u32_f32_e32 v5, v5
	v_cvt_u32_f32_e32 v4, v4
	v_readfirstlane_b32 s38, v5
	v_readfirstlane_b32 s26, v4
	s_mul_i32 s27, s0, s38
	s_mul_hi_u32 s40, s0, s26
	s_mul_i32 s39, s35, s26
	s_add_i32 s27, s40, s27
	s_mul_i32 s41, s0, s26
	s_add_i32 s27, s27, s39
	s_mul_i32 s40, s26, s27
	s_mul_hi_u32 s42, s26, s41
	s_mul_hi_u32 s39, s26, s27
	s_add_u32 s40, s42, s40
	s_addc_u32 s39, 0, s39
	s_mul_hi_u32 s43, s38, s41
	s_mul_i32 s41, s38, s41
	s_add_u32 s40, s40, s41
	s_mul_hi_u32 s42, s38, s27
	s_addc_u32 s39, s39, s43
	s_addc_u32 s40, s42, 0
	s_mul_i32 s27, s38, s27
	s_add_u32 s27, s39, s27
	s_addc_u32 s39, 0, s40
	s_add_u32 s40, s26, s27
	s_cselect_b64 s[26:27], -1, 0
	s_cmp_lg_u64 s[26:27], 0
	s_addc_u32 s38, s38, s39
	s_mul_i32 s26, s0, s38
	s_mul_hi_u32 s27, s0, s40
	s_add_i32 s26, s27, s26
	s_mul_i32 s35, s35, s40
	s_add_i32 s26, s26, s35
	s_mul_i32 s0, s0, s40
	s_mul_hi_u32 s35, s38, s0
	s_mul_i32 s39, s38, s0
	s_mul_i32 s42, s40, s26
	s_mul_hi_u32 s0, s40, s0
	s_mul_hi_u32 s41, s40, s26
	s_add_u32 s0, s0, s42
	s_addc_u32 s41, 0, s41
	s_add_u32 s0, s0, s39
	s_mul_hi_u32 s27, s38, s26
	s_addc_u32 s0, s41, s35
	s_addc_u32 s27, s27, 0
	s_mul_i32 s26, s38, s26
	s_add_u32 s0, s0, s26
	s_addc_u32 s35, 0, s27
	s_add_u32 s0, s40, s0
	s_cselect_b64 s[26:27], -1, 0
	s_cmp_lg_u64 s[26:27], 0
	s_addc_u32 s35, s38, s35
	s_ashr_i32 s26, s1, 31
	s_add_u32 s38, s34, s26
	s_mov_b32 s27, s26
	s_addc_u32 s39, s1, s26
	s_xor_b64 s[38:39], s[38:39], s[26:27]
	s_mul_i32 s41, s38, s35
	s_mul_hi_u32 s42, s38, s0
	s_mul_hi_u32 s40, s38, s35
	s_add_u32 s41, s42, s41
	s_addc_u32 s40, 0, s40
	s_mul_hi_u32 s43, s39, s0
	s_mul_i32 s0, s39, s0
	s_add_u32 s0, s41, s0
	s_mul_hi_u32 s42, s39, s35
	s_addc_u32 s0, s40, s43
	s_addc_u32 s40, s42, 0
	s_mul_i32 s35, s39, s35
	s_add_u32 s0, s0, s35
	s_addc_u32 s35, 0, s40
	s_mul_i32 s35, s8, s35
	s_mul_hi_u32 s40, s8, s0
	s_add_i32 s35, s40, s35
	s_mul_i32 s40, s9, s0
	s_add_i32 s35, s35, s40
	s_sub_i32 s42, s39, s35
	s_mul_i32 s0, s8, s0
	s_sub_u32 s0, s38, s0
	s_cselect_b64 s[40:41], -1, 0
	s_cmp_lg_u64 s[40:41], 0
	s_subb_u32 s38, s42, s9
	s_sub_u32 s44, s0, s8
	s_cselect_b64 s[42:43], -1, 0
	s_cmp_lg_u64 s[42:43], 0
	s_subb_u32 s45, s38, 0
	s_cmp_ge_u32 s45, s9
	s_cselect_b32 s46, -1, 0
	s_cmp_ge_u32 s44, s8
	s_cselect_b32 s47, -1, 0
	s_cmp_eq_u32 s45, s9
	s_cselect_b32 s46, s47, s46
	s_cmp_lg_u64 s[42:43], 0
	s_subb_u32 s38, s38, s9
	s_sub_u32 s47, s44, s8
	s_cselect_b64 s[42:43], -1, 0
	s_cmp_lg_u64 s[42:43], 0
	s_subb_u32 s38, s38, 0
	s_cmp_lg_u32 s46, 0
	s_cselect_b32 s42, s47, s44
	s_cselect_b32 s38, s38, s45
	s_cmp_lg_u64 s[40:41], 0
	s_subb_u32 s35, s39, s35
	s_cmp_ge_u32 s35, s9
	s_cselect_b32 s39, -1, 0
	s_cmp_ge_u32 s0, s8
	s_cselect_b32 s8, -1, 0
	s_cmp_eq_u32 s35, s9
	s_cselect_b32 s8, s8, s39
	s_cmp_lg_u32 s8, 0
	s_cselect_b32 s9, s38, s35
	s_cselect_b32 s8, s42, s0
	s_xor_b64 s[8:9], s[8:9], s[26:27]
	s_sub_u32 s8, s8, s26
	s_subb_u32 s9, s9, s26
	s_cbranch_execnz .LBB21_157
.LBB21_156:                             ;   in Loop: Header=BB21_16 Depth=1
	v_cvt_f32_u32_e32 v4, s86
	s_sub_i32 s0, 0, s86
	v_rcp_iflag_f32_e32 v4, v4
	s_nop 0
	v_mul_f32_e32 v4, 0x4f7ffffe, v4
	v_cvt_u32_f32_e32 v4, v4
	s_nop 0
	v_readfirstlane_b32 s8, v4
	s_mul_i32 s0, s0, s8
	s_mul_hi_u32 s0, s8, s0
	s_add_i32 s8, s8, s0
	s_mul_hi_u32 s0, s34, s8
	s_mul_i32 s0, s0, s86
	s_sub_i32 s0, s34, s0
	s_sub_i32 s8, s0, s86
	s_cmp_ge_u32 s0, s86
	s_cselect_b32 s0, s8, s0
	s_sub_i32 s8, s0, s86
	s_cmp_ge_u32 s0, s86
	s_cselect_b32 s88, s8, s0
	s_mov_b64 s[8:9], s[88:89]
.LBB21_157:                             ;   in Loop: Header=BB21_16 Depth=1
	s_sub_u32 s8, s34, s8
	s_subb_u32 s9, s1, s9
	v_cmp_gt_i64_e32 vcc, s[8:9], v[0:1]
                                        ; implicit-def: $vgpr37
	s_and_saveexec_b64 s[0:1], vcc
	s_cbranch_execz .LBB21_166
; %bb.158:                              ;   in Loop: Header=BB21_16 Depth=1
	s_mov_b64 s[26:27], 0
	v_mov_b32_e32 v10, v14
	v_mov_b64_e32 v[4:5], v[0:1]
                                        ; implicit-def: $sgpr34_sgpr35
	s_branch .LBB21_161
.LBB21_159:                             ;   in Loop: Header=BB21_161 Depth=2
	s_or_b64 exec, exec, s[38:39]
	s_waitcnt lgkmcnt(0)
	s_barrier
	ds_read_b64 v[36:37], v3 offset:3072
	s_mov_b64 s[38:39], -1
	s_mov_b64 s[40:41], -1
	s_waitcnt lgkmcnt(0)
	s_barrier
	v_cmp_eq_u32_e32 vcc, 0, v36
	s_cbranch_vccnz .LBB21_164
.LBB21_160:                             ;   in Loop: Header=BB21_161 Depth=2
	s_and_b64 s[38:39], exec, s[38:39]
	s_or_b64 s[26:27], s[38:39], s[26:27]
	s_andn2_b64 s[34:35], s[34:35], exec
	s_and_b64 s[38:39], s[40:41], exec
	s_or_b64 s[34:35], s[34:35], s[38:39]
	s_andn2_b64 exec, exec, s[26:27]
	s_cbranch_execz .LBB21_165
.LBB21_161:                             ;   Parent Loop BB21_16 Depth=1
                                        ; =>  This Inner Loop Header: Depth=2
	v_cmp_gt_u64_e32 vcc, s[36:37], v[4:5]
	s_and_saveexec_b64 s[38:39], vcc
	s_cbranch_execz .LBB21_159
; %bb.162:                              ;   in Loop: Header=BB21_161 Depth=2
	ds_read_b32 v35, v10
	s_waitcnt lgkmcnt(0)
	v_bitop3_b32 v11, v35, v52, s98 bitop3:0x48
	v_cmp_eq_u32_e32 vcc, v11, v50
	s_and_b64 exec, exec, vcc
	s_cbranch_execz .LBB21_159
; %bb.163:                              ;   in Loop: Header=BB21_161 Depth=2
	ds_write_b64 v3, v[34:35] offset:3072
	s_branch .LBB21_159
.LBB21_164:                             ;   in Loop: Header=BB21_161 Depth=2
	v_lshl_add_u64 v[4:5], v[4:5], 0, s[86:87]
	v_cmp_le_i64_e32 vcc, s[8:9], v[4:5]
	v_add_u32_e32 v10, s83, v10
	s_mov_b64 s[40:41], 0
	s_orn2_b64 s[38:39], vcc, exec
	s_branch .LBB21_160
.LBB21_165:                             ;   in Loop: Header=BB21_16 Depth=1
	s_or_b64 exec, exec, s[26:27]
	s_andn2_b64 s[6:7], s[6:7], exec
	s_and_b64 s[8:9], s[34:35], exec
	s_or_b64 s[6:7], s[6:7], s[8:9]
.LBB21_166:                             ;   in Loop: Header=BB21_16 Depth=1
	s_or_b64 exec, exec, s[0:1]
	s_mov_b64 s[0:1], 0
	s_mov_b64 s[26:27], -1
.LBB21_167:                             ;   in Loop: Header=BB21_16 Depth=1
	s_orn2_b64 s[6:7], s[6:7], exec
.LBB21_168:                             ;   in Loop: Header=BB21_16 Depth=1
	s_or_b64 exec, exec, s[28:29]
	s_mov_b64 s[8:9], 0
	s_and_saveexec_b64 s[28:29], s[6:7]
	s_cbranch_execz .LBB21_274
; %bb.169:                              ;   in Loop: Header=BB21_16 Depth=1
	s_xor_b64 s[30:31], s[30:31], -1
	v_mov_b32_e32 v2, 1
	v_mov_b64_e32 v[4:5], 1
	s_and_saveexec_b64 s[6:7], s[30:31]
	s_cbranch_execz .LBB21_179
; %bb.170:                              ;   in Loop: Header=BB21_16 Depth=1
	v_cmp_le_i64_e32 vcc, v[8:9], v[6:7]
	s_and_saveexec_b64 s[8:9], vcc
	s_xor_b64 s[8:9], exec, s[8:9]
	s_cbranch_execz .LBB21_176
; %bb.171:                              ;   in Loop: Header=BB21_16 Depth=1
	ds_read_b64 v[4:5], v3 offset:5120
	v_and_b32_e32 v2, s54, v50
	v_lshl_or_b32 v50, 1, s99, v2
	v_or_b32_e32 v52, s68, v52
	s_waitcnt lgkmcnt(0)
	v_cmp_ne_u64_e32 vcc, 0, v[4:5]
	s_cbranch_vccnz .LBB21_175
; %bb.172:                              ;   in Loop: Header=BB21_16 Depth=1
	s_mov_b64 s[30:31], exec
	v_readlane_b32 s34, v64, 12
	v_readlane_b32 s35, v64, 13
	s_and_b64 s[34:35], s[30:31], s[34:35]
	s_mov_b64 exec, s[34:35]
; %bb.173:                              ;   in Loop: Header=BB21_16 Depth=1
	ds_write_b64 v3, v[6:7] offset:5128
; %bb.174:                              ;   in Loop: Header=BB21_16 Depth=1
	s_or_b64 exec, exec, s[30:31]
	s_waitcnt lgkmcnt(0)
	s_barrier
.LBB21_175:                             ;   in Loop: Header=BB21_16 Depth=1
                                        ; implicit-def: $vgpr4_vgpr5_vgpr6_vgpr7
.LBB21_176:                             ;   in Loop: Header=BB21_16 Depth=1
	s_or_saveexec_b64 s[8:9], s[8:9]
	s_mov_b64 s[30:31], 0
	v_mov_b32_e32 v2, 8
	s_xor_b64 exec, exec, s[8:9]
; %bb.177:                              ;   in Loop: Header=BB21_16 Depth=1
	v_sub_co_u32_e32 v8, vcc, v8, v6
	s_mov_b64 s[30:31], exec
	s_nop 0
	v_subb_co_u32_e32 v9, vcc, v9, v7, vcc
	v_mov_b32_e32 v2, 0
; %bb.178:                              ;   in Loop: Header=BB21_16 Depth=1
	s_or_b64 exec, exec, s[8:9]
	s_and_b64 s[8:9], s[30:31], exec
	v_mov_b64_e32 v[4:5], v[8:9]
.LBB21_179:                             ;   in Loop: Header=BB21_16 Depth=1
	s_or_b64 exec, exec, s[6:7]
	s_mov_b64 s[6:7], -1
                                        ; implicit-def: $sgpr36_sgpr37
                                        ; implicit-def: $sgpr38_sgpr39
	s_and_saveexec_b64 s[30:31], s[8:9]
	s_cbranch_execz .LBB21_273
; %bb.180:                              ;   in Loop: Header=BB21_16 Depth=1
	s_cmp_eq_u64 s[24:25], 1
	s_cselect_b64 s[6:7], -1, 0
	v_cmp_eq_u64_e32 vcc, 1, v[4:5]
	s_and_b64 s[42:43], s[6:7], vcc
	s_mov_b64 s[6:7], -1
                                        ; implicit-def: $sgpr38_sgpr39
                                        ; implicit-def: $sgpr36_sgpr37
	s_and_saveexec_b64 s[40:41], s[42:43]
	s_cbranch_execz .LBB21_214
; %bb.181:                              ;   in Loop: Header=BB21_16 Depth=1
	ds_read_b64 v[6:7], v3 offset:5120
	s_waitcnt lgkmcnt(0)
	s_barrier
	v_readfirstlane_b32 s44, v6
	v_readfirstlane_b32 s45, v7
	s_mov_b64 s[6:7], exec
	v_readlane_b32 s8, v64, 24
	v_readlane_b32 s9, v64, 25
	s_and_b64 s[8:9], s[6:7], s[8:9]
	s_mov_b64 exec, s[8:9]
; %bb.182:                              ;   in Loop: Header=BB21_16 Depth=1
	ds_write_b32 v45, v3
; %bb.183:                              ;   in Loop: Header=BB21_16 Depth=1
	s_or_b64 exec, exec, s[6:7]
	v_and_b32_e32 v6, s54, v50
	v_cmp_gt_i64_e64 s[6:7], s[44:45], 0
	v_lshl_or_b32 v50, 2, s99, v6
	v_or_b32_e32 v52, s68, v52
	s_mov_b64 s[36:37], -1
	s_mov_b64 s[38:39], 0
	s_and_b64 vcc, exec, s[6:7]
	s_mov_b64 s[6:7], 0
	s_mov_b64 s[8:9], -1
	s_waitcnt lgkmcnt(0)
	s_barrier
                                        ; implicit-def: $vgpr37
	s_cbranch_vccnz .LBB21_199
; %bb.184:                              ;   in Loop: Header=BB21_16 Depth=1
	s_mov_b32 s16, s89
	s_cmp_lg_u64 s[16:17], 0
	s_cbranch_scc0 .LBB21_240
; %bb.185:                              ;   in Loop: Header=BB21_16 Depth=1
	s_add_u32 s6, s86, 0
	s_addc_u32 s7, 0, 0
	s_xor_b64 s[6:7], s[6:7], 0
	v_cvt_f32_u32_e32 v6, s6
	v_cvt_f32_u32_e32 v7, s7
	s_sub_u32 s34, 0, s6
	s_subb_u32 s35, 0, s7
	v_readlane_b32 s16, v64, 35
	v_fmac_f32_e32 v6, 0x4f800000, v7
	v_rcp_f32_e32 v6, v6
	s_nop 0
	v_mul_f32_e32 v6, 0x5f7ffffc, v6
	v_mul_f32_e32 v7, 0x2f800000, v6
	v_trunc_f32_e32 v7, v7
	v_fmac_f32_e32 v6, 0xcf800000, v7
	v_cvt_u32_f32_e32 v7, v7
	v_cvt_u32_f32_e32 v6, v6
	v_readfirstlane_b32 s46, v7
	v_readfirstlane_b32 s8, v6
	s_mul_i32 s9, s34, s46
	s_mul_hi_u32 s48, s34, s8
	s_mul_i32 s47, s35, s8
	s_add_i32 s9, s48, s9
	s_mul_i32 s49, s34, s8
	s_add_i32 s9, s9, s47
	s_mul_i32 s48, s8, s9
	s_mul_hi_u32 s50, s8, s49
	s_mul_hi_u32 s47, s8, s9
	s_add_u32 s48, s50, s48
	s_addc_u32 s47, 0, s47
	s_mul_hi_u32 s51, s46, s49
	s_mul_i32 s49, s46, s49
	s_add_u32 s48, s48, s49
	s_mul_hi_u32 s50, s46, s9
	s_addc_u32 s47, s47, s51
	s_addc_u32 s48, s50, 0
	s_mul_i32 s9, s46, s9
	s_add_u32 s9, s47, s9
	s_addc_u32 s47, 0, s48
	s_add_u32 s48, s8, s9
	s_cselect_b64 s[8:9], -1, 0
	s_cmp_lg_u64 s[8:9], 0
	s_addc_u32 s46, s46, s47
	s_mul_i32 s8, s34, s46
	s_mul_hi_u32 s9, s34, s48
	s_add_i32 s8, s9, s8
	s_mul_i32 s35, s35, s48
	s_add_i32 s8, s8, s35
	s_mul_i32 s34, s34, s48
	s_mul_hi_u32 s35, s46, s34
	s_mul_i32 s47, s46, s34
	s_mul_i32 s50, s48, s8
	s_mul_hi_u32 s34, s48, s34
	s_mul_hi_u32 s49, s48, s8
	s_add_u32 s34, s34, s50
	s_addc_u32 s49, 0, s49
	s_add_u32 s34, s34, s47
	s_mul_hi_u32 s9, s46, s8
	s_addc_u32 s34, s49, s35
	s_addc_u32 s9, s9, 0
	s_mul_i32 s8, s46, s8
	s_add_u32 s8, s34, s8
	s_addc_u32 s34, 0, s9
	s_add_u32 s47, s48, s8
	s_cselect_b64 s[8:9], -1, 0
	s_cmp_lg_u64 s[8:9], 0
	s_addc_u32 s46, s46, s34
	s_ashr_i32 s8, s17, 31
	s_add_u32 s34, s16, s8
	s_mov_b32 s9, s8
	s_addc_u32 s35, s17, s8
	s_xor_b64 s[34:35], s[34:35], s[8:9]
	s_mul_i32 s49, s34, s46
	s_mul_hi_u32 s50, s34, s47
	s_mul_hi_u32 s48, s34, s46
	s_add_u32 s49, s50, s49
	s_addc_u32 s48, 0, s48
	s_mul_hi_u32 s51, s35, s47
	s_mul_i32 s47, s35, s47
	s_add_u32 s47, s49, s47
	s_mul_hi_u32 s50, s35, s46
	s_addc_u32 s47, s48, s51
	s_addc_u32 s48, s50, 0
	s_mul_i32 s46, s35, s46
	s_add_u32 s46, s47, s46
	s_addc_u32 s47, 0, s48
	s_mul_i32 s47, s6, s47
	s_mul_hi_u32 s48, s6, s46
	s_add_i32 s47, s48, s47
	s_mul_i32 s48, s7, s46
	s_add_i32 s50, s47, s48
	s_sub_i32 s48, s35, s50
	s_mul_i32 s46, s6, s46
	s_sub_u32 s34, s34, s46
	s_cselect_b64 s[46:47], -1, 0
	s_cmp_lg_u64 s[46:47], 0
	s_subb_u32 s51, s48, s7
	s_sub_u32 s52, s34, s6
	s_cselect_b64 s[48:49], -1, 0
	s_cmp_lg_u64 s[48:49], 0
	s_subb_u32 s53, s51, 0
	s_cmp_ge_u32 s53, s7
	s_cselect_b32 s55, -1, 0
	s_cmp_ge_u32 s52, s6
	s_cselect_b32 s56, -1, 0
	s_cmp_eq_u32 s53, s7
	s_cselect_b32 s55, s56, s55
	s_cmp_lg_u64 s[48:49], 0
	s_subb_u32 s51, s51, s7
	s_sub_u32 s56, s52, s6
	s_cselect_b64 s[48:49], -1, 0
	s_cmp_lg_u64 s[48:49], 0
	s_subb_u32 s48, s51, 0
	s_cmp_lg_u32 s55, 0
	s_cselect_b32 s49, s56, s52
	s_cselect_b32 s48, s48, s53
	s_cmp_lg_u64 s[46:47], 0
	s_subb_u32 s35, s35, s50
	s_cmp_ge_u32 s35, s7
	s_cselect_b32 s46, -1, 0
	s_cmp_ge_u32 s34, s6
	s_cselect_b32 s6, -1, 0
	s_cmp_eq_u32 s35, s7
	s_cselect_b32 s6, s6, s46
	s_cmp_lg_u32 s6, 0
	s_cselect_b32 s7, s48, s35
	s_cselect_b32 s6, s49, s34
	s_xor_b64 s[6:7], s[6:7], s[8:9]
	s_sub_u32 s6, s6, s8
	s_subb_u32 s7, s7, s8
	s_cbranch_execnz .LBB21_187
.LBB21_186:                             ;   in Loop: Header=BB21_16 Depth=1
	v_cvt_f32_u32_e32 v6, s86
	s_sub_i32 s6, 0, s86
	v_readlane_b32 s8, v64, 35
	v_rcp_iflag_f32_e32 v6, v6
	s_nop 0
	v_mul_f32_e32 v6, 0x4f7ffffe, v6
	v_cvt_u32_f32_e32 v6, v6
	s_nop 0
	v_readfirstlane_b32 s7, v6
	s_mul_i32 s6, s6, s7
	s_mul_hi_u32 s6, s7, s6
	s_add_i32 s7, s7, s6
	s_mul_hi_u32 s6, s8, s7
	s_mul_i32 s6, s6, s86
	s_sub_i32 s6, s8, s6
	s_sub_i32 s7, s6, s86
	s_cmp_ge_u32 s6, s86
	s_cselect_b32 s6, s7, s6
	s_sub_i32 s7, s6, s86
	s_cmp_ge_u32 s6, s86
	s_cselect_b32 s88, s7, s6
	s_mov_b64 s[6:7], s[88:89]
.LBB21_187:                             ;   in Loop: Header=BB21_16 Depth=1
	v_readlane_b32 s8, v64, 35
	s_sub_u32 s46, s8, s6
	s_subb_u32 s47, s17, s7
	v_cmp_gt_i64_e32 vcc, s[46:47], v[0:1]
	s_mov_b64 s[8:9], 0
	s_mov_b64 s[6:7], 0
                                        ; implicit-def: $vgpr37
	s_and_saveexec_b64 s[34:35], vcc
	s_cbranch_execz .LBB21_198
; %bb.188:                              ;   in Loop: Header=BB21_16 Depth=1
	v_mov_b64_e32 v[6:7], v[12:13]
	v_mov_b64_e32 v[8:9], v[0:1]
                                        ; implicit-def: $sgpr48_sgpr49
	s_branch .LBB21_191
.LBB21_189:                             ;   in Loop: Header=BB21_191 Depth=2
	s_or_b64 exec, exec, s[50:51]
	s_waitcnt lgkmcnt(0)
	s_barrier
	ds_read_b64 v[36:37], v3 offset:3072
	s_mov_b64 s[50:51], -1
	s_mov_b64 s[52:53], -1
	s_waitcnt lgkmcnt(0)
	s_barrier
	v_cmp_ne_u32_e32 vcc, 0, v36
	s_cbranch_vccz .LBB21_194
.LBB21_190:                             ;   in Loop: Header=BB21_191 Depth=2
	s_and_b64 s[50:51], exec, s[50:51]
	s_or_b64 s[6:7], s[50:51], s[6:7]
	s_andn2_b64 s[48:49], s[48:49], exec
	s_and_b64 s[50:51], s[52:53], exec
	s_or_b64 s[48:49], s[48:49], s[50:51]
	s_andn2_b64 exec, exec, s[6:7]
	s_cbranch_execz .LBB21_197
.LBB21_191:                             ;   Parent Loop BB21_16 Depth=1
                                        ; =>  This Inner Loop Header: Depth=2
	v_cmp_gt_i64_e32 vcc, s[60:61], v[8:9]
	s_and_saveexec_b64 s[50:51], vcc
	s_cbranch_execz .LBB21_189
; %bb.192:                              ;   in Loop: Header=BB21_191 Depth=2
	global_load_dword v35, v[6:7], off
	s_waitcnt vmcnt(0)
	v_bitop3_b32 v10, v35, v52, s98 bitop3:0x48
	v_cmp_eq_u32_e32 vcc, v10, v50
	s_and_b64 exec, exec, vcc
	s_cbranch_execz .LBB21_189
; %bb.193:                              ;   in Loop: Header=BB21_191 Depth=2
	ds_write_b64 v3, v[34:35] offset:3072
	s_branch .LBB21_189
.LBB21_194:                             ;   in Loop: Header=BB21_191 Depth=2
	v_lshl_add_u64 v[8:9], v[8:9], 0, s[86:87]
	v_cmp_le_i64_e32 vcc, s[46:47], v[8:9]
	v_lshl_add_u64 v[6:7], v[6:7], 0, s[92:93]
	s_mov_b64 s[52:53], 0
	s_orn2_b64 s[50:51], vcc, exec
	s_branch .LBB21_190
.LBB21_195:                             ;   in Loop: Header=BB21_16 Depth=1
                                        ; implicit-def: $sgpr6_sgpr7
	s_andn2_b64 vcc, exec, s[8:9]
	s_cbranch_vccz .LBB21_140
	s_branch .LBB21_141
.LBB21_196:                             ;   in Loop: Header=BB21_16 Depth=1
                                        ; implicit-def: $sgpr8_sgpr9
	s_branch .LBB21_156
.LBB21_197:                             ;   in Loop: Header=BB21_16 Depth=1
	s_or_b64 exec, exec, s[6:7]
	s_and_b64 s[6:7], s[48:49], exec
.LBB21_198:                             ;   in Loop: Header=BB21_16 Depth=1
	s_or_b64 exec, exec, s[34:35]
.LBB21_199:                             ;   in Loop: Header=BB21_16 Depth=1
	s_and_b64 vcc, exec, s[8:9]
	s_cbranch_vccz .LBB21_213
; %bb.200:                              ;   in Loop: Header=BB21_16 Depth=1
	v_readlane_b32 s8, v64, 34
	s_add_u32 s38, s44, s8
	v_readlane_b32 s8, v64, 36
	s_addc_u32 s9, s45, s8
	s_mov_b32 s8, s89
	s_cmp_lg_u64 s[8:9], 0
	s_cbranch_scc0 .LBB21_241
; %bb.201:                              ;   in Loop: Header=BB21_16 Depth=1
	s_add_u32 s34, s86, 0
	s_addc_u32 s35, 0, 0
	s_xor_b64 s[34:35], s[34:35], 0
	v_cvt_f32_u32_e32 v6, s34
	v_cvt_f32_u32_e32 v7, s35
	s_sub_u32 s8, 0, s34
	s_subb_u32 s39, 0, s35
	v_fmac_f32_e32 v6, 0x4f800000, v7
	v_rcp_f32_e32 v6, v6
	s_nop 0
	v_mul_f32_e32 v6, 0x5f7ffffc, v6
	v_mul_f32_e32 v7, 0x2f800000, v6
	v_trunc_f32_e32 v7, v7
	v_fmac_f32_e32 v6, 0xcf800000, v7
	v_cvt_u32_f32_e32 v7, v7
	v_cvt_u32_f32_e32 v6, v6
	v_readfirstlane_b32 s46, v7
	v_readfirstlane_b32 s36, v6
	s_mul_i32 s37, s8, s46
	s_mul_hi_u32 s48, s8, s36
	s_mul_i32 s47, s39, s36
	s_add_i32 s37, s48, s37
	s_mul_i32 s49, s8, s36
	s_add_i32 s37, s37, s47
	s_mul_i32 s48, s36, s37
	s_mul_hi_u32 s50, s36, s49
	s_mul_hi_u32 s47, s36, s37
	s_add_u32 s48, s50, s48
	s_addc_u32 s47, 0, s47
	s_mul_hi_u32 s51, s46, s49
	s_mul_i32 s49, s46, s49
	s_add_u32 s48, s48, s49
	s_mul_hi_u32 s50, s46, s37
	s_addc_u32 s47, s47, s51
	s_addc_u32 s48, s50, 0
	s_mul_i32 s37, s46, s37
	s_add_u32 s37, s47, s37
	s_addc_u32 s47, 0, s48
	s_add_u32 s48, s36, s37
	s_cselect_b64 s[36:37], -1, 0
	s_cmp_lg_u64 s[36:37], 0
	s_addc_u32 s46, s46, s47
	s_mul_i32 s36, s8, s46
	s_mul_hi_u32 s37, s8, s48
	s_add_i32 s36, s37, s36
	s_mul_i32 s39, s39, s48
	s_add_i32 s36, s36, s39
	s_mul_i32 s8, s8, s48
	s_mul_hi_u32 s39, s46, s8
	s_mul_i32 s47, s46, s8
	s_mul_i32 s50, s48, s36
	s_mul_hi_u32 s8, s48, s8
	s_mul_hi_u32 s49, s48, s36
	s_add_u32 s8, s8, s50
	s_addc_u32 s49, 0, s49
	s_add_u32 s8, s8, s47
	s_mul_hi_u32 s37, s46, s36
	s_addc_u32 s8, s49, s39
	s_addc_u32 s37, s37, 0
	s_mul_i32 s36, s46, s36
	s_add_u32 s8, s8, s36
	s_addc_u32 s39, 0, s37
	s_add_u32 s8, s48, s8
	s_cselect_b64 s[36:37], -1, 0
	s_cmp_lg_u64 s[36:37], 0
	s_addc_u32 s39, s46, s39
	s_ashr_i32 s36, s9, 31
	s_add_u32 s46, s38, s36
	s_mov_b32 s37, s36
	s_addc_u32 s47, s9, s36
	s_xor_b64 s[46:47], s[46:47], s[36:37]
	s_mul_i32 s49, s46, s39
	s_mul_hi_u32 s50, s46, s8
	s_mul_hi_u32 s48, s46, s39
	s_add_u32 s49, s50, s49
	s_addc_u32 s48, 0, s48
	s_mul_hi_u32 s51, s47, s8
	s_mul_i32 s8, s47, s8
	s_add_u32 s8, s49, s8
	s_mul_hi_u32 s50, s47, s39
	s_addc_u32 s8, s48, s51
	s_addc_u32 s48, s50, 0
	s_mul_i32 s39, s47, s39
	s_add_u32 s8, s8, s39
	s_addc_u32 s39, 0, s48
	s_mul_i32 s39, s34, s39
	s_mul_hi_u32 s48, s34, s8
	s_add_i32 s39, s48, s39
	s_mul_i32 s48, s35, s8
	s_add_i32 s39, s39, s48
	s_sub_i32 s50, s47, s39
	s_mul_i32 s8, s34, s8
	s_sub_u32 s8, s46, s8
	s_cselect_b64 s[48:49], -1, 0
	s_cmp_lg_u64 s[48:49], 0
	s_subb_u32 s46, s50, s35
	s_sub_u32 s52, s8, s34
	s_cselect_b64 s[50:51], -1, 0
	s_cmp_lg_u64 s[50:51], 0
	s_subb_u32 s53, s46, 0
	s_cmp_ge_u32 s53, s35
	s_cselect_b32 s55, -1, 0
	s_cmp_ge_u32 s52, s34
	s_cselect_b32 s56, -1, 0
	s_cmp_eq_u32 s53, s35
	s_cselect_b32 s55, s56, s55
	s_cmp_lg_u64 s[50:51], 0
	s_subb_u32 s46, s46, s35
	s_sub_u32 s56, s52, s34
	s_cselect_b64 s[50:51], -1, 0
	s_cmp_lg_u64 s[50:51], 0
	s_subb_u32 s46, s46, 0
	s_cmp_lg_u32 s55, 0
	s_cselect_b32 s50, s56, s52
	s_cselect_b32 s46, s46, s53
	s_cmp_lg_u64 s[48:49], 0
	s_subb_u32 s39, s47, s39
	s_cmp_ge_u32 s39, s35
	s_cselect_b32 s47, -1, 0
	s_cmp_ge_u32 s8, s34
	s_cselect_b32 s34, -1, 0
	s_cmp_eq_u32 s39, s35
	s_cselect_b32 s34, s34, s47
	s_cmp_lg_u32 s34, 0
	s_cselect_b32 s35, s46, s39
	s_cselect_b32 s34, s50, s8
	s_xor_b64 s[34:35], s[34:35], s[36:37]
	s_sub_u32 s34, s34, s36
	s_subb_u32 s35, s35, s36
	s_cbranch_execnz .LBB21_203
.LBB21_202:                             ;   in Loop: Header=BB21_16 Depth=1
	v_cvt_f32_u32_e32 v6, s86
	s_sub_i32 s8, 0, s86
	v_rcp_iflag_f32_e32 v6, v6
	s_nop 0
	v_mul_f32_e32 v6, 0x4f7ffffe, v6
	v_cvt_u32_f32_e32 v6, v6
	s_nop 0
	v_readfirstlane_b32 s34, v6
	s_mul_i32 s8, s8, s34
	s_mul_hi_u32 s8, s34, s8
	s_add_i32 s34, s34, s8
	s_mul_hi_u32 s8, s38, s34
	s_mul_i32 s8, s8, s86
	s_sub_i32 s8, s38, s8
	s_sub_i32 s34, s8, s86
	s_cmp_ge_u32 s8, s86
	s_cselect_b32 s8, s34, s8
	s_sub_i32 s34, s8, s86
	s_cmp_ge_u32 s8, s86
	s_cselect_b32 s88, s34, s8
	s_mov_b64 s[34:35], s[88:89]
.LBB21_203:                             ;   in Loop: Header=BB21_16 Depth=1
	s_sub_u32 s34, s38, s34
	s_subb_u32 s35, s9, s35
	v_cmp_gt_i64_e32 vcc, s[34:35], v[0:1]
                                        ; implicit-def: $vgpr37
	s_and_saveexec_b64 s[8:9], vcc
	s_cbranch_execz .LBB21_212
; %bb.204:                              ;   in Loop: Header=BB21_16 Depth=1
	s_mov_b64 s[36:37], 0
	v_mov_b32_e32 v8, v14
	v_mov_b64_e32 v[6:7], v[0:1]
                                        ; implicit-def: $sgpr38_sgpr39
	s_branch .LBB21_207
.LBB21_205:                             ;   in Loop: Header=BB21_207 Depth=2
	s_or_b64 exec, exec, s[46:47]
	s_waitcnt lgkmcnt(0)
	s_barrier
	ds_read_b64 v[36:37], v3 offset:3072
	s_mov_b64 s[46:47], -1
	s_mov_b64 s[48:49], -1
	s_waitcnt lgkmcnt(0)
	s_barrier
	v_cmp_eq_u32_e32 vcc, 0, v36
	s_cbranch_vccnz .LBB21_210
.LBB21_206:                             ;   in Loop: Header=BB21_207 Depth=2
	s_and_b64 s[46:47], exec, s[46:47]
	s_or_b64 s[36:37], s[46:47], s[36:37]
	s_andn2_b64 s[38:39], s[38:39], exec
	s_and_b64 s[46:47], s[48:49], exec
	s_or_b64 s[38:39], s[38:39], s[46:47]
	s_andn2_b64 exec, exec, s[36:37]
	s_cbranch_execz .LBB21_211
.LBB21_207:                             ;   Parent Loop BB21_16 Depth=1
                                        ; =>  This Inner Loop Header: Depth=2
	v_cmp_gt_u64_e32 vcc, s[44:45], v[6:7]
	s_and_saveexec_b64 s[46:47], vcc
	s_cbranch_execz .LBB21_205
; %bb.208:                              ;   in Loop: Header=BB21_207 Depth=2
	ds_read_b32 v35, v8
	s_waitcnt lgkmcnt(0)
	v_bitop3_b32 v9, v35, v52, s98 bitop3:0x48
	v_cmp_eq_u32_e32 vcc, v9, v50
	s_and_b64 exec, exec, vcc
	s_cbranch_execz .LBB21_205
; %bb.209:                              ;   in Loop: Header=BB21_207 Depth=2
	ds_write_b64 v3, v[34:35] offset:3072
	s_branch .LBB21_205
.LBB21_210:                             ;   in Loop: Header=BB21_207 Depth=2
	v_lshl_add_u64 v[6:7], v[6:7], 0, s[86:87]
	v_cmp_le_i64_e32 vcc, s[34:35], v[6:7]
	v_add_u32_e32 v8, s83, v8
	s_mov_b64 s[48:49], 0
	s_orn2_b64 s[46:47], vcc, exec
	s_branch .LBB21_206
.LBB21_211:                             ;   in Loop: Header=BB21_16 Depth=1
	s_or_b64 exec, exec, s[36:37]
	s_andn2_b64 s[6:7], s[6:7], exec
	s_and_b64 s[34:35], s[38:39], exec
	s_or_b64 s[6:7], s[6:7], s[34:35]
.LBB21_212:                             ;   in Loop: Header=BB21_16 Depth=1
	s_or_b64 exec, exec, s[8:9]
	s_mov_b64 s[36:37], 0
	s_mov_b64 s[38:39], -1
.LBB21_213:                             ;   in Loop: Header=BB21_16 Depth=1
	s_orn2_b64 s[6:7], s[6:7], exec
.LBB21_214:                             ;   in Loop: Header=BB21_16 Depth=1
	s_or_b64 exec, exec, s[40:41]
	s_mov_b64 s[8:9], 0
	s_and_saveexec_b64 s[40:41], s[6:7]
	s_cbranch_execz .LBB21_272
; %bb.215:                              ;   in Loop: Header=BB21_16 Depth=1
	s_xor_b64 s[34:35], s[42:43], -1
	v_mov_b32_e32 v2, 1
	v_mov_b64_e32 v[6:7], 1
	s_and_saveexec_b64 s[6:7], s[34:35]
	s_cbranch_execz .LBB21_224
; %bb.216:                              ;   in Loop: Header=BB21_16 Depth=1
	v_cmp_ge_i64_e32 vcc, s[24:25], v[4:5]
	s_and_saveexec_b64 s[8:9], vcc
	s_xor_b64 s[8:9], exec, s[8:9]
	s_cbranch_execz .LBB21_221
; %bb.217:                              ;   in Loop: Header=BB21_16 Depth=1
	ds_read_b64 v[6:7], v3 offset:5120
	v_and_b32_e32 v2, s54, v50
	v_lshl_or_b32 v50, 2, s99, v2
	v_or_b32_e32 v52, s68, v52
	s_waitcnt lgkmcnt(0)
	v_cmp_ne_u64_e32 vcc, 0, v[6:7]
	s_cbranch_vccnz .LBB21_221
; %bb.218:                              ;   in Loop: Header=BB21_16 Depth=1
	s_mov_b64 s[34:35], exec
	v_readlane_b32 s42, v64, 12
	v_readlane_b32 s43, v64, 13
	s_and_b64 s[42:43], s[34:35], s[42:43]
	s_mov_b64 exec, s[42:43]
; %bb.219:                              ;   in Loop: Header=BB21_16 Depth=1
	v_mov_b64_e32 v[6:7], s[24:25]
	ds_write_b64 v3, v[6:7] offset:5128
; %bb.220:                              ;   in Loop: Header=BB21_16 Depth=1
	s_or_b64 exec, exec, s[34:35]
	s_waitcnt lgkmcnt(0)
	s_barrier
.LBB21_221:                             ;   in Loop: Header=BB21_16 Depth=1
	s_or_saveexec_b64 s[8:9], s[8:9]
	s_mov_b64 s[34:35], 0
	v_mov_b32_e32 v2, 8
	s_xor_b64 exec, exec, s[8:9]
; %bb.222:                              ;   in Loop: Header=BB21_16 Depth=1
	v_mov_b32_e32 v2, s25
	v_subrev_co_u32_e32 v4, vcc, s24, v4
	s_mov_b64 s[34:35], exec
	s_nop 0
	v_subb_co_u32_e32 v5, vcc, v5, v2, vcc
	v_mov_b32_e32 v2, 0
; %bb.223:                              ;   in Loop: Header=BB21_16 Depth=1
	s_or_b64 exec, exec, s[8:9]
	s_and_b64 s[8:9], s[34:35], exec
	v_mov_b64_e32 v[6:7], v[4:5]
.LBB21_224:                             ;   in Loop: Header=BB21_16 Depth=1
	s_or_b64 exec, exec, s[6:7]
	s_mov_b64 s[6:7], -1
                                        ; implicit-def: $sgpr48_sgpr49
                                        ; implicit-def: $sgpr34_sgpr35
	s_and_saveexec_b64 s[24:25], s[8:9]
	s_cbranch_execz .LBB21_271
; %bb.225:                              ;   in Loop: Header=BB21_16 Depth=1
	s_cmp_eq_u64 s[2:3], 1
	s_cselect_b64 s[6:7], -1, 0
	v_cmp_eq_u64_e32 vcc, 1, v[6:7]
	s_and_b64 s[42:43], s[6:7], vcc
	s_mov_b64 s[8:9], -1
                                        ; implicit-def: $sgpr48_sgpr49
                                        ; implicit-def: $sgpr34_sgpr35
	s_and_saveexec_b64 s[44:45], s[42:43]
	s_cbranch_execz .LBB21_259
; %bb.226:                              ;   in Loop: Header=BB21_16 Depth=1
	ds_read_b64 v[4:5], v3 offset:5120
	s_waitcnt lgkmcnt(0)
	s_barrier
	v_readfirstlane_b32 s46, v4
	v_readfirstlane_b32 s47, v5
	s_mov_b64 s[6:7], exec
	v_readlane_b32 s8, v64, 24
	v_readlane_b32 s9, v64, 25
	s_and_b64 s[8:9], s[6:7], s[8:9]
	s_mov_b64 exec, s[8:9]
; %bb.227:                              ;   in Loop: Header=BB21_16 Depth=1
	ds_write_b32 v45, v3
; %bb.228:                              ;   in Loop: Header=BB21_16 Depth=1
	s_or_b64 exec, exec, s[6:7]
	v_cmp_gt_i64_e64 s[6:7], s[46:47], 0
	v_or_b32_e32 v50, s68, v50
	v_or_b32_e32 v52, s68, v52
	s_mov_b64 s[34:35], -1
	s_mov_b64 s[48:49], 0
	s_and_b64 vcc, exec, s[6:7]
	s_mov_b64 s[6:7], 0
	s_mov_b64 s[8:9], -1
	s_waitcnt lgkmcnt(0)
	s_barrier
                                        ; implicit-def: $vgpr37
	s_cbranch_vccnz .LBB21_244
; %bb.229:                              ;   in Loop: Header=BB21_16 Depth=1
	s_mov_b32 s16, s89
	s_cmp_lg_u64 s[16:17], 0
	s_cbranch_scc0 .LBB21_278
; %bb.230:                              ;   in Loop: Header=BB21_16 Depth=1
	s_add_u32 s6, s86, 0
	s_addc_u32 s7, 0, 0
	s_xor_b64 s[6:7], s[6:7], 0
	v_cvt_f32_u32_e32 v4, s6
	v_cvt_f32_u32_e32 v5, s7
	s_sub_u32 s50, 0, s6
	s_subb_u32 s51, 0, s7
	v_readlane_b32 s16, v64, 35
	v_fmac_f32_e32 v4, 0x4f800000, v5
	v_rcp_f32_e32 v4, v4
	s_nop 0
	v_mul_f32_e32 v4, 0x5f7ffffc, v4
	v_mul_f32_e32 v5, 0x2f800000, v4
	v_trunc_f32_e32 v5, v5
	v_fmac_f32_e32 v4, 0xcf800000, v5
	v_cvt_u32_f32_e32 v5, v5
	v_cvt_u32_f32_e32 v4, v4
	v_readfirstlane_b32 s52, v5
	v_readfirstlane_b32 s8, v4
	s_mul_i32 s9, s50, s52
	s_mul_hi_u32 s54, s50, s8
	s_mul_i32 s53, s51, s8
	s_add_i32 s9, s54, s9
	s_mul_i32 s55, s50, s8
	s_add_i32 s9, s9, s53
	s_mul_i32 s54, s8, s9
	s_mul_hi_u32 s56, s8, s55
	s_mul_hi_u32 s53, s8, s9
	s_add_u32 s54, s56, s54
	s_addc_u32 s53, 0, s53
	s_mul_hi_u32 s57, s52, s55
	s_mul_i32 s55, s52, s55
	s_add_u32 s54, s54, s55
	s_mul_hi_u32 s56, s52, s9
	s_addc_u32 s53, s53, s57
	s_addc_u32 s54, s56, 0
	s_mul_i32 s9, s52, s9
	s_add_u32 s9, s53, s9
	s_addc_u32 s53, 0, s54
	s_add_u32 s54, s8, s9
	s_cselect_b64 s[8:9], -1, 0
	s_cmp_lg_u64 s[8:9], 0
	s_addc_u32 s52, s52, s53
	s_mul_i32 s8, s50, s52
	s_mul_hi_u32 s9, s50, s54
	s_add_i32 s8, s9, s8
	s_mul_i32 s51, s51, s54
	s_add_i32 s8, s8, s51
	s_mul_i32 s50, s50, s54
	s_mul_hi_u32 s51, s52, s50
	s_mul_i32 s53, s52, s50
	s_mul_i32 s56, s54, s8
	s_mul_hi_u32 s50, s54, s50
	s_mul_hi_u32 s55, s54, s8
	s_add_u32 s50, s50, s56
	s_addc_u32 s55, 0, s55
	s_add_u32 s50, s50, s53
	s_mul_hi_u32 s9, s52, s8
	s_addc_u32 s50, s55, s51
	s_addc_u32 s9, s9, 0
	s_mul_i32 s8, s52, s8
	s_add_u32 s8, s50, s8
	s_addc_u32 s50, 0, s9
	s_add_u32 s53, s54, s8
	s_cselect_b64 s[8:9], -1, 0
	s_cmp_lg_u64 s[8:9], 0
	s_addc_u32 s52, s52, s50
	s_ashr_i32 s8, s17, 31
	s_add_u32 s50, s16, s8
	s_mov_b32 s9, s8
	s_addc_u32 s51, s17, s8
	s_xor_b64 s[50:51], s[50:51], s[8:9]
	s_mul_i32 s55, s50, s52
	s_mul_hi_u32 s56, s50, s53
	s_mul_hi_u32 s54, s50, s52
	s_add_u32 s55, s56, s55
	s_addc_u32 s54, 0, s54
	s_mul_hi_u32 s57, s51, s53
	s_mul_i32 s53, s51, s53
	s_add_u32 s53, s55, s53
	s_mul_hi_u32 s56, s51, s52
	s_addc_u32 s53, s54, s57
	s_addc_u32 s54, s56, 0
	s_mul_i32 s52, s51, s52
	s_add_u32 s52, s53, s52
	s_addc_u32 s53, 0, s54
	s_mul_i32 s53, s6, s53
	s_mul_hi_u32 s54, s6, s52
	s_add_i32 s53, s54, s53
	s_mul_i32 s54, s7, s52
	s_add_i32 s56, s53, s54
	s_sub_i32 s54, s51, s56
	s_mul_i32 s52, s6, s52
	s_sub_u32 s50, s50, s52
	s_cselect_b64 s[52:53], -1, 0
	s_cmp_lg_u64 s[52:53], 0
	s_subb_u32 s57, s54, s7
	s_sub_u32 s58, s50, s6
	s_cselect_b64 s[54:55], -1, 0
	s_cmp_lg_u64 s[54:55], 0
	s_subb_u32 s59, s57, 0
	s_cmp_ge_u32 s59, s7
	s_cselect_b32 s69, -1, 0
	s_cmp_ge_u32 s58, s6
	s_cselect_b32 s70, -1, 0
	s_cmp_eq_u32 s59, s7
	s_cselect_b32 s69, s70, s69
	s_cmp_lg_u64 s[54:55], 0
	s_subb_u32 s57, s57, s7
	s_sub_u32 s70, s58, s6
	s_cselect_b64 s[54:55], -1, 0
	s_cmp_lg_u64 s[54:55], 0
	s_subb_u32 s54, s57, 0
	s_cmp_lg_u32 s69, 0
	s_cselect_b32 s55, s70, s58
	s_cselect_b32 s54, s54, s59
	s_cmp_lg_u64 s[52:53], 0
	s_subb_u32 s51, s51, s56
	s_cmp_ge_u32 s51, s7
	s_cselect_b32 s52, -1, 0
	s_cmp_ge_u32 s50, s6
	s_cselect_b32 s6, -1, 0
	s_cmp_eq_u32 s51, s7
	s_cselect_b32 s6, s6, s52
	s_cmp_lg_u32 s6, 0
	s_cselect_b32 s7, s54, s51
	s_cselect_b32 s6, s55, s50
	s_xor_b64 s[6:7], s[6:7], s[8:9]
	s_sub_u32 s6, s6, s8
	s_subb_u32 s7, s7, s8
	s_cbranch_execnz .LBB21_232
.LBB21_231:                             ;   in Loop: Header=BB21_16 Depth=1
	v_cvt_f32_u32_e32 v4, s86
	s_sub_i32 s6, 0, s86
	v_readlane_b32 s8, v64, 35
	v_rcp_iflag_f32_e32 v4, v4
	s_nop 0
	v_mul_f32_e32 v4, 0x4f7ffffe, v4
	v_cvt_u32_f32_e32 v4, v4
	s_nop 0
	v_readfirstlane_b32 s7, v4
	s_mul_i32 s6, s6, s7
	s_mul_hi_u32 s6, s7, s6
	s_add_i32 s7, s7, s6
	s_mul_hi_u32 s6, s8, s7
	s_mul_i32 s6, s6, s86
	s_sub_i32 s6, s8, s6
	s_sub_i32 s7, s6, s86
	s_cmp_ge_u32 s6, s86
	s_cselect_b32 s6, s7, s6
	s_sub_i32 s7, s6, s86
	s_cmp_ge_u32 s6, s86
	s_cselect_b32 s88, s7, s6
	s_mov_b64 s[6:7], s[88:89]
.LBB21_232:                             ;   in Loop: Header=BB21_16 Depth=1
	v_readlane_b32 s8, v64, 35
	s_sub_u32 s52, s8, s6
	s_subb_u32 s53, s17, s7
	v_cmp_gt_i64_e32 vcc, s[52:53], v[0:1]
	s_mov_b64 s[8:9], 0
	s_mov_b64 s[6:7], 0
                                        ; implicit-def: $vgpr37
	s_and_saveexec_b64 s[50:51], vcc
	s_cbranch_execz .LBB21_243
; %bb.233:                              ;   in Loop: Header=BB21_16 Depth=1
	v_mov_b64_e32 v[4:5], v[12:13]
	v_mov_b64_e32 v[8:9], v[0:1]
                                        ; implicit-def: $sgpr54_sgpr55
	s_branch .LBB21_236
.LBB21_234:                             ;   in Loop: Header=BB21_236 Depth=2
	s_or_b64 exec, exec, s[56:57]
	s_waitcnt lgkmcnt(0)
	s_barrier
	ds_read_b64 v[36:37], v3 offset:3072
	s_mov_b64 s[56:57], -1
	s_mov_b64 s[58:59], -1
	s_waitcnt lgkmcnt(0)
	s_barrier
	v_cmp_ne_u32_e32 vcc, 0, v36
	s_cbranch_vccz .LBB21_239
.LBB21_235:                             ;   in Loop: Header=BB21_236 Depth=2
	s_and_b64 s[56:57], exec, s[56:57]
	s_or_b64 s[6:7], s[56:57], s[6:7]
	s_andn2_b64 s[54:55], s[54:55], exec
	s_and_b64 s[56:57], s[58:59], exec
	s_or_b64 s[54:55], s[54:55], s[56:57]
	s_andn2_b64 exec, exec, s[6:7]
	s_cbranch_execz .LBB21_242
.LBB21_236:                             ;   Parent Loop BB21_16 Depth=1
                                        ; =>  This Inner Loop Header: Depth=2
	v_cmp_gt_i64_e32 vcc, s[60:61], v[8:9]
	s_and_saveexec_b64 s[56:57], vcc
	s_cbranch_execz .LBB21_234
; %bb.237:                              ;   in Loop: Header=BB21_236 Depth=2
	global_load_dword v35, v[4:5], off
	s_waitcnt vmcnt(0)
	v_bitop3_b32 v10, v35, v52, s98 bitop3:0x48
	v_cmp_eq_u32_e32 vcc, v10, v50
	s_and_b64 exec, exec, vcc
	s_cbranch_execz .LBB21_234
; %bb.238:                              ;   in Loop: Header=BB21_236 Depth=2
	ds_write_b64 v3, v[34:35] offset:3072
	s_branch .LBB21_234
.LBB21_239:                             ;   in Loop: Header=BB21_236 Depth=2
	v_lshl_add_u64 v[8:9], v[8:9], 0, s[86:87]
	v_cmp_le_i64_e32 vcc, s[52:53], v[8:9]
	v_lshl_add_u64 v[4:5], v[4:5], 0, s[92:93]
	s_mov_b64 s[58:59], 0
	s_orn2_b64 s[56:57], vcc, exec
	s_branch .LBB21_235
.LBB21_240:                             ;   in Loop: Header=BB21_16 Depth=1
                                        ; implicit-def: $sgpr6_sgpr7
	s_andn2_b64 vcc, exec, s[8:9]
	s_cbranch_vccz .LBB21_186
	s_branch .LBB21_187
.LBB21_241:                             ;   in Loop: Header=BB21_16 Depth=1
                                        ; implicit-def: $sgpr34_sgpr35
	s_branch .LBB21_202
.LBB21_242:                             ;   in Loop: Header=BB21_16 Depth=1
	s_or_b64 exec, exec, s[6:7]
	s_and_b64 s[6:7], s[54:55], exec
.LBB21_243:                             ;   in Loop: Header=BB21_16 Depth=1
	s_or_b64 exec, exec, s[50:51]
.LBB21_244:                             ;   in Loop: Header=BB21_16 Depth=1
	s_and_b64 vcc, exec, s[8:9]
	s_cbranch_vccz .LBB21_258
; %bb.245:                              ;   in Loop: Header=BB21_16 Depth=1
	v_readlane_b32 s8, v64, 34
	s_add_u32 s50, s46, s8
	v_readlane_b32 s8, v64, 36
	s_addc_u32 s9, s47, s8
	s_mov_b32 s8, s89
	s_cmp_lg_u64 s[8:9], 0
	s_cbranch_scc0 .LBB21_279
; %bb.246:                              ;   in Loop: Header=BB21_16 Depth=1
	s_add_u32 s34, s86, 0
	s_addc_u32 s35, 0, 0
	s_xor_b64 s[34:35], s[34:35], 0
	v_cvt_f32_u32_e32 v4, s34
	v_cvt_f32_u32_e32 v5, s35
	s_sub_u32 s8, 0, s34
	s_subb_u32 s51, 0, s35
	v_fmac_f32_e32 v4, 0x4f800000, v5
	v_rcp_f32_e32 v4, v4
	s_nop 0
	v_mul_f32_e32 v4, 0x5f7ffffc, v4
	v_mul_f32_e32 v5, 0x2f800000, v4
	v_trunc_f32_e32 v5, v5
	v_fmac_f32_e32 v4, 0xcf800000, v5
	v_cvt_u32_f32_e32 v5, v5
	v_cvt_u32_f32_e32 v4, v4
	v_readfirstlane_b32 s52, v5
	v_readfirstlane_b32 s48, v4
	s_mul_i32 s49, s8, s52
	s_mul_hi_u32 s54, s8, s48
	s_mul_i32 s53, s51, s48
	s_add_i32 s49, s54, s49
	s_mul_i32 s55, s8, s48
	s_add_i32 s49, s49, s53
	s_mul_i32 s54, s48, s49
	s_mul_hi_u32 s56, s48, s55
	s_mul_hi_u32 s53, s48, s49
	s_add_u32 s54, s56, s54
	s_addc_u32 s53, 0, s53
	s_mul_hi_u32 s57, s52, s55
	s_mul_i32 s55, s52, s55
	s_add_u32 s54, s54, s55
	s_mul_hi_u32 s56, s52, s49
	s_addc_u32 s53, s53, s57
	s_addc_u32 s54, s56, 0
	s_mul_i32 s49, s52, s49
	s_add_u32 s49, s53, s49
	s_addc_u32 s53, 0, s54
	s_add_u32 s54, s48, s49
	s_cselect_b64 s[48:49], -1, 0
	s_cmp_lg_u64 s[48:49], 0
	s_addc_u32 s52, s52, s53
	s_mul_i32 s48, s8, s52
	s_mul_hi_u32 s49, s8, s54
	s_add_i32 s48, s49, s48
	s_mul_i32 s51, s51, s54
	s_add_i32 s48, s48, s51
	s_mul_i32 s8, s8, s54
	s_mul_hi_u32 s51, s52, s8
	s_mul_i32 s53, s52, s8
	s_mul_i32 s56, s54, s48
	s_mul_hi_u32 s8, s54, s8
	s_mul_hi_u32 s55, s54, s48
	s_add_u32 s8, s8, s56
	s_addc_u32 s55, 0, s55
	s_add_u32 s8, s8, s53
	s_mul_hi_u32 s49, s52, s48
	s_addc_u32 s8, s55, s51
	s_addc_u32 s49, s49, 0
	s_mul_i32 s48, s52, s48
	s_add_u32 s8, s8, s48
	s_addc_u32 s51, 0, s49
	s_add_u32 s8, s54, s8
	s_cselect_b64 s[48:49], -1, 0
	s_cmp_lg_u64 s[48:49], 0
	s_addc_u32 s51, s52, s51
	s_ashr_i32 s48, s9, 31
	s_add_u32 s52, s50, s48
	s_mov_b32 s49, s48
	s_addc_u32 s53, s9, s48
	s_xor_b64 s[52:53], s[52:53], s[48:49]
	s_mul_i32 s55, s52, s51
	s_mul_hi_u32 s56, s52, s8
	s_mul_hi_u32 s54, s52, s51
	s_add_u32 s55, s56, s55
	s_addc_u32 s54, 0, s54
	s_mul_hi_u32 s57, s53, s8
	s_mul_i32 s8, s53, s8
	s_add_u32 s8, s55, s8
	s_mul_hi_u32 s56, s53, s51
	s_addc_u32 s8, s54, s57
	s_addc_u32 s54, s56, 0
	s_mul_i32 s51, s53, s51
	s_add_u32 s8, s8, s51
	s_addc_u32 s51, 0, s54
	s_mul_i32 s51, s34, s51
	s_mul_hi_u32 s54, s34, s8
	s_add_i32 s51, s54, s51
	s_mul_i32 s54, s35, s8
	s_add_i32 s51, s51, s54
	s_sub_i32 s56, s53, s51
	s_mul_i32 s8, s34, s8
	s_sub_u32 s8, s52, s8
	s_cselect_b64 s[54:55], -1, 0
	s_cmp_lg_u64 s[54:55], 0
	s_subb_u32 s52, s56, s35
	s_sub_u32 s58, s8, s34
	s_cselect_b64 s[56:57], -1, 0
	s_cmp_lg_u64 s[56:57], 0
	s_subb_u32 s59, s52, 0
	s_cmp_ge_u32 s59, s35
	s_cselect_b32 s69, -1, 0
	s_cmp_ge_u32 s58, s34
	s_cselect_b32 s70, -1, 0
	s_cmp_eq_u32 s59, s35
	s_cselect_b32 s69, s70, s69
	s_cmp_lg_u64 s[56:57], 0
	s_subb_u32 s52, s52, s35
	s_sub_u32 s70, s58, s34
	s_cselect_b64 s[56:57], -1, 0
	s_cmp_lg_u64 s[56:57], 0
	s_subb_u32 s52, s52, 0
	s_cmp_lg_u32 s69, 0
	s_cselect_b32 s56, s70, s58
	s_cselect_b32 s52, s52, s59
	s_cmp_lg_u64 s[54:55], 0
	s_subb_u32 s51, s53, s51
	s_cmp_ge_u32 s51, s35
	s_cselect_b32 s53, -1, 0
	s_cmp_ge_u32 s8, s34
	s_cselect_b32 s34, -1, 0
	s_cmp_eq_u32 s51, s35
	s_cselect_b32 s34, s34, s53
	s_cmp_lg_u32 s34, 0
	s_cselect_b32 s35, s52, s51
	s_cselect_b32 s34, s56, s8
	s_xor_b64 s[34:35], s[34:35], s[48:49]
	s_sub_u32 s34, s34, s48
	s_subb_u32 s35, s35, s48
	s_cbranch_execnz .LBB21_248
.LBB21_247:                             ;   in Loop: Header=BB21_16 Depth=1
	v_cvt_f32_u32_e32 v4, s86
	s_sub_i32 s8, 0, s86
	v_rcp_iflag_f32_e32 v4, v4
	s_nop 0
	v_mul_f32_e32 v4, 0x4f7ffffe, v4
	v_cvt_u32_f32_e32 v4, v4
	s_nop 0
	v_readfirstlane_b32 s34, v4
	s_mul_i32 s8, s8, s34
	s_mul_hi_u32 s8, s34, s8
	s_add_i32 s34, s34, s8
	s_mul_hi_u32 s8, s50, s34
	s_mul_i32 s8, s8, s86
	s_sub_i32 s8, s50, s8
	s_sub_i32 s34, s8, s86
	s_cmp_ge_u32 s8, s86
	s_cselect_b32 s8, s34, s8
	s_sub_i32 s34, s8, s86
	s_cmp_ge_u32 s8, s86
	s_cselect_b32 s88, s34, s8
	s_mov_b64 s[34:35], s[88:89]
.LBB21_248:                             ;   in Loop: Header=BB21_16 Depth=1
	s_sub_u32 s34, s50, s34
	s_subb_u32 s35, s9, s35
	v_cmp_gt_i64_e32 vcc, s[34:35], v[0:1]
                                        ; implicit-def: $vgpr37
	s_and_saveexec_b64 s[8:9], vcc
	s_cbranch_execz .LBB21_257
; %bb.249:                              ;   in Loop: Header=BB21_16 Depth=1
	s_mov_b64 s[48:49], 0
	v_mov_b32_e32 v8, v14
	v_mov_b64_e32 v[4:5], v[0:1]
                                        ; implicit-def: $sgpr50_sgpr51
	s_branch .LBB21_252
.LBB21_250:                             ;   in Loop: Header=BB21_252 Depth=2
	s_or_b64 exec, exec, s[52:53]
	s_waitcnt lgkmcnt(0)
	s_barrier
	ds_read_b64 v[36:37], v3 offset:3072
	s_mov_b64 s[52:53], -1
	s_mov_b64 s[54:55], -1
	s_waitcnt lgkmcnt(0)
	s_barrier
	v_cmp_eq_u32_e32 vcc, 0, v36
	s_cbranch_vccnz .LBB21_255
.LBB21_251:                             ;   in Loop: Header=BB21_252 Depth=2
	s_and_b64 s[52:53], exec, s[52:53]
	s_or_b64 s[48:49], s[52:53], s[48:49]
	s_andn2_b64 s[50:51], s[50:51], exec
	s_and_b64 s[52:53], s[54:55], exec
	s_or_b64 s[50:51], s[50:51], s[52:53]
	s_andn2_b64 exec, exec, s[48:49]
	s_cbranch_execz .LBB21_256
.LBB21_252:                             ;   Parent Loop BB21_16 Depth=1
                                        ; =>  This Inner Loop Header: Depth=2
	v_cmp_gt_u64_e32 vcc, s[46:47], v[4:5]
	s_and_saveexec_b64 s[52:53], vcc
	s_cbranch_execz .LBB21_250
; %bb.253:                              ;   in Loop: Header=BB21_252 Depth=2
	ds_read_b32 v35, v8
	s_waitcnt lgkmcnt(0)
	v_bitop3_b32 v9, v35, v52, s98 bitop3:0x48
	v_cmp_eq_u32_e32 vcc, v9, v50
	s_and_b64 exec, exec, vcc
	s_cbranch_execz .LBB21_250
; %bb.254:                              ;   in Loop: Header=BB21_252 Depth=2
	ds_write_b64 v3, v[34:35] offset:3072
	s_branch .LBB21_250
.LBB21_255:                             ;   in Loop: Header=BB21_252 Depth=2
	v_lshl_add_u64 v[4:5], v[4:5], 0, s[86:87]
	v_cmp_le_i64_e32 vcc, s[34:35], v[4:5]
	v_add_u32_e32 v8, s83, v8
	s_mov_b64 s[54:55], 0
	s_orn2_b64 s[52:53], vcc, exec
	s_branch .LBB21_251
.LBB21_256:                             ;   in Loop: Header=BB21_16 Depth=1
	s_or_b64 exec, exec, s[48:49]
	s_andn2_b64 s[6:7], s[6:7], exec
	s_and_b64 s[34:35], s[50:51], exec
	s_or_b64 s[6:7], s[6:7], s[34:35]
.LBB21_257:                             ;   in Loop: Header=BB21_16 Depth=1
	s_or_b64 exec, exec, s[8:9]
	s_mov_b64 s[34:35], 0
	s_mov_b64 s[48:49], -1
.LBB21_258:                             ;   in Loop: Header=BB21_16 Depth=1
	s_orn2_b64 s[8:9], s[6:7], exec
.LBB21_259:                             ;   in Loop: Header=BB21_16 Depth=1
	s_or_b64 exec, exec, s[44:45]
	s_mov_b64 s[44:45], 0
	s_and_saveexec_b64 s[6:7], s[8:9]
	s_cbranch_execz .LBB21_270
; %bb.260:                              ;   in Loop: Header=BB21_16 Depth=1
	s_xor_b64 s[42:43], s[42:43], -1
	v_mov_b64_e32 v[4:5], 1
	v_mov_b32_e32 v2, 1
	s_and_saveexec_b64 s[8:9], s[42:43]
	s_cbranch_execz .LBB21_269
; %bb.261:                              ;   in Loop: Header=BB21_16 Depth=1
	v_cmp_ge_i64_e32 vcc, s[2:3], v[6:7]
	s_and_saveexec_b64 s[42:43], vcc
	s_xor_b64 s[42:43], exec, s[42:43]
	s_cbranch_execz .LBB21_266
; %bb.262:                              ;   in Loop: Header=BB21_16 Depth=1
	ds_read_b64 v[4:5], v3 offset:5120
	v_or_b32_e32 v50, s68, v50
	v_or_b32_e32 v52, s68, v52
	s_waitcnt lgkmcnt(0)
	v_cmp_ne_u64_e32 vcc, 0, v[4:5]
	s_cbranch_vccnz .LBB21_266
; %bb.263:                              ;   in Loop: Header=BB21_16 Depth=1
	s_mov_b64 s[44:45], exec
	v_readlane_b32 s46, v64, 12
	v_readlane_b32 s47, v64, 13
	s_and_b64 s[46:47], s[44:45], s[46:47]
	s_mov_b64 exec, s[46:47]
; %bb.264:                              ;   in Loop: Header=BB21_16 Depth=1
	v_mov_b64_e32 v[4:5], s[2:3]
	ds_write_b64 v3, v[4:5] offset:5128
; %bb.265:                              ;   in Loop: Header=BB21_16 Depth=1
	s_or_b64 exec, exec, s[44:45]
	s_waitcnt lgkmcnt(0)
	s_barrier
.LBB21_266:                             ;   in Loop: Header=BB21_16 Depth=1
	s_andn2_saveexec_b64 s[42:43], s[42:43]
; %bb.267:                              ;   in Loop: Header=BB21_16 Depth=1
	v_mov_b32_e32 v2, s3
	v_subrev_co_u32_e32 v6, vcc, s2, v6
	s_nop 1
	v_subb_co_u32_e32 v7, vcc, v7, v2, vcc
; %bb.268:                              ;   in Loop: Header=BB21_16 Depth=1
	s_or_b64 exec, exec, s[42:43]
	v_mov_b32_e32 v2, 8
	v_mov_b64_e32 v[4:5], v[6:7]
.LBB21_269:                             ;   in Loop: Header=BB21_16 Depth=1
	s_or_b64 exec, exec, s[8:9]
	s_mov_b64 s[44:45], exec
	v_mov_b64_e32 v[6:7], v[4:5]
.LBB21_270:                             ;   in Loop: Header=BB21_16 Depth=1
	s_or_b64 exec, exec, s[6:7]
	s_orn2_b64 s[6:7], s[44:45], exec
.LBB21_271:                             ;   in Loop: Header=BB21_16 Depth=1
	s_or_b64 exec, exec, s[24:25]
	s_andn2_b64 s[2:3], s[38:39], exec
	s_and_b64 s[8:9], s[48:49], exec
	s_or_b64 s[38:39], s[2:3], s[8:9]
	s_andn2_b64 s[2:3], s[36:37], exec
	s_and_b64 s[8:9], s[34:35], exec
	s_or_b64 s[36:37], s[2:3], s[8:9]
	s_and_b64 s[8:9], s[6:7], exec
	v_mov_b64_e32 v[4:5], v[6:7]
.LBB21_272:                             ;   in Loop: Header=BB21_16 Depth=1
	s_or_b64 exec, exec, s[40:41]
	s_orn2_b64 s[6:7], s[8:9], exec
.LBB21_273:                             ;   in Loop: Header=BB21_16 Depth=1
	s_or_b64 exec, exec, s[30:31]
	s_andn2_b64 s[2:3], s[26:27], exec
	s_and_b64 s[8:9], s[38:39], exec
	s_or_b64 s[26:27], s[2:3], s[8:9]
	s_andn2_b64 s[0:1], s[0:1], exec
	s_and_b64 s[2:3], s[36:37], exec
	s_or_b64 s[0:1], s[0:1], s[2:3]
	s_and_b64 s[8:9], s[6:7], exec
	v_mov_b64_e32 v[8:9], v[4:5]
.LBB21_274:                             ;   in Loop: Header=BB21_16 Depth=1
	s_or_b64 exec, exec, s[28:29]
	s_orn2_b64 s[6:7], s[8:9], exec
.LBB21_275:                             ;   in Loop: Header=BB21_16 Depth=1
	s_or_b64 exec, exec, s[22:23]
	s_mov_b64 s[8:9], 0
	s_and_saveexec_b64 s[2:3], s[6:7]
	s_xor_b64 s[2:3], exec, s[2:3]
	s_cbranch_execz .LBB21_14
; %bb.276:                              ;   in Loop: Header=BB21_16 Depth=1
	v_and_b32_e32 v2, 7, v2
	v_cmp_eq_u32_e32 vcc, 0, v2
	s_mov_b64 s[6:7], -1
	s_mov_b64 s[8:9], -1
	s_and_saveexec_b64 s[20:21], vcc
	s_cbranch_execz .LBB21_13
; %bb.277:                              ;   in Loop: Header=BB21_16 Depth=1
	s_add_i32 s22, s99, -2
	s_cmp_eq_u32 s99, 0
	s_cselect_b64 s[6:7], -1, 0
	v_xor_b32_e32 v51, 1, v51
	s_xor_b64 s[8:9], exec, -1
	s_orn2_b64 s[6:7], s[6:7], exec
	s_mov_b32 s99, s22
	s_branch .LBB21_13
.LBB21_278:                             ;   in Loop: Header=BB21_16 Depth=1
                                        ; implicit-def: $sgpr6_sgpr7
	s_andn2_b64 vcc, exec, s[8:9]
	s_cbranch_vccz .LBB21_231
	s_branch .LBB21_232
.LBB21_279:                             ;   in Loop: Header=BB21_16 Depth=1
                                        ; implicit-def: $sgpr34_sgpr35
	s_branch .LBB21_247
.LBB21_280:
	s_or_b64 exec, exec, s[14:15]
	s_xor_b64 s[6:7], s[12:13], -1
	s_xor_b64 s[0:1], s[62:63], -1
	;; [unrolled: 1-line block ×3, first 2 shown]
	s_mov_b64 s[2:3], 0
	s_and_saveexec_b64 s[8:9], s[0:1]
	s_xor_b64 s[0:1], exec, s[8:9]
	s_cbranch_execnz .LBB21_285
; %bb.281:
	s_andn2_saveexec_b64 s[0:1], s[0:1]
	s_cbranch_execnz .LBB21_310
.LBB21_282:
	s_or_b64 exec, exec, s[0:1]
	s_and_saveexec_b64 s[0:1], s[2:3]
.LBB21_283:
	; divergent unreachable
.LBB21_284:
	s_endpgm
.LBB21_285:
	s_and_saveexec_b64 s[2:3], s[6:7]
	s_xor_b64 s[2:3], exec, s[2:3]
	s_cbranch_execz .LBB21_308
; %bb.286:
	s_and_saveexec_b64 s[6:7], s[4:5]
	s_xor_b64 s[4:5], exec, s[6:7]
; %bb.287:
	v_xor_b32_e32 v37, 0x80000000, v50
; %bb.288:
	s_or_b64 exec, exec, s[4:5]
	s_mov_b64 s[4:5], exec
	v_readlane_b32 s6, v64, 12
	v_readlane_b32 s7, v64, 13
	;; [unrolled: 1-line block ×3, first 2 shown]
	s_and_b64 s[6:7], s[4:5], s[6:7]
	v_readlane_b32 s24, v64, 22
	v_readlane_b32 s27, v64, 7
	;; [unrolled: 1-line block ×3, first 2 shown]
	s_mov_b64 exec, s[6:7]
; %bb.289:
	v_mov_b32_e32 v2, 0
	v_mov_b32_e32 v3, s60
	ds_write_b32 v2, v3 offset:5140
; %bb.290:
	s_or_b64 exec, exec, s[4:5]
	s_waitcnt lgkmcnt(0)
	s_barrier
	s_mov_b64 s[4:5], exec
	v_readlane_b32 s6, v64, 30
	v_readlane_b32 s7, v64, 31
	s_and_b64 s[6:7], s[4:5], s[6:7]
	s_mov_b64 exec, s[6:7]
	s_cbranch_execz .LBB21_305
; %bb.291:
	v_mov_b32_e32 v2, 0
	ds_read_b32 v4, v2 offset:5140
	s_mov_b64 s[6:7], 0
                                        ; implicit-def: $sgpr8_sgpr9
                                        ; implicit-def: $sgpr10_sgpr11
                                        ; implicit-def: $sgpr12_sgpr13
	s_waitcnt lgkmcnt(0)
	v_ashrrev_i32_e32 v5, 31, v4
	s_branch .LBB21_294
.LBB21_292:                             ;   in Loop: Header=BB21_294 Depth=1
	s_or_b64 exec, exec, s[20:21]
	s_andn2_b64 s[12:13], s[12:13], exec
	s_and_b64 s[18:19], s[18:19], exec
	s_andn2_b64 s[10:11], s[10:11], exec
	s_and_b64 s[16:17], s[16:17], exec
	s_or_b64 s[12:13], s[12:13], s[18:19]
	s_or_b64 s[10:11], s[10:11], s[16:17]
.LBB21_293:                             ;   in Loop: Header=BB21_294 Depth=1
	s_or_b64 exec, exec, s[14:15]
	s_and_b64 s[14:15], exec, s[10:11]
	s_or_b64 s[6:7], s[14:15], s[6:7]
	s_andn2_b64 s[8:9], s[8:9], exec
	s_and_b64 s[14:15], s[12:13], exec
	s_or_b64 s[8:9], s[8:9], s[14:15]
	s_andn2_b64 exec, exec, s[6:7]
	s_cbranch_execz .LBB21_300
.LBB21_294:                             ; =>This Inner Loop Header: Depth=1
	v_mov_b64_e32 v[2:3], v[0:1]
	v_cmp_lt_i64_e32 vcc, v[2:3], v[4:5]
	s_or_b64 s[12:13], s[12:13], exec
	s_or_b64 s[10:11], s[10:11], exec
                                        ; implicit-def: $vgpr0_vgpr1
	s_and_saveexec_b64 s[14:15], vcc
	s_cbranch_execz .LBB21_293
; %bb.295:                              ;   in Loop: Header=BB21_294 Depth=1
	global_load_dword v0, v[12:13], off
	s_mov_b64 s[16:17], -1
	s_mov_b64 s[18:19], 0
	s_waitcnt vmcnt(0)
	v_cmp_ne_u32_e32 vcc, v0, v37
                                        ; implicit-def: $vgpr0_vgpr1
	s_and_saveexec_b64 s[20:21], vcc
	s_cbranch_execz .LBB21_292
; %bb.296:                              ;   in Loop: Header=BB21_294 Depth=1
	v_lshl_add_u64 v[0:1], v[2:3], 0, s[86:87]
	v_cmp_le_i64_e32 vcc, s[60:61], v[0:1]
	s_mov_b64 s[18:19], exec
	v_lshl_add_u64 v[12:13], v[12:13], 0, s[92:93]
	s_orn2_b64 s[16:17], vcc, exec
	s_branch .LBB21_292
.LBB21_297:
                                        ; implicit-def: $sgpr14_sgpr15
	s_branch .LBB21_3
.LBB21_298:
                                        ; implicit-def: $sgpr16_sgpr17
	s_branch .LBB21_6
.LBB21_299:
                                        ; implicit-def: $sgpr6_sgpr7
                                        ; kill: killed $sgpr6_sgpr7
	s_load_dwordx2 s[18:19], s[0:1], 0x0
	s_branch .LBB21_9
.LBB21_300:
	s_or_b64 exec, exec, s[6:7]
	s_xor_b64 s[6:7], s[8:9], -1
	s_and_saveexec_b64 s[8:9], s[6:7]
	s_xor_b64 s[8:9], exec, s[8:9]
	s_cbranch_execz .LBB21_305
; %bb.301:
	s_mov_b64 s[6:7], exec
	s_brev_b32 s8, -2
.LBB21_302:                             ; =>This Inner Loop Header: Depth=1
	s_ff1_i32_b64 s9, s[6:7]
	v_readlane_b32 s12, v2, s9
	s_lshl_b64 s[10:11], 1, s9
	s_min_i32 s8, s8, s12
	s_andn2_b64 s[6:7], s[6:7], s[10:11]
	s_cmp_lg_u64 s[6:7], 0
	s_cbranch_scc1 .LBB21_302
; %bb.303:
	v_mbcnt_lo_u32_b32 v0, exec_lo, 0
	v_mbcnt_hi_u32_b32 v0, exec_hi, v0
	v_cmp_eq_u32_e32 vcc, 0, v0
	s_and_saveexec_b64 s[6:7], vcc
	s_xor_b64 s[6:7], exec, s[6:7]
; %bb.304:
	v_mov_b32_e32 v0, 0
	v_mov_b32_e32 v1, s8
	ds_min_i32 v0, v1 offset:5140
.LBB21_305:
	s_or_b64 exec, exec, s[4:5]
	s_waitcnt lgkmcnt(0)
	s_barrier
	s_mov_b64 s[4:5], exec
	v_readlane_b32 s6, v64, 12
	v_readlane_b32 s7, v64, 13
	s_and_b64 s[6:7], s[4:5], s[6:7]
	s_mov_b64 exec, s[6:7]
	s_cbranch_execz .LBB21_307
; %bb.306:
	v_readlane_b32 s8, v64, 0
	v_readlane_b32 s9, v64, 1
	;; [unrolled: 1-line block ×4, first 2 shown]
	s_mul_i32 s6, s10, s9
	s_mul_hi_u32 s7, s10, s8
	s_add_i32 s6, s7, s6
	s_mul_i32 s7, s11, s8
	s_add_i32 s6, s6, s7
	s_mul_i32 s7, s10, s8
	v_readlane_b32 s12, v64, 18
	s_sub_u32 s8, s24, s7
	v_readlane_b32 s14, v64, 20
	v_readlane_b32 s15, v64, 21
	s_subb_u32 s6, 0, s6
	s_mul_i32 s7, s8, s15
	s_mul_hi_u32 s9, s8, s14
	v_readlane_b32 s13, v64, 19
	s_add_i32 s7, s9, s7
	s_mul_i32 s6, s6, s14
	s_add_i32 s7, s7, s6
	s_mul_i32 s6, s8, s14
	s_mul_i32 s8, s10, s13
	s_mul_hi_u32 s9, s10, s12
	s_add_i32 s8, s9, s8
	s_mul_i32 s9, s11, s12
	v_readlane_b32 s14, v64, 4
	s_add_i32 s9, s8, s9
	s_mul_i32 s8, s10, s12
	v_readlane_b32 s15, v64, 5
	s_mul_i32 s10, s14, s27
	s_mul_hi_u32 s11, s14, s26
	s_add_i32 s10, s11, s10
	s_mul_i32 s11, s15, s26
	s_add_i32 s10, s10, s11
	s_mul_i32 s11, s14, s26
	v_readlane_b32 s16, v64, 14
	s_sub_u32 s12, s24, s11
	v_readlane_b32 s18, v64, 16
	v_readlane_b32 s19, v64, 17
	s_subb_u32 s10, 0, s10
	s_mul_i32 s11, s12, s19
	s_mul_hi_u32 s13, s12, s18
	v_readlane_b32 s17, v64, 15
	s_add_i32 s11, s13, s11
	s_mul_i32 s10, s10, s18
	s_add_i32 s11, s11, s10
	s_mul_i32 s10, s12, s18
	s_mul_i32 s12, s14, s17
	s_mul_hi_u32 s13, s14, s16
	s_add_i32 s12, s13, s12
	s_mul_i32 s13, s15, s16
	s_add_i32 s13, s12, s13
	s_mul_i32 s12, s14, s16
	s_lshl_b64 s[8:9], s[8:9], 2
	v_readlane_b32 s14, v64, 10
	v_readlane_b32 s15, v64, 11
	s_add_u32 s8, s14, s8
	s_addc_u32 s9, s15, s9
	s_lshl_b64 s[6:7], s[6:7], 2
	v_mov_b32_e32 v2, 0
	s_add_u32 s6, s8, s6
	ds_read_b32 v0, v2 offset:5140
	s_addc_u32 s7, s9, s7
	s_lshl_b64 s[8:9], s[12:13], 3
	v_readlane_b32 s12, v64, 8
	v_readlane_b32 s13, v64, 9
	s_add_u32 s12, s12, s8
	s_addc_u32 s13, s13, s9
	s_lshl_b64 s[8:9], s[10:11], 3
	s_add_u32 s8, s12, s8
	s_addc_u32 s9, s13, s9
	s_waitcnt lgkmcnt(0)
	v_ashrrev_i32_e32 v1, 31, v0
	global_store_dwordx2 v2, v[0:1], s[8:9]
	global_store_dword v2, v37, s[6:7]
.LBB21_307:
	s_or_b64 exec, exec, s[4:5]
.LBB21_308:
	s_or_saveexec_b64 s[2:3], s[2:3]
	s_mov_b64 s[4:5], 0
	s_xor_b64 exec, exec, s[2:3]
	s_cbranch_execnz .LBB21_311
.LBB21_309:
	s_or_b64 exec, exec, s[2:3]
	s_and_b64 s[2:3], s[4:5], exec
	s_andn2_saveexec_b64 s[0:1], s[0:1]
	s_cbranch_execz .LBB21_282
.LBB21_310:
	s_or_b64 s[2:3], s[2:3], exec
	s_trap 2
	s_or_b64 exec, exec, s[0:1]
	s_and_saveexec_b64 s[0:1], s[2:3]
	s_cbranch_execnz .LBB21_283
	s_branch .LBB21_284
.LBB21_311:
	s_mov_b64 s[4:5], exec
	s_trap 2
	s_branch .LBB21_309
	.section	.rodata,"a",@progbits
	.p2align	6, 0x0
	.amdhsa_kernel _ZN2at6native12_GLOBAL__N_114gatherKthValueIilLi2EEEvNS_4cuda6detail10TensorInfoIKT_T0_EES8_S8_S8_S8_NS5_IS6_S8_EENS5_IlS8_EE
		.amdhsa_group_segment_fixed_size 5144
		.amdhsa_private_segment_fixed_size 0
		.amdhsa_kernarg_size 1536
		.amdhsa_user_sgpr_count 2
		.amdhsa_user_sgpr_dispatch_ptr 0
		.amdhsa_user_sgpr_queue_ptr 0
		.amdhsa_user_sgpr_kernarg_segment_ptr 1
		.amdhsa_user_sgpr_dispatch_id 0
		.amdhsa_user_sgpr_kernarg_preload_length 0
		.amdhsa_user_sgpr_kernarg_preload_offset 0
		.amdhsa_user_sgpr_private_segment_size 0
		.amdhsa_uses_dynamic_stack 0
		.amdhsa_enable_private_segment 0
		.amdhsa_system_sgpr_workgroup_id_x 1
		.amdhsa_system_sgpr_workgroup_id_y 1
		.amdhsa_system_sgpr_workgroup_id_z 1
		.amdhsa_system_sgpr_workgroup_info 0
		.amdhsa_system_vgpr_workitem_id 0
		.amdhsa_next_free_vgpr 65
		.amdhsa_next_free_sgpr 100
		.amdhsa_accum_offset 68
		.amdhsa_reserve_vcc 1
		.amdhsa_float_round_mode_32 0
		.amdhsa_float_round_mode_16_64 0
		.amdhsa_float_denorm_mode_32 3
		.amdhsa_float_denorm_mode_16_64 3
		.amdhsa_dx10_clamp 1
		.amdhsa_ieee_mode 1
		.amdhsa_fp16_overflow 0
		.amdhsa_tg_split 0
		.amdhsa_exception_fp_ieee_invalid_op 0
		.amdhsa_exception_fp_denorm_src 0
		.amdhsa_exception_fp_ieee_div_zero 0
		.amdhsa_exception_fp_ieee_overflow 0
		.amdhsa_exception_fp_ieee_underflow 0
		.amdhsa_exception_fp_ieee_inexact 0
		.amdhsa_exception_int_div_zero 0
	.end_amdhsa_kernel
	.section	.text._ZN2at6native12_GLOBAL__N_114gatherKthValueIilLi2EEEvNS_4cuda6detail10TensorInfoIKT_T0_EES8_S8_S8_S8_NS5_IS6_S8_EENS5_IlS8_EE,"axG",@progbits,_ZN2at6native12_GLOBAL__N_114gatherKthValueIilLi2EEEvNS_4cuda6detail10TensorInfoIKT_T0_EES8_S8_S8_S8_NS5_IS6_S8_EENS5_IlS8_EE,comdat
.Lfunc_end21:
	.size	_ZN2at6native12_GLOBAL__N_114gatherKthValueIilLi2EEEvNS_4cuda6detail10TensorInfoIKT_T0_EES8_S8_S8_S8_NS5_IS6_S8_EENS5_IlS8_EE, .Lfunc_end21-_ZN2at6native12_GLOBAL__N_114gatherKthValueIilLi2EEEvNS_4cuda6detail10TensorInfoIKT_T0_EES8_S8_S8_S8_NS5_IS6_S8_EENS5_IlS8_EE
                                        ; -- End function
	.set _ZN2at6native12_GLOBAL__N_114gatherKthValueIilLi2EEEvNS_4cuda6detail10TensorInfoIKT_T0_EES8_S8_S8_S8_NS5_IS6_S8_EENS5_IlS8_EE.num_vgpr, 65
	.set _ZN2at6native12_GLOBAL__N_114gatherKthValueIilLi2EEEvNS_4cuda6detail10TensorInfoIKT_T0_EES8_S8_S8_S8_NS5_IS6_S8_EENS5_IlS8_EE.num_agpr, 0
	.set _ZN2at6native12_GLOBAL__N_114gatherKthValueIilLi2EEEvNS_4cuda6detail10TensorInfoIKT_T0_EES8_S8_S8_S8_NS5_IS6_S8_EENS5_IlS8_EE.numbered_sgpr, 100
	.set _ZN2at6native12_GLOBAL__N_114gatherKthValueIilLi2EEEvNS_4cuda6detail10TensorInfoIKT_T0_EES8_S8_S8_S8_NS5_IS6_S8_EENS5_IlS8_EE.num_named_barrier, 0
	.set _ZN2at6native12_GLOBAL__N_114gatherKthValueIilLi2EEEvNS_4cuda6detail10TensorInfoIKT_T0_EES8_S8_S8_S8_NS5_IS6_S8_EENS5_IlS8_EE.private_seg_size, 0
	.set _ZN2at6native12_GLOBAL__N_114gatherKthValueIilLi2EEEvNS_4cuda6detail10TensorInfoIKT_T0_EES8_S8_S8_S8_NS5_IS6_S8_EENS5_IlS8_EE.uses_vcc, 1
	.set _ZN2at6native12_GLOBAL__N_114gatherKthValueIilLi2EEEvNS_4cuda6detail10TensorInfoIKT_T0_EES8_S8_S8_S8_NS5_IS6_S8_EENS5_IlS8_EE.uses_flat_scratch, 0
	.set _ZN2at6native12_GLOBAL__N_114gatherKthValueIilLi2EEEvNS_4cuda6detail10TensorInfoIKT_T0_EES8_S8_S8_S8_NS5_IS6_S8_EENS5_IlS8_EE.has_dyn_sized_stack, 0
	.set _ZN2at6native12_GLOBAL__N_114gatherKthValueIilLi2EEEvNS_4cuda6detail10TensorInfoIKT_T0_EES8_S8_S8_S8_NS5_IS6_S8_EENS5_IlS8_EE.has_recursion, 0
	.set _ZN2at6native12_GLOBAL__N_114gatherKthValueIilLi2EEEvNS_4cuda6detail10TensorInfoIKT_T0_EES8_S8_S8_S8_NS5_IS6_S8_EENS5_IlS8_EE.has_indirect_call, 0
	.section	.AMDGPU.csdata,"",@progbits
; Kernel info:
; codeLenInByte = 18712
; TotalNumSgprs: 106
; NumVgprs: 65
; NumAgprs: 0
; TotalNumVgprs: 65
; ScratchSize: 0
; MemoryBound: 0
; FloatMode: 240
; IeeeMode: 1
; LDSByteSize: 5144 bytes/workgroup (compile time only)
; SGPRBlocks: 13
; VGPRBlocks: 8
; NumSGPRsForWavesPerEU: 106
; NumVGPRsForWavesPerEU: 65
; AccumOffset: 68
; Occupancy: 7
; WaveLimiterHint : 1
; COMPUTE_PGM_RSRC2:SCRATCH_EN: 0
; COMPUTE_PGM_RSRC2:USER_SGPR: 2
; COMPUTE_PGM_RSRC2:TRAP_HANDLER: 0
; COMPUTE_PGM_RSRC2:TGID_X_EN: 1
; COMPUTE_PGM_RSRC2:TGID_Y_EN: 1
; COMPUTE_PGM_RSRC2:TGID_Z_EN: 1
; COMPUTE_PGM_RSRC2:TIDIG_COMP_CNT: 0
; COMPUTE_PGM_RSRC3_GFX90A:ACCUM_OFFSET: 16
; COMPUTE_PGM_RSRC3_GFX90A:TG_SPLIT: 0
	.section	.text._ZN2at6native12_GLOBAL__N_114gatherKthValueIilLi3EEEvNS_4cuda6detail10TensorInfoIKT_T0_EES8_S8_S8_S8_NS5_IS6_S8_EENS5_IlS8_EE,"axG",@progbits,_ZN2at6native12_GLOBAL__N_114gatherKthValueIilLi3EEEvNS_4cuda6detail10TensorInfoIKT_T0_EES8_S8_S8_S8_NS5_IS6_S8_EENS5_IlS8_EE,comdat
	.globl	_ZN2at6native12_GLOBAL__N_114gatherKthValueIilLi3EEEvNS_4cuda6detail10TensorInfoIKT_T0_EES8_S8_S8_S8_NS5_IS6_S8_EENS5_IlS8_EE ; -- Begin function _ZN2at6native12_GLOBAL__N_114gatherKthValueIilLi3EEEvNS_4cuda6detail10TensorInfoIKT_T0_EES8_S8_S8_S8_NS5_IS6_S8_EENS5_IlS8_EE
	.p2align	8
	.type	_ZN2at6native12_GLOBAL__N_114gatherKthValueIilLi3EEEvNS_4cuda6detail10TensorInfoIKT_T0_EES8_S8_S8_S8_NS5_IS6_S8_EENS5_IlS8_EE,@function
_ZN2at6native12_GLOBAL__N_114gatherKthValueIilLi3EEEvNS_4cuda6detail10TensorInfoIKT_T0_EES8_S8_S8_S8_NS5_IS6_S8_EENS5_IlS8_EE: ; @_ZN2at6native12_GLOBAL__N_114gatherKthValueIilLi3EEEvNS_4cuda6detail10TensorInfoIKT_T0_EES8_S8_S8_S8_NS5_IS6_S8_EENS5_IlS8_EE
; %bb.0:
	s_load_dwordx2 s[14:15], s[0:1], 0x500
	s_load_dwordx8 s[60:67], s[0:1], 0x1a0
	s_add_u32 s12, s0, 0x500
	s_addc_u32 s13, s1, 0
	s_mov_b32 s43, 0
	s_waitcnt lgkmcnt(0)
	s_mul_i32 s4, s15, s4
	s_add_i32 s3, s4, s3
	s_mul_i32 s3, s3, s14
	s_add_i32 s42, s3, s2
	v_mov_b64_e32 v[2:3], s[42:43]
	v_cmp_le_i64_e32 vcc, s[64:65], v[2:3]
	s_cbranch_vccnz .LBB22_300
; %bb.1:
	s_load_dwordx4 s[4:7], s[0:1], 0x10
	s_mov_b32 s8, s43
	s_waitcnt lgkmcnt(0)
	s_mov_b32 s9, s7
	s_cmp_lg_u64 s[8:9], 0
	s_cbranch_scc0 .LBB22_18
; %bb.2:
	s_ashr_i32 s8, s7, 31
	s_add_u32 s10, s6, s8
	s_mov_b32 s9, s8
	s_addc_u32 s11, s7, s8
	s_xor_b64 s[16:17], s[10:11], s[8:9]
	v_cvt_f32_u32_e32 v1, s16
	v_cvt_f32_u32_e32 v2, s17
	s_sub_u32 s3, 0, s16
	s_subb_u32 s15, 0, s17
	v_fmamk_f32 v1, v2, 0x4f800000, v1
	v_rcp_f32_e32 v1, v1
	s_nop 0
	v_mul_f32_e32 v1, 0x5f7ffffc, v1
	v_mul_f32_e32 v2, 0x2f800000, v1
	v_trunc_f32_e32 v2, v2
	v_fmamk_f32 v1, v2, 0xcf800000, v1
	v_cvt_u32_f32_e32 v2, v2
	v_cvt_u32_f32_e32 v1, v1
	v_readfirstlane_b32 s20, v2
	v_readfirstlane_b32 s18, v1
	s_mul_i32 s19, s3, s20
	s_mul_hi_u32 s22, s3, s18
	s_mul_i32 s21, s15, s18
	s_add_i32 s19, s22, s19
	s_add_i32 s19, s19, s21
	s_mul_i32 s23, s3, s18
	s_mul_i32 s22, s18, s19
	s_mul_hi_u32 s24, s18, s23
	s_mul_hi_u32 s21, s18, s19
	s_add_u32 s22, s24, s22
	s_addc_u32 s21, 0, s21
	s_mul_hi_u32 s25, s20, s23
	s_mul_i32 s23, s20, s23
	s_add_u32 s22, s22, s23
	s_mul_hi_u32 s24, s20, s19
	s_addc_u32 s21, s21, s25
	s_addc_u32 s22, s24, 0
	s_mul_i32 s19, s20, s19
	s_add_u32 s19, s21, s19
	s_addc_u32 s21, 0, s22
	s_add_u32 s22, s18, s19
	s_cselect_b64 s[18:19], -1, 0
	s_cmp_lg_u64 s[18:19], 0
	s_addc_u32 s20, s20, s21
	s_mul_i32 s18, s3, s20
	s_mul_hi_u32 s19, s3, s22
	s_add_i32 s18, s19, s18
	s_mul_i32 s15, s15, s22
	s_add_i32 s18, s18, s15
	s_mul_i32 s3, s3, s22
	s_mul_hi_u32 s19, s20, s3
	s_mul_i32 s21, s20, s3
	s_mul_i32 s24, s22, s18
	s_mul_hi_u32 s3, s22, s3
	s_mul_hi_u32 s23, s22, s18
	s_add_u32 s3, s3, s24
	s_addc_u32 s23, 0, s23
	s_add_u32 s3, s3, s21
	s_mul_hi_u32 s15, s20, s18
	s_addc_u32 s3, s23, s19
	s_addc_u32 s15, s15, 0
	s_mul_i32 s18, s20, s18
	s_add_u32 s3, s3, s18
	s_addc_u32 s15, 0, s15
	s_add_u32 s3, s22, s3
	s_cselect_b64 s[18:19], -1, 0
	s_cmp_lg_u64 s[18:19], 0
	s_addc_u32 s15, s20, s15
	s_add_u32 s18, s42, 0
	s_addc_u32 s19, 0, 0
	s_xor_b64 s[18:19], s[18:19], 0
	s_mul_i32 s21, s18, s15
	s_mul_hi_u32 s22, s18, s3
	s_mul_hi_u32 s20, s18, s15
	s_add_u32 s21, s22, s21
	s_addc_u32 s20, 0, s20
	s_mul_hi_u32 s23, s19, s3
	s_mul_i32 s3, s19, s3
	s_add_u32 s3, s21, s3
	s_mul_hi_u32 s22, s19, s15
	s_addc_u32 s3, s20, s23
	s_addc_u32 s20, s22, 0
	s_mul_i32 s15, s19, s15
	s_add_u32 s3, s3, s15
	s_addc_u32 s15, 0, s20
	s_mul_i32 s20, s16, s15
	s_mul_hi_u32 s21, s16, s3
	s_add_i32 s20, s21, s20
	s_mul_i32 s21, s17, s3
	s_add_i32 s24, s20, s21
	s_sub_i32 s22, s19, s24
	s_mul_i32 s20, s16, s3
	s_sub_u32 s18, s18, s20
	s_cselect_b64 s[20:21], -1, 0
	s_cmp_lg_u64 s[20:21], 0
	s_subb_u32 s25, s22, s17
	s_sub_u32 s26, s18, s16
	s_cselect_b64 s[22:23], -1, 0
	s_cmp_lg_u64 s[22:23], 0
	s_subb_u32 s22, s25, 0
	s_cmp_ge_u32 s22, s17
	s_cselect_b32 s23, -1, 0
	s_cmp_ge_u32 s26, s16
	s_cselect_b32 s25, -1, 0
	s_cmp_eq_u32 s22, s17
	s_cselect_b32 s22, s25, s23
	s_add_u32 s23, s3, 1
	s_addc_u32 s25, s15, 0
	s_add_u32 s26, s3, 2
	s_addc_u32 s27, s15, 0
	s_cmp_lg_u32 s22, 0
	s_cselect_b32 s22, s26, s23
	s_cselect_b32 s23, s27, s25
	s_cmp_lg_u64 s[20:21], 0
	s_subb_u32 s19, s19, s24
	s_cmp_ge_u32 s19, s17
	s_cselect_b32 s20, -1, 0
	s_cmp_ge_u32 s18, s16
	s_cselect_b32 s16, -1, 0
	s_cmp_eq_u32 s19, s17
	s_cselect_b32 s16, s16, s20
	s_cmp_lg_u32 s16, 0
	s_cselect_b32 s17, s23, s15
	s_cselect_b32 s16, s22, s3
	s_xor_b64 s[8:9], 0, s[8:9]
	s_xor_b64 s[16:17], s[16:17], s[8:9]
	s_sub_u32 s16, s16, s8
	s_subb_u32 s17, s17, s9
	s_cbranch_execnz .LBB22_4
.LBB22_3:
	v_cvt_f32_u32_e32 v1, s6
	s_sub_i32 s3, 0, s6
	s_mov_b32 s17, 0
	v_rcp_iflag_f32_e32 v1, v1
	s_nop 0
	v_mul_f32_e32 v1, 0x4f7ffffe, v1
	v_cvt_u32_f32_e32 v1, v1
	s_nop 0
	v_readfirstlane_b32 s8, v1
	s_mul_i32 s3, s3, s8
	s_mul_hi_u32 s3, s8, s3
	s_add_i32 s8, s8, s3
	s_mul_hi_u32 s3, s42, s8
	s_mul_i32 s9, s3, s6
	s_sub_i32 s9, s42, s9
	s_add_i32 s8, s3, 1
	s_sub_i32 s10, s9, s6
	s_cmp_ge_u32 s9, s6
	s_cselect_b32 s3, s8, s3
	s_cselect_b32 s9, s10, s9
	s_add_i32 s8, s3, 1
	s_cmp_ge_u32 s9, s6
	s_cselect_b32 s16, s8, s3
.LBB22_4:
	s_or_b64 s[8:9], s[16:17], s[4:5]
	s_mov_b32 s8, 0
	s_cmp_lg_u64 s[8:9], 0
	s_cbranch_scc0 .LBB22_19
; %bb.5:
	s_ashr_i32 s10, s5, 31
	s_add_u32 s8, s4, s10
	s_mov_b32 s11, s10
	s_addc_u32 s9, s5, s10
	s_xor_b64 s[18:19], s[8:9], s[10:11]
	v_cvt_f32_u32_e32 v1, s18
	v_cvt_f32_u32_e32 v2, s19
	s_sub_u32 s3, 0, s18
	s_subb_u32 s15, 0, s19
	v_fmamk_f32 v1, v2, 0x4f800000, v1
	v_rcp_f32_e32 v1, v1
	s_nop 0
	v_mul_f32_e32 v1, 0x5f7ffffc, v1
	v_mul_f32_e32 v2, 0x2f800000, v1
	v_trunc_f32_e32 v2, v2
	v_fmamk_f32 v1, v2, 0xcf800000, v1
	v_cvt_u32_f32_e32 v2, v2
	v_cvt_u32_f32_e32 v1, v1
	v_readfirstlane_b32 s22, v2
	v_readfirstlane_b32 s20, v1
	s_mul_i32 s21, s3, s22
	s_mul_hi_u32 s24, s3, s20
	s_mul_i32 s23, s15, s20
	s_add_i32 s21, s24, s21
	s_add_i32 s21, s21, s23
	s_mul_i32 s25, s3, s20
	s_mul_i32 s24, s20, s21
	s_mul_hi_u32 s26, s20, s25
	s_mul_hi_u32 s23, s20, s21
	s_add_u32 s24, s26, s24
	s_addc_u32 s23, 0, s23
	s_mul_hi_u32 s27, s22, s25
	s_mul_i32 s25, s22, s25
	s_add_u32 s24, s24, s25
	s_mul_hi_u32 s26, s22, s21
	s_addc_u32 s23, s23, s27
	s_addc_u32 s24, s26, 0
	s_mul_i32 s21, s22, s21
	s_add_u32 s21, s23, s21
	s_addc_u32 s23, 0, s24
	s_add_u32 s24, s20, s21
	s_cselect_b64 s[20:21], -1, 0
	s_cmp_lg_u64 s[20:21], 0
	s_addc_u32 s22, s22, s23
	s_mul_i32 s20, s3, s22
	s_mul_hi_u32 s21, s3, s24
	s_add_i32 s20, s21, s20
	s_mul_i32 s15, s15, s24
	s_add_i32 s20, s20, s15
	s_mul_i32 s3, s3, s24
	s_mul_hi_u32 s21, s22, s3
	s_mul_i32 s23, s22, s3
	s_mul_i32 s26, s24, s20
	s_mul_hi_u32 s3, s24, s3
	s_mul_hi_u32 s25, s24, s20
	s_add_u32 s3, s3, s26
	s_addc_u32 s25, 0, s25
	s_add_u32 s3, s3, s23
	s_mul_hi_u32 s15, s22, s20
	s_addc_u32 s3, s25, s21
	s_addc_u32 s15, s15, 0
	s_mul_i32 s20, s22, s20
	s_add_u32 s3, s3, s20
	s_addc_u32 s15, 0, s15
	s_add_u32 s3, s24, s3
	s_cselect_b64 s[20:21], -1, 0
	s_cmp_lg_u64 s[20:21], 0
	s_addc_u32 s15, s22, s15
	s_ashr_i32 s20, s17, 31
	s_add_u32 s22, s16, s20
	s_mov_b32 s21, s20
	s_addc_u32 s23, s17, s20
	s_xor_b64 s[22:23], s[22:23], s[20:21]
	s_mul_i32 s25, s22, s15
	s_mul_hi_u32 s26, s22, s3
	s_mul_hi_u32 s24, s22, s15
	s_add_u32 s25, s26, s25
	s_addc_u32 s24, 0, s24
	s_mul_hi_u32 s27, s23, s3
	s_mul_i32 s3, s23, s3
	s_add_u32 s3, s25, s3
	s_mul_hi_u32 s26, s23, s15
	s_addc_u32 s3, s24, s27
	s_addc_u32 s24, s26, 0
	s_mul_i32 s15, s23, s15
	s_add_u32 s3, s3, s15
	s_addc_u32 s15, 0, s24
	s_mul_i32 s24, s18, s15
	s_mul_hi_u32 s25, s18, s3
	s_add_i32 s24, s25, s24
	s_mul_i32 s25, s19, s3
	s_add_i32 s28, s24, s25
	s_sub_i32 s26, s23, s28
	s_mul_i32 s24, s18, s3
	s_sub_u32 s22, s22, s24
	s_cselect_b64 s[24:25], -1, 0
	s_cmp_lg_u64 s[24:25], 0
	s_subb_u32 s29, s26, s19
	s_sub_u32 s30, s22, s18
	s_cselect_b64 s[26:27], -1, 0
	s_cmp_lg_u64 s[26:27], 0
	s_subb_u32 s26, s29, 0
	s_cmp_ge_u32 s26, s19
	s_cselect_b32 s27, -1, 0
	s_cmp_ge_u32 s30, s18
	s_cselect_b32 s29, -1, 0
	s_cmp_eq_u32 s26, s19
	s_cselect_b32 s26, s29, s27
	s_add_u32 s27, s3, 1
	s_addc_u32 s29, s15, 0
	s_add_u32 s30, s3, 2
	s_addc_u32 s31, s15, 0
	s_cmp_lg_u32 s26, 0
	s_cselect_b32 s26, s30, s27
	s_cselect_b32 s27, s31, s29
	s_cmp_lg_u64 s[24:25], 0
	s_subb_u32 s23, s23, s28
	s_cmp_ge_u32 s23, s19
	s_cselect_b32 s24, -1, 0
	s_cmp_ge_u32 s22, s18
	s_cselect_b32 s18, -1, 0
	s_cmp_eq_u32 s23, s19
	s_cselect_b32 s18, s18, s24
	s_cmp_lg_u32 s18, 0
	s_cselect_b32 s19, s27, s15
	s_cselect_b32 s18, s26, s3
	s_xor_b64 s[10:11], s[20:21], s[10:11]
	s_xor_b64 s[18:19], s[18:19], s[10:11]
	s_sub_u32 s18, s18, s10
	s_subb_u32 s19, s19, s11
	s_load_dwordx4 s[24:27], s[0:1], 0x1d0
	s_cbranch_execnz .LBB22_7
.LBB22_6:
	v_cvt_f32_u32_e32 v1, s4
	s_sub_i32 s3, 0, s4
	s_mov_b32 s19, 0
	v_rcp_iflag_f32_e32 v1, v1
	s_nop 0
	v_mul_f32_e32 v1, 0x4f7ffffe, v1
	v_cvt_u32_f32_e32 v1, v1
	s_nop 0
	v_readfirstlane_b32 s8, v1
	s_mul_i32 s3, s3, s8
	s_mul_hi_u32 s3, s8, s3
	s_add_i32 s8, s8, s3
	s_mul_hi_u32 s3, s16, s8
	s_mul_i32 s9, s3, s4
	s_sub_i32 s9, s16, s9
	s_add_i32 s8, s3, 1
	s_sub_i32 s10, s9, s4
	s_cmp_ge_u32 s9, s4
	s_cselect_b32 s3, s8, s3
	s_cselect_b32 s9, s10, s9
	s_add_i32 s8, s3, 1
	s_cmp_ge_u32 s9, s4
	s_cselect_b32 s18, s8, s3
.LBB22_7:
                                        ; implicit-def: $vgpr65 : SGPR spill to VGPR lane
	s_waitcnt lgkmcnt(0)
	s_mov_b32 s9, s27
	v_writelane_b32 v65, s24, 0
	s_mov_b32 s8, 0
	s_cmp_lg_u64 s[8:9], 0
	v_writelane_b32 v65, s25, 1
	v_writelane_b32 v65, s26, 2
	;; [unrolled: 1-line block ×3, first 2 shown]
	s_cbranch_scc0 .LBB22_20
; %bb.8:
	s_ashr_i32 s8, s27, 31
	s_add_u32 s10, s26, s8
	s_mov_b32 s9, s8
	s_addc_u32 s11, s27, s8
	s_xor_b64 s[20:21], s[10:11], s[8:9]
	v_cvt_f32_u32_e32 v1, s20
	v_cvt_f32_u32_e32 v2, s21
	s_sub_u32 s3, 0, s20
	s_subb_u32 s15, 0, s21
	v_fmamk_f32 v1, v2, 0x4f800000, v1
	v_rcp_f32_e32 v1, v1
	s_nop 0
	v_mul_f32_e32 v1, 0x5f7ffffc, v1
	v_mul_f32_e32 v2, 0x2f800000, v1
	v_trunc_f32_e32 v2, v2
	v_fmamk_f32 v1, v2, 0xcf800000, v1
	v_cvt_u32_f32_e32 v2, v2
	v_cvt_u32_f32_e32 v1, v1
	v_readfirstlane_b32 s24, v2
	v_readfirstlane_b32 s22, v1
	s_mul_i32 s23, s3, s24
	s_mul_hi_u32 s26, s3, s22
	s_mul_i32 s25, s15, s22
	s_add_i32 s23, s26, s23
	s_add_i32 s23, s23, s25
	s_mul_i32 s27, s3, s22
	s_mul_i32 s26, s22, s23
	s_mul_hi_u32 s28, s22, s27
	s_mul_hi_u32 s25, s22, s23
	s_add_u32 s26, s28, s26
	s_addc_u32 s25, 0, s25
	s_mul_hi_u32 s29, s24, s27
	s_mul_i32 s27, s24, s27
	s_add_u32 s26, s26, s27
	s_mul_hi_u32 s28, s24, s23
	s_addc_u32 s25, s25, s29
	s_addc_u32 s26, s28, 0
	s_mul_i32 s23, s24, s23
	s_add_u32 s23, s25, s23
	s_addc_u32 s25, 0, s26
	s_add_u32 s26, s22, s23
	s_cselect_b64 s[22:23], -1, 0
	s_cmp_lg_u64 s[22:23], 0
	s_addc_u32 s24, s24, s25
	s_mul_i32 s22, s3, s24
	s_mul_hi_u32 s23, s3, s26
	s_add_i32 s22, s23, s22
	s_mul_i32 s15, s15, s26
	s_add_i32 s22, s22, s15
	s_mul_i32 s3, s3, s26
	s_mul_hi_u32 s23, s24, s3
	s_mul_i32 s25, s24, s3
	s_mul_i32 s28, s26, s22
	s_mul_hi_u32 s3, s26, s3
	s_mul_hi_u32 s27, s26, s22
	s_add_u32 s3, s3, s28
	s_addc_u32 s27, 0, s27
	s_add_u32 s3, s3, s25
	s_mul_hi_u32 s15, s24, s22
	s_addc_u32 s3, s27, s23
	s_addc_u32 s15, s15, 0
	s_mul_i32 s22, s24, s22
	s_add_u32 s3, s3, s22
	s_addc_u32 s15, 0, s15
	s_add_u32 s3, s26, s3
	s_cselect_b64 s[22:23], -1, 0
	s_cmp_lg_u64 s[22:23], 0
	s_addc_u32 s15, s24, s15
	s_add_u32 s22, s42, 0
	s_addc_u32 s23, 0, 0
	s_xor_b64 s[22:23], s[22:23], 0
	s_mul_i32 s25, s22, s15
	s_mul_hi_u32 s26, s22, s3
	s_mul_hi_u32 s24, s22, s15
	s_add_u32 s25, s26, s25
	s_addc_u32 s24, 0, s24
	s_mul_hi_u32 s27, s23, s3
	s_mul_i32 s3, s23, s3
	s_add_u32 s3, s25, s3
	s_mul_hi_u32 s26, s23, s15
	s_addc_u32 s3, s24, s27
	s_addc_u32 s24, s26, 0
	s_mul_i32 s15, s23, s15
	s_add_u32 s3, s3, s15
	s_addc_u32 s15, 0, s24
	s_mul_i32 s24, s20, s15
	s_mul_hi_u32 s25, s20, s3
	s_add_i32 s24, s25, s24
	s_mul_i32 s25, s21, s3
	s_add_i32 s28, s24, s25
	s_sub_i32 s26, s23, s28
	s_mul_i32 s24, s20, s3
	s_sub_u32 s22, s22, s24
	s_cselect_b64 s[24:25], -1, 0
	s_cmp_lg_u64 s[24:25], 0
	s_subb_u32 s29, s26, s21
	s_sub_u32 s30, s22, s20
	s_cselect_b64 s[26:27], -1, 0
	s_cmp_lg_u64 s[26:27], 0
	s_subb_u32 s26, s29, 0
	s_cmp_ge_u32 s26, s21
	s_cselect_b32 s27, -1, 0
	s_cmp_ge_u32 s30, s20
	s_cselect_b32 s29, -1, 0
	s_cmp_eq_u32 s26, s21
	s_cselect_b32 s26, s29, s27
	s_add_u32 s27, s3, 1
	s_addc_u32 s29, s15, 0
	s_add_u32 s30, s3, 2
	s_addc_u32 s31, s15, 0
	s_cmp_lg_u32 s26, 0
	s_cselect_b32 s26, s30, s27
	s_cselect_b32 s27, s31, s29
	s_cmp_lg_u64 s[24:25], 0
	s_subb_u32 s23, s23, s28
	s_cmp_ge_u32 s23, s21
	s_cselect_b32 s24, -1, 0
	s_cmp_ge_u32 s22, s20
	s_cselect_b32 s20, -1, 0
	s_cmp_eq_u32 s23, s21
	s_cselect_b32 s20, s20, s24
	s_cmp_lg_u32 s20, 0
	s_cselect_b32 s21, s27, s15
	s_cselect_b32 s20, s26, s3
	s_load_dwordx4 s[24:27], s[0:1], 0x1d0
	s_xor_b64 s[8:9], 0, s[8:9]
	s_xor_b64 s[20:21], s[20:21], s[8:9]
	s_sub_u32 s30, s20, s8
	s_subb_u32 s31, s21, s9
	s_cbranch_execnz .LBB22_10
.LBB22_9:
	s_waitcnt lgkmcnt(0)
	v_cvt_f32_u32_e32 v1, s26
	s_sub_i32 s3, 0, s26
	s_mov_b32 s31, 0
	v_rcp_iflag_f32_e32 v1, v1
	s_nop 0
	v_mul_f32_e32 v1, 0x4f7ffffe, v1
	v_cvt_u32_f32_e32 v1, v1
	s_nop 0
	v_readfirstlane_b32 s8, v1
	s_mul_i32 s3, s3, s8
	s_mul_hi_u32 s3, s8, s3
	s_add_i32 s8, s8, s3
	s_mul_hi_u32 s3, s42, s8
	s_mul_i32 s9, s3, s26
	s_sub_i32 s9, s42, s9
	s_add_i32 s8, s3, 1
	s_sub_i32 s10, s9, s26
	s_cmp_ge_u32 s9, s26
	s_cselect_b32 s3, s8, s3
	s_cselect_b32 s9, s10, s9
	s_add_i32 s8, s3, 1
	s_cmp_ge_u32 s9, s26
	s_cselect_b32 s30, s8, s3
.LBB22_10:
	s_waitcnt lgkmcnt(0)
	s_or_b64 s[8:9], s[30:31], s[24:25]
	s_mov_b32 s8, 0
	s_cmp_lg_u64 s[8:9], 0
	v_writelane_b32 v65, s30, 4
	s_nop 1
	v_writelane_b32 v65, s31, 5
	s_cbranch_scc0 .LBB22_21
; %bb.11:
	s_ashr_i32 s10, s25, 31
	s_add_u32 s8, s24, s10
	s_mov_b32 s11, s10
	s_addc_u32 s9, s25, s10
	s_xor_b64 s[20:21], s[8:9], s[10:11]
	v_cvt_f32_u32_e32 v1, s20
	v_cvt_f32_u32_e32 v2, s21
	s_sub_u32 s3, 0, s20
	s_subb_u32 s15, 0, s21
	v_fmamk_f32 v1, v2, 0x4f800000, v1
	v_rcp_f32_e32 v1, v1
	s_nop 0
	v_mul_f32_e32 v1, 0x5f7ffffc, v1
	v_mul_f32_e32 v2, 0x2f800000, v1
	v_trunc_f32_e32 v2, v2
	v_fmamk_f32 v1, v2, 0xcf800000, v1
	v_cvt_u32_f32_e32 v2, v2
	v_cvt_u32_f32_e32 v1, v1
	v_readfirstlane_b32 s24, v2
	v_readfirstlane_b32 s22, v1
	s_mul_i32 s23, s3, s24
	s_mul_hi_u32 s26, s3, s22
	s_mul_i32 s25, s15, s22
	s_add_i32 s23, s26, s23
	s_add_i32 s23, s23, s25
	s_mul_i32 s27, s3, s22
	s_mul_i32 s26, s22, s23
	s_mul_hi_u32 s28, s22, s27
	s_mul_hi_u32 s25, s22, s23
	s_add_u32 s26, s28, s26
	s_addc_u32 s25, 0, s25
	s_mul_hi_u32 s29, s24, s27
	s_mul_i32 s27, s24, s27
	s_add_u32 s26, s26, s27
	s_mul_hi_u32 s28, s24, s23
	s_addc_u32 s25, s25, s29
	s_addc_u32 s26, s28, 0
	s_mul_i32 s23, s24, s23
	s_add_u32 s23, s25, s23
	s_addc_u32 s25, 0, s26
	s_add_u32 s26, s22, s23
	s_cselect_b64 s[22:23], -1, 0
	s_cmp_lg_u64 s[22:23], 0
	s_addc_u32 s24, s24, s25
	s_mul_i32 s22, s3, s24
	s_mul_hi_u32 s23, s3, s26
	s_add_i32 s22, s23, s22
	s_mul_i32 s15, s15, s26
	s_add_i32 s22, s22, s15
	s_mul_i32 s3, s3, s26
	s_mul_hi_u32 s23, s24, s3
	s_mul_i32 s25, s24, s3
	s_mul_i32 s28, s26, s22
	s_mul_hi_u32 s3, s26, s3
	s_mul_hi_u32 s27, s26, s22
	s_add_u32 s3, s3, s28
	s_addc_u32 s27, 0, s27
	s_add_u32 s3, s3, s25
	s_mul_hi_u32 s15, s24, s22
	s_addc_u32 s3, s27, s23
	s_addc_u32 s15, s15, 0
	s_mul_i32 s22, s24, s22
	s_add_u32 s3, s3, s22
	s_addc_u32 s15, 0, s15
	s_add_u32 s3, s26, s3
	s_cselect_b64 s[22:23], -1, 0
	s_cmp_lg_u64 s[22:23], 0
	s_addc_u32 s15, s24, s15
	s_ashr_i32 s22, s31, 31
	s_add_u32 s24, s30, s22
	s_mov_b32 s23, s22
	s_addc_u32 s25, s31, s22
	s_xor_b64 s[24:25], s[24:25], s[22:23]
	s_mul_i32 s27, s24, s15
	s_mul_hi_u32 s28, s24, s3
	s_mul_hi_u32 s26, s24, s15
	s_add_u32 s27, s28, s27
	s_addc_u32 s26, 0, s26
	s_mul_hi_u32 s29, s25, s3
	s_mul_i32 s3, s25, s3
	s_add_u32 s3, s27, s3
	s_mul_hi_u32 s28, s25, s15
	s_addc_u32 s3, s26, s29
	s_addc_u32 s26, s28, 0
	s_mul_i32 s15, s25, s15
	s_add_u32 s3, s3, s15
	s_addc_u32 s15, 0, s26
	s_mul_i32 s26, s20, s15
	s_mul_hi_u32 s27, s20, s3
	s_add_i32 s26, s27, s26
	s_mul_i32 s27, s21, s3
	s_add_i32 s30, s26, s27
	s_sub_i32 s28, s25, s30
	s_mul_i32 s26, s20, s3
	s_sub_u32 s24, s24, s26
	s_cselect_b64 s[26:27], -1, 0
	s_cmp_lg_u64 s[26:27], 0
	s_subb_u32 s31, s28, s21
	s_sub_u32 s33, s24, s20
	s_cselect_b64 s[28:29], -1, 0
	s_cmp_lg_u64 s[28:29], 0
	s_subb_u32 s28, s31, 0
	s_cmp_ge_u32 s28, s21
	s_cselect_b32 s29, -1, 0
	s_cmp_ge_u32 s33, s20
	s_cselect_b32 s31, -1, 0
	s_cmp_eq_u32 s28, s21
	s_cselect_b32 s28, s31, s29
	s_add_u32 s29, s3, 1
	s_addc_u32 s31, s15, 0
	s_add_u32 s33, s3, 2
	s_addc_u32 s34, s15, 0
	s_cmp_lg_u32 s28, 0
	s_cselect_b32 s28, s33, s29
	s_cselect_b32 s29, s34, s31
	s_cmp_lg_u64 s[26:27], 0
	s_subb_u32 s25, s25, s30
	s_cmp_ge_u32 s25, s21
	s_cselect_b32 s26, -1, 0
	s_cmp_ge_u32 s24, s20
	s_cselect_b32 s20, -1, 0
	s_cmp_eq_u32 s25, s21
	s_cselect_b32 s20, s20, s26
	s_load_dwordx4 s[24:27], s[0:1], 0x1d0
	s_cmp_lg_u32 s20, 0
	s_cselect_b32 s21, s29, s15
	s_cselect_b32 s20, s28, s3
	s_xor_b64 s[10:11], s[22:23], s[10:11]
	s_xor_b64 s[20:21], s[20:21], s[10:11]
	s_sub_u32 s20, s20, s10
	s_subb_u32 s21, s21, s11
	s_load_dwordx4 s[44:47], s[0:1], 0x370
	s_cbranch_execnz .LBB22_13
.LBB22_12:
	s_waitcnt lgkmcnt(0)
	v_cvt_f32_u32_e32 v1, s24
	s_sub_i32 s3, 0, s24
	v_readlane_b32 s10, v65, 4
	s_mov_b32 s21, 0
	v_rcp_iflag_f32_e32 v1, v1
	v_readlane_b32 s11, v65, 5
	v_mul_f32_e32 v1, 0x4f7ffffe, v1
	v_cvt_u32_f32_e32 v1, v1
	s_nop 0
	v_readfirstlane_b32 s8, v1
	s_mul_i32 s3, s3, s8
	s_mul_hi_u32 s3, s8, s3
	s_add_i32 s8, s8, s3
	s_mul_hi_u32 s3, s10, s8
	s_mul_i32 s9, s3, s24
	s_sub_i32 s9, s10, s9
	s_add_i32 s8, s3, 1
	s_sub_i32 s10, s9, s24
	s_cmp_ge_u32 s9, s24
	s_cselect_b32 s3, s8, s3
	s_cselect_b32 s9, s10, s9
	s_add_i32 s8, s3, 1
	s_cmp_ge_u32 s9, s24
	s_cselect_b32 s20, s8, s3
.LBB22_13:
	s_mov_b32 s8, 0
	s_waitcnt lgkmcnt(0)
	s_mov_b32 s9, s47
	v_writelane_b32 v65, s20, 6
	s_cmp_lg_u64 s[8:9], 0
	s_nop 0
	v_writelane_b32 v65, s21, 7
	s_cbranch_scc0 .LBB22_22
; %bb.14:
	s_ashr_i32 s8, s47, 31
	s_add_u32 s10, s46, s8
	s_mov_b32 s9, s8
	s_addc_u32 s11, s47, s8
	s_xor_b64 s[20:21], s[10:11], s[8:9]
	v_cvt_f32_u32_e32 v1, s20
	v_cvt_f32_u32_e32 v2, s21
	s_sub_u32 s3, 0, s20
	s_subb_u32 s15, 0, s21
	v_fmamk_f32 v1, v2, 0x4f800000, v1
	v_rcp_f32_e32 v1, v1
	s_nop 0
	v_mul_f32_e32 v1, 0x5f7ffffc, v1
	v_mul_f32_e32 v2, 0x2f800000, v1
	v_trunc_f32_e32 v2, v2
	v_fmamk_f32 v1, v2, 0xcf800000, v1
	v_cvt_u32_f32_e32 v2, v2
	v_cvt_u32_f32_e32 v1, v1
	v_readfirstlane_b32 s24, v2
	v_readfirstlane_b32 s22, v1
	s_mul_i32 s23, s3, s24
	s_mul_hi_u32 s26, s3, s22
	s_mul_i32 s25, s15, s22
	s_add_i32 s23, s26, s23
	s_add_i32 s23, s23, s25
	s_mul_i32 s27, s3, s22
	s_mul_i32 s26, s22, s23
	s_mul_hi_u32 s28, s22, s27
	s_mul_hi_u32 s25, s22, s23
	s_add_u32 s26, s28, s26
	s_addc_u32 s25, 0, s25
	s_mul_hi_u32 s29, s24, s27
	s_mul_i32 s27, s24, s27
	s_add_u32 s26, s26, s27
	s_mul_hi_u32 s28, s24, s23
	s_addc_u32 s25, s25, s29
	s_addc_u32 s26, s28, 0
	s_mul_i32 s23, s24, s23
	s_add_u32 s23, s25, s23
	s_addc_u32 s25, 0, s26
	s_add_u32 s26, s22, s23
	s_cselect_b64 s[22:23], -1, 0
	s_cmp_lg_u64 s[22:23], 0
	s_addc_u32 s24, s24, s25
	s_mul_i32 s22, s3, s24
	s_mul_hi_u32 s23, s3, s26
	s_add_i32 s22, s23, s22
	s_mul_i32 s15, s15, s26
	s_add_i32 s22, s22, s15
	s_mul_i32 s3, s3, s26
	s_mul_hi_u32 s23, s24, s3
	s_mul_i32 s25, s24, s3
	s_mul_i32 s28, s26, s22
	s_mul_hi_u32 s3, s26, s3
	s_mul_hi_u32 s27, s26, s22
	s_add_u32 s3, s3, s28
	s_addc_u32 s27, 0, s27
	s_add_u32 s3, s3, s25
	s_mul_hi_u32 s15, s24, s22
	s_addc_u32 s3, s27, s23
	s_addc_u32 s15, s15, 0
	s_mul_i32 s22, s24, s22
	s_add_u32 s3, s3, s22
	s_addc_u32 s15, 0, s15
	s_add_u32 s3, s26, s3
	s_cselect_b64 s[22:23], -1, 0
	s_cmp_lg_u64 s[22:23], 0
	s_addc_u32 s15, s24, s15
	s_add_u32 s22, s42, 0
	s_addc_u32 s23, 0, 0
	s_xor_b64 s[22:23], s[22:23], 0
	s_mul_i32 s25, s22, s15
	s_mul_hi_u32 s26, s22, s3
	s_mul_hi_u32 s24, s22, s15
	s_add_u32 s25, s26, s25
	s_addc_u32 s24, 0, s24
	s_mul_hi_u32 s27, s23, s3
	s_mul_i32 s3, s23, s3
	s_add_u32 s3, s25, s3
	s_mul_hi_u32 s26, s23, s15
	s_addc_u32 s3, s24, s27
	s_addc_u32 s24, s26, 0
	s_mul_i32 s15, s23, s15
	s_add_u32 s3, s3, s15
	s_addc_u32 s15, 0, s24
	s_mul_i32 s24, s20, s15
	s_mul_hi_u32 s25, s20, s3
	s_add_i32 s24, s25, s24
	s_mul_i32 s25, s21, s3
	s_add_i32 s28, s24, s25
	s_sub_i32 s26, s23, s28
	s_mul_i32 s24, s20, s3
	s_sub_u32 s22, s22, s24
	s_cselect_b64 s[24:25], -1, 0
	s_cmp_lg_u64 s[24:25], 0
	s_subb_u32 s29, s26, s21
	s_sub_u32 s30, s22, s20
	s_cselect_b64 s[26:27], -1, 0
	s_cmp_lg_u64 s[26:27], 0
	s_subb_u32 s26, s29, 0
	s_cmp_ge_u32 s26, s21
	s_cselect_b32 s27, -1, 0
	s_cmp_ge_u32 s30, s20
	s_cselect_b32 s29, -1, 0
	s_cmp_eq_u32 s26, s21
	s_cselect_b32 s26, s29, s27
	s_add_u32 s27, s3, 1
	s_addc_u32 s29, s15, 0
	s_add_u32 s30, s3, 2
	s_addc_u32 s31, s15, 0
	s_cmp_lg_u32 s26, 0
	s_cselect_b32 s26, s30, s27
	s_cselect_b32 s27, s31, s29
	s_cmp_lg_u64 s[24:25], 0
	s_subb_u32 s23, s23, s28
	s_cmp_ge_u32 s23, s21
	s_cselect_b32 s24, -1, 0
	s_cmp_ge_u32 s22, s20
	s_cselect_b32 s20, -1, 0
	s_cmp_eq_u32 s23, s21
	s_cselect_b32 s20, s20, s24
	s_cmp_lg_u32 s20, 0
	s_cselect_b32 s21, s27, s15
	s_cselect_b32 s20, s26, s3
	s_xor_b64 s[8:9], 0, s[8:9]
	s_xor_b64 s[20:21], s[20:21], s[8:9]
	s_sub_u32 s48, s20, s8
	s_subb_u32 s49, s21, s9
	s_cbranch_execnz .LBB22_16
.LBB22_15:
	v_cvt_f32_u32_e32 v1, s46
	s_sub_i32 s3, 0, s46
	s_mov_b32 s49, 0
	v_rcp_iflag_f32_e32 v1, v1
	s_nop 0
	v_mul_f32_e32 v1, 0x4f7ffffe, v1
	v_cvt_u32_f32_e32 v1, v1
	s_nop 0
	v_readfirstlane_b32 s8, v1
	s_mul_i32 s3, s3, s8
	s_mul_hi_u32 s3, s8, s3
	s_add_i32 s8, s8, s3
	s_mul_hi_u32 s3, s42, s8
	s_mul_i32 s9, s3, s46
	s_sub_i32 s9, s42, s9
	s_add_i32 s8, s3, 1
	s_sub_i32 s10, s9, s46
	s_cmp_ge_u32 s9, s46
	s_cselect_b32 s3, s8, s3
	s_cselect_b32 s9, s10, s9
	s_add_i32 s8, s3, 1
	s_cmp_ge_u32 s9, s46
	s_cselect_b32 s48, s8, s3
.LBB22_16:
	s_load_dwordx2 s[20:21], s[0:1], 0xe0
	s_load_dwordx4 s[8:11], s[0:1], 0xd0
	s_or_b64 s[22:23], s[48:49], s[44:45]
	s_mov_b32 s22, 0
	s_cmp_lg_u64 s[22:23], 0
	s_cbranch_scc0 .LBB22_23
; %bb.17:
	s_ashr_i32 s22, s45, 31
	s_add_u32 s24, s44, s22
	s_mov_b32 s23, s22
	s_addc_u32 s25, s45, s22
	s_xor_b64 s[26:27], s[24:25], s[22:23]
	v_cvt_f32_u32_e32 v1, s26
	v_cvt_f32_u32_e32 v2, s27
	s_sub_u32 s3, 0, s26
	s_subb_u32 s15, 0, s27
	s_mov_b64 s[24:25], 0
	v_fmamk_f32 v1, v2, 0x4f800000, v1
	v_rcp_f32_e32 v1, v1
	s_nop 0
	v_mul_f32_e32 v1, 0x5f7ffffc, v1
	v_mul_f32_e32 v2, 0x2f800000, v1
	v_trunc_f32_e32 v2, v2
	v_fmamk_f32 v1, v2, 0xcf800000, v1
	v_cvt_u32_f32_e32 v2, v2
	v_cvt_u32_f32_e32 v1, v1
	v_readfirstlane_b32 s30, v2
	v_readfirstlane_b32 s28, v1
	s_mul_i32 s29, s3, s30
	s_mul_hi_u32 s33, s3, s28
	s_mul_i32 s31, s15, s28
	s_add_i32 s29, s33, s29
	s_add_i32 s29, s29, s31
	s_mul_i32 s34, s3, s28
	s_mul_i32 s33, s28, s29
	s_mul_hi_u32 s35, s28, s34
	s_mul_hi_u32 s31, s28, s29
	s_add_u32 s33, s35, s33
	s_addc_u32 s31, 0, s31
	s_mul_hi_u32 s36, s30, s34
	s_mul_i32 s34, s30, s34
	s_add_u32 s33, s33, s34
	s_mul_hi_u32 s35, s30, s29
	s_addc_u32 s31, s31, s36
	s_addc_u32 s33, s35, 0
	s_mul_i32 s29, s30, s29
	s_add_u32 s29, s31, s29
	s_addc_u32 s31, 0, s33
	s_add_u32 s33, s28, s29
	s_cselect_b64 s[28:29], -1, 0
	s_cmp_lg_u64 s[28:29], 0
	s_addc_u32 s30, s30, s31
	s_mul_i32 s28, s3, s30
	s_mul_hi_u32 s29, s3, s33
	s_add_i32 s28, s29, s28
	s_mul_i32 s15, s15, s33
	s_add_i32 s28, s28, s15
	s_mul_i32 s3, s3, s33
	s_mul_hi_u32 s29, s30, s3
	s_mul_i32 s31, s30, s3
	s_mul_i32 s35, s33, s28
	s_mul_hi_u32 s3, s33, s3
	s_mul_hi_u32 s34, s33, s28
	s_add_u32 s3, s3, s35
	s_addc_u32 s34, 0, s34
	s_add_u32 s3, s3, s31
	s_mul_hi_u32 s15, s30, s28
	s_addc_u32 s3, s34, s29
	s_addc_u32 s15, s15, 0
	s_mul_i32 s28, s30, s28
	s_add_u32 s3, s3, s28
	s_addc_u32 s15, 0, s15
	s_add_u32 s3, s33, s3
	s_cselect_b64 s[28:29], -1, 0
	s_cmp_lg_u64 s[28:29], 0
	s_addc_u32 s15, s30, s15
	s_ashr_i32 s28, s49, 31
	s_add_u32 s30, s48, s28
	s_mov_b32 s29, s28
	s_addc_u32 s31, s49, s28
	s_xor_b64 s[30:31], s[30:31], s[28:29]
	s_mul_i32 s34, s30, s15
	s_mul_hi_u32 s35, s30, s3
	s_mul_hi_u32 s33, s30, s15
	s_add_u32 s34, s35, s34
	s_addc_u32 s33, 0, s33
	s_mul_hi_u32 s36, s31, s3
	s_mul_i32 s3, s31, s3
	s_add_u32 s3, s34, s3
	s_mul_hi_u32 s35, s31, s15
	s_addc_u32 s3, s33, s36
	s_addc_u32 s33, s35, 0
	s_mul_i32 s15, s31, s15
	s_add_u32 s3, s3, s15
	s_addc_u32 s15, 0, s33
	s_mul_i32 s33, s26, s15
	s_mul_hi_u32 s34, s26, s3
	s_add_i32 s33, s34, s33
	s_mul_i32 s34, s27, s3
	s_add_i32 s33, s33, s34
	s_sub_i32 s36, s31, s33
	s_mul_i32 s34, s26, s3
	s_sub_u32 s30, s30, s34
	s_cselect_b64 s[34:35], -1, 0
	s_cmp_lg_u64 s[34:35], 0
	s_subb_u32 s38, s36, s27
	s_sub_u32 s39, s30, s26
	s_cselect_b64 s[36:37], -1, 0
	s_cmp_lg_u64 s[36:37], 0
	s_subb_u32 s36, s38, 0
	s_cmp_ge_u32 s36, s27
	s_cselect_b32 s37, -1, 0
	s_cmp_ge_u32 s39, s26
	s_cselect_b32 s38, -1, 0
	s_cmp_eq_u32 s36, s27
	s_cselect_b32 s36, s38, s37
	s_add_u32 s37, s3, 1
	s_addc_u32 s38, s15, 0
	s_add_u32 s39, s3, 2
	s_addc_u32 s40, s15, 0
	s_cmp_lg_u32 s36, 0
	s_cselect_b32 s36, s39, s37
	s_cselect_b32 s37, s40, s38
	s_cmp_lg_u64 s[34:35], 0
	s_subb_u32 s31, s31, s33
	s_cmp_ge_u32 s31, s27
	s_cselect_b32 s33, -1, 0
	s_cmp_ge_u32 s30, s26
	s_cselect_b32 s26, -1, 0
	s_cmp_eq_u32 s31, s27
	s_cselect_b32 s26, s26, s33
	s_cmp_lg_u32 s26, 0
	s_cselect_b32 s27, s37, s15
	s_cselect_b32 s26, s36, s3
	s_xor_b64 s[22:23], s[28:29], s[22:23]
	s_xor_b64 s[26:27], s[26:27], s[22:23]
	s_sub_u32 s22, s26, s22
	s_subb_u32 s23, s27, s23
	v_writelane_b32 v65, s22, 20
	s_nop 1
	v_writelane_b32 v65, s23, 21
	s_branch .LBB22_24
.LBB22_18:
                                        ; implicit-def: $sgpr16_sgpr17
	s_branch .LBB22_3
.LBB22_19:
                                        ; implicit-def: $sgpr18_sgpr19
	s_load_dwordx4 s[24:27], s[0:1], 0x1d0
	s_branch .LBB22_6
.LBB22_20:
                                        ; implicit-def: $sgpr30_sgpr31
	s_branch .LBB22_9
.LBB22_21:
                                        ; implicit-def: $sgpr20_sgpr21
	s_load_dwordx4 s[44:47], s[0:1], 0x370
	s_branch .LBB22_12
.LBB22_22:
                                        ; implicit-def: $sgpr48_sgpr49
	s_branch .LBB22_15
.LBB22_23:
	s_mov_b64 s[24:25], -1
                                        ; implicit-def: $sgpr22_sgpr23
                                        ; kill: killed $sgpr22_sgpr23
.LBB22_24:
	s_load_dwordx2 s[22:23], s[0:1], 0x440
	s_load_dwordx4 s[28:31], s[0:1], 0x430
	s_andn2_b64 vcc, exec, s[24:25]
	s_waitcnt lgkmcnt(0)
	v_writelane_b32 v65, s22, 8
	s_nop 1
	v_writelane_b32 v65, s23, 9
	s_load_dwordx2 s[22:23], s[0:1], 0x2a0
	v_writelane_b32 v65, s28, 10
	s_nop 1
	v_writelane_b32 v65, s29, 11
	v_writelane_b32 v65, s30, 12
	;; [unrolled: 1-line block ×3, first 2 shown]
	s_load_dwordx4 s[28:31], s[0:1], 0x290
	s_waitcnt lgkmcnt(0)
	v_writelane_b32 v65, s22, 14
	s_nop 1
	v_writelane_b32 v65, s23, 15
	s_load_dwordx2 s[22:23], s[0:1], 0x0
	v_writelane_b32 v65, s28, 16
	s_nop 1
	v_writelane_b32 v65, s29, 17
	v_writelane_b32 v65, s30, 18
	;; [unrolled: 1-line block ×3, first 2 shown]
	s_cbranch_vccnz .LBB22_26
; %bb.25:
	v_cvt_f32_u32_e32 v1, s44
	s_sub_i32 s3, 0, s44
	s_mov_b32 s27, 0
	v_rcp_iflag_f32_e32 v1, v1
	s_nop 0
	v_mul_f32_e32 v1, 0x4f7ffffe, v1
	v_cvt_u32_f32_e32 v1, v1
	s_nop 0
	v_readfirstlane_b32 s15, v1
	s_mul_i32 s3, s3, s15
	s_mul_hi_u32 s3, s15, s3
	s_add_i32 s15, s15, s3
	s_mul_hi_u32 s3, s48, s15
	s_mul_i32 s24, s3, s44
	s_sub_i32 s24, s48, s24
	s_add_i32 s15, s3, 1
	s_sub_i32 s25, s24, s44
	s_cmp_ge_u32 s24, s44
	s_cselect_b32 s3, s15, s3
	s_cselect_b32 s24, s25, s24
	s_add_i32 s15, s3, 1
	s_cmp_ge_u32 s24, s44
	s_cselect_b32 s26, s15, s3
	v_writelane_b32 v65, s26, 20
	s_nop 1
	v_writelane_b32 v65, s27, 21
.LBB22_26:
	v_writelane_b32 v65, s48, 22
	s_load_dwordx2 s[24:25], s[0:1], 0x360
	s_mov_b32 s99, 0
	v_writelane_b32 v65, s49, 23
	v_writelane_b32 v65, s44, 24
	s_load_dwordx2 s[0:1], s[0:1], 0x1c0
	s_nop 0
	v_writelane_b32 v65, s45, 25
	v_writelane_b32 v65, s46, 26
	;; [unrolled: 1-line block ×3, first 2 shown]
	s_waitcnt lgkmcnt(0)
	v_writelane_b32 v65, s24, 28
	s_nop 1
	v_writelane_b32 v65, s25, 29
	v_writelane_b32 v65, s0, 30
	v_cmp_eq_u32_e64 s[24:25], 0, v0
	s_nop 0
	v_writelane_b32 v65, s1, 31
	s_mov_b64 s[0:1], exec
	v_writelane_b32 v65, s24, 32
	s_nop 1
	v_writelane_b32 v65, s25, 33
	s_and_b64 s[24:25], s[0:1], s[24:25]
	s_mov_b64 exec, s[24:25]
	s_cbranch_execz .LBB22_28
; %bb.27:
	v_mov_b32_e32 v2, 0
	v_mov_b32_e32 v4, s60
	;; [unrolled: 1-line block ×4, first 2 shown]
	ds_write_b32 v2, v2 offset:5136
	ds_write_b128 v2, v[2:5] offset:5120
.LBB22_28:
	s_or_b64 exec, exec, s[0:1]
	s_mul_i32 s0, s18, s5
	s_mul_hi_u32 s1, s18, s4
	s_add_i32 s0, s1, s0
	s_mul_i32 s1, s19, s4
	s_add_i32 s0, s0, s1
	s_mul_i32 s1, s18, s4
	s_sub_u32 s3, s16, s1
	s_subb_u32 s0, s17, s0
	s_mul_i32 s1, s3, s11
	s_mul_hi_u32 s4, s3, s10
	s_add_i32 s1, s4, s1
	s_mul_i32 s0, s0, s10
	s_add_i32 s1, s1, s0
	s_mul_i32 s0, s3, s10
	s_mul_i32 s3, s18, s9
	s_mul_hi_u32 s4, s18, s8
	s_add_i32 s3, s4, s3
	s_mul_i32 s4, s19, s8
	s_add_i32 s5, s3, s4
	s_mul_i32 s3, s16, s7
	s_mul_hi_u32 s7, s16, s6
	s_add_i32 s3, s7, s3
	s_mul_i32 s7, s17, s6
	s_mul_i32 s4, s18, s8
	s_add_i32 s3, s3, s7
	s_mul_i32 s6, s16, s6
	s_mov_b32 s8, s42
	v_writelane_b32 v65, s8, 34
	s_sub_u32 s6, s42, s6
	s_subb_u32 s3, 0, s3
	v_writelane_b32 v65, s9, 35
	s_mul_i32 s7, s6, s21
	s_mul_hi_u32 s8, s6, s20
	s_add_i32 s7, s8, s7
	s_mul_i32 s3, s3, s20
	s_add_i32 s7, s7, s3
	s_lshl_b64 s[8:9], s[4:5], 2
	s_add_u32 s3, s22, s8
	s_addc_u32 s4, s23, s9
	s_lshl_b64 s[10:11], s[0:1], 2
	s_add_u32 s0, s3, s10
	s_mul_i32 s6, s6, s20
	s_addc_u32 s1, s4, s11
	v_mbcnt_lo_u32_b32 v1, -1, 0
	v_cmp_gt_u32_e64 s[4:5], 2, v0
	s_lshl_b64 s[16:17], s[6:7], 2
	s_waitcnt lgkmcnt(0)
	s_barrier
	v_mbcnt_hi_u32_b32 v44, -1, v1
	v_writelane_b32 v65, s4, 36
	v_mov_b64_e32 v[4:5], 0x300
	s_load_dword s3, s[12:13], 0xc
	s_add_u32 s96, s0, s16
	v_cmp_gt_u32_e32 vcc, 64, v0
	v_cmp_gt_i32_e64 s[6:7], 4, v44
	v_writelane_b32 v65, s5, 37
	v_mov_b32_e32 v3, 0
	v_cmp_gt_i64_e64 s[4:5], s[60:61], v[4:5]
	s_addc_u32 s97, s1, s17
	s_and_b64 s[84:85], vcc, s[6:7]
	v_mov_b32_e32 v1, v3
	v_writelane_b32 v65, s4, 38
	v_mad_u64_u32 v[4:5], s[6:7], s66, v0, 0
	s_nop 0
	v_writelane_b32 v65, s5, 39
	v_cmp_gt_u64_e64 s[4:5], s[60:61], v[0:1]
	v_mov_b32_e32 v2, v5
	v_mad_u64_u32 v[6:7], s[6:7], s67, v0, v[2:3]
	v_writelane_b32 v65, s4, 40
	v_cmp_gt_i64_e64 s[6:7], s[60:61], v[0:1]
	v_lshlrev_b32_e32 v2, 2, v44
	v_writelane_b32 v65, s5, 41
	s_waitcnt lgkmcnt(0)
	s_and_b32 s92, s3, 0xffff
	s_bfe_u32 s3, s3, 0xa0006
	v_writelane_b32 v65, s6, 42
	v_and_b32_e32 v46, 0x100, v2
	s_cmp_gt_u32 s92, 63
	v_lshrrev_b32_e32 v2, 1, v0
	v_writelane_b32 v65, s7, 43
	s_cselect_b64 s[4:5], -1, 0
	v_and_b32_e32 v2, 0x1e0, v2
	v_lshlrev_b64 v[8:9], v44, -1
	v_writelane_b32 v65, s4, 44
	v_or_b32_e32 v47, 0xc00, v2
	v_add_u32_e32 v2, 2, v0
	v_not_b32_e32 v18, v8
	v_writelane_b32 v65, s5, 45
	s_add_u32 s4, s92, -1
	v_mov_b32_e32 v8, s61
	v_cmp_gt_i64_e32 vcc, s[60:61], v[2:3]
	v_not_b32_e32 v19, v9
	s_addc_u32 s5, 0, -1
	v_cndmask_b32_e32 v9, 0, v8, vcc
	v_mov_b32_e32 v8, s60
	v_writelane_b32 v65, s4, 46
	s_add_u32 s4, s4, s60
	v_cndmask_b32_e32 v8, v2, v8, vcc
	v_mov_b32_e32 v11, -1
	v_not_b32_e32 v10, v0
	v_writelane_b32 v65, s4, 47
	s_addc_u32 s77, s5, s61
	v_lshl_add_u64 v[8:9], v[8:9], 0, v[10:11]
	v_writelane_b32 v65, s5, 48
	s_cmp_lt_u32 s2, s14
	v_cmp_lt_u64_e64 s[4:5], 1, v[8:9]
	s_cselect_b32 s2, 12, 18
	v_and_b32_e32 v20, -2, v8
	v_writelane_b32 v65, s4, 49
	v_mov_b32_e32 v21, v9
	s_add_u32 s14, s12, s2
	v_writelane_b32 v65, s5, 50
	v_cmp_ne_u64_e64 s[4:5], v[8:9], v[20:21]
	s_addc_u32 s15, s13, 0
	s_add_i32 s2, s3, -1
	v_writelane_b32 v65, s4, 51
	s_and_b32 s2, s2, 0xffff
	v_lshlrev_b32_e32 v48, 4, v0
	v_writelane_b32 v65, s5, 52
	s_bfe_u32 s4, s92, 0x30006
	s_cmp_gt_u32 s2, 6
	s_cselect_b64 s[6:7], -1, 0
	v_writelane_b32 v65, s6, 53
	s_and_b32 s80, s3, 0x3f8
	s_cmp_lg_u32 s4, 0
	v_writelane_b32 v65, s7, 54
	v_writelane_b32 v65, s4, 55
	s_cselect_b64 s[2:3], -1, 0
	v_writelane_b32 v65, s2, 56
	v_or_b32_e32 v8, 12, v48
	v_mov_b32_e32 v5, v6
	v_writelane_b32 v65, s3, 57
	s_add_u32 s2, s8, s16
	s_addc_u32 s3, s9, s17
	s_add_u32 s2, s2, s10
	s_addc_u32 s3, s3, s11
	;; [unrolled: 2-line block ×3, first 2 shown]
	s_lshl_b64 s[2:3], s[66:67], 2
	v_writelane_b32 v65, s2, 58
                                        ; implicit-def: $vgpr64 : SGPR spill to VGPR lane
	v_cmp_eq_u32_e64 s[0:1], 0, v44
	v_lshlrev_b32_e32 v14, 2, v0
	v_writelane_b32 v65, s3, 59
	v_mad_u64_u32 v[24:25], s[2:3], s66, v8, 0
	v_mov_b32_e32 v2, v25
	v_mad_u64_u32 v[8:9], s[2:3], s67, v8, v[2:3]
	v_mov_b32_e32 v25, v8
	v_or_b32_e32 v8, 8, v48
	v_mad_u64_u32 v[26:27], s[2:3], s66, v8, 0
	v_mov_b32_e32 v2, v27
	v_mad_u64_u32 v[8:9], s[2:3], s67, v8, v[2:3]
	v_mov_b32_e32 v27, v8
	v_or_b32_e32 v8, 4, v48
	v_mad_u64_u32 v[28:29], s[2:3], s66, v8, 0
	v_mov_b32_e32 v2, v29
	v_mad_u64_u32 v[8:9], s[2:3], s67, v8, v[2:3]
	v_writelane_b32 v65, s4, 60
	s_mul_i32 s2, s67, s92
	s_mul_hi_u32 s3, s66, s92
	v_lshlrev_b64 v[6:7], 2, v[4:5]
	v_mov_b32_e32 v2, 0xc00
	v_writelane_b32 v65, s5, 61
	s_add_i32 s3, s3, s2
	s_mul_i32 s2, s66, s92
	v_writelane_b32 v64, s14, 0
	v_mov_b32_e32 v37, 0
	v_add_u32_e32 v45, 0xc00, v14
	v_lshl_add_u64 v[16:17], s[96:97], 0, v[6:7]
	v_mov_b32_e32 v15, v3
	s_mov_b32 s93, s99
	v_lshl_add_u64 v[22:23], v[20:21], 0, v[0:1]
	s_mov_b32 s33, s66
	s_mov_b32 s94, s67
	s_lshl_b64 s[88:89], s[66:67], 4
	v_mov_b32_e32 v29, v8
	v_lshlrev_b64 v[30:31], 4, v[4:5]
	v_lshl_add_u64 v[32:33], s[60:61], 0, v[0:1]
	v_lshl_or_b32 v49, v44, 3, v2
	v_lshl_add_u64 v[12:13], s[4:5], 0, v[6:7]
	s_lshl_b64 s[90:91], s[2:3], 2
	s_lshl_b32 s81, s92, 2
	s_mov_b32 s79, 30
	s_mov_b64 s[10:11], 0
	v_mov_b64_e32 v[38:39], s[62:63]
	s_brev_b32 s78, 1
	v_mov_b64_e32 v[54:55], s[60:61]
	v_mov_b32_e32 v34, 1
	v_mov_b32_e32 v51, 0
	;; [unrolled: 1-line block ×4, first 2 shown]
	v_writelane_b32 v65, s0, 62
	v_writelane_b32 v64, s15, 1
                                        ; implicit-def: $sgpr2_sgpr3
                                        ; implicit-def: $sgpr64_sgpr65
                                        ; implicit-def: $sgpr86_sgpr87
                                        ; implicit-def: $sgpr82_sgpr83
                                        ; implicit-def: $sgpr62_sgpr63
                                        ; implicit-def: $sgpr34_sgpr35
	v_writelane_b32 v64, s94, 2
	v_writelane_b32 v65, s1, 63
	s_branch .LBB22_32
.LBB22_29:                              ;   in Loop: Header=BB22_32 Depth=1
	s_or_b64 exec, exec, s[16:17]
	s_and_b64 s[8:9], s[8:9], exec
	s_andn2_b64 s[26:27], s[26:27], exec
	s_andn2_b64 s[2:3], s[2:3], exec
	s_orn2_b64 s[20:21], s[12:13], exec
.LBB22_30:                              ;   in Loop: Header=BB22_32 Depth=1
	s_or_b64 exec, exec, s[6:7]
	s_andn2_b64 s[6:7], s[74:75], exec
	s_and_b64 s[8:9], s[8:9], exec
	s_or_b64 s[74:75], s[6:7], s[8:9]
	s_andn2_b64 s[6:7], s[34:35], exec
	s_and_b64 s[8:9], s[26:27], exec
	s_or_b64 s[34:35], s[6:7], s[8:9]
	;; [unrolled: 3-line block ×3, first 2 shown]
	s_orn2_b64 s[2:3], s[20:21], exec
.LBB22_31:                              ;   in Loop: Header=BB22_32 Depth=1
	s_or_b64 exec, exec, s[18:19]
	s_and_b64 s[2:3], exec, s[2:3]
	s_or_b64 s[10:11], s[2:3], s[10:11]
	s_andn2_b64 s[2:3], s[86:87], exec
	s_mov_b64 s[4:5], s[34:35]
	s_and_b64 s[6:7], s[74:75], exec
	s_or_b64 s[86:87], s[2:3], s[6:7]
	s_andn2_b64 s[2:3], s[64:65], exec
	s_and_b64 s[6:7], s[4:5], exec
	s_or_b64 s[64:65], s[2:3], s[6:7]
	v_readlane_b32 s2, v64, 3
	v_readlane_b32 s3, v64, 4
	s_andn2_b64 s[2:3], s[2:3], exec
	s_and_b64 s[6:7], s[82:83], exec
	s_mov_b64 s[34:35], s[74:75]
	s_mov_b64 s[62:63], s[4:5]
	s_or_b64 s[2:3], s[2:3], s[6:7]
	v_mov_b64_e32 v[38:39], v[8:9]
	s_andn2_b64 exec, exec, s[10:11]
	s_cbranch_execz .LBB22_296
.LBB22_32:                              ; =>This Loop Header: Depth=1
                                        ;     Child Loop BB22_38 Depth 2
                                        ;     Child Loop BB22_52 Depth 2
	;; [unrolled: 1-line block ×17, first 2 shown]
	ds_read_b128 v[4:7], v3 offset:5120
	v_writelane_b32 v64, s2, 3
	s_waitcnt lgkmcnt(0)
	v_readfirstlane_b32 s69, v5
	v_readfirstlane_b32 s68, v4
	v_writelane_b32 v64, s3, 4
	s_nop 0
	v_cmp_gt_i64_e64 s[2:3], s[68:69], 0
	s_and_b64 vcc, exec, s[2:3]
	s_cbranch_vccnz .LBB22_65
; %bb.33:                               ;   in Loop: Header=BB22_32 Depth=1
	v_readlane_b32 s2, v65, 38
	v_readlane_b32 s3, v65, 39
	s_and_b64 vcc, exec, s[2:3]
	s_cbranch_vccz .LBB22_46
; %bb.34:                               ;   in Loop: Header=BB22_32 Depth=1
	s_mov_b64 s[2:3], 0x301
	v_cmp_gt_i64_e32 vcc, s[2:3], v[6:7]
	s_mov_b64 s[6:7], 0
	s_mov_b64 s[2:3], 0
	s_cbranch_vccz .LBB22_47
; %bb.35:                               ;   in Loop: Header=BB22_32 Depth=1
	s_mov_b64 s[8:9], exec
	v_readlane_b32 s2, v65, 40
	v_readlane_b32 s3, v65, 41
	s_and_b64 s[2:3], s[8:9], s[2:3]
	s_mov_b64 exec, s[2:3]
	s_cbranch_execz .LBB22_99
; %bb.36:                               ;   in Loop: Header=BB22_32 Depth=1
	global_load_ushort v6, v3, s[14:15]
	global_load_dword v8, v[16:17], off
	v_readlane_b32 s2, v65, 60
	v_readlane_b32 s3, v65, 61
	;; [unrolled: 1-line block ×4, first 2 shown]
	v_mov_b64_e32 v[4:5], s[2:3]
	s_mov_b64 s[12:13], 0
	s_waitcnt vmcnt(1)
	v_and_b32_e32 v2, 0xffff, v6
	v_readfirstlane_b32 s2, v6
	v_lshl_add_u64 v[6:7], v[0:1], 0, v[2:3]
	s_and_b32 s16, 0xffff, s2
	v_mad_u64_u32 v[4:5], s[2:3], s4, v6, v[4:5]
	v_mul_lo_u32 v7, s4, v7
	v_mul_lo_u32 v9, s5, v6
	s_mul_i32 s2, s5, s16
	s_mul_hi_u32 s3, s4, s16
	s_mul_i32 s18, s4, s16
	v_add3_u32 v5, v9, v5, v7
	s_add_i32 s19, s3, s2
	v_mov_b64_e32 v[6:7], v[0:1]
	s_branch .LBB22_38
.LBB22_37:                              ;   in Loop: Header=BB22_38 Depth=2
	s_or_b64 exec, exec, s[2:3]
	v_lshl_add_u64 v[4:5], v[4:5], 0, s[18:19]
	v_mov_b32_e32 v8, v9
	s_andn2_b64 exec, exec, s[12:13]
	s_cbranch_execz .LBB22_99
.LBB22_38:                              ;   Parent Loop BB22_32 Depth=1
                                        ; =>  This Inner Loop Header: Depth=2
	v_lshl_add_u64 v[6:7], v[6:7], 0, v[2:3]
	v_cmp_gt_i64_e64 s[2:3], s[60:61], v[6:7]
	v_cmp_le_i64_e32 vcc, s[60:61], v[6:7]
	s_waitcnt lgkmcnt(0)
	v_mov_b32_e32 v10, 0
	v_mov_b32_e32 v9, 0
	s_and_saveexec_b64 s[16:17], s[2:3]
	s_cbranch_execz .LBB22_40
; %bb.39:                               ;   in Loop: Header=BB22_38 Depth=2
	global_load_dword v9, v[4:5], off
.LBB22_40:                              ;   in Loop: Header=BB22_38 Depth=2
	s_or_b64 exec, exec, s[16:17]
	s_waitcnt vmcnt(0)
	v_bitop3_b32 v11, v8, v52, s78 bitop3:0x48
	v_cmp_eq_u32_e64 s[16:17], v11, v50
	s_cmp_lg_u64 s[16:17], 0
	s_cselect_b64 s[2:3], -1, 0
	s_and_b64 s[2:3], s[0:1], s[2:3]
	s_and_saveexec_b64 s[20:21], s[2:3]
	s_cbranch_execz .LBB22_44
; %bb.41:                               ;   in Loop: Header=BB22_38 Depth=2
	s_mov_b64 s[24:25], exec
	v_mbcnt_lo_u32_b32 v10, s24, 0
	v_mbcnt_hi_u32_b32 v10, s25, v10
	s_bcnt1_i32_b64 s26, s[16:17]
	v_cmp_eq_u32_e64 s[2:3], 0, v10
                                        ; implicit-def: $vgpr11
	s_and_saveexec_b64 s[22:23], s[2:3]
; %bb.42:                               ;   in Loop: Header=BB22_38 Depth=2
	s_bcnt1_i32_b64 s2, s[24:25]
	s_mul_i32 s2, s26, s2
	v_mov_b32_e32 v11, s2
	ds_add_rtn_u32 v11, v3, v11 offset:5136
; %bb.43:                               ;   in Loop: Header=BB22_38 Depth=2
	s_or_b64 exec, exec, s[22:23]
	s_waitcnt lgkmcnt(0)
	v_readfirstlane_b32 s2, v11
	s_nop 1
	v_mov_b32_e32 v11, s2
	v_mad_u32_u24 v10, s26, v10, v11
.LBB22_44:                              ;   in Loop: Header=BB22_38 Depth=2
	s_or_b64 exec, exec, s[20:21]
	ds_bpermute_b32 v10, v46, v10
	s_and_b64 s[2:3], exec, vcc
	s_or_b64 s[12:13], s[2:3], s[12:13]
	s_and_saveexec_b64 s[2:3], s[16:17]
	s_cbranch_execz .LBB22_37
; %bb.45:                               ;   in Loop: Header=BB22_38 Depth=2
	v_and_b32_e32 v35, s16, v18
	v_and_b32_e32 v11, s17, v19
	v_bcnt_u32_b32 v35, v35, 0
	v_bcnt_u32_b32 v11, v11, v35
	v_lshlrev_b32_e32 v11, 2, v11
	s_waitcnt lgkmcnt(0)
	v_lshl_add_u32 v10, v10, 2, v11
	ds_write_b32 v10, v8
	s_branch .LBB22_37
.LBB22_46:                              ;   in Loop: Header=BB22_32 Depth=1
	s_mov_b64 s[6:7], -1
	s_mov_b64 s[2:3], 0
.LBB22_47:                              ;   in Loop: Header=BB22_32 Depth=1
	s_and_b64 vcc, exec, s[6:7]
	s_cbranch_vccz .LBB22_63
.LBB22_48:                              ;   in Loop: Header=BB22_32 Depth=1
	s_mov_b64 s[2:3], exec
	v_readlane_b32 s6, v65, 42
	v_readlane_b32 s7, v65, 43
	s_and_b64 s[6:7], s[2:3], s[6:7]
	s_mov_b64 exec, s[6:7]
	s_cbranch_execz .LBB22_60
; %bb.49:                               ;   in Loop: Header=BB22_32 Depth=1
	global_load_ushort v2, v3, s[14:15]
	global_load_dword v10, v[16:17], off
	v_mov_b32_e32 v8, v0
	s_waitcnt vmcnt(1)
	v_readfirstlane_b32 s8, v2
	v_add_u32_sdwa v2, v2, v0 dst_sel:DWORD dst_unused:UNUSED_PAD src0_sel:WORD_0 src1_sel:DWORD
	v_cmp_gt_i64_e32 vcc, s[60:61], v[2:3]
	s_and_saveexec_b64 s[6:7], vcc
	s_cbranch_execz .LBB22_59
; %bb.50:                               ;   in Loop: Header=BB22_32 Depth=1
	s_and_b32 s98, s8, 0xffff
	s_cmp_eq_u32 s98, 1
	v_readlane_b32 s4, v65, 49
	s_cselect_b64 s[8:9], -1, 0
	v_readlane_b32 s5, v65, 50
	s_and_b64 s[16:17], s[4:5], s[8:9]
	s_mov_b64 s[12:13], -1
	v_mov_b64_e32 v[6:7], v[0:1]
	v_mov_b64_e32 v[4:5], v[2:3]
                                        ; implicit-def: $vgpr11
                                        ; implicit-def: $vgpr8_vgpr9
	s_and_saveexec_b64 s[8:9], s[16:17]
	s_cbranch_execz .LBB22_54
; %bb.51:                               ;   in Loop: Header=BB22_32 Depth=1
	v_lshl_add_u64 v[4:5], v[2:3], 0, 1
	v_mov_b64_e32 v[6:7], v[4:5]
	s_mov_b64 s[12:13], 0
	v_mov_b64_e32 v[8:9], v[20:21]
	v_mov_b32_e32 v35, v14
	v_mov_b64_e32 v[4:5], v[2:3]
.LBB22_52:                              ;   Parent Loop BB22_32 Depth=1
                                        ; =>  This Inner Loop Header: Depth=2
	v_mul_lo_u32 v53, v5, s33
	v_mul_lo_u32 v56, v4, s94
	v_mad_u64_u32 v[42:43], s[16:17], v4, s33, 0
	v_mul_lo_u32 v11, v7, s66
	v_mul_lo_u32 v36, v6, s67
	v_mad_u64_u32 v[40:41], s[16:17], v6, s66, 0
	v_add3_u32 v43, v43, v56, v53
	v_add3_u32 v41, v41, v36, v11
	v_lshl_add_u64 v[42:43], v[42:43], 2, s[96:97]
	v_lshl_add_u64 v[40:41], v[40:41], 2, s[96:97]
	global_load_dword v36, v[42:43], off
	global_load_dword v11, v[40:41], off
	v_lshl_add_u64 v[8:9], v[8:9], 0, -2
	v_cmp_eq_u64_e32 vcc, 0, v[8:9]
	v_lshl_add_u64 v[6:7], v[6:7], 0, 2
	v_lshl_add_u64 v[4:5], v[4:5], 0, 2
	s_or_b64 s[12:13], vcc, s[12:13]
	s_waitcnt vmcnt(1)
	ds_write2_b32 v35, v10, v36 offset1:1
	v_add_u32_e32 v35, 8, v35
	s_waitcnt vmcnt(0)
	v_mov_b32_e32 v10, v11
	s_andn2_b64 exec, exec, s[12:13]
	s_cbranch_execnz .LBB22_52
; %bb.53:                               ;   in Loop: Header=BB22_32 Depth=1
	s_or_b64 exec, exec, s[12:13]
	v_readlane_b32 s4, v65, 51
	v_lshl_add_u64 v[4:5], v[2:3], 0, v[20:21]
	v_readlane_b32 s5, v65, 52
	v_lshl_add_u64 v[8:9], v[4:5], 0, -1
	s_orn2_b64 s[12:13], s[4:5], exec
	v_mov_b32_e32 v10, v11
	v_mov_b64_e32 v[6:7], v[22:23]
.LBB22_54:                              ;   in Loop: Header=BB22_32 Depth=1
	s_or_b64 exec, exec, s[8:9]
	s_and_saveexec_b64 s[8:9], s[12:13]
	s_cbranch_execz .LBB22_58
; %bb.55:                               ;   in Loop: Header=BB22_32 Depth=1
	v_readlane_b32 s4, v65, 60
	v_readlane_b32 s5, v65, 61
	s_sub_u32 s12, 0, s98
	s_mov_b64 s[16:17], 0
	v_mov_b64_e32 v[8:9], s[4:5]
	v_readlane_b32 s4, v65, 58
	v_readlane_b32 s5, v65, 59
	s_subb_u32 s13, 0, 0
	v_mad_u64_u32 v[8:9], s[18:19], s4, v4, v[8:9]
	v_mul_lo_u32 v2, s4, v5
	v_mul_lo_u32 v7, s5, v4
	s_mul_i32 s18, s5, s98
	s_mul_hi_u32 s19, s4, s98
	v_add3_u32 v9, v7, v9, v2
	s_add_i32 s19, s19, s18
	s_mul_i32 s18, s4, s98
.LBB22_56:                              ;   Parent Loop BB22_32 Depth=1
                                        ; =>  This Inner Loop Header: Depth=2
	global_load_dword v11, v[8:9], off
	v_mov_b64_e32 v[40:41], v[4:5]
	v_lshl_add_u64 v[4:5], v[40:41], 0, s[98:99]
	v_lshlrev_b32_e32 v2, 2, v6
	v_cmp_le_i64_e32 vcc, s[60:61], v[4:5]
	v_lshl_add_u64 v[8:9], v[8:9], 0, s[18:19]
	s_waitcnt vmcnt(1)
	ds_write_b32 v2, v10
	v_mov_b64_e32 v[6:7], v[40:41]
	s_or_b64 s[16:17], vcc, s[16:17]
	s_waitcnt vmcnt(0)
	v_mov_b32_e32 v10, v11
	s_andn2_b64 exec, exec, s[16:17]
	s_cbranch_execnz .LBB22_56
; %bb.57:                               ;   in Loop: Header=BB22_32 Depth=1
	s_or_b64 exec, exec, s[16:17]
	v_lshl_add_u64 v[8:9], s[12:13], 0, v[4:5]
.LBB22_58:                              ;   in Loop: Header=BB22_32 Depth=1
	s_or_b64 exec, exec, s[8:9]
	s_waitcnt vmcnt(0)
	v_mov_b32_e32 v10, v11
.LBB22_59:                              ;   in Loop: Header=BB22_32 Depth=1
	s_or_b64 exec, exec, s[6:7]
	v_lshlrev_b32_e32 v2, 2, v8
	s_waitcnt vmcnt(0)
	ds_write_b32 v2, v10
.LBB22_60:                              ;   in Loop: Header=BB22_32 Depth=1
	s_or_b64 exec, exec, s[2:3]
	s_waitcnt lgkmcnt(0)
	s_barrier
	s_mov_b64 s[2:3], exec
	v_readlane_b32 s6, v65, 32
	v_readlane_b32 s7, v65, 33
	s_and_b64 s[6:7], s[2:3], s[6:7]
	s_mov_b64 exec, s[6:7]
; %bb.61:                               ;   in Loop: Header=BB22_32 Depth=1
	ds_write_b64 v3, v[54:55] offset:5120
; %bb.62:                               ;   in Loop: Header=BB22_32 Depth=1
	s_or_b64 exec, exec, s[2:3]
	s_mov_b64 s[2:3], -1
	s_waitcnt lgkmcnt(0)
	s_barrier
.LBB22_63:                              ;   in Loop: Header=BB22_32 Depth=1
	s_and_b64 vcc, exec, s[2:3]
	s_cbranch_vccz .LBB22_65
; %bb.64:                               ;   in Loop: Header=BB22_32 Depth=1
	ds_read_b64 v[4:5], v3 offset:5120
	s_waitcnt lgkmcnt(0)
	v_readfirstlane_b32 s68, v4
.LBB22_65:                              ;   in Loop: Header=BB22_32 Depth=1
	s_cmp_lt_i32 s68, 1
	s_mov_b64 s[2:3], -1
                                        ; implicit-def: $vgpr4_vgpr5
                                        ; implicit-def: $vgpr8_vgpr9
	s_cbranch_scc1 .LBB22_75
; %bb.66:                               ;   in Loop: Header=BB22_32 Depth=1
	s_and_b64 vcc, exec, s[2:3]
	s_cbranch_vccnz .LBB22_89
.LBB22_67:                              ;   in Loop: Header=BB22_32 Depth=1
	v_lshlrev_b32_e32 v2, 6, v51
	s_and_saveexec_b64 s[2:3], s[0:1]
	s_cbranch_execz .LBB22_69
.LBB22_68:                              ;   in Loop: Header=BB22_32 Depth=1
	v_lshl_add_u32 v35, v2, 3, v47
	ds_write_b128 v35, v[4:7]
	ds_write_b128 v35, v[8:11] offset:16
.LBB22_69:                              ;   in Loop: Header=BB22_32 Depth=1
	s_or_b64 exec, exec, s[2:3]
	s_waitcnt lgkmcnt(0)
	s_barrier
	s_and_saveexec_b64 s[2:3], s[84:85]
	s_cbranch_execz .LBB22_107
; %bb.70:                               ;   in Loop: Header=BB22_32 Depth=1
	v_readlane_b32 s4, v65, 44
	v_readlane_b32 s5, v65, 45
	s_andn2_b64 vcc, exec, s[4:5]
	v_mov_b64_e32 v[4:5], 0
	s_cbranch_vccnz .LBB22_106
; %bb.71:                               ;   in Loop: Header=BB22_32 Depth=1
	v_readlane_b32 s4, v65, 53
	v_readlane_b32 s5, v65, 54
	s_andn2_b64 vcc, exec, s[4:5]
	s_cbranch_vccnz .LBB22_102
; %bb.72:                               ;   in Loop: Header=BB22_32 Depth=1
	v_lshl_add_u32 v6, v51, 9, v49
	v_mov_b64_e32 v[4:5], 0
	s_mov_b32 s6, 0
.LBB22_73:                              ;   Parent Loop BB22_32 Depth=1
                                        ; =>  This Inner Loop Header: Depth=2
	ds_read2_b64 v[8:11], v6 offset1:4
	ds_read2_b64 v[40:43], v6 offset0:8 offset1:12
	ds_read2_b64 v[56:59], v6 offset0:16 offset1:20
	;; [unrolled: 1-line block ×3, first 2 shown]
	s_add_i32 s6, s6, 8
	s_waitcnt lgkmcnt(3)
	v_lshl_add_u64 v[4:5], v[8:9], 0, v[4:5]
	v_lshl_add_u64 v[4:5], v[10:11], 0, v[4:5]
	s_waitcnt lgkmcnt(2)
	v_lshl_add_u64 v[4:5], v[40:41], 0, v[4:5]
	v_lshl_add_u64 v[4:5], v[42:43], 0, v[4:5]
	;; [unrolled: 3-line block ×3, first 2 shown]
	s_waitcnt lgkmcnt(0)
	v_lshl_add_u64 v[4:5], v[60:61], 0, v[4:5]
	v_add_u32_e32 v6, 0x100, v6
	s_cmp_eq_u32 s80, s6
	v_lshl_add_u64 v[4:5], v[62:63], 0, v[4:5]
	s_cbranch_scc0 .LBB22_73
; %bb.74:                               ;   in Loop: Header=BB22_32 Depth=1
	s_mov_b32 s6, s80
	s_branch .LBB22_103
.LBB22_75:                              ;   in Loop: Header=BB22_32 Depth=1
	global_load_ushort v2, v3, s[14:15]
	s_mov_b32 s2, s99
	s_waitcnt vmcnt(0)
	v_readfirstlane_b32 s3, v2
	s_and_b32 s70, s3, 0xffff
	s_lshl_b32 s98, s70, 2
	s_mov_b32 s3, s61
	s_cmp_lg_u64 s[2:3], 0
	s_cbranch_scc0 .LBB22_98
; %bb.76:                               ;   in Loop: Header=BB22_32 Depth=1
	s_add_u32 s2, s98, 0
	s_addc_u32 s3, 0, 0
	s_xor_b64 s[2:3], s[2:3], 0
	v_cvt_f32_u32_e32 v2, s2
	v_cvt_f32_u32_e32 v4, s3
	s_sub_u32 s8, 0, s2
	s_subb_u32 s9, 0, s3
	v_fmac_f32_e32 v2, 0x4f800000, v4
	v_rcp_f32_e32 v2, v2
	s_nop 0
	v_mul_f32_e32 v2, 0x5f7ffffc, v2
	v_mul_f32_e32 v4, 0x2f800000, v2
	v_trunc_f32_e32 v4, v4
	v_fmac_f32_e32 v2, 0xcf800000, v4
	v_cvt_u32_f32_e32 v4, v4
	v_cvt_u32_f32_e32 v2, v2
	v_readfirstlane_b32 s12, v4
	v_readfirstlane_b32 s6, v2
	s_mul_i32 s7, s8, s12
	s_mul_hi_u32 s16, s8, s6
	s_mul_i32 s13, s9, s6
	s_add_i32 s7, s16, s7
	s_mul_i32 s17, s8, s6
	s_add_i32 s7, s7, s13
	s_mul_i32 s16, s6, s7
	s_mul_hi_u32 s18, s6, s17
	s_mul_hi_u32 s13, s6, s7
	s_add_u32 s16, s18, s16
	s_addc_u32 s13, 0, s13
	s_mul_hi_u32 s19, s12, s17
	s_mul_i32 s17, s12, s17
	s_add_u32 s16, s16, s17
	s_mul_hi_u32 s18, s12, s7
	s_addc_u32 s13, s13, s19
	s_addc_u32 s16, s18, 0
	s_mul_i32 s7, s12, s7
	s_add_u32 s7, s13, s7
	s_addc_u32 s13, 0, s16
	s_add_u32 s16, s6, s7
	s_cselect_b64 s[6:7], -1, 0
	s_cmp_lg_u64 s[6:7], 0
	s_addc_u32 s12, s12, s13
	s_mul_i32 s6, s8, s12
	s_mul_hi_u32 s7, s8, s16
	s_add_i32 s6, s7, s6
	s_mul_i32 s9, s9, s16
	s_add_i32 s6, s6, s9
	s_mul_i32 s8, s8, s16
	s_mul_hi_u32 s9, s12, s8
	s_mul_i32 s13, s12, s8
	s_mul_i32 s18, s16, s6
	s_mul_hi_u32 s8, s16, s8
	s_mul_hi_u32 s17, s16, s6
	s_add_u32 s8, s8, s18
	s_addc_u32 s17, 0, s17
	s_add_u32 s8, s8, s13
	s_mul_hi_u32 s7, s12, s6
	s_addc_u32 s8, s17, s9
	s_addc_u32 s7, s7, 0
	s_mul_i32 s6, s12, s6
	s_add_u32 s6, s8, s6
	s_addc_u32 s8, 0, s7
	s_add_u32 s13, s16, s6
	s_cselect_b64 s[6:7], -1, 0
	s_cmp_lg_u64 s[6:7], 0
	s_addc_u32 s12, s12, s8
	s_ashr_i32 s6, s61, 31
	s_add_u32 s8, s60, s6
	s_mov_b32 s7, s6
	s_addc_u32 s9, s61, s6
	s_xor_b64 s[8:9], s[8:9], s[6:7]
	s_mul_i32 s17, s8, s12
	s_mul_hi_u32 s18, s8, s13
	s_mul_hi_u32 s16, s8, s12
	s_add_u32 s17, s18, s17
	s_addc_u32 s16, 0, s16
	s_mul_hi_u32 s19, s9, s13
	s_mul_i32 s13, s9, s13
	s_add_u32 s13, s17, s13
	s_mul_hi_u32 s18, s9, s12
	s_addc_u32 s13, s16, s19
	s_addc_u32 s16, s18, 0
	s_mul_i32 s12, s9, s12
	s_add_u32 s12, s13, s12
	s_addc_u32 s13, 0, s16
	s_mul_i32 s13, s2, s13
	s_mul_hi_u32 s16, s2, s12
	s_add_i32 s13, s16, s13
	s_mul_i32 s16, s3, s12
	s_add_i32 s18, s13, s16
	s_sub_i32 s16, s9, s18
	s_mul_i32 s12, s2, s12
	s_sub_u32 s8, s8, s12
	s_cselect_b64 s[12:13], -1, 0
	s_cmp_lg_u64 s[12:13], 0
	s_subb_u32 s19, s16, s3
	s_sub_u32 s20, s8, s2
	s_cselect_b64 s[16:17], -1, 0
	s_cmp_lg_u64 s[16:17], 0
	s_subb_u32 s21, s19, 0
	s_cmp_ge_u32 s21, s3
	s_cselect_b32 s22, -1, 0
	s_cmp_ge_u32 s20, s2
	s_cselect_b32 s23, -1, 0
	s_cmp_eq_u32 s21, s3
	s_cselect_b32 s22, s23, s22
	s_cmp_lg_u64 s[16:17], 0
	s_subb_u32 s19, s19, s3
	s_sub_u32 s23, s20, s2
	s_cselect_b64 s[16:17], -1, 0
	s_cmp_lg_u64 s[16:17], 0
	s_subb_u32 s16, s19, 0
	s_cmp_lg_u32 s22, 0
	s_cselect_b32 s17, s23, s20
	s_cselect_b32 s16, s16, s21
	s_cmp_lg_u64 s[12:13], 0
	s_subb_u32 s9, s9, s18
	s_cmp_ge_u32 s9, s3
	s_cselect_b32 s12, -1, 0
	s_cmp_ge_u32 s8, s2
	s_cselect_b32 s2, -1, 0
	s_cmp_eq_u32 s9, s3
	s_cselect_b32 s2, s2, s12
	s_cmp_lg_u32 s2, 0
	s_cselect_b32 s3, s16, s9
	s_cselect_b32 s2, s17, s8
	s_xor_b64 s[2:3], s[2:3], s[6:7]
	s_sub_u32 s58, s2, s6
	s_subb_u32 s59, s3, s6
	s_cbranch_execnz .LBB22_78
.LBB22_77:                              ;   in Loop: Header=BB22_32 Depth=1
	v_cvt_f32_u32_e32 v2, s98
	s_sub_i32 s2, 0, s98
	s_mov_b32 s59, s99
	v_rcp_iflag_f32_e32 v2, v2
	s_nop 0
	v_mul_f32_e32 v2, 0x4f7ffffe, v2
	v_cvt_u32_f32_e32 v2, v2
	s_nop 0
	v_readfirstlane_b32 s3, v2
	s_mul_i32 s2, s2, s3
	s_mul_hi_u32 s2, s3, s2
	s_add_i32 s3, s3, s2
	s_mul_hi_u32 s2, s60, s3
	s_mul_i32 s2, s2, s98
	s_sub_i32 s2, s60, s2
	s_sub_i32 s3, s2, s98
	s_cmp_ge_u32 s2, s98
	s_cselect_b32 s2, s3, s2
	s_sub_i32 s3, s2, s98
	s_cmp_ge_u32 s2, s98
	s_cselect_b32 s58, s3, s2
.LBB22_78:                              ;   in Loop: Header=BB22_32 Depth=1
	s_sub_u32 s72, s60, s58
	s_subb_u32 s73, s61, s59
	s_mov_b32 s71, s99
	v_cmp_gt_i64_e32 vcc, s[72:73], v[14:15]
	v_mov_b64_e32 v[4:5], 0
	v_mov_b64_e32 v[6:7], 0
	;; [unrolled: 1-line block ×4, first 2 shown]
	s_and_saveexec_b64 s[74:75], vcc
	s_cbranch_execz .LBB22_82
; %bb.79:                               ;   in Loop: Header=BB22_32 Depth=1
	s_mul_i32 s2, s89, s70
	s_mul_hi_u32 s3, s88, s70
	s_mov_b32 s15, s77
	s_mov_b64 s[0:1], s[84:85]
	s_mov_b64 s[84:85], s[90:91]
	s_add_i32 s69, s3, s2
	s_mov_b64 s[12:13], 0
	s_mov_b64 s[4:5], s[96:97]
	;; [unrolled: 1-line block ×7, first 2 shown]
	v_mov_b64_e32 v[40:41], v[14:15]
.LBB22_80:                              ;   Parent Loop BB22_32 Depth=1
                                        ; =>  This Inner Loop Header: Depth=2
	v_lshl_add_u64 v[4:5], s[94:95], 0, v[30:31]
	v_lshl_add_u64 v[6:7], s[94:95], 0, v[28:29]
	;; [unrolled: 1-line block ×4, first 2 shown]
	global_load_dword v2, v[4:5], off
	s_nop 0
	global_load_dword v4, v[6:7], off
	global_load_dword v5, v[8:9], off
	s_nop 0
	global_load_dword v6, v[10:11], off
	s_mul_i32 s90, s88, s70
	v_lshl_add_u64 v[40:41], v[40:41], 0, s[98:99]
	v_cmp_le_i64_e32 vcc, s[72:73], v[40:41]
	s_waitcnt vmcnt(3)
	v_xor_b32_e32 v7, 0x80000000, v2
	v_bitop3_b32 v2, v2, v52, s78 bitop3:0x48
	s_waitcnt vmcnt(2)
	v_xor_b32_e32 v8, 0x80000000, v4
	v_bitop3_b32 v4, v4, v52, s78 bitop3:0x48
	v_cmp_eq_u32_e64 s[2:3], v2, v50
	v_bfe_u32 v2, v7, s79, 2
	s_waitcnt vmcnt(1)
	v_xor_b32_e32 v9, 0x80000000, v5
	v_bitop3_b32 v5, v5, v52, s78 bitop3:0x48
	v_cmp_eq_u32_e64 s[18:19], v4, v50
	v_bfe_u32 v4, v8, s79, 2
	v_cmp_eq_u32_e64 s[22:23], 0, v2
	s_waitcnt vmcnt(0)
	v_xor_b32_e32 v10, 0x80000000, v6
	v_bitop3_b32 v6, v6, v52, s78 bitop3:0x48
	v_cmp_eq_u32_e64 s[20:21], v5, v50
	v_bfe_u32 v5, v9, s79, 2
	v_cmp_eq_u32_e64 s[24:25], 0, v4
	s_and_b64 s[22:23], s[2:3], s[22:23]
	v_cmp_eq_u32_e64 s[16:17], v6, v50
	v_bfe_u32 v6, v10, s79, 2
	v_cmp_eq_u32_e64 s[26:27], 0, v5
	v_cmp_eq_u32_e64 s[30:31], 1, v2
	;; [unrolled: 1-line block ×4, first 2 shown]
	v_cndmask_b32_e64 v2, 0, 1, s[22:23]
	s_and_b64 s[22:23], s[18:19], s[24:25]
	v_cmp_eq_u32_e64 s[28:29], 0, v6
	v_cmp_eq_u32_e64 s[36:37], 1, v4
	;; [unrolled: 1-line block ×4, first 2 shown]
	v_cndmask_b32_e64 v4, 0, 1, s[22:23]
	s_and_b64 s[22:23], s[20:21], s[26:27]
	v_cmp_eq_u32_e64 s[38:39], 1, v5
	v_cmp_eq_u32_e64 s[46:47], 2, v5
	;; [unrolled: 1-line block ×3, first 2 shown]
	v_cndmask_b32_e64 v5, 0, 1, s[22:23]
	s_and_b64 s[22:23], s[16:17], s[28:29]
	v_cmp_eq_u32_e64 s[40:41], 1, v6
	v_cmp_eq_u32_e64 s[48:49], 2, v6
	;; [unrolled: 1-line block ×3, first 2 shown]
	v_cndmask_b32_e64 v6, 0, 1, s[22:23]
	v_cmp_ne_u32_e64 s[22:23], 0, v2
	v_cmp_ne_u32_e64 s[24:25], 0, v4
	v_cmp_ne_u32_e64 s[26:27], 0, v5
	v_cmp_ne_u32_e64 s[28:29], 0, v6
	s_bcnt1_i32_b64 s22, s[22:23]
	s_bcnt1_i32_b64 s23, s[24:25]
	s_bcnt1_i32_b64 s24, s[26:27]
	s_bcnt1_i32_b64 s25, s[28:29]
	s_add_u32 s22, s22, s96
	s_addc_u32 s26, 0, s97
	s_add_u32 s22, s22, s23
	s_addc_u32 s23, s26, 0
	s_add_u32 s22, s22, s24
	s_addc_u32 s23, s23, 0
	s_add_u32 s96, s22, s25
	s_addc_u32 s97, s23, 0
	s_and_b64 s[22:23], s[2:3], s[30:31]
	v_cndmask_b32_e64 v2, 0, 1, s[22:23]
	s_and_b64 s[22:23], s[18:19], s[36:37]
	v_cndmask_b32_e64 v6, 0, 1, s[22:23]
	s_and_b64 s[22:23], s[20:21], s[38:39]
	v_cndmask_b32_e64 v7, 0, 1, s[22:23]
	s_and_b64 s[22:23], s[16:17], s[40:41]
	v_cndmask_b32_e64 v8, 0, 1, s[22:23]
	v_cmp_ne_u32_e64 s[22:23], 0, v2
	v_cmp_ne_u32_e64 s[24:25], 0, v6
	v_cmp_ne_u32_e64 s[26:27], 0, v7
	v_cmp_ne_u32_e64 s[28:29], 0, v8
	s_bcnt1_i32_b64 s22, s[22:23]
	s_bcnt1_i32_b64 s23, s[24:25]
	s_bcnt1_i32_b64 s24, s[26:27]
	s_bcnt1_i32_b64 s25, s[28:29]
	s_add_u32 s6, s22, s6
	s_addc_u32 s7, 0, s7
	s_add_u32 s6, s6, s23
	s_addc_u32 s7, s7, 0
	s_add_u32 s6, s6, s24
	s_addc_u32 s7, s7, 0
	s_add_u32 s6, s6, s25
	s_addc_u32 s7, s7, 0
	s_and_b64 s[22:23], s[2:3], s[42:43]
	v_cndmask_b32_e64 v2, 0, 1, s[22:23]
	s_and_b64 s[22:23], s[18:19], s[44:45]
	v_cndmask_b32_e64 v8, 0, 1, s[22:23]
	s_and_b64 s[22:23], s[20:21], s[46:47]
	v_cndmask_b32_e64 v9, 0, 1, s[22:23]
	s_and_b64 s[22:23], s[16:17], s[48:49]
	;; [unrolled: 24-line block ×3, first 2 shown]
	v_cndmask_b32_e64 v35, 0, 1, s[2:3]
	v_cmp_ne_u32_e64 s[2:3], 0, v2
	v_cmp_ne_u32_e64 s[16:17], 0, v10
	;; [unrolled: 1-line block ×4, first 2 shown]
	s_bcnt1_i32_b64 s2, s[2:3]
	s_bcnt1_i32_b64 s3, s[16:17]
	;; [unrolled: 1-line block ×4, first 2 shown]
	s_add_u32 s2, s2, s8
	s_addc_u32 s8, 0, s9
	s_add_u32 s2, s2, s3
	s_addc_u32 s3, s8, 0
	;; [unrolled: 2-line block ×5, first 2 shown]
	v_mov_b64_e32 v[4:5], s[96:97]
	v_mov_b64_e32 v[6:7], s[6:7]
	;; [unrolled: 1-line block ×3, first 2 shown]
	s_or_b64 s[12:13], vcc, s[12:13]
	v_mov_b64_e32 v[10:11], s[8:9]
	s_andn2_b64 exec, exec, s[12:13]
	s_cbranch_execnz .LBB22_80
; %bb.81:                               ;   in Loop: Header=BB22_32 Depth=1
	s_or_b64 exec, exec, s[12:13]
	s_mov_b64 s[90:91], s[84:85]
	s_mov_b64 s[84:85], s[0:1]
	v_readlane_b32 s0, v65, 62
	s_mov_b32 s77, s15
	v_readlane_b32 s14, v64, 0
	s_mov_b64 s[96:97], s[4:5]
	v_readlane_b32 s1, v65, 63
	v_readlane_b32 s15, v64, 1
	;; [unrolled: 1-line block ×3, first 2 shown]
.LBB22_82:                              ;   in Loop: Header=BB22_32 Depth=1
	s_or_b64 exec, exec, s[74:75]
	v_lshl_add_u64 v[40:41], s[72:73], 0, v[0:1]
	v_cmp_gt_i64_e32 vcc, s[60:61], v[40:41]
	s_and_saveexec_b64 s[6:7], vcc
	s_cbranch_execz .LBB22_88
; %bb.83:                               ;   in Loop: Header=BB22_32 Depth=1
	v_mul_lo_u32 v2, v41, s66
	v_mul_lo_u32 v35, v40, s67
	v_mad_u64_u32 v[42:43], s[2:3], v40, s66, 0
	v_add3_u32 v43, v43, v35, v2
	v_lshl_add_u64 v[42:43], v[42:43], 2, s[96:97]
	global_load_dword v2, v[42:43], off
	v_lshl_add_u64 v[42:43], v[32:33], 0, s[70:71]
	v_readlane_b32 s2, v65, 60
	v_mov_b32_e32 v35, s59
	v_subrev_co_u32_e32 v36, vcc, s58, v42
	v_readlane_b32 s3, v65, 61
	s_nop 0
	v_subb_co_u32_e32 v35, vcc, v43, v35, vcc
	v_readlane_b32 s4, v65, 58
	v_mov_b64_e32 v[42:43], s[2:3]
	v_readlane_b32 s5, v65, 59
	v_mad_u64_u32 v[42:43], s[2:3], s4, v36, v[42:43]
	v_mul_lo_u32 v35, s4, v35
	v_mul_lo_u32 v53, s5, v36
	s_mul_i32 s2, s5, s70
	s_mul_hi_u32 s3, s4, s70
	v_add3_u32 v43, v53, v43, v35
	s_add_i32 s9, s3, s2
	s_mul_i32 s8, s4, s70
	s_mov_b64 s[12:13], 0
	s_branch .LBB22_85
.LBB22_84:                              ;   in Loop: Header=BB22_85 Depth=2
	s_or_b64 exec, exec, s[16:17]
	s_waitcnt vmcnt(0)
	v_xor_b32_e32 v36, 0x80000000, v2
	v_bitop3_b32 v2, v2, v52, s78 bitop3:0x48
	s_and_b64 s[2:3], exec, vcc
	v_cmp_eq_u32_e32 vcc, v2, v50
	v_bfe_u32 v2, v36, s79, 2
	s_or_b64 s[12:13], s[2:3], s[12:13]
	v_cmp_eq_u32_e64 s[2:3], 0, v2
	s_and_b64 s[2:3], vcc, s[2:3]
	v_lshl_add_u64 v[42:43], v[42:43], 0, s[8:9]
	v_cndmask_b32_e64 v36, 0, 1, s[2:3]
	v_cmp_ne_u32_e64 s[2:3], 0, v36
	s_bcnt1_i32_b64 s98, s[2:3]
	v_cmp_eq_u32_e64 s[2:3], 1, v2
	s_and_b64 s[2:3], vcc, s[2:3]
	v_lshl_add_u64 v[4:5], s[98:99], 0, v[4:5]
	v_cndmask_b32_e64 v36, 0, 1, s[2:3]
	v_cmp_ne_u32_e64 s[2:3], 0, v36
	s_bcnt1_i32_b64 s98, s[2:3]
	;; [unrolled: 6-line block ×3, first 2 shown]
	v_cmp_eq_u32_e64 s[2:3], 3, v2
	s_and_b64 s[2:3], vcc, s[2:3]
	v_lshl_add_u64 v[8:9], s[98:99], 0, v[8:9]
	v_cndmask_b32_e64 v2, 0, 1, s[2:3]
	v_cmp_ne_u32_e32 vcc, 0, v2
	s_bcnt1_i32_b64 s98, vcc
	v_lshl_add_u64 v[10:11], s[98:99], 0, v[10:11]
	v_mov_b32_e32 v2, v35
	s_andn2_b64 exec, exec, s[12:13]
	s_cbranch_execz .LBB22_87
.LBB22_85:                              ;   Parent Loop BB22_32 Depth=1
                                        ; =>  This Inner Loop Header: Depth=2
	v_lshl_add_u64 v[40:41], v[40:41], 0, s[70:71]
	v_cmp_gt_i64_e64 s[2:3], s[60:61], v[40:41]
	v_cmp_le_i64_e32 vcc, s[60:61], v[40:41]
	v_mov_b32_e32 v35, 0
	s_and_saveexec_b64 s[16:17], s[2:3]
	s_cbranch_execz .LBB22_84
; %bb.86:                               ;   in Loop: Header=BB22_85 Depth=2
	global_load_dword v35, v[42:43], off
	s_branch .LBB22_84
.LBB22_87:                              ;   in Loop: Header=BB22_32 Depth=1
	s_or_b64 exec, exec, s[12:13]
.LBB22_88:                              ;   in Loop: Header=BB22_32 Depth=1
	s_or_b64 exec, exec, s[6:7]
	s_branch .LBB22_67
.LBB22_89:                              ;   in Loop: Header=BB22_32 Depth=1
	global_load_ushort v2, v3, s[14:15]
	v_mov_b64_e32 v[8:9], 0
	s_waitcnt vmcnt(0)
	v_readfirstlane_b32 s2, v2
	s_and_b32 s2, 0xffff, s2
	s_lshl_b32 s58, s2, 2
	v_cvt_f32_u32_e32 v4, s58
	s_sub_i32 s3, 0, s58
	v_rcp_iflag_f32_e32 v6, v4
	v_mov_b64_e32 v[4:5], 0
	v_mul_f32_e32 v6, 0x4f7ffffe, v6
	v_cvt_u32_f32_e32 v10, v6
	v_mov_b64_e32 v[6:7], 0
	v_readfirstlane_b32 s6, v10
	s_mul_i32 s3, s3, s6
	s_mul_hi_u32 s3, s6, s3
	s_add_i32 s6, s6, s3
	s_mul_hi_u32 s3, s68, s6
	s_mul_i32 s6, s3, s58
	s_sub_i32 s6, s68, s6
	s_add_i32 s7, s3, 1
	s_sub_i32 s8, s6, s58
	s_cmp_ge_u32 s6, s58
	s_cselect_b32 s3, s7, s3
	s_cselect_b32 s6, s8, s6
	s_add_i32 s7, s3, 1
	s_cmp_ge_u32 s6, s58
	s_cselect_b32 s3, s7, s3
	s_mul_hi_u32 s7, s2, s3
	s_mul_i32 s6, s2, s3
	s_lshl_b64 s[8:9], s[6:7], 2
	v_cmp_gt_u64_e32 vcc, s[8:9], v[14:15]
	v_mov_b64_e32 v[10:11], 0
	s_and_saveexec_b64 s[12:13], vcc
	s_cbranch_execz .LBB22_93
; %bb.90:                               ;   in Loop: Header=BB22_32 Depth=1
	s_mov_b32 s59, s99
	s_mov_b32 s5, s77
	s_lshl_b32 s7, s2, 4
	s_mov_b64 s[70:71], 0
	v_mov_b32_e32 v35, v48
	s_mov_b64 s[72:73], 0
	s_mov_b64 s[74:75], 0
	;; [unrolled: 1-line block ×4, first 2 shown]
	v_mov_b64_e32 v[40:41], v[14:15]
.LBB22_91:                              ;   Parent Loop BB22_32 Depth=1
                                        ; =>  This Inner Loop Header: Depth=2
	ds_read_b128 v[4:7], v35
	v_lshl_add_u64 v[40:41], v[40:41], 0, s[58:59]
	v_cmp_le_u64_e32 vcc, s[8:9], v[40:41]
	v_add_u32_e32 v35, s7, v35
	s_waitcnt lgkmcnt(0)
	v_xor_b32_e32 v8, 0x80000000, v4
	v_bitop3_b32 v4, v4, v52, s78 bitop3:0x48
	v_xor_b32_e32 v9, 0x80000000, v5
	v_bitop3_b32 v5, v5, v52, s78 bitop3:0x48
	v_cmp_eq_u32_e64 s[22:23], v4, v50
	v_bfe_u32 v4, v8, s79, 2
	v_xor_b32_e32 v10, 0x80000000, v6
	v_bitop3_b32 v6, v6, v52, s78 bitop3:0x48
	v_cmp_eq_u32_e64 s[20:21], v5, v50
	v_bfe_u32 v5, v9, s79, 2
	v_cmp_eq_u32_e64 s[2:3], 0, v4
	v_xor_b32_e32 v11, 0x80000000, v7
	v_bitop3_b32 v7, v7, v52, s78 bitop3:0x48
	v_cmp_eq_u32_e64 s[18:19], v6, v50
	v_bfe_u32 v6, v10, s79, 2
	v_cmp_eq_u32_e64 s[36:37], 0, v5
	s_and_b64 s[2:3], s[22:23], s[2:3]
	v_cmp_eq_u32_e64 s[16:17], v7, v50
	v_bfe_u32 v7, v11, s79, 2
	v_cmp_eq_u32_e64 s[38:39], 0, v6
	v_cmp_eq_u32_e64 s[42:43], 1, v4
	;; [unrolled: 1-line block ×4, first 2 shown]
	v_cndmask_b32_e64 v4, 0, 1, s[2:3]
	s_and_b64 s[2:3], s[20:21], s[36:37]
	v_cmp_eq_u32_e64 s[40:41], 0, v7
	v_cmp_eq_u32_e64 s[44:45], 1, v5
	;; [unrolled: 1-line block ×4, first 2 shown]
	v_cndmask_b32_e64 v5, 0, 1, s[2:3]
	s_and_b64 s[2:3], s[18:19], s[38:39]
	v_cmp_eq_u32_e64 s[46:47], 1, v6
	v_cmp_eq_u32_e64 s[54:55], 2, v6
	;; [unrolled: 1-line block ×3, first 2 shown]
	v_cndmask_b32_e64 v6, 0, 1, s[2:3]
	s_and_b64 s[2:3], s[16:17], s[40:41]
	v_cmp_eq_u32_e64 s[48:49], 1, v7
	v_cmp_eq_u32_e64 s[56:57], 2, v7
	;; [unrolled: 1-line block ×3, first 2 shown]
	v_cndmask_b32_e64 v7, 0, 1, s[2:3]
	v_cmp_ne_u32_e64 s[2:3], 0, v4
	v_cmp_ne_u32_e64 s[36:37], 0, v5
	v_cmp_ne_u32_e64 s[38:39], 0, v6
	v_cmp_ne_u32_e64 s[40:41], 0, v7
	s_bcnt1_i32_b64 s2, s[2:3]
	s_bcnt1_i32_b64 s3, s[36:37]
	s_bcnt1_i32_b64 s36, s[38:39]
	s_bcnt1_i32_b64 s37, s[40:41]
	s_add_u32 s2, s2, s94
	s_addc_u32 s38, 0, s95
	s_add_u32 s2, s2, s3
	s_addc_u32 s3, s38, 0
	s_add_u32 s2, s2, s36
	s_addc_u32 s3, s3, 0
	s_add_u32 s94, s2, s37
	s_addc_u32 s95, s3, 0
	s_and_b64 s[2:3], s[22:23], s[42:43]
	v_cndmask_b32_e64 v6, 0, 1, s[2:3]
	s_and_b64 s[2:3], s[20:21], s[44:45]
	v_cndmask_b32_e64 v7, 0, 1, s[2:3]
	s_and_b64 s[2:3], s[18:19], s[46:47]
	v_cndmask_b32_e64 v8, 0, 1, s[2:3]
	s_and_b64 s[2:3], s[16:17], s[48:49]
	v_cndmask_b32_e64 v9, 0, 1, s[2:3]
	v_cmp_ne_u32_e64 s[2:3], 0, v6
	v_cmp_ne_u32_e64 s[36:37], 0, v7
	v_cmp_ne_u32_e64 s[38:39], 0, v8
	v_cmp_ne_u32_e64 s[40:41], 0, v9
	s_bcnt1_i32_b64 s2, s[2:3]
	s_bcnt1_i32_b64 s3, s[36:37]
	s_bcnt1_i32_b64 s36, s[38:39]
	s_bcnt1_i32_b64 s37, s[40:41]
	s_add_u32 s2, s2, s76
	s_addc_u32 s38, 0, s77
	s_add_u32 s2, s2, s3
	s_addc_u32 s3, s38, 0
	s_add_u32 s2, s2, s36
	s_addc_u32 s3, s3, 0
	s_add_u32 s76, s2, s37
	s_addc_u32 s77, s3, 0
	s_and_b64 s[2:3], s[22:23], s[50:51]
	v_cndmask_b32_e64 v8, 0, 1, s[2:3]
	s_and_b64 s[2:3], s[20:21], s[52:53]
	v_cndmask_b32_e64 v9, 0, 1, s[2:3]
	s_and_b64 s[2:3], s[18:19], s[54:55]
	v_cndmask_b32_e64 v10, 0, 1, s[2:3]
	s_and_b64 s[2:3], s[16:17], s[56:57]
	;; [unrolled: 24-line block ×3, first 2 shown]
	v_cndmask_b32_e64 v42, 0, 1, s[2:3]
	v_cmp_ne_u32_e64 s[2:3], 0, v10
	v_cmp_ne_u32_e64 s[16:17], 0, v11
	;; [unrolled: 1-line block ×4, first 2 shown]
	s_bcnt1_i32_b64 s2, s[2:3]
	s_bcnt1_i32_b64 s3, s[16:17]
	;; [unrolled: 1-line block ×4, first 2 shown]
	s_add_u32 s2, s2, s72
	s_addc_u32 s18, 0, s73
	s_add_u32 s2, s2, s3
	s_addc_u32 s3, s18, 0
	;; [unrolled: 2-line block ×4, first 2 shown]
	v_mov_b64_e32 v[4:5], s[94:95]
	v_mov_b64_e32 v[6:7], s[76:77]
	;; [unrolled: 1-line block ×3, first 2 shown]
	s_or_b64 s[70:71], vcc, s[70:71]
	v_mov_b64_e32 v[10:11], s[72:73]
	s_andn2_b64 exec, exec, s[70:71]
	s_cbranch_execnz .LBB22_91
; %bb.92:                               ;   in Loop: Header=BB22_32 Depth=1
	s_or_b64 exec, exec, s[70:71]
	v_readlane_b32 s0, v65, 62
	v_readlane_b32 s14, v64, 0
	;; [unrolled: 1-line block ×3, first 2 shown]
	s_mov_b32 s77, s5
	v_readlane_b32 s15, v64, 1
	v_readlane_b32 s94, v64, 2
.LBB22_93:                              ;   in Loop: Header=BB22_32 Depth=1
	s_or_b64 exec, exec, s[12:13]
	s_and_b32 s12, s68, 0x7fffffff
	s_mov_b32 s13, s99
	v_lshl_add_u64 v[40:41], s[8:9], 0, v[0:1]
	v_and_b32_e32 v2, 0xffff, v2
	v_cmp_gt_u64_e32 vcc, s[12:13], v[40:41]
	s_and_saveexec_b64 s[8:9], vcc
	s_cbranch_execz .LBB22_97
; %bb.94:                               ;   in Loop: Header=BB22_32 Depth=1
	v_lshl_add_u32 v35, s6, 4, v14
	s_mov_b64 s[6:7], 0
.LBB22_95:                              ;   Parent Loop BB22_32 Depth=1
                                        ; =>  This Inner Loop Header: Depth=2
	ds_read_b32 v36, v35
	v_lshl_add_u64 v[40:41], v[40:41], 0, v[2:3]
	v_cmp_le_u64_e32 vcc, s[12:13], v[40:41]
	v_add_u32_e32 v35, s58, v35
	s_waitcnt lgkmcnt(0)
	v_xor_b32_e32 v42, 0x80000000, v36
	v_bitop3_b32 v36, v36, v52, s78 bitop3:0x48
	v_cmp_eq_u32_e64 s[2:3], v36, v50
	v_bfe_u32 v36, v42, s79, 2
	v_cmp_eq_u32_e64 s[16:17], 0, v36
	v_cmp_eq_u32_e64 s[18:19], 1, v36
	s_and_b64 s[16:17], s[2:3], s[16:17]
	v_cmp_eq_u32_e64 s[20:21], 2, v36
	v_cmp_eq_u32_e64 s[22:23], 3, v36
	v_cndmask_b32_e64 v36, 0, 1, s[16:17]
	s_and_b64 s[16:17], s[2:3], s[18:19]
	v_cndmask_b32_e64 v42, 0, 1, s[16:17]
	s_and_b64 s[16:17], s[2:3], s[20:21]
	s_and_b64 s[2:3], s[2:3], s[22:23]
	v_cndmask_b32_e64 v53, 0, 1, s[2:3]
	v_cmp_ne_u32_e64 s[2:3], 0, v36
	v_cndmask_b32_e64 v43, 0, 1, s[16:17]
	v_cmp_ne_u32_e64 s[16:17], 0, v42
	s_bcnt1_i32_b64 s98, s[2:3]
	v_cmp_ne_u32_e64 s[18:19], 0, v43
	v_lshl_add_u64 v[4:5], s[98:99], 0, v[4:5]
	s_bcnt1_i32_b64 s98, s[16:17]
	v_cmp_ne_u32_e64 s[20:21], 0, v53
	v_lshl_add_u64 v[6:7], s[98:99], 0, v[6:7]
	s_bcnt1_i32_b64 s98, s[18:19]
	v_lshl_add_u64 v[8:9], s[98:99], 0, v[8:9]
	s_bcnt1_i32_b64 s98, s[20:21]
	s_or_b64 s[6:7], vcc, s[6:7]
	v_lshl_add_u64 v[10:11], s[98:99], 0, v[10:11]
	s_andn2_b64 exec, exec, s[6:7]
	s_cbranch_execnz .LBB22_95
; %bb.96:                               ;   in Loop: Header=BB22_32 Depth=1
	s_or_b64 exec, exec, s[6:7]
.LBB22_97:                              ;   in Loop: Header=BB22_32 Depth=1
	s_or_b64 exec, exec, s[8:9]
	v_lshlrev_b32_e32 v2, 6, v51
	s_and_saveexec_b64 s[2:3], s[0:1]
	s_cbranch_execnz .LBB22_68
	s_branch .LBB22_69
.LBB22_98:                              ;   in Loop: Header=BB22_32 Depth=1
                                        ; implicit-def: $sgpr58_sgpr59
	s_branch .LBB22_77
.LBB22_99:                              ;   in Loop: Header=BB22_32 Depth=1
	s_or_b64 exec, exec, s[8:9]
	s_waitcnt lgkmcnt(0)
	s_barrier
	s_mov_b64 s[2:3], exec
	v_readlane_b32 s8, v65, 32
	v_readlane_b32 s9, v65, 33
	s_and_b64 s[8:9], s[2:3], s[8:9]
	s_mov_b64 exec, s[8:9]
	s_cbranch_execz .LBB22_101
; %bb.100:                              ;   in Loop: Header=BB22_32 Depth=1
	ds_read_b32 v4, v3 offset:5136
	s_waitcnt lgkmcnt(0)
	v_ashrrev_i32_e32 v5, 31, v4
	ds_write_b64 v3, v[4:5] offset:5120
.LBB22_101:                             ;   in Loop: Header=BB22_32 Depth=1
	s_or_b64 exec, exec, s[2:3]
	s_waitcnt lgkmcnt(0)
	s_barrier
	s_mov_b64 s[2:3], -1
	s_and_b64 vcc, exec, s[6:7]
	s_cbranch_vccnz .LBB22_48
	s_branch .LBB22_63
.LBB22_102:                             ;   in Loop: Header=BB22_32 Depth=1
	s_mov_b32 s6, 0
	v_mov_b64_e32 v[4:5], 0
.LBB22_103:                             ;   in Loop: Header=BB22_32 Depth=1
	v_readlane_b32 s4, v65, 56
	v_readlane_b32 s5, v65, 57
	s_andn2_b64 vcc, exec, s[4:5]
	s_cbranch_vccnz .LBB22_106
; %bb.104:                              ;   in Loop: Header=BB22_32 Depth=1
	v_lshlrev_b32_e32 v6, 9, v51
	s_lshl_b32 s6, s6, 5
	v_add_u32_e32 v6, s6, v6
	v_add_u32_e32 v6, v49, v6
	v_readlane_b32 s6, v65, 55
.LBB22_105:                             ;   Parent Loop BB22_32 Depth=1
                                        ; =>  This Inner Loop Header: Depth=2
	ds_read_b64 v[8:9], v6
	s_add_i32 s6, s6, -1
	v_add_u32_e32 v6, 32, v6
	s_cmp_lg_u32 s6, 0
	s_waitcnt lgkmcnt(0)
	v_lshl_add_u64 v[4:5], v[8:9], 0, v[4:5]
	s_cbranch_scc1 .LBB22_105
.LBB22_106:                             ;   in Loop: Header=BB22_32 Depth=1
	v_add_lshl_u32 v6, v2, v44, 3
	ds_write_b64 v6, v[4:5] offset:3072
.LBB22_107:                             ;   in Loop: Header=BB22_32 Depth=1
	s_or_b64 exec, exec, s[2:3]
	v_lshlrev_b32_e32 v2, 3, v2
	s_waitcnt lgkmcnt(0)
	s_barrier
	ds_read_b128 v[8:11], v2 offset:3088
	ds_read_b128 v[4:7], v2 offset:3072
	s_lshl_b32 s68, 3, s79
	v_cmp_eq_u64_e64 s[2:3], 1, v[38:39]
	s_not_b32 s54, s68
	s_waitcnt lgkmcnt(1)
	v_readfirstlane_b32 s24, v8
	s_waitcnt lgkmcnt(0)
	v_cmp_eq_u64_e32 vcc, 1, v[4:5]
	v_readfirstlane_b32 s25, v9
	v_readfirstlane_b32 s16, v10
	;; [unrolled: 1-line block ×3, first 2 shown]
	s_and_b64 s[20:21], vcc, s[2:3]
	s_mov_b64 s[2:3], -1
	s_mov_b64 s[12:13], -1
                                        ; implicit-def: $sgpr8_sgpr9
                                        ; implicit-def: $sgpr6_sgpr7
	s_and_saveexec_b64 s[18:19], s[20:21]
	s_cbranch_execz .LBB22_139
; %bb.108:                              ;   in Loop: Header=BB22_32 Depth=1
	ds_read_b64 v[8:9], v3 offset:5120
	v_readlane_b32 s4, v65, 36
	v_readlane_b32 s5, v65, 37
	s_waitcnt lgkmcnt(0)
	s_barrier
	v_readfirstlane_b32 s22, v8
	v_readfirstlane_b32 s23, v9
	s_and_saveexec_b64 s[6:7], s[4:5]
; %bb.109:                              ;   in Loop: Header=BB22_32 Depth=1
	ds_write_b32 v45, v3
; %bb.110:                              ;   in Loop: Header=BB22_32 Depth=1
	s_or_b64 exec, exec, s[6:7]
	v_cmp_lt_i64_e64 s[12:13], s[22:23], 1
	v_and_b32_e32 v50, s54, v50
	v_or_b32_e32 v52, s68, v52
	s_mov_b64 s[6:7], -1
	s_mov_b64 s[8:9], 0
	s_and_b64 vcc, exec, s[12:13]
	s_mov_b64 s[12:13], 0
	s_mov_b64 s[26:27], -1
	s_waitcnt lgkmcnt(0)
	s_barrier
                                        ; implicit-def: $vgpr37
	s_cbranch_vccz .LBB22_124
; %bb.111:                              ;   in Loop: Header=BB22_32 Depth=1
	s_mov_b32 s76, s99
	s_cmp_lg_u64 s[76:77], 0
	s_cbranch_scc0 .LBB22_165
; %bb.112:                              ;   in Loop: Header=BB22_32 Depth=1
	s_add_u32 s12, s92, 0
	s_addc_u32 s13, 0, 0
	s_xor_b64 s[12:13], s[12:13], 0
	v_cvt_f32_u32_e32 v2, s12
	v_cvt_f32_u32_e32 v8, s13
	s_sub_u32 s28, 0, s12
	s_subb_u32 s29, 0, s13
	v_readlane_b32 s4, v65, 47
	v_fmac_f32_e32 v2, 0x4f800000, v8
	v_rcp_f32_e32 v2, v2
	s_nop 0
	v_mul_f32_e32 v2, 0x5f7ffffc, v2
	v_mul_f32_e32 v8, 0x2f800000, v2
	v_trunc_f32_e32 v8, v8
	v_fmac_f32_e32 v2, 0xcf800000, v8
	v_cvt_u32_f32_e32 v8, v8
	v_cvt_u32_f32_e32 v2, v2
	v_readfirstlane_b32 s30, v8
	v_readfirstlane_b32 s26, v2
	s_mul_i32 s27, s28, s30
	s_mul_hi_u32 s36, s28, s26
	s_mul_i32 s31, s29, s26
	s_add_i32 s27, s36, s27
	s_mul_i32 s37, s28, s26
	s_add_i32 s27, s27, s31
	s_mul_i32 s36, s26, s27
	s_mul_hi_u32 s38, s26, s37
	s_mul_hi_u32 s31, s26, s27
	s_add_u32 s36, s38, s36
	s_addc_u32 s31, 0, s31
	s_mul_hi_u32 s39, s30, s37
	s_mul_i32 s37, s30, s37
	s_add_u32 s36, s36, s37
	s_mul_hi_u32 s38, s30, s27
	s_addc_u32 s31, s31, s39
	s_addc_u32 s36, s38, 0
	s_mul_i32 s27, s30, s27
	s_add_u32 s27, s31, s27
	s_addc_u32 s31, 0, s36
	s_add_u32 s36, s26, s27
	s_cselect_b64 s[26:27], -1, 0
	s_cmp_lg_u64 s[26:27], 0
	s_addc_u32 s30, s30, s31
	s_mul_i32 s26, s28, s30
	s_mul_hi_u32 s27, s28, s36
	s_add_i32 s26, s27, s26
	s_mul_i32 s29, s29, s36
	s_add_i32 s26, s26, s29
	s_mul_i32 s28, s28, s36
	s_mul_hi_u32 s29, s30, s28
	s_mul_i32 s31, s30, s28
	s_mul_i32 s38, s36, s26
	s_mul_hi_u32 s28, s36, s28
	s_mul_hi_u32 s37, s36, s26
	s_add_u32 s28, s28, s38
	s_addc_u32 s37, 0, s37
	s_add_u32 s28, s28, s31
	s_mul_hi_u32 s27, s30, s26
	s_addc_u32 s28, s37, s29
	s_addc_u32 s27, s27, 0
	s_mul_i32 s26, s30, s26
	s_add_u32 s26, s28, s26
	s_addc_u32 s28, 0, s27
	s_add_u32 s31, s36, s26
	s_cselect_b64 s[26:27], -1, 0
	s_cmp_lg_u64 s[26:27], 0
	s_addc_u32 s30, s30, s28
	s_ashr_i32 s26, s77, 31
	s_add_u32 s28, s4, s26
	s_mov_b32 s27, s26
	s_addc_u32 s29, s77, s26
	s_xor_b64 s[28:29], s[28:29], s[26:27]
	s_mul_i32 s37, s28, s30
	s_mul_hi_u32 s38, s28, s31
	s_mul_hi_u32 s36, s28, s30
	s_add_u32 s37, s38, s37
	s_addc_u32 s36, 0, s36
	s_mul_hi_u32 s39, s29, s31
	s_mul_i32 s31, s29, s31
	s_add_u32 s31, s37, s31
	s_mul_hi_u32 s38, s29, s30
	s_addc_u32 s31, s36, s39
	s_addc_u32 s36, s38, 0
	s_mul_i32 s30, s29, s30
	s_add_u32 s30, s31, s30
	s_addc_u32 s31, 0, s36
	s_mul_i32 s31, s12, s31
	s_mul_hi_u32 s36, s12, s30
	s_add_i32 s31, s36, s31
	s_mul_i32 s36, s13, s30
	s_add_i32 s38, s31, s36
	s_sub_i32 s36, s29, s38
	s_mul_i32 s30, s12, s30
	s_sub_u32 s28, s28, s30
	s_cselect_b64 s[30:31], -1, 0
	s_cmp_lg_u64 s[30:31], 0
	s_subb_u32 s39, s36, s13
	s_sub_u32 s40, s28, s12
	s_cselect_b64 s[36:37], -1, 0
	s_cmp_lg_u64 s[36:37], 0
	s_subb_u32 s41, s39, 0
	s_cmp_ge_u32 s41, s13
	s_cselect_b32 s42, -1, 0
	s_cmp_ge_u32 s40, s12
	s_cselect_b32 s43, -1, 0
	s_cmp_eq_u32 s41, s13
	s_cselect_b32 s42, s43, s42
	s_cmp_lg_u64 s[36:37], 0
	s_subb_u32 s39, s39, s13
	s_sub_u32 s43, s40, s12
	s_cselect_b64 s[36:37], -1, 0
	s_cmp_lg_u64 s[36:37], 0
	s_subb_u32 s36, s39, 0
	s_cmp_lg_u32 s42, 0
	s_cselect_b32 s37, s43, s40
	s_cselect_b32 s36, s36, s41
	s_cmp_lg_u64 s[30:31], 0
	s_subb_u32 s29, s29, s38
	s_cmp_ge_u32 s29, s13
	s_cselect_b32 s30, -1, 0
	s_cmp_ge_u32 s28, s12
	s_cselect_b32 s12, -1, 0
	s_cmp_eq_u32 s29, s13
	s_cselect_b32 s12, s12, s30
	s_cmp_lg_u32 s12, 0
	s_cselect_b32 s13, s36, s29
	s_cselect_b32 s12, s37, s28
	s_xor_b64 s[12:13], s[12:13], s[26:27]
	s_sub_u32 s12, s12, s26
	s_subb_u32 s13, s13, s26
	s_cbranch_execnz .LBB22_114
.LBB22_113:                             ;   in Loop: Header=BB22_32 Depth=1
	v_cvt_f32_u32_e32 v2, s92
	s_sub_i32 s12, 0, s92
	v_readlane_b32 s4, v65, 47
	v_rcp_iflag_f32_e32 v2, v2
	s_nop 0
	v_mul_f32_e32 v2, 0x4f7ffffe, v2
	v_cvt_u32_f32_e32 v2, v2
	s_nop 0
	v_readfirstlane_b32 s13, v2
	s_mul_i32 s12, s12, s13
	s_mul_hi_u32 s12, s13, s12
	s_add_i32 s13, s13, s12
	s_mul_hi_u32 s12, s4, s13
	s_mul_i32 s12, s12, s92
	s_sub_i32 s12, s4, s12
	s_sub_i32 s13, s12, s92
	s_cmp_ge_u32 s12, s92
	s_cselect_b32 s12, s13, s12
	s_sub_i32 s13, s12, s92
	s_cmp_ge_u32 s12, s92
	s_cselect_b32 s98, s13, s12
	s_mov_b64 s[12:13], s[98:99]
.LBB22_114:                             ;   in Loop: Header=BB22_32 Depth=1
	v_readlane_b32 s4, v65, 47
	s_sub_u32 s30, s4, s12
	s_subb_u32 s31, s77, s13
	v_cmp_gt_i64_e32 vcc, s[30:31], v[0:1]
	s_mov_b64 s[26:27], 0
	s_mov_b64 s[12:13], 0
                                        ; implicit-def: $vgpr37
	s_and_saveexec_b64 s[28:29], vcc
	s_cbranch_execz .LBB22_123
; %bb.115:                              ;   in Loop: Header=BB22_32 Depth=1
	v_mov_b64_e32 v[8:9], v[12:13]
	v_mov_b64_e32 v[10:11], v[0:1]
                                        ; implicit-def: $sgpr36_sgpr37
	s_branch .LBB22_118
.LBB22_116:                             ;   in Loop: Header=BB22_118 Depth=2
	s_or_b64 exec, exec, s[38:39]
	s_waitcnt lgkmcnt(0)
	s_barrier
	ds_read_b64 v[36:37], v3 offset:3072
	s_mov_b64 s[38:39], -1
	s_mov_b64 s[40:41], -1
	s_waitcnt lgkmcnt(0)
	s_barrier
	v_cmp_ne_u32_e32 vcc, 0, v36
	s_cbranch_vccz .LBB22_121
.LBB22_117:                             ;   in Loop: Header=BB22_118 Depth=2
	s_and_b64 s[38:39], exec, s[38:39]
	s_or_b64 s[12:13], s[38:39], s[12:13]
	s_andn2_b64 s[36:37], s[36:37], exec
	s_and_b64 s[38:39], s[40:41], exec
	s_or_b64 s[36:37], s[36:37], s[38:39]
	s_andn2_b64 exec, exec, s[12:13]
	s_cbranch_execz .LBB22_122
.LBB22_118:                             ;   Parent Loop BB22_32 Depth=1
                                        ; =>  This Inner Loop Header: Depth=2
	v_cmp_gt_i64_e32 vcc, s[60:61], v[10:11]
	s_and_saveexec_b64 s[38:39], vcc
	s_cbranch_execz .LBB22_116
; %bb.119:                              ;   in Loop: Header=BB22_118 Depth=2
	global_load_dword v35, v[8:9], off
	s_waitcnt vmcnt(0)
	v_bitop3_b32 v2, v35, v52, s78 bitop3:0x48
	v_cmp_eq_u32_e32 vcc, v2, v50
	s_and_b64 exec, exec, vcc
	s_cbranch_execz .LBB22_116
; %bb.120:                              ;   in Loop: Header=BB22_118 Depth=2
	ds_write_b64 v3, v[34:35] offset:3072
	s_branch .LBB22_116
.LBB22_121:                             ;   in Loop: Header=BB22_118 Depth=2
	v_lshl_add_u64 v[10:11], v[10:11], 0, s[92:93]
	v_cmp_le_i64_e32 vcc, s[30:31], v[10:11]
	v_lshl_add_u64 v[8:9], v[8:9], 0, s[90:91]
	s_mov_b64 s[40:41], 0
	s_orn2_b64 s[38:39], vcc, exec
	s_branch .LBB22_117
.LBB22_122:                             ;   in Loop: Header=BB22_32 Depth=1
	s_or_b64 exec, exec, s[12:13]
	s_and_b64 s[12:13], s[36:37], exec
.LBB22_123:                             ;   in Loop: Header=BB22_32 Depth=1
	s_or_b64 exec, exec, s[28:29]
.LBB22_124:                             ;   in Loop: Header=BB22_32 Depth=1
	s_and_b64 vcc, exec, s[26:27]
	s_cbranch_vccz .LBB22_138
; %bb.125:                              ;   in Loop: Header=BB22_32 Depth=1
	v_readlane_b32 s4, v65, 46
	s_add_u32 s28, s22, s4
	v_readlane_b32 s4, v65, 48
	s_addc_u32 s7, s23, s4
	s_mov_b32 s6, s99
	s_cmp_lg_u64 s[6:7], 0
	s_cbranch_scc0 .LBB22_166
; %bb.126:                              ;   in Loop: Header=BB22_32 Depth=1
	s_add_u32 s8, s92, 0
	s_addc_u32 s9, 0, 0
	s_xor_b64 s[8:9], s[8:9], 0
	v_cvt_f32_u32_e32 v2, s8
	v_cvt_f32_u32_e32 v8, s9
	s_sub_u32 s6, 0, s8
	s_subb_u32 s29, 0, s9
	v_fmac_f32_e32 v2, 0x4f800000, v8
	v_rcp_f32_e32 v2, v2
	s_nop 0
	v_mul_f32_e32 v2, 0x5f7ffffc, v2
	v_mul_f32_e32 v8, 0x2f800000, v2
	v_trunc_f32_e32 v8, v8
	v_fmac_f32_e32 v2, 0xcf800000, v8
	v_cvt_u32_f32_e32 v8, v8
	v_cvt_u32_f32_e32 v2, v2
	v_readfirstlane_b32 s30, v8
	v_readfirstlane_b32 s26, v2
	s_mul_i32 s27, s6, s30
	s_mul_hi_u32 s36, s6, s26
	s_mul_i32 s31, s29, s26
	s_add_i32 s27, s36, s27
	s_mul_i32 s37, s6, s26
	s_add_i32 s27, s27, s31
	s_mul_i32 s36, s26, s27
	s_mul_hi_u32 s38, s26, s37
	s_mul_hi_u32 s31, s26, s27
	s_add_u32 s36, s38, s36
	s_addc_u32 s31, 0, s31
	s_mul_hi_u32 s39, s30, s37
	s_mul_i32 s37, s30, s37
	s_add_u32 s36, s36, s37
	s_mul_hi_u32 s38, s30, s27
	s_addc_u32 s31, s31, s39
	s_addc_u32 s36, s38, 0
	s_mul_i32 s27, s30, s27
	s_add_u32 s27, s31, s27
	s_addc_u32 s31, 0, s36
	s_add_u32 s36, s26, s27
	s_cselect_b64 s[26:27], -1, 0
	s_cmp_lg_u64 s[26:27], 0
	s_addc_u32 s30, s30, s31
	s_mul_i32 s26, s6, s30
	s_mul_hi_u32 s27, s6, s36
	s_add_i32 s26, s27, s26
	s_mul_i32 s29, s29, s36
	s_add_i32 s26, s26, s29
	s_mul_i32 s6, s6, s36
	s_mul_hi_u32 s29, s30, s6
	s_mul_i32 s31, s30, s6
	s_mul_i32 s38, s36, s26
	s_mul_hi_u32 s6, s36, s6
	s_mul_hi_u32 s37, s36, s26
	s_add_u32 s6, s6, s38
	s_addc_u32 s37, 0, s37
	s_add_u32 s6, s6, s31
	s_mul_hi_u32 s27, s30, s26
	s_addc_u32 s6, s37, s29
	s_addc_u32 s27, s27, 0
	s_mul_i32 s26, s30, s26
	s_add_u32 s6, s6, s26
	s_addc_u32 s29, 0, s27
	s_add_u32 s6, s36, s6
	s_cselect_b64 s[26:27], -1, 0
	s_cmp_lg_u64 s[26:27], 0
	s_addc_u32 s29, s30, s29
	s_ashr_i32 s26, s7, 31
	s_add_u32 s30, s28, s26
	s_mov_b32 s27, s26
	s_addc_u32 s31, s7, s26
	s_xor_b64 s[30:31], s[30:31], s[26:27]
	s_mul_i32 s37, s30, s29
	s_mul_hi_u32 s38, s30, s6
	s_mul_hi_u32 s36, s30, s29
	s_add_u32 s37, s38, s37
	s_addc_u32 s36, 0, s36
	s_mul_hi_u32 s39, s31, s6
	s_mul_i32 s6, s31, s6
	s_add_u32 s6, s37, s6
	s_mul_hi_u32 s38, s31, s29
	s_addc_u32 s6, s36, s39
	s_addc_u32 s36, s38, 0
	s_mul_i32 s29, s31, s29
	s_add_u32 s6, s6, s29
	s_addc_u32 s29, 0, s36
	s_mul_i32 s29, s8, s29
	s_mul_hi_u32 s36, s8, s6
	s_add_i32 s29, s36, s29
	s_mul_i32 s36, s9, s6
	s_add_i32 s29, s29, s36
	s_sub_i32 s38, s31, s29
	s_mul_i32 s6, s8, s6
	s_sub_u32 s6, s30, s6
	s_cselect_b64 s[36:37], -1, 0
	s_cmp_lg_u64 s[36:37], 0
	s_subb_u32 s30, s38, s9
	s_sub_u32 s40, s6, s8
	s_cselect_b64 s[38:39], -1, 0
	s_cmp_lg_u64 s[38:39], 0
	s_subb_u32 s41, s30, 0
	s_cmp_ge_u32 s41, s9
	s_cselect_b32 s42, -1, 0
	s_cmp_ge_u32 s40, s8
	s_cselect_b32 s43, -1, 0
	s_cmp_eq_u32 s41, s9
	s_cselect_b32 s42, s43, s42
	s_cmp_lg_u64 s[38:39], 0
	s_subb_u32 s30, s30, s9
	s_sub_u32 s43, s40, s8
	s_cselect_b64 s[38:39], -1, 0
	s_cmp_lg_u64 s[38:39], 0
	s_subb_u32 s30, s30, 0
	s_cmp_lg_u32 s42, 0
	s_cselect_b32 s38, s43, s40
	s_cselect_b32 s30, s30, s41
	s_cmp_lg_u64 s[36:37], 0
	s_subb_u32 s29, s31, s29
	s_cmp_ge_u32 s29, s9
	s_cselect_b32 s31, -1, 0
	s_cmp_ge_u32 s6, s8
	s_cselect_b32 s8, -1, 0
	s_cmp_eq_u32 s29, s9
	s_cselect_b32 s8, s8, s31
	s_cmp_lg_u32 s8, 0
	s_cselect_b32 s9, s30, s29
	s_cselect_b32 s8, s38, s6
	s_xor_b64 s[8:9], s[8:9], s[26:27]
	s_sub_u32 s8, s8, s26
	s_subb_u32 s9, s9, s26
	s_cbranch_execnz .LBB22_128
.LBB22_127:                             ;   in Loop: Header=BB22_32 Depth=1
	v_cvt_f32_u32_e32 v2, s92
	s_sub_i32 s6, 0, s92
	v_rcp_iflag_f32_e32 v2, v2
	s_nop 0
	v_mul_f32_e32 v2, 0x4f7ffffe, v2
	v_cvt_u32_f32_e32 v2, v2
	s_nop 0
	v_readfirstlane_b32 s8, v2
	s_mul_i32 s6, s6, s8
	s_mul_hi_u32 s6, s8, s6
	s_add_i32 s8, s8, s6
	s_mul_hi_u32 s6, s28, s8
	s_mul_i32 s6, s6, s92
	s_sub_i32 s6, s28, s6
	s_sub_i32 s8, s6, s92
	s_cmp_ge_u32 s6, s92
	s_cselect_b32 s6, s8, s6
	s_sub_i32 s8, s6, s92
	s_cmp_ge_u32 s6, s92
	s_cselect_b32 s98, s8, s6
	s_mov_b64 s[8:9], s[98:99]
.LBB22_128:                             ;   in Loop: Header=BB22_32 Depth=1
	s_sub_u32 s8, s28, s8
	s_subb_u32 s9, s7, s9
	v_cmp_gt_i64_e32 vcc, s[8:9], v[0:1]
                                        ; implicit-def: $vgpr37
	s_and_saveexec_b64 s[6:7], vcc
	s_cbranch_execz .LBB22_137
; %bb.129:                              ;   in Loop: Header=BB22_32 Depth=1
	s_mov_b64 s[26:27], 0
	v_mov_b32_e32 v2, v14
	v_mov_b64_e32 v[8:9], v[0:1]
                                        ; implicit-def: $sgpr28_sgpr29
	s_branch .LBB22_132
.LBB22_130:                             ;   in Loop: Header=BB22_132 Depth=2
	s_or_b64 exec, exec, s[30:31]
	s_waitcnt lgkmcnt(0)
	s_barrier
	ds_read_b64 v[36:37], v3 offset:3072
	s_mov_b64 s[30:31], -1
	s_mov_b64 s[36:37], -1
	s_waitcnt lgkmcnt(0)
	s_barrier
	v_cmp_ne_u32_e32 vcc, 0, v36
	s_cbranch_vccz .LBB22_135
.LBB22_131:                             ;   in Loop: Header=BB22_132 Depth=2
	s_and_b64 s[30:31], exec, s[30:31]
	s_or_b64 s[26:27], s[30:31], s[26:27]
	s_andn2_b64 s[28:29], s[28:29], exec
	s_and_b64 s[30:31], s[36:37], exec
	s_or_b64 s[28:29], s[28:29], s[30:31]
	s_andn2_b64 exec, exec, s[26:27]
	s_cbranch_execz .LBB22_136
.LBB22_132:                             ;   Parent Loop BB22_32 Depth=1
                                        ; =>  This Inner Loop Header: Depth=2
	v_cmp_gt_u64_e32 vcc, s[22:23], v[8:9]
	s_and_saveexec_b64 s[30:31], vcc
	s_cbranch_execz .LBB22_130
; %bb.133:                              ;   in Loop: Header=BB22_132 Depth=2
	ds_read_b32 v35, v2
	s_waitcnt lgkmcnt(0)
	v_bitop3_b32 v10, v35, v52, s78 bitop3:0x48
	v_cmp_eq_u32_e32 vcc, v10, v50
	s_and_b64 exec, exec, vcc
	s_cbranch_execz .LBB22_130
; %bb.134:                              ;   in Loop: Header=BB22_132 Depth=2
	ds_write_b64 v3, v[34:35] offset:3072
	s_branch .LBB22_130
.LBB22_135:                             ;   in Loop: Header=BB22_132 Depth=2
	v_lshl_add_u64 v[8:9], v[8:9], 0, s[92:93]
	v_cmp_le_i64_e32 vcc, s[8:9], v[8:9]
	v_add_u32_e32 v2, s81, v2
	s_mov_b64 s[36:37], 0
	s_orn2_b64 s[30:31], vcc, exec
	s_branch .LBB22_131
.LBB22_136:                             ;   in Loop: Header=BB22_32 Depth=1
	s_or_b64 exec, exec, s[26:27]
	s_andn2_b64 s[8:9], s[12:13], exec
	s_and_b64 s[12:13], s[28:29], exec
	s_or_b64 s[12:13], s[8:9], s[12:13]
.LBB22_137:                             ;   in Loop: Header=BB22_32 Depth=1
	s_or_b64 exec, exec, s[6:7]
	s_mov_b64 s[6:7], 0
	s_mov_b64 s[8:9], -1
.LBB22_138:                             ;   in Loop: Header=BB22_32 Depth=1
	s_orn2_b64 s[12:13], s[12:13], exec
.LBB22_139:                             ;   in Loop: Header=BB22_32 Depth=1
	s_or_b64 exec, exec, s[18:19]
	s_andn2_b64 s[18:19], s[62:63], exec
	s_and_b64 s[8:9], s[8:9], exec
	s_andn2_b64 s[74:75], s[34:35], exec
	s_or_b64 s[34:35], s[18:19], s[8:9]
	s_andn2_b64 s[8:9], s[82:83], exec
	s_and_b64 s[6:7], s[6:7], exec
	s_or_b64 s[82:83], s[8:9], s[6:7]
                                        ; implicit-def: $vgpr8_vgpr9
	s_and_saveexec_b64 s[18:19], s[12:13]
	s_cbranch_execz .LBB22_31
; %bb.140:                              ;   in Loop: Header=BB22_32 Depth=1
	s_xor_b64 s[6:7], s[20:21], -1
	v_mov_b32_e32 v2, 1
	s_mov_b64 s[8:9], 0
	v_mov_b64_e32 v[8:9], 1
	s_and_saveexec_b64 s[2:3], s[6:7]
	s_cbranch_execz .LBB22_149
; %bb.141:                              ;   in Loop: Header=BB22_32 Depth=1
	v_cmp_le_i64_e32 vcc, v[38:39], v[4:5]
	s_and_saveexec_b64 s[6:7], vcc
	s_xor_b64 s[6:7], exec, s[6:7]
	s_cbranch_execz .LBB22_146
; %bb.142:                              ;   in Loop: Header=BB22_32 Depth=1
	ds_read_b64 v[8:9], v3 offset:5120
	v_and_b32_e32 v50, s54, v50
	v_or_b32_e32 v52, s68, v52
	s_waitcnt lgkmcnt(0)
	v_cmp_ne_u64_e32 vcc, 0, v[8:9]
	s_cbranch_vccnz .LBB22_146
; %bb.143:                              ;   in Loop: Header=BB22_32 Depth=1
	s_mov_b64 s[8:9], exec
	v_readlane_b32 s12, v65, 32
	v_readlane_b32 s13, v65, 33
	s_and_b64 s[12:13], s[8:9], s[12:13]
	s_mov_b64 exec, s[12:13]
; %bb.144:                              ;   in Loop: Header=BB22_32 Depth=1
	ds_write_b64 v3, v[4:5] offset:5128
; %bb.145:                              ;   in Loop: Header=BB22_32 Depth=1
	s_or_b64 exec, exec, s[8:9]
	s_waitcnt lgkmcnt(0)
	s_barrier
.LBB22_146:                             ;   in Loop: Header=BB22_32 Depth=1
	s_or_saveexec_b64 s[6:7], s[6:7]
	s_mov_b64 s[8:9], 0
	v_mov_b32_e32 v2, 8
	s_xor_b64 exec, exec, s[6:7]
; %bb.147:                              ;   in Loop: Header=BB22_32 Depth=1
	v_sub_co_u32_e32 v38, vcc, v38, v4
	s_mov_b64 s[8:9], exec
	s_nop 0
	v_subb_co_u32_e32 v39, vcc, v39, v5, vcc
	v_mov_b32_e32 v2, 0
; %bb.148:                              ;   in Loop: Header=BB22_32 Depth=1
	s_or_b64 exec, exec, s[6:7]
	s_and_b64 s[8:9], s[8:9], exec
	v_mov_b64_e32 v[8:9], v[38:39]
.LBB22_149:                             ;   in Loop: Header=BB22_32 Depth=1
	s_or_b64 exec, exec, s[2:3]
	s_mov_b64 s[20:21], -1
	s_mov_b64 s[6:7], -1
                                        ; implicit-def: $sgpr2_sgpr3
                                        ; implicit-def: $sgpr26_sgpr27
	s_and_saveexec_b64 s[12:13], s[8:9]
	s_xor_b64 s[22:23], exec, s[12:13]
	s_cbranch_execz .LBB22_291
; %bb.150:                              ;   in Loop: Header=BB22_32 Depth=1
	v_cmp_eq_u64_e32 vcc, 1, v[6:7]
	v_cmp_eq_u64_e64 s[2:3], 1, v[8:9]
	s_and_b64 s[30:31], vcc, s[2:3]
                                        ; implicit-def: $sgpr26_sgpr27
                                        ; implicit-def: $sgpr2_sgpr3
	s_and_saveexec_b64 s[28:29], s[30:31]
	s_cbranch_execz .LBB22_184
; %bb.151:                              ;   in Loop: Header=BB22_32 Depth=1
	ds_read_b64 v[4:5], v3 offset:5120
	v_readlane_b32 s4, v65, 36
	v_readlane_b32 s5, v65, 37
	s_waitcnt lgkmcnt(0)
	s_barrier
	v_readfirstlane_b32 s36, v4
	v_readfirstlane_b32 s37, v5
	s_and_saveexec_b64 s[2:3], s[4:5]
; %bb.152:                              ;   in Loop: Header=BB22_32 Depth=1
	ds_write_b32 v45, v3
; %bb.153:                              ;   in Loop: Header=BB22_32 Depth=1
	s_or_b64 exec, exec, s[2:3]
	v_and_b32_e32 v4, s54, v50
	v_cmp_gt_i64_e64 s[6:7], s[36:37], 0
	v_lshl_or_b32 v50, 1, s79, v4
	v_or_b32_e32 v52, s68, v52
	s_mov_b64 s[2:3], -1
	s_mov_b64 s[26:27], 0
	s_and_b64 vcc, exec, s[6:7]
	s_mov_b64 s[6:7], 0
	s_mov_b64 s[8:9], -1
	s_waitcnt lgkmcnt(0)
	s_barrier
                                        ; implicit-def: $vgpr37
	s_cbranch_vccnz .LBB22_169
; %bb.154:                              ;   in Loop: Header=BB22_32 Depth=1
	s_mov_b32 s76, s99
	s_cmp_lg_u64 s[76:77], 0
	s_cbranch_scc0 .LBB22_211
; %bb.155:                              ;   in Loop: Header=BB22_32 Depth=1
	s_add_u32 s6, s92, 0
	s_addc_u32 s7, 0, 0
	s_xor_b64 s[6:7], s[6:7], 0
	v_cvt_f32_u32_e32 v4, s6
	v_cvt_f32_u32_e32 v5, s7
	s_sub_u32 s12, 0, s6
	s_subb_u32 s13, 0, s7
	v_readlane_b32 s4, v65, 47
	v_fmac_f32_e32 v4, 0x4f800000, v5
	v_rcp_f32_e32 v4, v4
	s_nop 0
	v_mul_f32_e32 v4, 0x5f7ffffc, v4
	v_mul_f32_e32 v5, 0x2f800000, v4
	v_trunc_f32_e32 v5, v5
	v_fmac_f32_e32 v4, 0xcf800000, v5
	v_cvt_u32_f32_e32 v5, v5
	v_cvt_u32_f32_e32 v4, v4
	v_readfirstlane_b32 s38, v5
	v_readfirstlane_b32 s8, v4
	s_mul_i32 s9, s12, s38
	s_mul_hi_u32 s40, s12, s8
	s_mul_i32 s39, s13, s8
	s_add_i32 s9, s40, s9
	s_mul_i32 s41, s12, s8
	s_add_i32 s9, s9, s39
	s_mul_i32 s40, s8, s9
	s_mul_hi_u32 s42, s8, s41
	s_mul_hi_u32 s39, s8, s9
	s_add_u32 s40, s42, s40
	s_addc_u32 s39, 0, s39
	s_mul_hi_u32 s43, s38, s41
	s_mul_i32 s41, s38, s41
	s_add_u32 s40, s40, s41
	s_mul_hi_u32 s42, s38, s9
	s_addc_u32 s39, s39, s43
	s_addc_u32 s40, s42, 0
	s_mul_i32 s9, s38, s9
	s_add_u32 s9, s39, s9
	s_addc_u32 s39, 0, s40
	s_add_u32 s40, s8, s9
	s_cselect_b64 s[8:9], -1, 0
	s_cmp_lg_u64 s[8:9], 0
	s_addc_u32 s38, s38, s39
	s_mul_i32 s8, s12, s38
	s_mul_hi_u32 s9, s12, s40
	s_add_i32 s8, s9, s8
	s_mul_i32 s13, s13, s40
	s_add_i32 s8, s8, s13
	s_mul_i32 s12, s12, s40
	s_mul_hi_u32 s13, s38, s12
	s_mul_i32 s39, s38, s12
	s_mul_i32 s42, s40, s8
	s_mul_hi_u32 s12, s40, s12
	s_mul_hi_u32 s41, s40, s8
	s_add_u32 s12, s12, s42
	s_addc_u32 s41, 0, s41
	s_add_u32 s12, s12, s39
	s_mul_hi_u32 s9, s38, s8
	s_addc_u32 s12, s41, s13
	s_addc_u32 s9, s9, 0
	s_mul_i32 s8, s38, s8
	s_add_u32 s8, s12, s8
	s_addc_u32 s12, 0, s9
	s_add_u32 s39, s40, s8
	s_cselect_b64 s[8:9], -1, 0
	s_cmp_lg_u64 s[8:9], 0
	s_addc_u32 s38, s38, s12
	s_ashr_i32 s8, s77, 31
	s_add_u32 s12, s4, s8
	s_mov_b32 s9, s8
	s_addc_u32 s13, s77, s8
	s_xor_b64 s[12:13], s[12:13], s[8:9]
	s_mul_i32 s41, s12, s38
	s_mul_hi_u32 s42, s12, s39
	s_mul_hi_u32 s40, s12, s38
	s_add_u32 s41, s42, s41
	s_addc_u32 s40, 0, s40
	s_mul_hi_u32 s43, s13, s39
	s_mul_i32 s39, s13, s39
	s_add_u32 s39, s41, s39
	s_mul_hi_u32 s42, s13, s38
	s_addc_u32 s39, s40, s43
	s_addc_u32 s40, s42, 0
	s_mul_i32 s38, s13, s38
	s_add_u32 s38, s39, s38
	s_addc_u32 s39, 0, s40
	s_mul_i32 s39, s6, s39
	s_mul_hi_u32 s40, s6, s38
	s_add_i32 s39, s40, s39
	s_mul_i32 s40, s7, s38
	s_add_i32 s42, s39, s40
	s_sub_i32 s40, s13, s42
	s_mul_i32 s38, s6, s38
	s_sub_u32 s12, s12, s38
	s_cselect_b64 s[38:39], -1, 0
	s_cmp_lg_u64 s[38:39], 0
	s_subb_u32 s43, s40, s7
	s_sub_u32 s44, s12, s6
	s_cselect_b64 s[40:41], -1, 0
	s_cmp_lg_u64 s[40:41], 0
	s_subb_u32 s45, s43, 0
	s_cmp_ge_u32 s45, s7
	s_cselect_b32 s46, -1, 0
	s_cmp_ge_u32 s44, s6
	s_cselect_b32 s47, -1, 0
	s_cmp_eq_u32 s45, s7
	s_cselect_b32 s46, s47, s46
	s_cmp_lg_u64 s[40:41], 0
	s_subb_u32 s43, s43, s7
	s_sub_u32 s47, s44, s6
	s_cselect_b64 s[40:41], -1, 0
	s_cmp_lg_u64 s[40:41], 0
	s_subb_u32 s40, s43, 0
	s_cmp_lg_u32 s46, 0
	s_cselect_b32 s41, s47, s44
	s_cselect_b32 s40, s40, s45
	s_cmp_lg_u64 s[38:39], 0
	s_subb_u32 s13, s13, s42
	s_cmp_ge_u32 s13, s7
	s_cselect_b32 s38, -1, 0
	s_cmp_ge_u32 s12, s6
	s_cselect_b32 s6, -1, 0
	s_cmp_eq_u32 s13, s7
	s_cselect_b32 s6, s6, s38
	s_cmp_lg_u32 s6, 0
	s_cselect_b32 s7, s40, s13
	s_cselect_b32 s6, s41, s12
	s_xor_b64 s[6:7], s[6:7], s[8:9]
	s_sub_u32 s6, s6, s8
	s_subb_u32 s7, s7, s8
	s_cbranch_execnz .LBB22_157
.LBB22_156:                             ;   in Loop: Header=BB22_32 Depth=1
	v_cvt_f32_u32_e32 v4, s92
	s_sub_i32 s6, 0, s92
	v_readlane_b32 s4, v65, 47
	v_rcp_iflag_f32_e32 v4, v4
	s_nop 0
	v_mul_f32_e32 v4, 0x4f7ffffe, v4
	v_cvt_u32_f32_e32 v4, v4
	s_nop 0
	v_readfirstlane_b32 s7, v4
	s_mul_i32 s6, s6, s7
	s_mul_hi_u32 s6, s7, s6
	s_add_i32 s7, s7, s6
	s_mul_hi_u32 s6, s4, s7
	s_mul_i32 s6, s6, s92
	s_sub_i32 s6, s4, s6
	s_sub_i32 s7, s6, s92
	s_cmp_ge_u32 s6, s92
	s_cselect_b32 s6, s7, s6
	s_sub_i32 s7, s6, s92
	s_cmp_ge_u32 s6, s92
	s_cselect_b32 s98, s7, s6
	s_mov_b64 s[6:7], s[98:99]
.LBB22_157:                             ;   in Loop: Header=BB22_32 Depth=1
	v_readlane_b32 s4, v65, 47
	s_sub_u32 s38, s4, s6
	s_subb_u32 s39, s77, s7
	v_cmp_gt_i64_e32 vcc, s[38:39], v[0:1]
	s_mov_b64 s[8:9], 0
	s_mov_b64 s[6:7], 0
                                        ; implicit-def: $vgpr37
	s_and_saveexec_b64 s[12:13], vcc
	s_cbranch_execz .LBB22_168
; %bb.158:                              ;   in Loop: Header=BB22_32 Depth=1
	v_mov_b64_e32 v[4:5], v[12:13]
	v_mov_b64_e32 v[10:11], v[0:1]
                                        ; implicit-def: $sgpr40_sgpr41
	s_branch .LBB22_161
.LBB22_159:                             ;   in Loop: Header=BB22_161 Depth=2
	s_or_b64 exec, exec, s[42:43]
	s_waitcnt lgkmcnt(0)
	s_barrier
	ds_read_b64 v[36:37], v3 offset:3072
	s_mov_b64 s[42:43], -1
	s_mov_b64 s[44:45], -1
	s_waitcnt lgkmcnt(0)
	s_barrier
	v_cmp_ne_u32_e32 vcc, 0, v36
	s_cbranch_vccz .LBB22_164
.LBB22_160:                             ;   in Loop: Header=BB22_161 Depth=2
	s_and_b64 s[42:43], exec, s[42:43]
	s_or_b64 s[6:7], s[42:43], s[6:7]
	s_andn2_b64 s[40:41], s[40:41], exec
	s_and_b64 s[42:43], s[44:45], exec
	s_or_b64 s[40:41], s[40:41], s[42:43]
	s_andn2_b64 exec, exec, s[6:7]
	s_cbranch_execz .LBB22_167
.LBB22_161:                             ;   Parent Loop BB22_32 Depth=1
                                        ; =>  This Inner Loop Header: Depth=2
	v_cmp_gt_i64_e32 vcc, s[60:61], v[10:11]
	s_and_saveexec_b64 s[42:43], vcc
	s_cbranch_execz .LBB22_159
; %bb.162:                              ;   in Loop: Header=BB22_161 Depth=2
	global_load_dword v35, v[4:5], off
	s_waitcnt vmcnt(0)
	v_bitop3_b32 v36, v35, v52, s78 bitop3:0x48
	v_cmp_eq_u32_e32 vcc, v36, v50
	s_and_b64 exec, exec, vcc
	s_cbranch_execz .LBB22_159
; %bb.163:                              ;   in Loop: Header=BB22_161 Depth=2
	ds_write_b64 v3, v[34:35] offset:3072
	s_branch .LBB22_159
.LBB22_164:                             ;   in Loop: Header=BB22_161 Depth=2
	v_lshl_add_u64 v[10:11], v[10:11], 0, s[92:93]
	v_cmp_le_i64_e32 vcc, s[38:39], v[10:11]
	v_lshl_add_u64 v[4:5], v[4:5], 0, s[90:91]
	s_mov_b64 s[44:45], 0
	s_orn2_b64 s[42:43], vcc, exec
	s_branch .LBB22_160
.LBB22_165:                             ;   in Loop: Header=BB22_32 Depth=1
                                        ; implicit-def: $sgpr12_sgpr13
	s_andn2_b64 vcc, exec, s[26:27]
	s_cbranch_vccz .LBB22_113
	s_branch .LBB22_114
.LBB22_166:                             ;   in Loop: Header=BB22_32 Depth=1
                                        ; implicit-def: $sgpr8_sgpr9
	s_branch .LBB22_127
.LBB22_167:                             ;   in Loop: Header=BB22_32 Depth=1
	s_or_b64 exec, exec, s[6:7]
	s_and_b64 s[6:7], s[40:41], exec
.LBB22_168:                             ;   in Loop: Header=BB22_32 Depth=1
	s_or_b64 exec, exec, s[12:13]
.LBB22_169:                             ;   in Loop: Header=BB22_32 Depth=1
	s_and_b64 vcc, exec, s[8:9]
	s_cbranch_vccz .LBB22_183
; %bb.170:                              ;   in Loop: Header=BB22_32 Depth=1
	v_readlane_b32 s2, v65, 46
	s_add_u32 s26, s36, s2
	v_readlane_b32 s2, v65, 48
	s_addc_u32 s3, s37, s2
	s_mov_b32 s2, s99
	s_cmp_lg_u64 s[2:3], 0
	s_cbranch_scc0 .LBB22_212
; %bb.171:                              ;   in Loop: Header=BB22_32 Depth=1
	s_add_u32 s8, s92, 0
	s_addc_u32 s9, 0, 0
	s_xor_b64 s[8:9], s[8:9], 0
	v_cvt_f32_u32_e32 v4, s8
	v_cvt_f32_u32_e32 v5, s9
	s_sub_u32 s2, 0, s8
	s_subb_u32 s27, 0, s9
	v_fmac_f32_e32 v4, 0x4f800000, v5
	v_rcp_f32_e32 v4, v4
	s_nop 0
	v_mul_f32_e32 v4, 0x5f7ffffc, v4
	v_mul_f32_e32 v5, 0x2f800000, v4
	v_trunc_f32_e32 v5, v5
	v_fmac_f32_e32 v4, 0xcf800000, v5
	v_cvt_u32_f32_e32 v5, v5
	v_cvt_u32_f32_e32 v4, v4
	v_readfirstlane_b32 s38, v5
	v_readfirstlane_b32 s12, v4
	s_mul_i32 s13, s2, s38
	s_mul_hi_u32 s40, s2, s12
	s_mul_i32 s39, s27, s12
	s_add_i32 s13, s40, s13
	s_mul_i32 s41, s2, s12
	s_add_i32 s13, s13, s39
	s_mul_i32 s40, s12, s13
	s_mul_hi_u32 s42, s12, s41
	s_mul_hi_u32 s39, s12, s13
	s_add_u32 s40, s42, s40
	s_addc_u32 s39, 0, s39
	s_mul_hi_u32 s43, s38, s41
	s_mul_i32 s41, s38, s41
	s_add_u32 s40, s40, s41
	s_mul_hi_u32 s42, s38, s13
	s_addc_u32 s39, s39, s43
	s_addc_u32 s40, s42, 0
	s_mul_i32 s13, s38, s13
	s_add_u32 s13, s39, s13
	s_addc_u32 s39, 0, s40
	s_add_u32 s40, s12, s13
	s_cselect_b64 s[12:13], -1, 0
	s_cmp_lg_u64 s[12:13], 0
	s_addc_u32 s38, s38, s39
	s_mul_i32 s12, s2, s38
	s_mul_hi_u32 s13, s2, s40
	s_add_i32 s12, s13, s12
	s_mul_i32 s27, s27, s40
	s_add_i32 s12, s12, s27
	s_mul_i32 s2, s2, s40
	s_mul_hi_u32 s27, s38, s2
	s_mul_i32 s39, s38, s2
	s_mul_i32 s42, s40, s12
	s_mul_hi_u32 s2, s40, s2
	s_mul_hi_u32 s41, s40, s12
	s_add_u32 s2, s2, s42
	s_addc_u32 s41, 0, s41
	s_add_u32 s2, s2, s39
	s_mul_hi_u32 s13, s38, s12
	s_addc_u32 s2, s41, s27
	s_addc_u32 s13, s13, 0
	s_mul_i32 s12, s38, s12
	s_add_u32 s2, s2, s12
	s_addc_u32 s27, 0, s13
	s_add_u32 s2, s40, s2
	s_cselect_b64 s[12:13], -1, 0
	s_cmp_lg_u64 s[12:13], 0
	s_addc_u32 s27, s38, s27
	s_ashr_i32 s12, s3, 31
	s_add_u32 s38, s26, s12
	s_mov_b32 s13, s12
	s_addc_u32 s39, s3, s12
	s_xor_b64 s[38:39], s[38:39], s[12:13]
	s_mul_i32 s41, s38, s27
	s_mul_hi_u32 s42, s38, s2
	s_mul_hi_u32 s40, s38, s27
	s_add_u32 s41, s42, s41
	s_addc_u32 s40, 0, s40
	s_mul_hi_u32 s43, s39, s2
	s_mul_i32 s2, s39, s2
	s_add_u32 s2, s41, s2
	s_mul_hi_u32 s42, s39, s27
	s_addc_u32 s2, s40, s43
	s_addc_u32 s40, s42, 0
	s_mul_i32 s27, s39, s27
	s_add_u32 s2, s2, s27
	s_addc_u32 s27, 0, s40
	s_mul_i32 s27, s8, s27
	s_mul_hi_u32 s40, s8, s2
	s_add_i32 s27, s40, s27
	s_mul_i32 s40, s9, s2
	s_add_i32 s27, s27, s40
	s_sub_i32 s42, s39, s27
	s_mul_i32 s2, s8, s2
	s_sub_u32 s2, s38, s2
	s_cselect_b64 s[40:41], -1, 0
	s_cmp_lg_u64 s[40:41], 0
	s_subb_u32 s38, s42, s9
	s_sub_u32 s44, s2, s8
	s_cselect_b64 s[42:43], -1, 0
	s_cmp_lg_u64 s[42:43], 0
	s_subb_u32 s45, s38, 0
	s_cmp_ge_u32 s45, s9
	s_cselect_b32 s46, -1, 0
	s_cmp_ge_u32 s44, s8
	s_cselect_b32 s47, -1, 0
	s_cmp_eq_u32 s45, s9
	s_cselect_b32 s46, s47, s46
	s_cmp_lg_u64 s[42:43], 0
	s_subb_u32 s38, s38, s9
	s_sub_u32 s47, s44, s8
	s_cselect_b64 s[42:43], -1, 0
	s_cmp_lg_u64 s[42:43], 0
	s_subb_u32 s38, s38, 0
	s_cmp_lg_u32 s46, 0
	s_cselect_b32 s42, s47, s44
	s_cselect_b32 s38, s38, s45
	s_cmp_lg_u64 s[40:41], 0
	s_subb_u32 s27, s39, s27
	s_cmp_ge_u32 s27, s9
	s_cselect_b32 s39, -1, 0
	s_cmp_ge_u32 s2, s8
	s_cselect_b32 s8, -1, 0
	s_cmp_eq_u32 s27, s9
	s_cselect_b32 s8, s8, s39
	s_cmp_lg_u32 s8, 0
	s_cselect_b32 s9, s38, s27
	s_cselect_b32 s8, s42, s2
	s_xor_b64 s[8:9], s[8:9], s[12:13]
	s_sub_u32 s8, s8, s12
	s_subb_u32 s9, s9, s12
	s_cbranch_execnz .LBB22_173
.LBB22_172:                             ;   in Loop: Header=BB22_32 Depth=1
	v_cvt_f32_u32_e32 v4, s92
	s_sub_i32 s2, 0, s92
	v_rcp_iflag_f32_e32 v4, v4
	s_nop 0
	v_mul_f32_e32 v4, 0x4f7ffffe, v4
	v_cvt_u32_f32_e32 v4, v4
	s_nop 0
	v_readfirstlane_b32 s8, v4
	s_mul_i32 s2, s2, s8
	s_mul_hi_u32 s2, s8, s2
	s_add_i32 s8, s8, s2
	s_mul_hi_u32 s2, s26, s8
	s_mul_i32 s2, s2, s92
	s_sub_i32 s2, s26, s2
	s_sub_i32 s8, s2, s92
	s_cmp_ge_u32 s2, s92
	s_cselect_b32 s2, s8, s2
	s_sub_i32 s8, s2, s92
	s_cmp_ge_u32 s2, s92
	s_cselect_b32 s98, s8, s2
	s_mov_b64 s[8:9], s[98:99]
.LBB22_173:                             ;   in Loop: Header=BB22_32 Depth=1
	s_sub_u32 s8, s26, s8
	s_subb_u32 s9, s3, s9
	v_cmp_gt_i64_e32 vcc, s[8:9], v[0:1]
                                        ; implicit-def: $vgpr37
	s_and_saveexec_b64 s[2:3], vcc
	s_cbranch_execz .LBB22_182
; %bb.174:                              ;   in Loop: Header=BB22_32 Depth=1
	s_mov_b64 s[12:13], 0
	v_mov_b32_e32 v10, v14
	v_mov_b64_e32 v[4:5], v[0:1]
                                        ; implicit-def: $sgpr26_sgpr27
	s_branch .LBB22_177
.LBB22_175:                             ;   in Loop: Header=BB22_177 Depth=2
	s_or_b64 exec, exec, s[38:39]
	s_waitcnt lgkmcnt(0)
	s_barrier
	ds_read_b64 v[36:37], v3 offset:3072
	s_mov_b64 s[38:39], -1
	s_mov_b64 s[40:41], -1
	s_waitcnt lgkmcnt(0)
	s_barrier
	v_cmp_eq_u32_e32 vcc, 0, v36
	s_cbranch_vccnz .LBB22_180
.LBB22_176:                             ;   in Loop: Header=BB22_177 Depth=2
	s_and_b64 s[38:39], exec, s[38:39]
	s_or_b64 s[12:13], s[38:39], s[12:13]
	s_andn2_b64 s[26:27], s[26:27], exec
	s_and_b64 s[38:39], s[40:41], exec
	s_or_b64 s[26:27], s[26:27], s[38:39]
	s_andn2_b64 exec, exec, s[12:13]
	s_cbranch_execz .LBB22_181
.LBB22_177:                             ;   Parent Loop BB22_32 Depth=1
                                        ; =>  This Inner Loop Header: Depth=2
	v_cmp_gt_u64_e32 vcc, s[36:37], v[4:5]
	s_and_saveexec_b64 s[38:39], vcc
	s_cbranch_execz .LBB22_175
; %bb.178:                              ;   in Loop: Header=BB22_177 Depth=2
	ds_read_b32 v35, v10
	s_waitcnt lgkmcnt(0)
	v_bitop3_b32 v11, v35, v52, s78 bitop3:0x48
	v_cmp_eq_u32_e32 vcc, v11, v50
	s_and_b64 exec, exec, vcc
	s_cbranch_execz .LBB22_175
; %bb.179:                              ;   in Loop: Header=BB22_177 Depth=2
	ds_write_b64 v3, v[34:35] offset:3072
	s_branch .LBB22_175
.LBB22_180:                             ;   in Loop: Header=BB22_177 Depth=2
	v_lshl_add_u64 v[4:5], v[4:5], 0, s[92:93]
	v_cmp_le_i64_e32 vcc, s[8:9], v[4:5]
	v_add_u32_e32 v10, s81, v10
	s_mov_b64 s[40:41], 0
	s_orn2_b64 s[38:39], vcc, exec
	s_branch .LBB22_176
.LBB22_181:                             ;   in Loop: Header=BB22_32 Depth=1
	s_or_b64 exec, exec, s[12:13]
	s_andn2_b64 s[6:7], s[6:7], exec
	s_and_b64 s[8:9], s[26:27], exec
	s_or_b64 s[6:7], s[6:7], s[8:9]
.LBB22_182:                             ;   in Loop: Header=BB22_32 Depth=1
	s_or_b64 exec, exec, s[2:3]
	s_mov_b64 s[2:3], 0
	s_mov_b64 s[26:27], -1
.LBB22_183:                             ;   in Loop: Header=BB22_32 Depth=1
	s_orn2_b64 s[6:7], s[6:7], exec
.LBB22_184:                             ;   in Loop: Header=BB22_32 Depth=1
	s_or_b64 exec, exec, s[28:29]
	s_mov_b64 s[8:9], 0
	s_and_saveexec_b64 s[28:29], s[6:7]
	s_cbranch_execz .LBB22_290
; %bb.185:                              ;   in Loop: Header=BB22_32 Depth=1
	s_xor_b64 s[12:13], s[30:31], -1
	v_mov_b32_e32 v2, 1
	v_mov_b64_e32 v[4:5], 1
	s_and_saveexec_b64 s[6:7], s[12:13]
	s_cbranch_execz .LBB22_195
; %bb.186:                              ;   in Loop: Header=BB22_32 Depth=1
	v_cmp_le_i64_e32 vcc, v[8:9], v[6:7]
	s_and_saveexec_b64 s[8:9], vcc
	s_xor_b64 s[8:9], exec, s[8:9]
	s_cbranch_execz .LBB22_192
; %bb.187:                              ;   in Loop: Header=BB22_32 Depth=1
	ds_read_b64 v[4:5], v3 offset:5120
	v_and_b32_e32 v2, s54, v50
	v_lshl_or_b32 v50, 1, s79, v2
	v_or_b32_e32 v52, s68, v52
	s_waitcnt lgkmcnt(0)
	v_cmp_ne_u64_e32 vcc, 0, v[4:5]
	s_cbranch_vccnz .LBB22_191
; %bb.188:                              ;   in Loop: Header=BB22_32 Depth=1
	s_mov_b64 s[12:13], exec
	v_readlane_b32 s30, v65, 32
	v_readlane_b32 s31, v65, 33
	s_and_b64 s[30:31], s[12:13], s[30:31]
	s_mov_b64 exec, s[30:31]
; %bb.189:                              ;   in Loop: Header=BB22_32 Depth=1
	ds_write_b64 v3, v[6:7] offset:5128
; %bb.190:                              ;   in Loop: Header=BB22_32 Depth=1
	s_or_b64 exec, exec, s[12:13]
	s_waitcnt lgkmcnt(0)
	s_barrier
.LBB22_191:                             ;   in Loop: Header=BB22_32 Depth=1
                                        ; implicit-def: $vgpr4_vgpr5_vgpr6_vgpr7
.LBB22_192:                             ;   in Loop: Header=BB22_32 Depth=1
	s_or_saveexec_b64 s[8:9], s[8:9]
	s_mov_b64 s[12:13], 0
	v_mov_b32_e32 v2, 8
	s_xor_b64 exec, exec, s[8:9]
; %bb.193:                              ;   in Loop: Header=BB22_32 Depth=1
	v_sub_co_u32_e32 v8, vcc, v8, v6
	s_mov_b64 s[12:13], exec
	s_nop 0
	v_subb_co_u32_e32 v9, vcc, v9, v7, vcc
	v_mov_b32_e32 v2, 0
; %bb.194:                              ;   in Loop: Header=BB22_32 Depth=1
	s_or_b64 exec, exec, s[8:9]
	s_and_b64 s[8:9], s[12:13], exec
	v_mov_b64_e32 v[4:5], v[8:9]
.LBB22_195:                             ;   in Loop: Header=BB22_32 Depth=1
	s_or_b64 exec, exec, s[6:7]
	s_mov_b64 s[6:7], -1
                                        ; implicit-def: $sgpr36_sgpr37
                                        ; implicit-def: $sgpr38_sgpr39
	s_and_saveexec_b64 s[30:31], s[8:9]
	s_cbranch_execz .LBB22_289
; %bb.196:                              ;   in Loop: Header=BB22_32 Depth=1
	s_cmp_eq_u64 s[24:25], 1
	s_cselect_b64 s[6:7], -1, 0
	v_cmp_eq_u64_e32 vcc, 1, v[4:5]
	s_and_b64 s[42:43], s[6:7], vcc
	s_mov_b64 s[6:7], -1
                                        ; implicit-def: $sgpr38_sgpr39
                                        ; implicit-def: $sgpr36_sgpr37
	s_and_saveexec_b64 s[40:41], s[42:43]
	s_cbranch_execz .LBB22_230
; %bb.197:                              ;   in Loop: Header=BB22_32 Depth=1
	ds_read_b64 v[6:7], v3 offset:5120
	v_readlane_b32 s4, v65, 36
	v_readlane_b32 s5, v65, 37
	s_waitcnt lgkmcnt(0)
	s_barrier
	v_readfirstlane_b32 s44, v6
	v_readfirstlane_b32 s45, v7
	s_and_saveexec_b64 s[6:7], s[4:5]
; %bb.198:                              ;   in Loop: Header=BB22_32 Depth=1
	ds_write_b32 v45, v3
; %bb.199:                              ;   in Loop: Header=BB22_32 Depth=1
	s_or_b64 exec, exec, s[6:7]
	v_and_b32_e32 v6, s54, v50
	v_cmp_gt_i64_e64 s[6:7], s[44:45], 0
	v_lshl_or_b32 v50, 2, s79, v6
	v_or_b32_e32 v52, s68, v52
	s_mov_b64 s[36:37], -1
	s_mov_b64 s[38:39], 0
	s_and_b64 vcc, exec, s[6:7]
	s_mov_b64 s[6:7], 0
	s_mov_b64 s[8:9], -1
	s_waitcnt lgkmcnt(0)
	s_barrier
                                        ; implicit-def: $vgpr37
	s_cbranch_vccnz .LBB22_215
; %bb.200:                              ;   in Loop: Header=BB22_32 Depth=1
	s_mov_b32 s76, s99
	s_cmp_lg_u64 s[76:77], 0
	s_cbranch_scc0 .LBB22_256
; %bb.201:                              ;   in Loop: Header=BB22_32 Depth=1
	s_add_u32 s6, s92, 0
	s_addc_u32 s7, 0, 0
	s_xor_b64 s[6:7], s[6:7], 0
	v_cvt_f32_u32_e32 v6, s6
	v_cvt_f32_u32_e32 v7, s7
	s_sub_u32 s12, 0, s6
	s_subb_u32 s13, 0, s7
	v_readlane_b32 s4, v65, 47
	v_fmac_f32_e32 v6, 0x4f800000, v7
	v_rcp_f32_e32 v6, v6
	s_nop 0
	v_mul_f32_e32 v6, 0x5f7ffffc, v6
	v_mul_f32_e32 v7, 0x2f800000, v6
	v_trunc_f32_e32 v7, v7
	v_fmac_f32_e32 v6, 0xcf800000, v7
	v_cvt_u32_f32_e32 v7, v7
	v_cvt_u32_f32_e32 v6, v6
	v_readfirstlane_b32 s46, v7
	v_readfirstlane_b32 s8, v6
	s_mul_i32 s9, s12, s46
	s_mul_hi_u32 s48, s12, s8
	s_mul_i32 s47, s13, s8
	s_add_i32 s9, s48, s9
	s_mul_i32 s49, s12, s8
	s_add_i32 s9, s9, s47
	s_mul_i32 s48, s8, s9
	s_mul_hi_u32 s50, s8, s49
	s_mul_hi_u32 s47, s8, s9
	s_add_u32 s48, s50, s48
	s_addc_u32 s47, 0, s47
	s_mul_hi_u32 s51, s46, s49
	s_mul_i32 s49, s46, s49
	s_add_u32 s48, s48, s49
	s_mul_hi_u32 s50, s46, s9
	s_addc_u32 s47, s47, s51
	s_addc_u32 s48, s50, 0
	s_mul_i32 s9, s46, s9
	s_add_u32 s9, s47, s9
	s_addc_u32 s47, 0, s48
	s_add_u32 s48, s8, s9
	s_cselect_b64 s[8:9], -1, 0
	s_cmp_lg_u64 s[8:9], 0
	s_addc_u32 s46, s46, s47
	s_mul_i32 s8, s12, s46
	s_mul_hi_u32 s9, s12, s48
	s_add_i32 s8, s9, s8
	s_mul_i32 s13, s13, s48
	s_add_i32 s8, s8, s13
	s_mul_i32 s12, s12, s48
	s_mul_hi_u32 s13, s46, s12
	s_mul_i32 s47, s46, s12
	s_mul_i32 s50, s48, s8
	s_mul_hi_u32 s12, s48, s12
	s_mul_hi_u32 s49, s48, s8
	s_add_u32 s12, s12, s50
	s_addc_u32 s49, 0, s49
	s_add_u32 s12, s12, s47
	s_mul_hi_u32 s9, s46, s8
	s_addc_u32 s12, s49, s13
	s_addc_u32 s9, s9, 0
	s_mul_i32 s8, s46, s8
	s_add_u32 s8, s12, s8
	s_addc_u32 s12, 0, s9
	s_add_u32 s47, s48, s8
	s_cselect_b64 s[8:9], -1, 0
	s_cmp_lg_u64 s[8:9], 0
	s_addc_u32 s46, s46, s12
	s_ashr_i32 s8, s77, 31
	s_add_u32 s12, s4, s8
	s_mov_b32 s9, s8
	s_addc_u32 s13, s77, s8
	s_xor_b64 s[12:13], s[12:13], s[8:9]
	s_mul_i32 s49, s12, s46
	s_mul_hi_u32 s50, s12, s47
	s_mul_hi_u32 s48, s12, s46
	s_add_u32 s49, s50, s49
	s_addc_u32 s48, 0, s48
	s_mul_hi_u32 s51, s13, s47
	s_mul_i32 s47, s13, s47
	s_add_u32 s47, s49, s47
	s_mul_hi_u32 s50, s13, s46
	s_addc_u32 s47, s48, s51
	s_addc_u32 s48, s50, 0
	s_mul_i32 s46, s13, s46
	s_add_u32 s46, s47, s46
	s_addc_u32 s47, 0, s48
	s_mul_i32 s47, s6, s47
	s_mul_hi_u32 s48, s6, s46
	s_add_i32 s47, s48, s47
	s_mul_i32 s48, s7, s46
	s_add_i32 s50, s47, s48
	s_sub_i32 s48, s13, s50
	s_mul_i32 s46, s6, s46
	s_sub_u32 s12, s12, s46
	s_cselect_b64 s[46:47], -1, 0
	s_cmp_lg_u64 s[46:47], 0
	s_subb_u32 s51, s48, s7
	s_sub_u32 s52, s12, s6
	s_cselect_b64 s[48:49], -1, 0
	s_cmp_lg_u64 s[48:49], 0
	s_subb_u32 s53, s51, 0
	s_cmp_ge_u32 s53, s7
	s_cselect_b32 s55, -1, 0
	s_cmp_ge_u32 s52, s6
	s_cselect_b32 s56, -1, 0
	s_cmp_eq_u32 s53, s7
	s_cselect_b32 s55, s56, s55
	s_cmp_lg_u64 s[48:49], 0
	s_subb_u32 s51, s51, s7
	s_sub_u32 s56, s52, s6
	s_cselect_b64 s[48:49], -1, 0
	s_cmp_lg_u64 s[48:49], 0
	s_subb_u32 s48, s51, 0
	s_cmp_lg_u32 s55, 0
	s_cselect_b32 s49, s56, s52
	s_cselect_b32 s48, s48, s53
	s_cmp_lg_u64 s[46:47], 0
	s_subb_u32 s13, s13, s50
	s_cmp_ge_u32 s13, s7
	s_cselect_b32 s46, -1, 0
	s_cmp_ge_u32 s12, s6
	s_cselect_b32 s6, -1, 0
	s_cmp_eq_u32 s13, s7
	s_cselect_b32 s6, s6, s46
	s_cmp_lg_u32 s6, 0
	s_cselect_b32 s7, s48, s13
	s_cselect_b32 s6, s49, s12
	s_xor_b64 s[6:7], s[6:7], s[8:9]
	s_sub_u32 s6, s6, s8
	s_subb_u32 s7, s7, s8
	s_cbranch_execnz .LBB22_203
.LBB22_202:                             ;   in Loop: Header=BB22_32 Depth=1
	v_cvt_f32_u32_e32 v6, s92
	s_sub_i32 s6, 0, s92
	v_readlane_b32 s4, v65, 47
	v_rcp_iflag_f32_e32 v6, v6
	s_nop 0
	v_mul_f32_e32 v6, 0x4f7ffffe, v6
	v_cvt_u32_f32_e32 v6, v6
	s_nop 0
	v_readfirstlane_b32 s7, v6
	s_mul_i32 s6, s6, s7
	s_mul_hi_u32 s6, s7, s6
	s_add_i32 s7, s7, s6
	s_mul_hi_u32 s6, s4, s7
	s_mul_i32 s6, s6, s92
	s_sub_i32 s6, s4, s6
	s_sub_i32 s7, s6, s92
	s_cmp_ge_u32 s6, s92
	s_cselect_b32 s6, s7, s6
	s_sub_i32 s7, s6, s92
	s_cmp_ge_u32 s6, s92
	s_cselect_b32 s98, s7, s6
	s_mov_b64 s[6:7], s[98:99]
.LBB22_203:                             ;   in Loop: Header=BB22_32 Depth=1
	v_readlane_b32 s4, v65, 47
	s_sub_u32 s46, s4, s6
	s_subb_u32 s47, s77, s7
	v_cmp_gt_i64_e32 vcc, s[46:47], v[0:1]
	s_mov_b64 s[8:9], 0
	s_mov_b64 s[6:7], 0
                                        ; implicit-def: $vgpr37
	s_and_saveexec_b64 s[12:13], vcc
	s_cbranch_execz .LBB22_214
; %bb.204:                              ;   in Loop: Header=BB22_32 Depth=1
	v_mov_b64_e32 v[6:7], v[12:13]
	v_mov_b64_e32 v[8:9], v[0:1]
                                        ; implicit-def: $sgpr48_sgpr49
	s_branch .LBB22_207
.LBB22_205:                             ;   in Loop: Header=BB22_207 Depth=2
	s_or_b64 exec, exec, s[50:51]
	s_waitcnt lgkmcnt(0)
	s_barrier
	ds_read_b64 v[36:37], v3 offset:3072
	s_mov_b64 s[50:51], -1
	s_mov_b64 s[52:53], -1
	s_waitcnt lgkmcnt(0)
	s_barrier
	v_cmp_ne_u32_e32 vcc, 0, v36
	s_cbranch_vccz .LBB22_210
.LBB22_206:                             ;   in Loop: Header=BB22_207 Depth=2
	s_and_b64 s[50:51], exec, s[50:51]
	s_or_b64 s[6:7], s[50:51], s[6:7]
	s_andn2_b64 s[48:49], s[48:49], exec
	s_and_b64 s[50:51], s[52:53], exec
	s_or_b64 s[48:49], s[48:49], s[50:51]
	s_andn2_b64 exec, exec, s[6:7]
	s_cbranch_execz .LBB22_213
.LBB22_207:                             ;   Parent Loop BB22_32 Depth=1
                                        ; =>  This Inner Loop Header: Depth=2
	v_cmp_gt_i64_e32 vcc, s[60:61], v[8:9]
	s_and_saveexec_b64 s[50:51], vcc
	s_cbranch_execz .LBB22_205
; %bb.208:                              ;   in Loop: Header=BB22_207 Depth=2
	global_load_dword v35, v[6:7], off
	s_waitcnt vmcnt(0)
	v_bitop3_b32 v10, v35, v52, s78 bitop3:0x48
	v_cmp_eq_u32_e32 vcc, v10, v50
	s_and_b64 exec, exec, vcc
	s_cbranch_execz .LBB22_205
; %bb.209:                              ;   in Loop: Header=BB22_207 Depth=2
	ds_write_b64 v3, v[34:35] offset:3072
	s_branch .LBB22_205
.LBB22_210:                             ;   in Loop: Header=BB22_207 Depth=2
	v_lshl_add_u64 v[8:9], v[8:9], 0, s[92:93]
	v_cmp_le_i64_e32 vcc, s[46:47], v[8:9]
	v_lshl_add_u64 v[6:7], v[6:7], 0, s[90:91]
	s_mov_b64 s[52:53], 0
	s_orn2_b64 s[50:51], vcc, exec
	s_branch .LBB22_206
.LBB22_211:                             ;   in Loop: Header=BB22_32 Depth=1
                                        ; implicit-def: $sgpr6_sgpr7
	s_andn2_b64 vcc, exec, s[8:9]
	s_cbranch_vccz .LBB22_156
	s_branch .LBB22_157
.LBB22_212:                             ;   in Loop: Header=BB22_32 Depth=1
                                        ; implicit-def: $sgpr8_sgpr9
	s_branch .LBB22_172
.LBB22_213:                             ;   in Loop: Header=BB22_32 Depth=1
	s_or_b64 exec, exec, s[6:7]
	s_and_b64 s[6:7], s[48:49], exec
.LBB22_214:                             ;   in Loop: Header=BB22_32 Depth=1
	s_or_b64 exec, exec, s[12:13]
.LBB22_215:                             ;   in Loop: Header=BB22_32 Depth=1
	s_and_b64 vcc, exec, s[8:9]
	s_cbranch_vccz .LBB22_229
; %bb.216:                              ;   in Loop: Header=BB22_32 Depth=1
	v_readlane_b32 s4, v65, 46
	s_add_u32 s38, s44, s4
	v_readlane_b32 s4, v65, 48
	s_addc_u32 s9, s45, s4
	s_mov_b32 s8, s99
	s_cmp_lg_u64 s[8:9], 0
	s_cbranch_scc0 .LBB22_257
; %bb.217:                              ;   in Loop: Header=BB22_32 Depth=1
	s_add_u32 s12, s92, 0
	s_addc_u32 s13, 0, 0
	s_xor_b64 s[12:13], s[12:13], 0
	v_cvt_f32_u32_e32 v6, s12
	v_cvt_f32_u32_e32 v7, s13
	s_sub_u32 s8, 0, s12
	s_subb_u32 s39, 0, s13
	v_fmac_f32_e32 v6, 0x4f800000, v7
	v_rcp_f32_e32 v6, v6
	s_nop 0
	v_mul_f32_e32 v6, 0x5f7ffffc, v6
	v_mul_f32_e32 v7, 0x2f800000, v6
	v_trunc_f32_e32 v7, v7
	v_fmac_f32_e32 v6, 0xcf800000, v7
	v_cvt_u32_f32_e32 v7, v7
	v_cvt_u32_f32_e32 v6, v6
	v_readfirstlane_b32 s46, v7
	v_readfirstlane_b32 s36, v6
	s_mul_i32 s37, s8, s46
	s_mul_hi_u32 s48, s8, s36
	s_mul_i32 s47, s39, s36
	s_add_i32 s37, s48, s37
	s_mul_i32 s49, s8, s36
	s_add_i32 s37, s37, s47
	s_mul_i32 s48, s36, s37
	s_mul_hi_u32 s50, s36, s49
	s_mul_hi_u32 s47, s36, s37
	s_add_u32 s48, s50, s48
	s_addc_u32 s47, 0, s47
	s_mul_hi_u32 s51, s46, s49
	s_mul_i32 s49, s46, s49
	s_add_u32 s48, s48, s49
	s_mul_hi_u32 s50, s46, s37
	s_addc_u32 s47, s47, s51
	s_addc_u32 s48, s50, 0
	s_mul_i32 s37, s46, s37
	s_add_u32 s37, s47, s37
	s_addc_u32 s47, 0, s48
	s_add_u32 s48, s36, s37
	s_cselect_b64 s[36:37], -1, 0
	s_cmp_lg_u64 s[36:37], 0
	s_addc_u32 s46, s46, s47
	s_mul_i32 s36, s8, s46
	s_mul_hi_u32 s37, s8, s48
	s_add_i32 s36, s37, s36
	s_mul_i32 s39, s39, s48
	s_add_i32 s36, s36, s39
	s_mul_i32 s8, s8, s48
	s_mul_hi_u32 s39, s46, s8
	s_mul_i32 s47, s46, s8
	s_mul_i32 s50, s48, s36
	s_mul_hi_u32 s8, s48, s8
	s_mul_hi_u32 s49, s48, s36
	s_add_u32 s8, s8, s50
	s_addc_u32 s49, 0, s49
	s_add_u32 s8, s8, s47
	s_mul_hi_u32 s37, s46, s36
	s_addc_u32 s8, s49, s39
	s_addc_u32 s37, s37, 0
	s_mul_i32 s36, s46, s36
	s_add_u32 s8, s8, s36
	s_addc_u32 s39, 0, s37
	s_add_u32 s8, s48, s8
	s_cselect_b64 s[36:37], -1, 0
	s_cmp_lg_u64 s[36:37], 0
	s_addc_u32 s39, s46, s39
	s_ashr_i32 s36, s9, 31
	s_add_u32 s46, s38, s36
	s_mov_b32 s37, s36
	s_addc_u32 s47, s9, s36
	s_xor_b64 s[46:47], s[46:47], s[36:37]
	s_mul_i32 s49, s46, s39
	s_mul_hi_u32 s50, s46, s8
	s_mul_hi_u32 s48, s46, s39
	s_add_u32 s49, s50, s49
	s_addc_u32 s48, 0, s48
	s_mul_hi_u32 s51, s47, s8
	s_mul_i32 s8, s47, s8
	s_add_u32 s8, s49, s8
	s_mul_hi_u32 s50, s47, s39
	s_addc_u32 s8, s48, s51
	s_addc_u32 s48, s50, 0
	s_mul_i32 s39, s47, s39
	s_add_u32 s8, s8, s39
	s_addc_u32 s39, 0, s48
	s_mul_i32 s39, s12, s39
	s_mul_hi_u32 s48, s12, s8
	s_add_i32 s39, s48, s39
	s_mul_i32 s48, s13, s8
	s_add_i32 s39, s39, s48
	s_sub_i32 s50, s47, s39
	s_mul_i32 s8, s12, s8
	s_sub_u32 s8, s46, s8
	s_cselect_b64 s[48:49], -1, 0
	s_cmp_lg_u64 s[48:49], 0
	s_subb_u32 s46, s50, s13
	s_sub_u32 s52, s8, s12
	s_cselect_b64 s[50:51], -1, 0
	s_cmp_lg_u64 s[50:51], 0
	s_subb_u32 s53, s46, 0
	s_cmp_ge_u32 s53, s13
	s_cselect_b32 s55, -1, 0
	s_cmp_ge_u32 s52, s12
	s_cselect_b32 s56, -1, 0
	s_cmp_eq_u32 s53, s13
	s_cselect_b32 s55, s56, s55
	s_cmp_lg_u64 s[50:51], 0
	s_subb_u32 s46, s46, s13
	s_sub_u32 s56, s52, s12
	s_cselect_b64 s[50:51], -1, 0
	s_cmp_lg_u64 s[50:51], 0
	s_subb_u32 s46, s46, 0
	s_cmp_lg_u32 s55, 0
	s_cselect_b32 s50, s56, s52
	s_cselect_b32 s46, s46, s53
	s_cmp_lg_u64 s[48:49], 0
	s_subb_u32 s39, s47, s39
	s_cmp_ge_u32 s39, s13
	s_cselect_b32 s47, -1, 0
	s_cmp_ge_u32 s8, s12
	s_cselect_b32 s12, -1, 0
	s_cmp_eq_u32 s39, s13
	s_cselect_b32 s12, s12, s47
	s_cmp_lg_u32 s12, 0
	s_cselect_b32 s13, s46, s39
	s_cselect_b32 s12, s50, s8
	s_xor_b64 s[12:13], s[12:13], s[36:37]
	s_sub_u32 s12, s12, s36
	s_subb_u32 s13, s13, s36
	s_cbranch_execnz .LBB22_219
.LBB22_218:                             ;   in Loop: Header=BB22_32 Depth=1
	v_cvt_f32_u32_e32 v6, s92
	s_sub_i32 s8, 0, s92
	v_rcp_iflag_f32_e32 v6, v6
	s_nop 0
	v_mul_f32_e32 v6, 0x4f7ffffe, v6
	v_cvt_u32_f32_e32 v6, v6
	s_nop 0
	v_readfirstlane_b32 s12, v6
	s_mul_i32 s8, s8, s12
	s_mul_hi_u32 s8, s12, s8
	s_add_i32 s12, s12, s8
	s_mul_hi_u32 s8, s38, s12
	s_mul_i32 s8, s8, s92
	s_sub_i32 s8, s38, s8
	s_sub_i32 s12, s8, s92
	s_cmp_ge_u32 s8, s92
	s_cselect_b32 s8, s12, s8
	s_sub_i32 s12, s8, s92
	s_cmp_ge_u32 s8, s92
	s_cselect_b32 s98, s12, s8
	s_mov_b64 s[12:13], s[98:99]
.LBB22_219:                             ;   in Loop: Header=BB22_32 Depth=1
	s_sub_u32 s12, s38, s12
	s_subb_u32 s13, s9, s13
	v_cmp_gt_i64_e32 vcc, s[12:13], v[0:1]
                                        ; implicit-def: $vgpr37
	s_and_saveexec_b64 s[8:9], vcc
	s_cbranch_execz .LBB22_228
; %bb.220:                              ;   in Loop: Header=BB22_32 Depth=1
	s_mov_b64 s[36:37], 0
	v_mov_b32_e32 v8, v14
	v_mov_b64_e32 v[6:7], v[0:1]
                                        ; implicit-def: $sgpr38_sgpr39
	s_branch .LBB22_223
.LBB22_221:                             ;   in Loop: Header=BB22_223 Depth=2
	s_or_b64 exec, exec, s[46:47]
	s_waitcnt lgkmcnt(0)
	s_barrier
	ds_read_b64 v[36:37], v3 offset:3072
	s_mov_b64 s[46:47], -1
	s_mov_b64 s[48:49], -1
	s_waitcnt lgkmcnt(0)
	s_barrier
	v_cmp_eq_u32_e32 vcc, 0, v36
	s_cbranch_vccnz .LBB22_226
.LBB22_222:                             ;   in Loop: Header=BB22_223 Depth=2
	s_and_b64 s[46:47], exec, s[46:47]
	s_or_b64 s[36:37], s[46:47], s[36:37]
	s_andn2_b64 s[38:39], s[38:39], exec
	s_and_b64 s[46:47], s[48:49], exec
	s_or_b64 s[38:39], s[38:39], s[46:47]
	s_andn2_b64 exec, exec, s[36:37]
	s_cbranch_execz .LBB22_227
.LBB22_223:                             ;   Parent Loop BB22_32 Depth=1
                                        ; =>  This Inner Loop Header: Depth=2
	v_cmp_gt_u64_e32 vcc, s[44:45], v[6:7]
	s_and_saveexec_b64 s[46:47], vcc
	s_cbranch_execz .LBB22_221
; %bb.224:                              ;   in Loop: Header=BB22_223 Depth=2
	ds_read_b32 v35, v8
	s_waitcnt lgkmcnt(0)
	v_bitop3_b32 v9, v35, v52, s78 bitop3:0x48
	v_cmp_eq_u32_e32 vcc, v9, v50
	s_and_b64 exec, exec, vcc
	s_cbranch_execz .LBB22_221
; %bb.225:                              ;   in Loop: Header=BB22_223 Depth=2
	ds_write_b64 v3, v[34:35] offset:3072
	s_branch .LBB22_221
.LBB22_226:                             ;   in Loop: Header=BB22_223 Depth=2
	v_lshl_add_u64 v[6:7], v[6:7], 0, s[92:93]
	v_cmp_le_i64_e32 vcc, s[12:13], v[6:7]
	v_add_u32_e32 v8, s81, v8
	s_mov_b64 s[48:49], 0
	s_orn2_b64 s[46:47], vcc, exec
	s_branch .LBB22_222
.LBB22_227:                             ;   in Loop: Header=BB22_32 Depth=1
	s_or_b64 exec, exec, s[36:37]
	s_andn2_b64 s[6:7], s[6:7], exec
	s_and_b64 s[12:13], s[38:39], exec
	s_or_b64 s[6:7], s[6:7], s[12:13]
.LBB22_228:                             ;   in Loop: Header=BB22_32 Depth=1
	s_or_b64 exec, exec, s[8:9]
	s_mov_b64 s[36:37], 0
	s_mov_b64 s[38:39], -1
.LBB22_229:                             ;   in Loop: Header=BB22_32 Depth=1
	s_orn2_b64 s[6:7], s[6:7], exec
.LBB22_230:                             ;   in Loop: Header=BB22_32 Depth=1
	s_or_b64 exec, exec, s[40:41]
	s_mov_b64 s[8:9], 0
	s_and_saveexec_b64 s[40:41], s[6:7]
	s_cbranch_execz .LBB22_288
; %bb.231:                              ;   in Loop: Header=BB22_32 Depth=1
	s_xor_b64 s[12:13], s[42:43], -1
	v_mov_b32_e32 v2, 1
	v_mov_b64_e32 v[6:7], 1
	s_and_saveexec_b64 s[6:7], s[12:13]
	s_cbranch_execz .LBB22_240
; %bb.232:                              ;   in Loop: Header=BB22_32 Depth=1
	v_cmp_ge_i64_e32 vcc, s[24:25], v[4:5]
	s_and_saveexec_b64 s[8:9], vcc
	s_xor_b64 s[8:9], exec, s[8:9]
	s_cbranch_execz .LBB22_237
; %bb.233:                              ;   in Loop: Header=BB22_32 Depth=1
	ds_read_b64 v[6:7], v3 offset:5120
	v_and_b32_e32 v2, s54, v50
	v_lshl_or_b32 v50, 2, s79, v2
	v_or_b32_e32 v52, s68, v52
	s_waitcnt lgkmcnt(0)
	v_cmp_ne_u64_e32 vcc, 0, v[6:7]
	s_cbranch_vccnz .LBB22_237
; %bb.234:                              ;   in Loop: Header=BB22_32 Depth=1
	s_mov_b64 s[12:13], exec
	v_readlane_b32 s42, v65, 32
	v_readlane_b32 s43, v65, 33
	s_and_b64 s[42:43], s[12:13], s[42:43]
	s_mov_b64 exec, s[42:43]
; %bb.235:                              ;   in Loop: Header=BB22_32 Depth=1
	v_mov_b64_e32 v[6:7], s[24:25]
	ds_write_b64 v3, v[6:7] offset:5128
; %bb.236:                              ;   in Loop: Header=BB22_32 Depth=1
	s_or_b64 exec, exec, s[12:13]
	s_waitcnt lgkmcnt(0)
	s_barrier
.LBB22_237:                             ;   in Loop: Header=BB22_32 Depth=1
	s_or_saveexec_b64 s[8:9], s[8:9]
	s_mov_b64 s[12:13], 0
	v_mov_b32_e32 v2, 8
	s_xor_b64 exec, exec, s[8:9]
; %bb.238:                              ;   in Loop: Header=BB22_32 Depth=1
	v_mov_b32_e32 v2, s25
	v_subrev_co_u32_e32 v4, vcc, s24, v4
	s_mov_b64 s[12:13], exec
	s_nop 0
	v_subb_co_u32_e32 v5, vcc, v5, v2, vcc
	v_mov_b32_e32 v2, 0
; %bb.239:                              ;   in Loop: Header=BB22_32 Depth=1
	s_or_b64 exec, exec, s[8:9]
	s_and_b64 s[8:9], s[12:13], exec
	v_mov_b64_e32 v[6:7], v[4:5]
.LBB22_240:                             ;   in Loop: Header=BB22_32 Depth=1
	s_or_b64 exec, exec, s[6:7]
	s_mov_b64 s[6:7], -1
                                        ; implicit-def: $sgpr50_sgpr51
                                        ; implicit-def: $sgpr48_sgpr49
	s_and_saveexec_b64 s[24:25], s[8:9]
	s_cbranch_execz .LBB22_287
; %bb.241:                              ;   in Loop: Header=BB22_32 Depth=1
	s_cmp_eq_u64 s[16:17], 1
	s_cselect_b64 s[6:7], -1, 0
	v_cmp_eq_u64_e32 vcc, 1, v[6:7]
	s_and_b64 s[42:43], s[6:7], vcc
	s_mov_b64 s[8:9], -1
                                        ; implicit-def: $sgpr50_sgpr51
                                        ; implicit-def: $sgpr48_sgpr49
	s_and_saveexec_b64 s[44:45], s[42:43]
	s_cbranch_execz .LBB22_275
; %bb.242:                              ;   in Loop: Header=BB22_32 Depth=1
	ds_read_b64 v[4:5], v3 offset:5120
	v_readlane_b32 s4, v65, 36
	v_readlane_b32 s5, v65, 37
	s_waitcnt lgkmcnt(0)
	s_barrier
	v_readfirstlane_b32 s46, v4
	v_readfirstlane_b32 s47, v5
	s_and_saveexec_b64 s[6:7], s[4:5]
; %bb.243:                              ;   in Loop: Header=BB22_32 Depth=1
	ds_write_b32 v45, v3
; %bb.244:                              ;   in Loop: Header=BB22_32 Depth=1
	s_or_b64 exec, exec, s[6:7]
	v_cmp_gt_i64_e64 s[6:7], s[46:47], 0
	v_or_b32_e32 v50, s68, v50
	v_or_b32_e32 v52, s68, v52
	s_mov_b64 s[48:49], -1
	s_mov_b64 s[50:51], 0
	s_and_b64 vcc, exec, s[6:7]
	s_mov_b64 s[6:7], 0
	s_waitcnt lgkmcnt(0)
	s_barrier
                                        ; implicit-def: $vgpr37
	s_cbranch_vccnz .LBB22_260
; %bb.245:                              ;   in Loop: Header=BB22_32 Depth=1
	s_mov_b32 s76, s99
	s_cmp_lg_u64 s[76:77], 0
	s_cbranch_scc0 .LBB22_294
; %bb.246:                              ;   in Loop: Header=BB22_32 Depth=1
	s_add_u32 s6, s92, 0
	s_addc_u32 s7, 0, 0
	s_xor_b64 s[6:7], s[6:7], 0
	v_cvt_f32_u32_e32 v4, s6
	v_cvt_f32_u32_e32 v5, s7
	s_sub_u32 s12, 0, s6
	s_subb_u32 s13, 0, s7
	v_readlane_b32 s4, v65, 47
	v_fmac_f32_e32 v4, 0x4f800000, v5
	v_rcp_f32_e32 v4, v4
	s_nop 0
	v_mul_f32_e32 v4, 0x5f7ffffc, v4
	v_mul_f32_e32 v5, 0x2f800000, v4
	v_trunc_f32_e32 v5, v5
	v_fmac_f32_e32 v4, 0xcf800000, v5
	v_cvt_u32_f32_e32 v5, v5
	v_cvt_u32_f32_e32 v4, v4
	v_readfirstlane_b32 s52, v5
	v_readfirstlane_b32 s8, v4
	s_mul_i32 s9, s12, s52
	s_mul_hi_u32 s54, s12, s8
	s_mul_i32 s53, s13, s8
	s_add_i32 s9, s54, s9
	s_mul_i32 s55, s12, s8
	s_add_i32 s9, s9, s53
	s_mul_i32 s54, s8, s9
	s_mul_hi_u32 s56, s8, s55
	s_mul_hi_u32 s53, s8, s9
	s_add_u32 s54, s56, s54
	s_addc_u32 s53, 0, s53
	s_mul_hi_u32 s57, s52, s55
	s_mul_i32 s55, s52, s55
	s_add_u32 s54, s54, s55
	s_mul_hi_u32 s56, s52, s9
	s_addc_u32 s53, s53, s57
	s_addc_u32 s54, s56, 0
	s_mul_i32 s9, s52, s9
	s_add_u32 s9, s53, s9
	s_addc_u32 s53, 0, s54
	s_add_u32 s54, s8, s9
	s_cselect_b64 s[8:9], -1, 0
	s_cmp_lg_u64 s[8:9], 0
	s_addc_u32 s52, s52, s53
	s_mul_i32 s8, s12, s52
	s_mul_hi_u32 s9, s12, s54
	s_add_i32 s8, s9, s8
	s_mul_i32 s13, s13, s54
	s_add_i32 s8, s8, s13
	s_mul_i32 s12, s12, s54
	s_mul_hi_u32 s13, s52, s12
	s_mul_i32 s53, s52, s12
	s_mul_i32 s56, s54, s8
	s_mul_hi_u32 s12, s54, s12
	s_mul_hi_u32 s55, s54, s8
	s_add_u32 s12, s12, s56
	s_addc_u32 s55, 0, s55
	s_add_u32 s12, s12, s53
	s_mul_hi_u32 s9, s52, s8
	s_addc_u32 s12, s55, s13
	s_addc_u32 s9, s9, 0
	s_mul_i32 s8, s52, s8
	s_add_u32 s8, s12, s8
	s_addc_u32 s12, 0, s9
	s_add_u32 s53, s54, s8
	s_cselect_b64 s[8:9], -1, 0
	s_cmp_lg_u64 s[8:9], 0
	s_addc_u32 s52, s52, s12
	s_ashr_i32 s8, s77, 31
	s_add_u32 s12, s4, s8
	s_mov_b32 s9, s8
	s_addc_u32 s13, s77, s8
	s_xor_b64 s[12:13], s[12:13], s[8:9]
	s_mul_i32 s55, s12, s52
	s_mul_hi_u32 s56, s12, s53
	s_mul_hi_u32 s54, s12, s52
	s_add_u32 s55, s56, s55
	s_addc_u32 s54, 0, s54
	s_mul_hi_u32 s57, s13, s53
	s_mul_i32 s53, s13, s53
	s_add_u32 s53, s55, s53
	s_mul_hi_u32 s56, s13, s52
	s_addc_u32 s53, s54, s57
	s_addc_u32 s54, s56, 0
	s_mul_i32 s52, s13, s52
	s_add_u32 s52, s53, s52
	s_addc_u32 s53, 0, s54
	s_mul_i32 s53, s6, s53
	s_mul_hi_u32 s54, s6, s52
	s_add_i32 s53, s54, s53
	s_mul_i32 s54, s7, s52
	s_add_i32 s56, s53, s54
	s_sub_i32 s54, s13, s56
	s_mul_i32 s52, s6, s52
	s_sub_u32 s12, s12, s52
	s_cselect_b64 s[52:53], -1, 0
	s_cmp_lg_u64 s[52:53], 0
	s_subb_u32 s57, s54, s7
	s_sub_u32 s58, s12, s6
	s_cselect_b64 s[54:55], -1, 0
	s_cmp_lg_u64 s[54:55], 0
	s_subb_u32 s59, s57, 0
	s_cmp_ge_u32 s59, s7
	s_cselect_b32 s69, -1, 0
	s_cmp_ge_u32 s58, s6
	s_cselect_b32 s70, -1, 0
	s_cmp_eq_u32 s59, s7
	s_cselect_b32 s69, s70, s69
	s_cmp_lg_u64 s[54:55], 0
	s_subb_u32 s57, s57, s7
	s_sub_u32 s70, s58, s6
	s_cselect_b64 s[54:55], -1, 0
	s_cmp_lg_u64 s[54:55], 0
	s_subb_u32 s54, s57, 0
	s_cmp_lg_u32 s69, 0
	s_cselect_b32 s55, s70, s58
	s_cselect_b32 s54, s54, s59
	s_cmp_lg_u64 s[52:53], 0
	s_subb_u32 s13, s13, s56
	s_cmp_ge_u32 s13, s7
	s_cselect_b32 s52, -1, 0
	s_cmp_ge_u32 s12, s6
	s_cselect_b32 s6, -1, 0
	s_cmp_eq_u32 s13, s7
	s_cselect_b32 s6, s6, s52
	s_cmp_lg_u32 s6, 0
	s_cselect_b32 s7, s54, s13
	s_cselect_b32 s6, s55, s12
	s_xor_b64 s[6:7], s[6:7], s[8:9]
	s_sub_u32 s6, s6, s8
	s_subb_u32 s7, s7, s8
	s_cbranch_execnz .LBB22_248
.LBB22_247:                             ;   in Loop: Header=BB22_32 Depth=1
	v_cvt_f32_u32_e32 v4, s92
	s_sub_i32 s6, 0, s92
	v_readlane_b32 s4, v65, 47
	v_rcp_iflag_f32_e32 v4, v4
	s_nop 0
	v_mul_f32_e32 v4, 0x4f7ffffe, v4
	v_cvt_u32_f32_e32 v4, v4
	s_nop 0
	v_readfirstlane_b32 s7, v4
	s_mul_i32 s6, s6, s7
	s_mul_hi_u32 s6, s7, s6
	s_add_i32 s7, s7, s6
	s_mul_hi_u32 s6, s4, s7
	s_mul_i32 s6, s6, s92
	s_sub_i32 s6, s4, s6
	s_sub_i32 s7, s6, s92
	s_cmp_ge_u32 s6, s92
	s_cselect_b32 s6, s7, s6
	s_sub_i32 s7, s6, s92
	s_cmp_ge_u32 s6, s92
	s_cselect_b32 s98, s7, s6
	s_mov_b64 s[6:7], s[98:99]
.LBB22_248:                             ;   in Loop: Header=BB22_32 Depth=1
	v_readlane_b32 s4, v65, 47
	s_sub_u32 s52, s4, s6
	s_subb_u32 s53, s77, s7
	v_cmp_gt_i64_e32 vcc, s[52:53], v[0:1]
	s_mov_b64 s[8:9], 0
	s_mov_b64 s[6:7], 0
                                        ; implicit-def: $vgpr37
	s_and_saveexec_b64 s[12:13], vcc
	s_cbranch_execz .LBB22_259
; %bb.249:                              ;   in Loop: Header=BB22_32 Depth=1
	v_mov_b64_e32 v[4:5], v[12:13]
	v_mov_b64_e32 v[8:9], v[0:1]
                                        ; implicit-def: $sgpr54_sgpr55
	s_branch .LBB22_252
.LBB22_250:                             ;   in Loop: Header=BB22_252 Depth=2
	s_or_b64 exec, exec, s[56:57]
	s_waitcnt lgkmcnt(0)
	s_barrier
	ds_read_b64 v[36:37], v3 offset:3072
	s_mov_b64 s[56:57], -1
	s_mov_b64 s[58:59], -1
	s_waitcnt lgkmcnt(0)
	s_barrier
	v_cmp_ne_u32_e32 vcc, 0, v36
	s_cbranch_vccz .LBB22_255
.LBB22_251:                             ;   in Loop: Header=BB22_252 Depth=2
	s_and_b64 s[56:57], exec, s[56:57]
	s_or_b64 s[6:7], s[56:57], s[6:7]
	s_andn2_b64 s[54:55], s[54:55], exec
	s_and_b64 s[56:57], s[58:59], exec
	s_or_b64 s[54:55], s[54:55], s[56:57]
	s_andn2_b64 exec, exec, s[6:7]
	s_cbranch_execz .LBB22_258
.LBB22_252:                             ;   Parent Loop BB22_32 Depth=1
                                        ; =>  This Inner Loop Header: Depth=2
	v_cmp_gt_i64_e32 vcc, s[60:61], v[8:9]
	s_and_saveexec_b64 s[56:57], vcc
	s_cbranch_execz .LBB22_250
; %bb.253:                              ;   in Loop: Header=BB22_252 Depth=2
	global_load_dword v35, v[4:5], off
	s_waitcnt vmcnt(0)
	v_bitop3_b32 v10, v35, v52, s78 bitop3:0x48
	v_cmp_eq_u32_e32 vcc, v10, v50
	s_and_b64 exec, exec, vcc
	s_cbranch_execz .LBB22_250
; %bb.254:                              ;   in Loop: Header=BB22_252 Depth=2
	ds_write_b64 v3, v[34:35] offset:3072
	s_branch .LBB22_250
.LBB22_255:                             ;   in Loop: Header=BB22_252 Depth=2
	v_lshl_add_u64 v[8:9], v[8:9], 0, s[92:93]
	v_cmp_le_i64_e32 vcc, s[52:53], v[8:9]
	v_lshl_add_u64 v[4:5], v[4:5], 0, s[90:91]
	s_mov_b64 s[58:59], 0
	s_orn2_b64 s[56:57], vcc, exec
	s_branch .LBB22_251
.LBB22_256:                             ;   in Loop: Header=BB22_32 Depth=1
                                        ; implicit-def: $sgpr6_sgpr7
	s_andn2_b64 vcc, exec, s[8:9]
	s_cbranch_vccz .LBB22_202
	s_branch .LBB22_203
.LBB22_257:                             ;   in Loop: Header=BB22_32 Depth=1
                                        ; implicit-def: $sgpr12_sgpr13
	s_branch .LBB22_218
.LBB22_258:                             ;   in Loop: Header=BB22_32 Depth=1
	s_or_b64 exec, exec, s[6:7]
	s_and_b64 s[6:7], s[54:55], exec
.LBB22_259:                             ;   in Loop: Header=BB22_32 Depth=1
	s_or_b64 exec, exec, s[12:13]
.LBB22_260:                             ;   in Loop: Header=BB22_32 Depth=1
	s_and_b64 vcc, exec, s[8:9]
	s_cbranch_vccz .LBB22_274
; %bb.261:                              ;   in Loop: Header=BB22_32 Depth=1
	v_readlane_b32 s4, v65, 46
	s_add_u32 s50, s46, s4
	v_readlane_b32 s4, v65, 48
	s_addc_u32 s9, s47, s4
	s_mov_b32 s8, s99
	s_cmp_lg_u64 s[8:9], 0
	s_cbranch_scc0 .LBB22_295
; %bb.262:                              ;   in Loop: Header=BB22_32 Depth=1
	s_add_u32 s12, s92, 0
	s_addc_u32 s13, 0, 0
	s_xor_b64 s[12:13], s[12:13], 0
	v_cvt_f32_u32_e32 v4, s12
	v_cvt_f32_u32_e32 v5, s13
	s_sub_u32 s8, 0, s12
	s_subb_u32 s51, 0, s13
	v_fmac_f32_e32 v4, 0x4f800000, v5
	v_rcp_f32_e32 v4, v4
	s_nop 0
	v_mul_f32_e32 v4, 0x5f7ffffc, v4
	v_mul_f32_e32 v5, 0x2f800000, v4
	v_trunc_f32_e32 v5, v5
	v_fmac_f32_e32 v4, 0xcf800000, v5
	v_cvt_u32_f32_e32 v5, v5
	v_cvt_u32_f32_e32 v4, v4
	v_readfirstlane_b32 s52, v5
	v_readfirstlane_b32 s48, v4
	s_mul_i32 s49, s8, s52
	s_mul_hi_u32 s54, s8, s48
	s_mul_i32 s53, s51, s48
	s_add_i32 s49, s54, s49
	s_mul_i32 s55, s8, s48
	s_add_i32 s49, s49, s53
	s_mul_i32 s54, s48, s49
	s_mul_hi_u32 s56, s48, s55
	s_mul_hi_u32 s53, s48, s49
	s_add_u32 s54, s56, s54
	s_addc_u32 s53, 0, s53
	s_mul_hi_u32 s57, s52, s55
	s_mul_i32 s55, s52, s55
	s_add_u32 s54, s54, s55
	s_mul_hi_u32 s56, s52, s49
	s_addc_u32 s53, s53, s57
	s_addc_u32 s54, s56, 0
	s_mul_i32 s49, s52, s49
	s_add_u32 s49, s53, s49
	s_addc_u32 s53, 0, s54
	s_add_u32 s54, s48, s49
	s_cselect_b64 s[48:49], -1, 0
	s_cmp_lg_u64 s[48:49], 0
	s_addc_u32 s52, s52, s53
	s_mul_i32 s48, s8, s52
	s_mul_hi_u32 s49, s8, s54
	s_add_i32 s48, s49, s48
	s_mul_i32 s51, s51, s54
	s_add_i32 s48, s48, s51
	s_mul_i32 s8, s8, s54
	s_mul_hi_u32 s51, s52, s8
	s_mul_i32 s53, s52, s8
	s_mul_i32 s56, s54, s48
	s_mul_hi_u32 s8, s54, s8
	s_mul_hi_u32 s55, s54, s48
	s_add_u32 s8, s8, s56
	s_addc_u32 s55, 0, s55
	s_add_u32 s8, s8, s53
	s_mul_hi_u32 s49, s52, s48
	s_addc_u32 s8, s55, s51
	s_addc_u32 s49, s49, 0
	s_mul_i32 s48, s52, s48
	s_add_u32 s8, s8, s48
	s_addc_u32 s51, 0, s49
	s_add_u32 s8, s54, s8
	s_cselect_b64 s[48:49], -1, 0
	s_cmp_lg_u64 s[48:49], 0
	s_addc_u32 s51, s52, s51
	s_ashr_i32 s48, s9, 31
	s_add_u32 s52, s50, s48
	s_mov_b32 s49, s48
	s_addc_u32 s53, s9, s48
	s_xor_b64 s[52:53], s[52:53], s[48:49]
	s_mul_i32 s55, s52, s51
	s_mul_hi_u32 s56, s52, s8
	s_mul_hi_u32 s54, s52, s51
	s_add_u32 s55, s56, s55
	s_addc_u32 s54, 0, s54
	s_mul_hi_u32 s57, s53, s8
	s_mul_i32 s8, s53, s8
	s_add_u32 s8, s55, s8
	s_mul_hi_u32 s56, s53, s51
	s_addc_u32 s8, s54, s57
	s_addc_u32 s54, s56, 0
	s_mul_i32 s51, s53, s51
	s_add_u32 s8, s8, s51
	s_addc_u32 s51, 0, s54
	s_mul_i32 s51, s12, s51
	s_mul_hi_u32 s54, s12, s8
	s_add_i32 s51, s54, s51
	s_mul_i32 s54, s13, s8
	s_add_i32 s51, s51, s54
	s_sub_i32 s56, s53, s51
	s_mul_i32 s8, s12, s8
	s_sub_u32 s8, s52, s8
	s_cselect_b64 s[54:55], -1, 0
	s_cmp_lg_u64 s[54:55], 0
	s_subb_u32 s52, s56, s13
	s_sub_u32 s58, s8, s12
	s_cselect_b64 s[56:57], -1, 0
	s_cmp_lg_u64 s[56:57], 0
	s_subb_u32 s59, s52, 0
	s_cmp_ge_u32 s59, s13
	s_cselect_b32 s69, -1, 0
	s_cmp_ge_u32 s58, s12
	s_cselect_b32 s70, -1, 0
	s_cmp_eq_u32 s59, s13
	s_cselect_b32 s69, s70, s69
	s_cmp_lg_u64 s[56:57], 0
	s_subb_u32 s52, s52, s13
	s_sub_u32 s70, s58, s12
	s_cselect_b64 s[56:57], -1, 0
	s_cmp_lg_u64 s[56:57], 0
	s_subb_u32 s52, s52, 0
	s_cmp_lg_u32 s69, 0
	s_cselect_b32 s56, s70, s58
	s_cselect_b32 s52, s52, s59
	s_cmp_lg_u64 s[54:55], 0
	s_subb_u32 s51, s53, s51
	s_cmp_ge_u32 s51, s13
	s_cselect_b32 s53, -1, 0
	s_cmp_ge_u32 s8, s12
	s_cselect_b32 s12, -1, 0
	s_cmp_eq_u32 s51, s13
	s_cselect_b32 s12, s12, s53
	s_cmp_lg_u32 s12, 0
	s_cselect_b32 s13, s52, s51
	s_cselect_b32 s12, s56, s8
	s_xor_b64 s[12:13], s[12:13], s[48:49]
	s_sub_u32 s12, s12, s48
	s_subb_u32 s13, s13, s48
	s_cbranch_execnz .LBB22_264
.LBB22_263:                             ;   in Loop: Header=BB22_32 Depth=1
	v_cvt_f32_u32_e32 v4, s92
	s_sub_i32 s8, 0, s92
	v_rcp_iflag_f32_e32 v4, v4
	s_nop 0
	v_mul_f32_e32 v4, 0x4f7ffffe, v4
	v_cvt_u32_f32_e32 v4, v4
	s_nop 0
	v_readfirstlane_b32 s12, v4
	s_mul_i32 s8, s8, s12
	s_mul_hi_u32 s8, s12, s8
	s_add_i32 s12, s12, s8
	s_mul_hi_u32 s8, s50, s12
	s_mul_i32 s8, s8, s92
	s_sub_i32 s8, s50, s8
	s_sub_i32 s12, s8, s92
	s_cmp_ge_u32 s8, s92
	s_cselect_b32 s8, s12, s8
	s_sub_i32 s12, s8, s92
	s_cmp_ge_u32 s8, s92
	s_cselect_b32 s98, s12, s8
	s_mov_b64 s[12:13], s[98:99]
.LBB22_264:                             ;   in Loop: Header=BB22_32 Depth=1
	s_sub_u32 s12, s50, s12
	s_subb_u32 s13, s9, s13
	v_cmp_gt_i64_e32 vcc, s[12:13], v[0:1]
                                        ; implicit-def: $vgpr37
	s_and_saveexec_b64 s[8:9], vcc
	s_cbranch_execz .LBB22_273
; %bb.265:                              ;   in Loop: Header=BB22_32 Depth=1
	s_mov_b64 s[48:49], 0
	v_mov_b32_e32 v8, v14
	v_mov_b64_e32 v[4:5], v[0:1]
                                        ; implicit-def: $sgpr50_sgpr51
	s_branch .LBB22_268
.LBB22_266:                             ;   in Loop: Header=BB22_268 Depth=2
	s_or_b64 exec, exec, s[52:53]
	s_waitcnt lgkmcnt(0)
	s_barrier
	ds_read_b64 v[36:37], v3 offset:3072
	s_mov_b64 s[52:53], -1
	s_mov_b64 s[54:55], -1
	s_waitcnt lgkmcnt(0)
	s_barrier
	v_cmp_eq_u32_e32 vcc, 0, v36
	s_cbranch_vccnz .LBB22_271
.LBB22_267:                             ;   in Loop: Header=BB22_268 Depth=2
	s_and_b64 s[52:53], exec, s[52:53]
	s_or_b64 s[48:49], s[52:53], s[48:49]
	s_andn2_b64 s[50:51], s[50:51], exec
	s_and_b64 s[52:53], s[54:55], exec
	s_or_b64 s[50:51], s[50:51], s[52:53]
	s_andn2_b64 exec, exec, s[48:49]
	s_cbranch_execz .LBB22_272
.LBB22_268:                             ;   Parent Loop BB22_32 Depth=1
                                        ; =>  This Inner Loop Header: Depth=2
	v_cmp_gt_u64_e32 vcc, s[46:47], v[4:5]
	s_and_saveexec_b64 s[52:53], vcc
	s_cbranch_execz .LBB22_266
; %bb.269:                              ;   in Loop: Header=BB22_268 Depth=2
	ds_read_b32 v35, v8
	s_waitcnt lgkmcnt(0)
	v_bitop3_b32 v9, v35, v52, s78 bitop3:0x48
	v_cmp_eq_u32_e32 vcc, v9, v50
	s_and_b64 exec, exec, vcc
	s_cbranch_execz .LBB22_266
; %bb.270:                              ;   in Loop: Header=BB22_268 Depth=2
	ds_write_b64 v3, v[34:35] offset:3072
	s_branch .LBB22_266
.LBB22_271:                             ;   in Loop: Header=BB22_268 Depth=2
	v_lshl_add_u64 v[4:5], v[4:5], 0, s[92:93]
	v_cmp_le_i64_e32 vcc, s[12:13], v[4:5]
	v_add_u32_e32 v8, s81, v8
	s_mov_b64 s[54:55], 0
	s_orn2_b64 s[52:53], vcc, exec
	s_branch .LBB22_267
.LBB22_272:                             ;   in Loop: Header=BB22_32 Depth=1
	s_or_b64 exec, exec, s[48:49]
	s_andn2_b64 s[6:7], s[6:7], exec
	s_and_b64 s[12:13], s[50:51], exec
	s_or_b64 s[6:7], s[6:7], s[12:13]
.LBB22_273:                             ;   in Loop: Header=BB22_32 Depth=1
	s_or_b64 exec, exec, s[8:9]
	s_mov_b64 s[48:49], 0
	s_mov_b64 s[50:51], -1
.LBB22_274:                             ;   in Loop: Header=BB22_32 Depth=1
	s_orn2_b64 s[8:9], s[6:7], exec
.LBB22_275:                             ;   in Loop: Header=BB22_32 Depth=1
	s_or_b64 exec, exec, s[44:45]
	s_mov_b64 s[12:13], 0
	s_and_saveexec_b64 s[6:7], s[8:9]
	s_cbranch_execz .LBB22_286
; %bb.276:                              ;   in Loop: Header=BB22_32 Depth=1
	s_xor_b64 s[12:13], s[42:43], -1
	v_mov_b64_e32 v[4:5], 1
	v_mov_b32_e32 v2, 1
	s_and_saveexec_b64 s[8:9], s[12:13]
	s_cbranch_execz .LBB22_285
; %bb.277:                              ;   in Loop: Header=BB22_32 Depth=1
	v_cmp_ge_i64_e32 vcc, s[16:17], v[6:7]
	s_and_saveexec_b64 s[12:13], vcc
	s_xor_b64 s[12:13], exec, s[12:13]
	s_cbranch_execz .LBB22_282
; %bb.278:                              ;   in Loop: Header=BB22_32 Depth=1
	ds_read_b64 v[4:5], v3 offset:5120
	v_or_b32_e32 v50, s68, v50
	v_or_b32_e32 v52, s68, v52
	s_waitcnt lgkmcnt(0)
	v_cmp_ne_u64_e32 vcc, 0, v[4:5]
	s_cbranch_vccnz .LBB22_282
; %bb.279:                              ;   in Loop: Header=BB22_32 Depth=1
	s_mov_b64 s[42:43], exec
	v_readlane_b32 s44, v65, 32
	v_readlane_b32 s45, v65, 33
	s_and_b64 s[44:45], s[42:43], s[44:45]
	s_mov_b64 exec, s[44:45]
; %bb.280:                              ;   in Loop: Header=BB22_32 Depth=1
	v_mov_b64_e32 v[4:5], s[16:17]
	ds_write_b64 v3, v[4:5] offset:5128
; %bb.281:                              ;   in Loop: Header=BB22_32 Depth=1
	s_or_b64 exec, exec, s[42:43]
	s_waitcnt lgkmcnt(0)
	s_barrier
.LBB22_282:                             ;   in Loop: Header=BB22_32 Depth=1
	s_andn2_saveexec_b64 s[12:13], s[12:13]
; %bb.283:                              ;   in Loop: Header=BB22_32 Depth=1
	v_mov_b32_e32 v2, s17
	v_subrev_co_u32_e32 v6, vcc, s16, v6
	s_nop 1
	v_subb_co_u32_e32 v7, vcc, v7, v2, vcc
; %bb.284:                              ;   in Loop: Header=BB22_32 Depth=1
	s_or_b64 exec, exec, s[12:13]
	v_mov_b32_e32 v2, 8
	v_mov_b64_e32 v[4:5], v[6:7]
.LBB22_285:                             ;   in Loop: Header=BB22_32 Depth=1
	s_or_b64 exec, exec, s[8:9]
	s_mov_b64 s[12:13], exec
	v_mov_b64_e32 v[6:7], v[4:5]
.LBB22_286:                             ;   in Loop: Header=BB22_32 Depth=1
	s_or_b64 exec, exec, s[6:7]
	s_orn2_b64 s[6:7], s[12:13], exec
.LBB22_287:                             ;   in Loop: Header=BB22_32 Depth=1
	s_or_b64 exec, exec, s[24:25]
	s_andn2_b64 s[8:9], s[38:39], exec
	s_and_b64 s[12:13], s[50:51], exec
	s_or_b64 s[38:39], s[8:9], s[12:13]
	s_andn2_b64 s[8:9], s[36:37], exec
	s_and_b64 s[12:13], s[48:49], exec
	s_or_b64 s[36:37], s[8:9], s[12:13]
	s_and_b64 s[8:9], s[6:7], exec
	v_mov_b64_e32 v[4:5], v[6:7]
.LBB22_288:                             ;   in Loop: Header=BB22_32 Depth=1
	s_or_b64 exec, exec, s[40:41]
	s_orn2_b64 s[6:7], s[8:9], exec
.LBB22_289:                             ;   in Loop: Header=BB22_32 Depth=1
	s_or_b64 exec, exec, s[30:31]
	s_andn2_b64 s[8:9], s[26:27], exec
	s_and_b64 s[12:13], s[38:39], exec
	s_or_b64 s[26:27], s[8:9], s[12:13]
	s_andn2_b64 s[2:3], s[2:3], exec
	s_and_b64 s[8:9], s[36:37], exec
	s_or_b64 s[2:3], s[2:3], s[8:9]
	s_and_b64 s[8:9], s[6:7], exec
	v_mov_b64_e32 v[8:9], v[4:5]
.LBB22_290:                             ;   in Loop: Header=BB22_32 Depth=1
	s_or_b64 exec, exec, s[28:29]
	s_orn2_b64 s[6:7], s[8:9], exec
.LBB22_291:                             ;   in Loop: Header=BB22_32 Depth=1
	s_or_b64 exec, exec, s[22:23]
	s_mov_b64 s[8:9], 0
	s_and_saveexec_b64 s[12:13], s[6:7]
	s_xor_b64 s[6:7], exec, s[12:13]
	s_cbranch_execz .LBB22_30
; %bb.292:                              ;   in Loop: Header=BB22_32 Depth=1
	v_and_b32_e32 v2, 7, v2
	v_cmp_eq_u32_e32 vcc, 0, v2
	s_mov_b64 s[12:13], -1
	s_mov_b64 s[8:9], -1
	s_and_saveexec_b64 s[16:17], vcc
	s_cbranch_execz .LBB22_29
; %bb.293:                              ;   in Loop: Header=BB22_32 Depth=1
	s_add_i32 s20, s79, -2
	s_cmp_eq_u32 s79, 0
	s_cselect_b64 s[12:13], -1, 0
	v_xor_b32_e32 v51, 1, v51
	s_xor_b64 s[8:9], exec, -1
	s_orn2_b64 s[12:13], s[12:13], exec
	s_mov_b32 s79, s20
	s_branch .LBB22_29
.LBB22_294:                             ;   in Loop: Header=BB22_32 Depth=1
                                        ; implicit-def: $sgpr6_sgpr7
	s_andn2_b64 vcc, exec, s[8:9]
	s_cbranch_vccz .LBB22_247
	s_branch .LBB22_248
.LBB22_295:                             ;   in Loop: Header=BB22_32 Depth=1
                                        ; implicit-def: $sgpr12_sgpr13
	s_branch .LBB22_263
.LBB22_296:
	s_or_b64 exec, exec, s[10:11]
	s_xor_b64 s[6:7], s[64:65], -1
	s_xor_b64 s[0:1], s[2:3], -1
	s_xor_b64 s[4:5], s[86:87], -1
	s_mov_b64 s[2:3], 0
	s_and_saveexec_b64 s[8:9], s[0:1]
	s_xor_b64 s[0:1], exec, s[8:9]
	s_cbranch_execnz .LBB22_301
; %bb.297:
	s_andn2_saveexec_b64 s[0:1], s[0:1]
	s_cbranch_execnz .LBB22_323
.LBB22_298:
	s_or_b64 exec, exec, s[0:1]
	s_and_saveexec_b64 s[0:1], s[2:3]
.LBB22_299:
	; divergent unreachable
.LBB22_300:
	s_endpgm
.LBB22_301:
	s_and_saveexec_b64 s[2:3], s[6:7]
	s_xor_b64 s[2:3], exec, s[2:3]
	s_cbranch_execz .LBB22_321
; %bb.302:
	s_and_saveexec_b64 s[6:7], s[4:5]
	s_xor_b64 s[4:5], exec, s[6:7]
; %bb.303:
	v_xor_b32_e32 v37, 0x80000000, v50
; %bb.304:
	s_or_b64 exec, exec, s[4:5]
	s_mov_b64 s[4:5], exec
	v_readlane_b32 s6, v65, 32
	v_readlane_b32 s7, v65, 33
	;; [unrolled: 1-line block ×4, first 2 shown]
	s_and_b64 s[6:7], s[4:5], s[6:7]
	v_readlane_b32 s24, v65, 34
	v_readlane_b32 s29, v65, 25
	;; [unrolled: 1-line block ×6, first 2 shown]
	s_mov_b64 exec, s[6:7]
; %bb.305:
	v_mov_b32_e32 v2, 0
	v_mov_b32_e32 v3, s60
	ds_write_b32 v2, v3 offset:5140
; %bb.306:
	s_or_b64 exec, exec, s[4:5]
	s_waitcnt lgkmcnt(0)
	s_barrier
	s_mov_b64 s[4:5], exec
	v_readlane_b32 s6, v65, 42
	v_readlane_b32 s7, v65, 43
	s_and_b64 s[6:7], s[4:5], s[6:7]
	s_mov_b64 exec, s[6:7]
	s_cbranch_execz .LBB22_318
; %bb.307:
	v_mov_b32_e32 v2, 0
	ds_read_b32 v4, v2 offset:5140
	s_mov_b64 s[6:7], 0
                                        ; implicit-def: $sgpr8_sgpr9
                                        ; implicit-def: $sgpr10_sgpr11
                                        ; implicit-def: $sgpr12_sgpr13
	s_waitcnt lgkmcnt(0)
	v_ashrrev_i32_e32 v5, 31, v4
	s_branch .LBB22_310
.LBB22_308:                             ;   in Loop: Header=BB22_310 Depth=1
	s_or_b64 exec, exec, s[20:21]
	s_andn2_b64 s[12:13], s[12:13], exec
	s_and_b64 s[18:19], s[18:19], exec
	s_andn2_b64 s[10:11], s[10:11], exec
	s_and_b64 s[16:17], s[16:17], exec
	s_or_b64 s[12:13], s[12:13], s[18:19]
	s_or_b64 s[10:11], s[10:11], s[16:17]
.LBB22_309:                             ;   in Loop: Header=BB22_310 Depth=1
	s_or_b64 exec, exec, s[14:15]
	s_and_b64 s[14:15], exec, s[10:11]
	s_or_b64 s[6:7], s[14:15], s[6:7]
	s_andn2_b64 s[8:9], s[8:9], exec
	s_and_b64 s[14:15], s[12:13], exec
	s_or_b64 s[8:9], s[8:9], s[14:15]
	s_andn2_b64 exec, exec, s[6:7]
	s_cbranch_execz .LBB22_313
.LBB22_310:                             ; =>This Inner Loop Header: Depth=1
	v_mov_b64_e32 v[2:3], v[0:1]
	v_cmp_lt_i64_e32 vcc, v[2:3], v[4:5]
	s_or_b64 s[12:13], s[12:13], exec
	s_or_b64 s[10:11], s[10:11], exec
                                        ; implicit-def: $vgpr0_vgpr1
	s_and_saveexec_b64 s[14:15], vcc
	s_cbranch_execz .LBB22_309
; %bb.311:                              ;   in Loop: Header=BB22_310 Depth=1
	global_load_dword v0, v[12:13], off
	s_mov_b64 s[16:17], -1
	s_mov_b64 s[18:19], 0
	s_waitcnt vmcnt(0)
	v_cmp_ne_u32_e32 vcc, v0, v37
                                        ; implicit-def: $vgpr0_vgpr1
	s_and_saveexec_b64 s[20:21], vcc
	s_cbranch_execz .LBB22_308
; %bb.312:                              ;   in Loop: Header=BB22_310 Depth=1
	v_lshl_add_u64 v[0:1], v[2:3], 0, s[92:93]
	v_cmp_le_i64_e32 vcc, s[60:61], v[0:1]
	s_mov_b64 s[18:19], exec
	v_lshl_add_u64 v[12:13], v[12:13], 0, s[90:91]
	s_orn2_b64 s[16:17], vcc, exec
	s_branch .LBB22_308
.LBB22_313:
	s_or_b64 exec, exec, s[6:7]
	s_xor_b64 s[6:7], s[8:9], -1
	s_and_saveexec_b64 s[8:9], s[6:7]
	s_xor_b64 s[8:9], exec, s[8:9]
	s_cbranch_execz .LBB22_318
; %bb.314:
	s_mov_b64 s[6:7], exec
	s_brev_b32 s8, -2
.LBB22_315:                             ; =>This Inner Loop Header: Depth=1
	s_ff1_i32_b64 s9, s[6:7]
	v_readlane_b32 s12, v2, s9
	s_lshl_b64 s[10:11], 1, s9
	s_min_i32 s8, s8, s12
	s_andn2_b64 s[6:7], s[6:7], s[10:11]
	s_cmp_lg_u64 s[6:7], 0
	s_cbranch_scc1 .LBB22_315
; %bb.316:
	v_mbcnt_lo_u32_b32 v0, exec_lo, 0
	v_mbcnt_hi_u32_b32 v0, exec_hi, v0
	v_cmp_eq_u32_e32 vcc, 0, v0
	s_and_saveexec_b64 s[6:7], vcc
	s_xor_b64 s[6:7], exec, s[6:7]
; %bb.317:
	v_mov_b32_e32 v0, 0
	v_mov_b32_e32 v1, s8
	ds_min_i32 v0, v1 offset:5140
.LBB22_318:
	s_or_b64 exec, exec, s[4:5]
	s_waitcnt lgkmcnt(0)
	s_barrier
	s_mov_b64 s[4:5], exec
	v_readlane_b32 s6, v65, 32
	v_readlane_b32 s7, v65, 33
	s_and_b64 s[6:7], s[4:5], s[6:7]
	s_mov_b64 exec, s[6:7]
	s_cbranch_execz .LBB22_320
; %bb.319:
	s_mul_i32 s6, s26, s31
	s_mul_hi_u32 s7, s26, s30
	s_add_i32 s6, s7, s6
	s_mul_i32 s7, s27, s30
	s_add_i32 s6, s6, s7
	s_mul_i32 s7, s26, s30
	v_readlane_b32 s10, v65, 8
	s_sub_u32 s8, s24, s7
	v_readlane_b32 s11, v65, 9
	s_subb_u32 s6, 0, s6
	s_mul_i32 s7, s8, s11
	s_mul_hi_u32 s9, s8, s10
	v_readlane_b32 s12, v65, 0
	s_add_i32 s7, s9, s7
	s_mul_i32 s6, s6, s10
	v_readlane_b32 s13, v65, 1
	v_readlane_b32 s18, v65, 6
	s_add_i32 s7, s7, s6
	s_mul_i32 s6, s8, s10
	v_readlane_b32 s19, v65, 7
	s_mul_i32 s8, s18, s13
	s_mul_hi_u32 s9, s18, s12
	s_add_i32 s8, s9, s8
	s_mul_i32 s9, s19, s12
	s_add_i32 s8, s8, s9
	s_mul_i32 s9, s18, s12
	v_readlane_b32 s16, v65, 4
	v_readlane_b32 s20, v65, 16
	;; [unrolled: 1-line block ×3, first 2 shown]
	s_sub_u32 s10, s16, s9
	v_readlane_b32 s22, v65, 18
	v_readlane_b32 s23, v65, 19
	s_subb_u32 s8, s17, s8
	s_mul_i32 s9, s10, s23
	s_mul_hi_u32 s11, s10, s22
	v_readlane_b32 s14, v65, 2
	v_readlane_b32 s15, v65, 3
	;; [unrolled: 1-line block ×3, first 2 shown]
	s_add_i32 s9, s11, s9
	s_mul_i32 s8, s8, s22
	s_add_i32 s9, s9, s8
	s_mul_i32 s8, s10, s22
	s_mul_i32 s10, s18, s21
	s_mul_hi_u32 s11, s18, s20
	s_mul_i32 s12, s16, s15
	s_mul_hi_u32 s13, s16, s14
	s_add_i32 s10, s11, s10
	s_mul_i32 s11, s19, s20
	s_add_i32 s12, s13, s12
	s_mul_i32 s13, s17, s14
	s_add_i32 s11, s10, s11
	s_add_i32 s12, s12, s13
	s_mul_i32 s13, s16, s14
	v_readlane_b32 s16, v65, 14
	s_sub_u32 s14, s24, s13
	v_readlane_b32 s17, v65, 15
	s_subb_u32 s12, 0, s12
	s_mul_i32 s13, s14, s17
	s_mul_hi_u32 s15, s14, s16
	s_mul_i32 s10, s18, s20
	s_add_i32 s13, s15, s13
	s_mul_i32 s12, s12, s16
	v_readlane_b32 s18, v65, 20
	s_add_i32 s13, s13, s12
	s_mul_i32 s12, s14, s16
	v_readlane_b32 s19, v65, 21
	s_mul_i32 s14, s18, s29
	s_mul_hi_u32 s15, s18, s28
	s_add_i32 s14, s15, s14
	s_mul_i32 s15, s19, s28
	s_add_i32 s14, s14, s15
	s_mul_i32 s15, s18, s28
	v_readlane_b32 s20, v65, 10
	s_sub_u32 s16, s26, s15
	v_readlane_b32 s22, v65, 12
	v_readlane_b32 s23, v65, 13
	s_subb_u32 s14, s27, s14
	s_mul_i32 s15, s16, s23
	s_mul_hi_u32 s17, s16, s22
	v_readlane_b32 s21, v65, 11
	s_add_i32 s15, s17, s15
	s_mul_i32 s14, s14, s22
	s_add_i32 s15, s15, s14
	s_mul_i32 s14, s16, s22
	s_mul_i32 s16, s18, s21
	s_mul_hi_u32 s17, s18, s20
	s_add_i32 s16, s17, s16
	s_mul_i32 s17, s19, s20
	s_add_i32 s17, s16, s17
	s_mul_i32 s16, s18, s20
	s_lshl_b64 s[10:11], s[10:11], 2
	v_readlane_b32 s18, v65, 30
	v_readlane_b32 s19, v65, 31
	s_add_u32 s10, s18, s10
	s_addc_u32 s11, s19, s11
	s_lshl_b64 s[8:9], s[8:9], 2
	s_add_u32 s10, s10, s8
	s_addc_u32 s11, s11, s9
	s_lshl_b64 s[8:9], s[12:13], 2
	;; [unrolled: 3-line block ×3, first 2 shown]
	v_readlane_b32 s12, v65, 28
	v_mov_b32_e32 v2, 0
	v_readlane_b32 s13, v65, 29
	s_add_u32 s12, s12, s10
	ds_read_b32 v0, v2 offset:5140
	s_addc_u32 s13, s13, s11
	s_lshl_b64 s[10:11], s[14:15], 3
	s_add_u32 s10, s12, s10
	s_addc_u32 s11, s13, s11
	s_lshl_b64 s[6:7], s[6:7], 3
	s_add_u32 s6, s10, s6
	s_addc_u32 s7, s11, s7
	s_waitcnt lgkmcnt(0)
	v_ashrrev_i32_e32 v1, 31, v0
	global_store_dwordx2 v2, v[0:1], s[6:7]
	global_store_dword v2, v37, s[8:9]
.LBB22_320:
	s_or_b64 exec, exec, s[4:5]
.LBB22_321:
	s_or_saveexec_b64 s[2:3], s[2:3]
	s_mov_b64 s[4:5], 0
	s_xor_b64 exec, exec, s[2:3]
	s_cbranch_execnz .LBB22_324
.LBB22_322:
	s_or_b64 exec, exec, s[2:3]
	s_and_b64 s[2:3], s[4:5], exec
	s_andn2_saveexec_b64 s[0:1], s[0:1]
	s_cbranch_execz .LBB22_298
.LBB22_323:
	s_or_b64 s[2:3], s[2:3], exec
	s_trap 2
	s_or_b64 exec, exec, s[0:1]
	s_and_saveexec_b64 s[0:1], s[2:3]
	s_cbranch_execnz .LBB22_299
	s_branch .LBB22_300
.LBB22_324:
	s_mov_b64 s[4:5], exec
	s_trap 2
	s_branch .LBB22_322
	.section	.rodata,"a",@progbits
	.p2align	6, 0x0
	.amdhsa_kernel _ZN2at6native12_GLOBAL__N_114gatherKthValueIilLi3EEEvNS_4cuda6detail10TensorInfoIKT_T0_EES8_S8_S8_S8_NS5_IS6_S8_EENS5_IlS8_EE
		.amdhsa_group_segment_fixed_size 5144
		.amdhsa_private_segment_fixed_size 0
		.amdhsa_kernarg_size 1536
		.amdhsa_user_sgpr_count 2
		.amdhsa_user_sgpr_dispatch_ptr 0
		.amdhsa_user_sgpr_queue_ptr 0
		.amdhsa_user_sgpr_kernarg_segment_ptr 1
		.amdhsa_user_sgpr_dispatch_id 0
		.amdhsa_user_sgpr_kernarg_preload_length 0
		.amdhsa_user_sgpr_kernarg_preload_offset 0
		.amdhsa_user_sgpr_private_segment_size 0
		.amdhsa_uses_dynamic_stack 0
		.amdhsa_enable_private_segment 0
		.amdhsa_system_sgpr_workgroup_id_x 1
		.amdhsa_system_sgpr_workgroup_id_y 1
		.amdhsa_system_sgpr_workgroup_id_z 1
		.amdhsa_system_sgpr_workgroup_info 0
		.amdhsa_system_vgpr_workitem_id 0
		.amdhsa_next_free_vgpr 66
		.amdhsa_next_free_sgpr 100
		.amdhsa_accum_offset 68
		.amdhsa_reserve_vcc 1
		.amdhsa_float_round_mode_32 0
		.amdhsa_float_round_mode_16_64 0
		.amdhsa_float_denorm_mode_32 3
		.amdhsa_float_denorm_mode_16_64 3
		.amdhsa_dx10_clamp 1
		.amdhsa_ieee_mode 1
		.amdhsa_fp16_overflow 0
		.amdhsa_tg_split 0
		.amdhsa_exception_fp_ieee_invalid_op 0
		.amdhsa_exception_fp_denorm_src 0
		.amdhsa_exception_fp_ieee_div_zero 0
		.amdhsa_exception_fp_ieee_overflow 0
		.amdhsa_exception_fp_ieee_underflow 0
		.amdhsa_exception_fp_ieee_inexact 0
		.amdhsa_exception_int_div_zero 0
	.end_amdhsa_kernel
	.section	.text._ZN2at6native12_GLOBAL__N_114gatherKthValueIilLi3EEEvNS_4cuda6detail10TensorInfoIKT_T0_EES8_S8_S8_S8_NS5_IS6_S8_EENS5_IlS8_EE,"axG",@progbits,_ZN2at6native12_GLOBAL__N_114gatherKthValueIilLi3EEEvNS_4cuda6detail10TensorInfoIKT_T0_EES8_S8_S8_S8_NS5_IS6_S8_EENS5_IlS8_EE,comdat
.Lfunc_end22:
	.size	_ZN2at6native12_GLOBAL__N_114gatherKthValueIilLi3EEEvNS_4cuda6detail10TensorInfoIKT_T0_EES8_S8_S8_S8_NS5_IS6_S8_EENS5_IlS8_EE, .Lfunc_end22-_ZN2at6native12_GLOBAL__N_114gatherKthValueIilLi3EEEvNS_4cuda6detail10TensorInfoIKT_T0_EES8_S8_S8_S8_NS5_IS6_S8_EENS5_IlS8_EE
                                        ; -- End function
	.set _ZN2at6native12_GLOBAL__N_114gatherKthValueIilLi3EEEvNS_4cuda6detail10TensorInfoIKT_T0_EES8_S8_S8_S8_NS5_IS6_S8_EENS5_IlS8_EE.num_vgpr, 66
	.set _ZN2at6native12_GLOBAL__N_114gatherKthValueIilLi3EEEvNS_4cuda6detail10TensorInfoIKT_T0_EES8_S8_S8_S8_NS5_IS6_S8_EENS5_IlS8_EE.num_agpr, 0
	.set _ZN2at6native12_GLOBAL__N_114gatherKthValueIilLi3EEEvNS_4cuda6detail10TensorInfoIKT_T0_EES8_S8_S8_S8_NS5_IS6_S8_EENS5_IlS8_EE.numbered_sgpr, 100
	.set _ZN2at6native12_GLOBAL__N_114gatherKthValueIilLi3EEEvNS_4cuda6detail10TensorInfoIKT_T0_EES8_S8_S8_S8_NS5_IS6_S8_EENS5_IlS8_EE.num_named_barrier, 0
	.set _ZN2at6native12_GLOBAL__N_114gatherKthValueIilLi3EEEvNS_4cuda6detail10TensorInfoIKT_T0_EES8_S8_S8_S8_NS5_IS6_S8_EENS5_IlS8_EE.private_seg_size, 0
	.set _ZN2at6native12_GLOBAL__N_114gatherKthValueIilLi3EEEvNS_4cuda6detail10TensorInfoIKT_T0_EES8_S8_S8_S8_NS5_IS6_S8_EENS5_IlS8_EE.uses_vcc, 1
	.set _ZN2at6native12_GLOBAL__N_114gatherKthValueIilLi3EEEvNS_4cuda6detail10TensorInfoIKT_T0_EES8_S8_S8_S8_NS5_IS6_S8_EENS5_IlS8_EE.uses_flat_scratch, 0
	.set _ZN2at6native12_GLOBAL__N_114gatherKthValueIilLi3EEEvNS_4cuda6detail10TensorInfoIKT_T0_EES8_S8_S8_S8_NS5_IS6_S8_EENS5_IlS8_EE.has_dyn_sized_stack, 0
	.set _ZN2at6native12_GLOBAL__N_114gatherKthValueIilLi3EEEvNS_4cuda6detail10TensorInfoIKT_T0_EES8_S8_S8_S8_NS5_IS6_S8_EENS5_IlS8_EE.has_recursion, 0
	.set _ZN2at6native12_GLOBAL__N_114gatherKthValueIilLi3EEEvNS_4cuda6detail10TensorInfoIKT_T0_EES8_S8_S8_S8_NS5_IS6_S8_EENS5_IlS8_EE.has_indirect_call, 0
	.section	.AMDGPU.csdata,"",@progbits
; Kernel info:
; codeLenInByte = 21036
; TotalNumSgprs: 106
; NumVgprs: 66
; NumAgprs: 0
; TotalNumVgprs: 66
; ScratchSize: 0
; MemoryBound: 0
; FloatMode: 240
; IeeeMode: 1
; LDSByteSize: 5144 bytes/workgroup (compile time only)
; SGPRBlocks: 13
; VGPRBlocks: 8
; NumSGPRsForWavesPerEU: 106
; NumVGPRsForWavesPerEU: 66
; AccumOffset: 68
; Occupancy: 7
; WaveLimiterHint : 1
; COMPUTE_PGM_RSRC2:SCRATCH_EN: 0
; COMPUTE_PGM_RSRC2:USER_SGPR: 2
; COMPUTE_PGM_RSRC2:TRAP_HANDLER: 0
; COMPUTE_PGM_RSRC2:TGID_X_EN: 1
; COMPUTE_PGM_RSRC2:TGID_Y_EN: 1
; COMPUTE_PGM_RSRC2:TGID_Z_EN: 1
; COMPUTE_PGM_RSRC2:TIDIG_COMP_CNT: 0
; COMPUTE_PGM_RSRC3_GFX90A:ACCUM_OFFSET: 16
; COMPUTE_PGM_RSRC3_GFX90A:TG_SPLIT: 0
	.section	.text._ZN2at6native12_GLOBAL__N_114gatherKthValueIilLin1EEEvNS_4cuda6detail10TensorInfoIKT_T0_EES8_S8_S8_S8_NS5_IS6_S8_EENS5_IlS8_EE,"axG",@progbits,_ZN2at6native12_GLOBAL__N_114gatherKthValueIilLin1EEEvNS_4cuda6detail10TensorInfoIKT_T0_EES8_S8_S8_S8_NS5_IS6_S8_EENS5_IlS8_EE,comdat
	.globl	_ZN2at6native12_GLOBAL__N_114gatherKthValueIilLin1EEEvNS_4cuda6detail10TensorInfoIKT_T0_EES8_S8_S8_S8_NS5_IS6_S8_EENS5_IlS8_EE ; -- Begin function _ZN2at6native12_GLOBAL__N_114gatherKthValueIilLin1EEEvNS_4cuda6detail10TensorInfoIKT_T0_EES8_S8_S8_S8_NS5_IS6_S8_EENS5_IlS8_EE
	.p2align	8
	.type	_ZN2at6native12_GLOBAL__N_114gatherKthValueIilLin1EEEvNS_4cuda6detail10TensorInfoIKT_T0_EES8_S8_S8_S8_NS5_IS6_S8_EENS5_IlS8_EE,@function
_ZN2at6native12_GLOBAL__N_114gatherKthValueIilLin1EEEvNS_4cuda6detail10TensorInfoIKT_T0_EES8_S8_S8_S8_NS5_IS6_S8_EENS5_IlS8_EE: ; @_ZN2at6native12_GLOBAL__N_114gatherKthValueIilLin1EEEvNS_4cuda6detail10TensorInfoIKT_T0_EES8_S8_S8_S8_NS5_IS6_S8_EENS5_IlS8_EE
; %bb.0:
	s_load_dwordx2 s[12:13], s[0:1], 0x500
	s_load_dwordx8 s[60:67], s[0:1], 0x1a0
	s_add_u32 s10, s0, 0x500
	s_addc_u32 s11, s1, 0
	s_mov_b32 s7, 0
	s_waitcnt lgkmcnt(0)
	s_mul_i32 s4, s13, s4
	s_add_i32 s3, s4, s3
	s_mul_i32 s3, s3, s12
	s_add_i32 s6, s3, s2
	v_mov_b64_e32 v[2:3], s[6:7]
	v_cmp_le_i64_e32 vcc, s[64:65], v[2:3]
	s_cbranch_vccnz .LBB23_304
; %bb.1:
	s_load_dword s13, s[0:1], 0x198
	s_mov_b64 s[4:5], 0
	s_mov_b64 s[8:9], s[6:7]
	s_waitcnt lgkmcnt(0)
	s_cmp_lt_i32 s13, 2
	s_cbranch_scc1 .LBB23_9
; %bb.2:
	s_mov_b32 s14, 0
	s_add_i32 s4, s13, -1
	s_mov_b32 s5, s14
	s_add_i32 s3, s13, 1
	s_lshl_b64 s[4:5], s[4:5], 3
	s_add_u32 s4, s0, s4
	s_addc_u32 s5, s1, s5
	s_add_u32 s16, s4, 8
	s_addc_u32 s17, s5, 0
	s_mov_b64 s[4:5], 0
	s_mov_b64 s[18:19], s[6:7]
.LBB23_3:                               ; =>This Inner Loop Header: Depth=1
	s_load_dwordx2 s[20:21], s[16:17], 0x0
	s_waitcnt lgkmcnt(0)
	s_or_b64 s[8:9], s[18:19], s[20:21]
	s_mov_b32 s15, s9
	s_cmp_lg_u64 s[14:15], 0
	s_cbranch_scc0 .LBB23_8
; %bb.4:                                ;   in Loop: Header=BB23_3 Depth=1
	s_ashr_i32 s8, s21, 31
	s_add_u32 s22, s20, s8
	s_mov_b32 s9, s8
	s_addc_u32 s23, s21, s8
	s_xor_b64 s[22:23], s[22:23], s[8:9]
	v_cvt_f32_u32_e32 v1, s22
	v_cvt_f32_u32_e32 v2, s23
	s_sub_u32 s13, 0, s22
	s_subb_u32 s15, 0, s23
	v_fmac_f32_e32 v1, 0x4f800000, v2
	v_rcp_f32_e32 v1, v1
	s_nop 0
	v_mul_f32_e32 v1, 0x5f7ffffc, v1
	v_mul_f32_e32 v2, 0x2f800000, v1
	v_trunc_f32_e32 v2, v2
	v_fmac_f32_e32 v1, 0xcf800000, v2
	v_cvt_u32_f32_e32 v2, v2
	v_cvt_u32_f32_e32 v1, v1
	v_readfirstlane_b32 s26, v2
	v_readfirstlane_b32 s24, v1
	s_mul_i32 s25, s13, s26
	s_mul_hi_u32 s28, s13, s24
	s_mul_i32 s27, s15, s24
	s_add_i32 s25, s28, s25
	s_add_i32 s25, s25, s27
	s_mul_i32 s29, s13, s24
	s_mul_i32 s28, s24, s25
	s_mul_hi_u32 s30, s24, s29
	s_mul_hi_u32 s27, s24, s25
	s_add_u32 s28, s30, s28
	s_addc_u32 s27, 0, s27
	s_mul_hi_u32 s31, s26, s29
	s_mul_i32 s29, s26, s29
	s_add_u32 s28, s28, s29
	s_mul_hi_u32 s30, s26, s25
	s_addc_u32 s27, s27, s31
	s_addc_u32 s28, s30, 0
	s_mul_i32 s25, s26, s25
	s_add_u32 s25, s27, s25
	s_addc_u32 s27, 0, s28
	s_add_u32 s28, s24, s25
	s_cselect_b64 s[24:25], -1, 0
	s_cmp_lg_u64 s[24:25], 0
	s_addc_u32 s26, s26, s27
	s_mul_i32 s24, s13, s26
	s_mul_hi_u32 s25, s13, s28
	s_add_i32 s24, s25, s24
	s_mul_i32 s15, s15, s28
	s_add_i32 s24, s24, s15
	s_mul_i32 s13, s13, s28
	s_mul_hi_u32 s25, s26, s13
	s_mul_i32 s27, s26, s13
	s_mul_i32 s30, s28, s24
	s_mul_hi_u32 s13, s28, s13
	s_mul_hi_u32 s29, s28, s24
	s_add_u32 s13, s13, s30
	s_addc_u32 s29, 0, s29
	s_add_u32 s13, s13, s27
	s_mul_hi_u32 s15, s26, s24
	s_addc_u32 s13, s29, s25
	s_addc_u32 s15, s15, 0
	s_mul_i32 s24, s26, s24
	s_add_u32 s13, s13, s24
	s_addc_u32 s15, 0, s15
	s_add_u32 s13, s28, s13
	s_cselect_b64 s[24:25], -1, 0
	s_cmp_lg_u64 s[24:25], 0
	s_addc_u32 s15, s26, s15
	s_ashr_i32 s24, s19, 31
	s_add_u32 s26, s18, s24
	s_mov_b32 s25, s24
	s_addc_u32 s27, s19, s24
	s_xor_b64 s[26:27], s[26:27], s[24:25]
	s_mul_i32 s29, s26, s15
	s_mul_hi_u32 s30, s26, s13
	s_mul_hi_u32 s28, s26, s15
	s_add_u32 s29, s30, s29
	s_addc_u32 s28, 0, s28
	s_mul_hi_u32 s31, s27, s13
	s_mul_i32 s13, s27, s13
	s_add_u32 s13, s29, s13
	s_mul_hi_u32 s30, s27, s15
	s_addc_u32 s13, s28, s31
	s_addc_u32 s28, s30, 0
	s_mul_i32 s15, s27, s15
	s_add_u32 s13, s13, s15
	s_addc_u32 s15, 0, s28
	s_mul_i32 s28, s22, s15
	s_mul_hi_u32 s29, s22, s13
	s_add_i32 s28, s29, s28
	s_mul_i32 s29, s23, s13
	s_add_i32 s33, s28, s29
	s_sub_i32 s30, s27, s33
	s_mul_i32 s28, s22, s13
	s_sub_u32 s26, s26, s28
	s_cselect_b64 s[28:29], -1, 0
	s_cmp_lg_u64 s[28:29], 0
	s_subb_u32 s34, s30, s23
	s_sub_u32 s35, s26, s22
	s_cselect_b64 s[30:31], -1, 0
	s_cmp_lg_u64 s[30:31], 0
	s_subb_u32 s30, s34, 0
	s_cmp_ge_u32 s30, s23
	s_cselect_b32 s31, -1, 0
	s_cmp_ge_u32 s35, s22
	s_cselect_b32 s34, -1, 0
	s_cmp_eq_u32 s30, s23
	s_cselect_b32 s30, s34, s31
	s_add_u32 s31, s13, 1
	s_addc_u32 s34, s15, 0
	s_add_u32 s35, s13, 2
	s_addc_u32 s36, s15, 0
	s_cmp_lg_u32 s30, 0
	s_cselect_b32 s30, s35, s31
	s_cselect_b32 s31, s36, s34
	s_cmp_lg_u64 s[28:29], 0
	s_subb_u32 s27, s27, s33
	s_cmp_ge_u32 s27, s23
	s_cselect_b32 s28, -1, 0
	s_cmp_ge_u32 s26, s22
	s_cselect_b32 s22, -1, 0
	s_cmp_eq_u32 s27, s23
	s_cselect_b32 s22, s22, s28
	s_cmp_lg_u32 s22, 0
	s_cselect_b32 s23, s31, s15
	s_cselect_b32 s22, s30, s13
	s_xor_b64 s[8:9], s[24:25], s[8:9]
	s_xor_b64 s[22:23], s[22:23], s[8:9]
	s_sub_u32 s8, s22, s8
	s_subb_u32 s9, s23, s9
	s_cbranch_execnz .LBB23_6
.LBB23_5:                               ;   in Loop: Header=BB23_3 Depth=1
	v_cvt_f32_u32_e32 v1, s20
	s_sub_i32 s8, 0, s20
	v_rcp_iflag_f32_e32 v1, v1
	s_nop 0
	v_mul_f32_e32 v1, 0x4f7ffffe, v1
	v_cvt_u32_f32_e32 v1, v1
	s_nop 0
	v_readfirstlane_b32 s9, v1
	s_mul_i32 s8, s8, s9
	s_mul_hi_u32 s8, s9, s8
	s_add_i32 s9, s9, s8
	s_mul_hi_u32 s8, s18, s9
	s_mul_i32 s13, s8, s20
	s_sub_i32 s13, s18, s13
	s_add_i32 s9, s8, 1
	s_sub_i32 s15, s13, s20
	s_cmp_ge_u32 s13, s20
	s_cselect_b32 s8, s9, s8
	s_cselect_b32 s13, s15, s13
	s_add_i32 s9, s8, 1
	s_cmp_ge_u32 s13, s20
	s_cselect_b32 s8, s9, s8
	s_mov_b32 s9, s14
.LBB23_6:                               ;   in Loop: Header=BB23_3 Depth=1
	s_mul_i32 s13, s8, s21
	s_mul_hi_u32 s15, s8, s20
	s_load_dwordx2 s[22:23], s[16:17], 0xc8
	s_add_i32 s13, s15, s13
	s_mul_i32 s15, s9, s20
	s_add_i32 s13, s13, s15
	s_mul_i32 s15, s8, s20
	s_sub_u32 s15, s18, s15
	s_subb_u32 s13, s19, s13
	s_waitcnt lgkmcnt(0)
	s_mul_i32 s13, s22, s13
	s_mul_hi_u32 s18, s22, s15
	s_add_i32 s13, s18, s13
	s_mul_i32 s18, s23, s15
	s_add_i32 s13, s13, s18
	s_mul_i32 s15, s22, s15
	s_add_u32 s4, s15, s4
	s_addc_u32 s5, s13, s5
	s_add_i32 s3, s3, -1
	s_add_u32 s16, s16, -8
	s_addc_u32 s17, s17, -1
	s_cmp_gt_u32 s3, 2
	s_cbranch_scc0 .LBB23_9
; %bb.7:                                ;   in Loop: Header=BB23_3 Depth=1
	s_mov_b64 s[18:19], s[8:9]
	s_branch .LBB23_3
.LBB23_8:                               ;   in Loop: Header=BB23_3 Depth=1
                                        ; implicit-def: $sgpr8_sgpr9
	s_branch .LBB23_5
.LBB23_9:
	s_load_dword s13, s[0:1], 0x358
	s_load_dwordx2 s[14:15], s[0:1], 0xd0
	s_add_u32 s16, s0, 0x1c0
	s_addc_u32 s17, s1, 0
	s_mov_b64 s[58:59], 0
	s_waitcnt lgkmcnt(0)
	s_cmp_lt_i32 s13, 2
	s_mov_b64 s[64:65], s[6:7]
	s_cbranch_scc1 .LBB23_17
; %bb.10:
	s_mov_b32 s18, 0
	s_add_i32 s20, s13, -1
	s_mov_b32 s21, s18
	s_add_i32 s3, s13, 1
	s_lshl_b64 s[20:21], s[20:21], 3
	s_add_u32 s13, s16, s20
	s_addc_u32 s19, s17, s21
	s_add_u32 s20, s13, 8
	s_addc_u32 s21, s19, 0
	s_mov_b64 s[22:23], s[6:7]
.LBB23_11:                              ; =>This Inner Loop Header: Depth=1
	s_load_dwordx2 s[24:25], s[20:21], 0x0
	s_waitcnt lgkmcnt(0)
	s_or_b64 s[26:27], s[22:23], s[24:25]
	s_mov_b32 s19, s27
	s_cmp_lg_u64 s[18:19], 0
	s_cbranch_scc0 .LBB23_16
; %bb.12:                               ;   in Loop: Header=BB23_11 Depth=1
	s_ashr_i32 s26, s25, 31
	s_add_u32 s28, s24, s26
	s_mov_b32 s27, s26
	s_addc_u32 s29, s25, s26
	s_xor_b64 s[28:29], s[28:29], s[26:27]
	v_cvt_f32_u32_e32 v1, s28
	v_cvt_f32_u32_e32 v2, s29
	s_sub_u32 s13, 0, s28
	s_subb_u32 s19, 0, s29
	v_fmac_f32_e32 v1, 0x4f800000, v2
	v_rcp_f32_e32 v1, v1
	s_nop 0
	v_mul_f32_e32 v1, 0x5f7ffffc, v1
	v_mul_f32_e32 v2, 0x2f800000, v1
	v_trunc_f32_e32 v2, v2
	v_fmac_f32_e32 v1, 0xcf800000, v2
	v_cvt_u32_f32_e32 v2, v2
	v_cvt_u32_f32_e32 v1, v1
	v_readfirstlane_b32 s33, v2
	v_readfirstlane_b32 s30, v1
	s_mul_i32 s31, s13, s33
	s_mul_hi_u32 s35, s13, s30
	s_mul_i32 s34, s19, s30
	s_add_i32 s31, s35, s31
	s_add_i32 s31, s31, s34
	s_mul_i32 s36, s13, s30
	s_mul_i32 s35, s30, s31
	s_mul_hi_u32 s37, s30, s36
	s_mul_hi_u32 s34, s30, s31
	s_add_u32 s35, s37, s35
	s_addc_u32 s34, 0, s34
	s_mul_hi_u32 s38, s33, s36
	s_mul_i32 s36, s33, s36
	s_add_u32 s35, s35, s36
	s_mul_hi_u32 s37, s33, s31
	s_addc_u32 s34, s34, s38
	s_addc_u32 s35, s37, 0
	s_mul_i32 s31, s33, s31
	s_add_u32 s31, s34, s31
	s_addc_u32 s34, 0, s35
	s_add_u32 s35, s30, s31
	s_cselect_b64 s[30:31], -1, 0
	s_cmp_lg_u64 s[30:31], 0
	s_addc_u32 s33, s33, s34
	s_mul_i32 s30, s13, s33
	s_mul_hi_u32 s31, s13, s35
	s_add_i32 s30, s31, s30
	s_mul_i32 s19, s19, s35
	s_add_i32 s30, s30, s19
	s_mul_i32 s13, s13, s35
	s_mul_hi_u32 s31, s33, s13
	s_mul_i32 s34, s33, s13
	s_mul_i32 s37, s35, s30
	s_mul_hi_u32 s13, s35, s13
	s_mul_hi_u32 s36, s35, s30
	s_add_u32 s13, s13, s37
	s_addc_u32 s36, 0, s36
	s_add_u32 s13, s13, s34
	s_mul_hi_u32 s19, s33, s30
	s_addc_u32 s13, s36, s31
	s_addc_u32 s19, s19, 0
	s_mul_i32 s30, s33, s30
	s_add_u32 s13, s13, s30
	s_addc_u32 s19, 0, s19
	s_add_u32 s13, s35, s13
	s_cselect_b64 s[30:31], -1, 0
	s_cmp_lg_u64 s[30:31], 0
	s_addc_u32 s19, s33, s19
	s_ashr_i32 s30, s23, 31
	s_add_u32 s34, s22, s30
	s_mov_b32 s31, s30
	s_addc_u32 s35, s23, s30
	s_xor_b64 s[34:35], s[34:35], s[30:31]
	s_mul_i32 s36, s34, s19
	s_mul_hi_u32 s37, s34, s13
	s_mul_hi_u32 s33, s34, s19
	s_add_u32 s36, s37, s36
	s_addc_u32 s33, 0, s33
	s_mul_hi_u32 s38, s35, s13
	s_mul_i32 s13, s35, s13
	s_add_u32 s13, s36, s13
	s_mul_hi_u32 s37, s35, s19
	s_addc_u32 s13, s33, s38
	s_addc_u32 s33, s37, 0
	s_mul_i32 s19, s35, s19
	s_add_u32 s13, s13, s19
	s_addc_u32 s19, 0, s33
	s_mul_i32 s33, s28, s19
	s_mul_hi_u32 s36, s28, s13
	s_add_i32 s33, s36, s33
	s_mul_i32 s36, s29, s13
	s_add_i32 s33, s33, s36
	s_sub_i32 s38, s35, s33
	s_mul_i32 s36, s28, s13
	s_sub_u32 s34, s34, s36
	s_cselect_b64 s[36:37], -1, 0
	s_cmp_lg_u64 s[36:37], 0
	s_subb_u32 s40, s38, s29
	s_sub_u32 s41, s34, s28
	s_cselect_b64 s[38:39], -1, 0
	s_cmp_lg_u64 s[38:39], 0
	s_subb_u32 s38, s40, 0
	s_cmp_ge_u32 s38, s29
	s_cselect_b32 s39, -1, 0
	s_cmp_ge_u32 s41, s28
	s_cselect_b32 s40, -1, 0
	s_cmp_eq_u32 s38, s29
	s_cselect_b32 s38, s40, s39
	s_add_u32 s39, s13, 1
	s_addc_u32 s40, s19, 0
	s_add_u32 s41, s13, 2
	s_addc_u32 s42, s19, 0
	s_cmp_lg_u32 s38, 0
	s_cselect_b32 s38, s41, s39
	s_cselect_b32 s39, s42, s40
	s_cmp_lg_u64 s[36:37], 0
	s_subb_u32 s33, s35, s33
	s_cmp_ge_u32 s33, s29
	s_cselect_b32 s35, -1, 0
	s_cmp_ge_u32 s34, s28
	s_cselect_b32 s28, -1, 0
	s_cmp_eq_u32 s33, s29
	s_cselect_b32 s28, s28, s35
	s_cmp_lg_u32 s28, 0
	s_cselect_b32 s29, s39, s19
	s_cselect_b32 s28, s38, s13
	s_xor_b64 s[26:27], s[30:31], s[26:27]
	s_xor_b64 s[28:29], s[28:29], s[26:27]
	s_sub_u32 s64, s28, s26
	s_subb_u32 s65, s29, s27
	s_cbranch_execnz .LBB23_14
.LBB23_13:                              ;   in Loop: Header=BB23_11 Depth=1
	v_cvt_f32_u32_e32 v1, s24
	s_sub_i32 s13, 0, s24
	s_mov_b32 s65, s18
	v_rcp_iflag_f32_e32 v1, v1
	s_nop 0
	v_mul_f32_e32 v1, 0x4f7ffffe, v1
	v_cvt_u32_f32_e32 v1, v1
	s_nop 0
	v_readfirstlane_b32 s19, v1
	s_mul_i32 s13, s13, s19
	s_mul_hi_u32 s13, s19, s13
	s_add_i32 s19, s19, s13
	s_mul_hi_u32 s13, s22, s19
	s_mul_i32 s26, s13, s24
	s_sub_i32 s26, s22, s26
	s_add_i32 s19, s13, 1
	s_sub_i32 s27, s26, s24
	s_cmp_ge_u32 s26, s24
	s_cselect_b32 s13, s19, s13
	s_cselect_b32 s26, s27, s26
	s_add_i32 s19, s13, 1
	s_cmp_ge_u32 s26, s24
	s_cselect_b32 s64, s19, s13
.LBB23_14:                              ;   in Loop: Header=BB23_11 Depth=1
	s_mul_i32 s13, s64, s25
	s_mul_hi_u32 s19, s64, s24
	s_load_dwordx2 s[26:27], s[20:21], 0xc8
	s_add_i32 s13, s19, s13
	s_mul_i32 s19, s65, s24
	s_add_i32 s13, s13, s19
	s_mul_i32 s19, s64, s24
	s_sub_u32 s19, s22, s19
	s_subb_u32 s13, s23, s13
	s_waitcnt lgkmcnt(0)
	s_mul_i32 s13, s26, s13
	s_mul_hi_u32 s22, s26, s19
	s_add_i32 s13, s22, s13
	s_mul_i32 s22, s27, s19
	s_add_i32 s13, s13, s22
	s_mul_i32 s19, s26, s19
	s_add_u32 s58, s19, s58
	s_addc_u32 s59, s13, s59
	s_add_i32 s3, s3, -1
	s_add_u32 s20, s20, -8
	s_addc_u32 s21, s21, -1
	s_cmp_gt_u32 s3, 2
	s_cbranch_scc0 .LBB23_17
; %bb.15:                               ;   in Loop: Header=BB23_11 Depth=1
	s_mov_b64 s[22:23], s[64:65]
	s_branch .LBB23_11
.LBB23_16:                              ;   in Loop: Header=BB23_11 Depth=1
                                        ; implicit-def: $sgpr64_sgpr65
	s_branch .LBB23_13
.LBB23_17:
	s_load_dword s18, s[0:1], 0x4f8
	s_load_dwordx2 s[20:21], s[16:17], 0xd0
	s_add_u32 s13, s0, 0x360
                                        ; implicit-def: $vgpr59 : SGPR spill to VGPR lane
                                        ; kill: killed $sgpr16 killed $sgpr17
	s_addc_u32 s17, s1, 0
	s_mov_b64 s[68:69], 0
	s_waitcnt lgkmcnt(0)
	s_cmp_lt_i32 s18, 2
	v_writelane_b32 v59, s20, 0
	s_nop 1
	v_writelane_b32 v59, s21, 1
	s_cbranch_scc1 .LBB23_25
; %bb.18:
	s_mov_b32 s16, 0
	s_add_i32 s3, s18, 1
	s_add_i32 s18, s18, -1
	s_mov_b32 s19, s16
	s_lshl_b64 s[18:19], s[18:19], 3
	s_add_u32 s13, s13, s18
	s_addc_u32 s17, s17, s19
	s_add_u32 s18, s13, 8
	s_addc_u32 s19, s17, 0
.LBB23_19:                              ; =>This Inner Loop Header: Depth=1
	s_load_dwordx2 s[20:21], s[18:19], 0x0
	s_waitcnt lgkmcnt(0)
	s_or_b64 s[22:23], s[6:7], s[20:21]
	s_mov_b32 s17, s23
	s_cmp_lg_u64 s[16:17], 0
	s_cbranch_scc0 .LBB23_24
; %bb.20:                               ;   in Loop: Header=BB23_19 Depth=1
	s_ashr_i32 s22, s21, 31
	s_add_u32 s24, s20, s22
	s_mov_b32 s23, s22
	s_addc_u32 s25, s21, s22
	s_xor_b64 s[24:25], s[24:25], s[22:23]
	v_cvt_f32_u32_e32 v1, s24
	v_cvt_f32_u32_e32 v2, s25
	s_sub_u32 s13, 0, s24
	s_subb_u32 s17, 0, s25
	v_fmac_f32_e32 v1, 0x4f800000, v2
	v_rcp_f32_e32 v1, v1
	s_nop 0
	v_mul_f32_e32 v1, 0x5f7ffffc, v1
	v_mul_f32_e32 v2, 0x2f800000, v1
	v_trunc_f32_e32 v2, v2
	v_fmac_f32_e32 v1, 0xcf800000, v2
	v_cvt_u32_f32_e32 v2, v2
	v_cvt_u32_f32_e32 v1, v1
	v_readfirstlane_b32 s28, v2
	v_readfirstlane_b32 s26, v1
	s_mul_i32 s27, s13, s28
	s_mul_hi_u32 s30, s13, s26
	s_mul_i32 s29, s17, s26
	s_add_i32 s27, s30, s27
	s_add_i32 s27, s27, s29
	s_mul_i32 s31, s13, s26
	s_mul_i32 s30, s26, s27
	s_mul_hi_u32 s33, s26, s31
	s_mul_hi_u32 s29, s26, s27
	s_add_u32 s30, s33, s30
	s_addc_u32 s29, 0, s29
	s_mul_hi_u32 s34, s28, s31
	s_mul_i32 s31, s28, s31
	s_add_u32 s30, s30, s31
	s_mul_hi_u32 s33, s28, s27
	s_addc_u32 s29, s29, s34
	s_addc_u32 s30, s33, 0
	s_mul_i32 s27, s28, s27
	s_add_u32 s27, s29, s27
	s_addc_u32 s29, 0, s30
	s_add_u32 s30, s26, s27
	s_cselect_b64 s[26:27], -1, 0
	s_cmp_lg_u64 s[26:27], 0
	s_addc_u32 s28, s28, s29
	s_mul_i32 s26, s13, s28
	s_mul_hi_u32 s27, s13, s30
	s_add_i32 s26, s27, s26
	s_mul_i32 s17, s17, s30
	s_add_i32 s26, s26, s17
	s_mul_i32 s13, s13, s30
	s_mul_hi_u32 s27, s28, s13
	s_mul_i32 s29, s28, s13
	s_mul_i32 s33, s30, s26
	s_mul_hi_u32 s13, s30, s13
	s_mul_hi_u32 s31, s30, s26
	s_add_u32 s13, s13, s33
	s_addc_u32 s31, 0, s31
	s_add_u32 s13, s13, s29
	s_mul_hi_u32 s17, s28, s26
	s_addc_u32 s13, s31, s27
	s_addc_u32 s17, s17, 0
	s_mul_i32 s26, s28, s26
	s_add_u32 s13, s13, s26
	s_addc_u32 s17, 0, s17
	s_add_u32 s13, s30, s13
	s_cselect_b64 s[26:27], -1, 0
	s_cmp_lg_u64 s[26:27], 0
	s_addc_u32 s17, s28, s17
	s_ashr_i32 s26, s7, 31
	s_add_u32 s28, s6, s26
	s_mov_b32 s27, s26
	s_addc_u32 s29, s7, s26
	s_xor_b64 s[28:29], s[28:29], s[26:27]
	s_mul_i32 s31, s28, s17
	s_mul_hi_u32 s33, s28, s13
	s_mul_hi_u32 s30, s28, s17
	s_add_u32 s31, s33, s31
	s_addc_u32 s30, 0, s30
	s_mul_hi_u32 s34, s29, s13
	s_mul_i32 s13, s29, s13
	s_add_u32 s13, s31, s13
	s_mul_hi_u32 s33, s29, s17
	s_addc_u32 s13, s30, s34
	s_addc_u32 s30, s33, 0
	s_mul_i32 s17, s29, s17
	s_add_u32 s13, s13, s17
	s_addc_u32 s17, 0, s30
	s_mul_i32 s30, s24, s17
	s_mul_hi_u32 s31, s24, s13
	s_add_i32 s30, s31, s30
	s_mul_i32 s31, s25, s13
	s_add_i32 s33, s30, s31
	s_sub_i32 s34, s29, s33
	s_mul_i32 s30, s24, s13
	s_sub_u32 s28, s28, s30
	s_cselect_b64 s[30:31], -1, 0
	s_cmp_lg_u64 s[30:31], 0
	s_subb_u32 s36, s34, s25
	s_sub_u32 s37, s28, s24
	s_cselect_b64 s[34:35], -1, 0
	s_cmp_lg_u64 s[34:35], 0
	s_subb_u32 s34, s36, 0
	s_cmp_ge_u32 s34, s25
	s_cselect_b32 s35, -1, 0
	s_cmp_ge_u32 s37, s24
	s_cselect_b32 s36, -1, 0
	s_cmp_eq_u32 s34, s25
	s_cselect_b32 s34, s36, s35
	s_add_u32 s35, s13, 1
	s_addc_u32 s36, s17, 0
	s_add_u32 s37, s13, 2
	s_addc_u32 s38, s17, 0
	s_cmp_lg_u32 s34, 0
	s_cselect_b32 s34, s37, s35
	s_cselect_b32 s35, s38, s36
	s_cmp_lg_u64 s[30:31], 0
	s_subb_u32 s29, s29, s33
	s_cmp_ge_u32 s29, s25
	s_cselect_b32 s30, -1, 0
	s_cmp_ge_u32 s28, s24
	s_cselect_b32 s24, -1, 0
	s_cmp_eq_u32 s29, s25
	s_cselect_b32 s24, s24, s30
	s_cmp_lg_u32 s24, 0
	s_cselect_b32 s25, s35, s17
	s_cselect_b32 s24, s34, s13
	s_xor_b64 s[22:23], s[26:27], s[22:23]
	s_xor_b64 s[24:25], s[24:25], s[22:23]
	s_sub_u32 s72, s24, s22
	s_subb_u32 s73, s25, s23
	s_cbranch_execnz .LBB23_22
.LBB23_21:                              ;   in Loop: Header=BB23_19 Depth=1
	v_cvt_f32_u32_e32 v1, s20
	s_sub_i32 s13, 0, s20
	s_mov_b32 s73, s16
	v_rcp_iflag_f32_e32 v1, v1
	s_nop 0
	v_mul_f32_e32 v1, 0x4f7ffffe, v1
	v_cvt_u32_f32_e32 v1, v1
	s_nop 0
	v_readfirstlane_b32 s17, v1
	s_mul_i32 s13, s13, s17
	s_mul_hi_u32 s13, s17, s13
	s_add_i32 s17, s17, s13
	s_mul_hi_u32 s13, s6, s17
	s_mul_i32 s22, s13, s20
	s_sub_i32 s22, s6, s22
	s_add_i32 s17, s13, 1
	s_sub_i32 s23, s22, s20
	s_cmp_ge_u32 s22, s20
	s_cselect_b32 s13, s17, s13
	s_cselect_b32 s22, s23, s22
	s_add_i32 s17, s13, 1
	s_cmp_ge_u32 s22, s20
	s_cselect_b32 s72, s17, s13
.LBB23_22:                              ;   in Loop: Header=BB23_19 Depth=1
	s_mul_i32 s13, s72, s21
	s_mul_hi_u32 s17, s72, s20
	s_load_dwordx2 s[22:23], s[18:19], 0xc8
	s_add_i32 s13, s17, s13
	s_mul_i32 s17, s73, s20
	s_add_i32 s13, s13, s17
	s_mul_i32 s17, s72, s20
	s_sub_u32 s6, s6, s17
	s_subb_u32 s7, s7, s13
	s_waitcnt lgkmcnt(0)
	s_mul_i32 s7, s22, s7
	s_mul_hi_u32 s13, s22, s6
	s_add_i32 s7, s13, s7
	s_mul_i32 s13, s23, s6
	s_add_i32 s7, s7, s13
	s_mul_i32 s6, s22, s6
	s_add_u32 s68, s6, s68
	s_addc_u32 s69, s7, s69
	s_add_i32 s3, s3, -1
	s_add_u32 s18, s18, -8
	s_addc_u32 s19, s19, -1
	s_cmp_gt_u32 s3, 2
	s_cbranch_scc0 .LBB23_26
; %bb.23:                               ;   in Loop: Header=BB23_19 Depth=1
	s_mov_b64 s[6:7], s[72:73]
	s_branch .LBB23_19
.LBB23_24:                              ;   in Loop: Header=BB23_19 Depth=1
                                        ; implicit-def: $sgpr72_sgpr73
	s_branch .LBB23_21
.LBB23_25:
	s_mov_b64 s[72:73], s[6:7]
.LBB23_26:
	s_load_dwordx2 s[6:7], s[0:1], 0x430
	s_mov_b32 s83, 0
                                        ; kill: killed $sgpr0 killed $sgpr1
	s_waitcnt lgkmcnt(0)
	v_writelane_b32 v59, s6, 2
	s_nop 1
	v_writelane_b32 v59, s7, 3
	s_load_dwordx2 s[16:17], s[0:1], 0x0
	s_load_dwordx2 s[6:7], s[0:1], 0x1c0
	s_waitcnt lgkmcnt(0)
	v_writelane_b32 v59, s6, 4
	s_nop 1
	v_writelane_b32 v59, s7, 5
	s_load_dwordx2 s[6:7], s[0:1], 0x360
	s_waitcnt lgkmcnt(0)
	v_writelane_b32 v59, s6, 6
	s_nop 1
	v_writelane_b32 v59, s7, 7
	v_cmp_eq_u32_e64 s[6:7], 0, v0
	s_mov_b64 s[0:1], exec
	s_nop 0
	v_writelane_b32 v59, s6, 8
	s_nop 1
	v_writelane_b32 v59, s7, 9
	s_and_b64 s[6:7], s[0:1], s[6:7]
	s_mov_b64 exec, s[6:7]
	s_cbranch_execz .LBB23_28
; %bb.27:
	v_mov_b32_e32 v2, 0
	v_mov_b32_e32 v4, s60
	;; [unrolled: 1-line block ×4, first 2 shown]
	ds_write_b32 v2, v2 offset:5136
	ds_write_b128 v2, v[2:5] offset:5120
.LBB23_28:
	s_or_b64 exec, exec, s[0:1]
	s_mul_i32 s0, s14, s9
	s_mul_hi_u32 s1, s14, s8
	s_add_i32 s0, s1, s0
	s_mul_i32 s1, s15, s8
	s_add_i32 s1, s0, s1
	s_mul_i32 s0, s14, s8
	s_lshl_b64 s[0:1], s[0:1], 2
	s_add_u32 s8, s16, s0
	v_mbcnt_lo_u32_b32 v1, -1, 0
	s_addc_u32 s9, s17, s1
	s_lshl_b64 s[84:85], s[4:5], 2
	v_mbcnt_hi_u32_b32 v50, -1, v1
	s_add_u32 s96, s8, s84
	v_cmp_gt_u32_e32 vcc, 64, v0
	v_cmp_gt_i32_e64 s[6:7], 4, v50
	s_addc_u32 s97, s9, s85
	s_and_b64 s[90:91], vcc, s[6:7]
	v_cmp_gt_u32_e64 s[6:7], 2, v0
	v_mov_b64_e32 v[4:5], 0x300
	v_mov_b32_e32 v3, 0
	v_writelane_b32 v59, s6, 10
	v_mov_b32_e32 v1, v3
	s_waitcnt lgkmcnt(0)
	v_writelane_b32 v59, s7, 11
	v_cmp_gt_i64_e64 s[6:7], s[60:61], v[4:5]
	s_barrier
	s_nop 0
	v_writelane_b32 v59, s6, 12
	s_load_dword s3, s[10:11], 0xc
	v_lshlrev_b64 v[8:9], v50, -1
	v_writelane_b32 v59, s7, 13
	v_cmp_gt_u64_e64 s[6:7], s[60:61], v[0:1]
	v_not_b32_e32 v18, v8
	s_waitcnt lgkmcnt(0)
	s_and_b32 s80, s3, 0xffff
	v_writelane_b32 v59, s6, 14
	s_bfe_u32 s3, s3, 0xa0006
	s_cmp_gt_u32 s80, 63
	v_writelane_b32 v59, s7, 15
	v_mad_u64_u32 v[6:7], s[6:7], s66, v0, 0
	v_mov_b32_e32 v2, v7
	v_mad_u64_u32 v[4:5], s[6:7], s67, v0, v[2:3]
	v_cmp_gt_i64_e64 s[6:7], s[60:61], v[0:1]
	v_lshlrev_b32_e32 v2, 2, v50
	v_and_b32_e32 v52, 0x100, v2
	v_writelane_b32 v59, s6, 16
	v_lshrrev_b32_e32 v2, 1, v0
	v_and_b32_e32 v2, 0x1e0, v2
	v_writelane_b32 v59, s7, 17
	s_cselect_b64 s[6:7], -1, 0
	v_writelane_b32 v59, s6, 18
	v_or_b32_e32 v53, 0xc00, v2
	v_add_u32_e32 v2, 2, v0
	v_writelane_b32 v59, s7, 19
	s_add_u32 s6, s80, -1
	v_mov_b32_e32 v8, s61
	v_cmp_gt_i64_e32 vcc, s[60:61], v[2:3]
	v_not_b32_e32 v19, v9
	s_addc_u32 s7, 0, -1
	v_cndmask_b32_e32 v9, 0, v8, vcc
	v_mov_b32_e32 v8, s60
	v_writelane_b32 v59, s6, 20
	s_add_u32 s6, s6, s60
	v_cndmask_b32_e32 v8, v2, v8, vcc
	v_mov_b32_e32 v11, -1
	v_not_b32_e32 v10, v0
	v_writelane_b32 v59, s6, 21
	s_addc_u32 s95, s7, s61
	v_lshl_add_u64 v[8:9], v[8:9], 0, v[10:11]
	v_writelane_b32 v59, s7, 22
	s_cmp_lt_u32 s2, s12
	v_cmp_lt_u64_e64 s[6:7], 1, v[8:9]
	s_cselect_b32 s2, 12, 18
	v_and_b32_e32 v20, -2, v8
	v_writelane_b32 v59, s6, 23
	v_mov_b32_e32 v21, v9
	s_add_u32 s56, s10, s2
	v_writelane_b32 v59, s7, 24
	v_cmp_ne_u64_e64 s[6:7], v[8:9], v[20:21]
	s_addc_u32 s57, s11, 0
	s_add_i32 s2, s3, -1
	v_writelane_b32 v59, s6, 25
	s_and_b32 s2, s2, 0xffff
	v_lshlrev_b32_e32 v54, 4, v0
	v_writelane_b32 v59, s7, 26
	s_bfe_u32 s6, s80, 0x30006
	s_cmp_gt_u32 s2, 6
	s_cselect_b64 s[10:11], -1, 0
	v_writelane_b32 v59, s10, 27
	s_and_b32 s33, s3, 0x3f8
	s_cmp_lg_u32 s6, 0
	v_writelane_b32 v59, s11, 28
	v_writelane_b32 v59, s6, 29
	s_cselect_b64 s[2:3], -1, 0
	v_writelane_b32 v59, s2, 30
	v_or_b32_e32 v10, 12, v54
	v_mov_b64_e32 v[8:9], s[8:9]
	v_writelane_b32 v59, s3, 31
	s_add_u32 s2, s0, s84
	s_addc_u32 s3, s1, s85
	s_add_u32 s2, s16, s2
	s_addc_u32 s3, s17, s3
	v_writelane_b32 v59, s2, 32
	v_mov_b32_e32 v7, v4
	v_lshlrev_b64 v[4:5], 2, v[6:7]
	v_writelane_b32 v59, s3, 33
	s_lshl_b64 s[2:3], s[66:67], 2
	v_writelane_b32 v59, s2, 34
	v_cmp_eq_u32_e64 s[4:5], 0, v50
	s_mov_b32 s92, s66
	v_writelane_b32 v59, s3, 35
	v_mad_u64_u32 v[24:25], s[2:3], s66, v10, v[8:9]
	v_mov_b32_e32 v2, v25
	v_mad_u64_u32 v[10:11], s[2:3], s67, v10, v[2:3]
	s_lshl_b64 s[2:3], s[66:67], 4
	v_mov_b32_e32 v25, v10
	v_writelane_b32 v59, s2, 36
	v_or_b32_e32 v10, 8, v54
	v_lshlrev_b32_e32 v12, 2, v0
	v_writelane_b32 v59, s3, 37
	v_mad_u64_u32 v[26:27], s[2:3], s66, v10, v[8:9]
	v_mov_b32_e32 v2, v27
	v_mad_u64_u32 v[10:11], s[2:3], s67, v10, v[2:3]
	v_mov_b32_e32 v27, v10
	v_or_b32_e32 v10, 4, v54
	v_mad_u64_u32 v[28:29], s[2:3], s66, v10, v[8:9]
	v_mov_b32_e32 v2, v29
	v_mad_u64_u32 v[8:9], s[2:3], s67, v10, v[2:3]
	s_add_u32 s2, s16, s84
	s_addc_u32 s3, s17, s85
	s_add_u32 s0, s2, s0
	s_addc_u32 s1, s3, s1
	v_lshl_add_u64 v[14:15], s[0:1], 0, v[4:5]
	s_mul_i32 s0, s67, s80
	s_mul_hi_u32 s1, s66, s80
	s_add_i32 s1, s1, s0
	s_mul_i32 s0, s66, s80
	s_lshl_b64 s[88:89], s[0:1], 2
	v_writelane_b32 v59, s88, 38
	s_mov_b32 s93, s67
	v_mov_b32_e32 v2, 0xc00
	v_writelane_b32 v59, s89, 39
	v_writelane_b32 v59, s4, 40
	v_mov_b32_e32 v37, 0
	v_add_u32_e32 v51, 0xc00, v12
	v_writelane_b32 v59, s5, 41
	v_writelane_b32 v59, s90, 42
	v_lshl_add_u64 v[16:17], s[96:97], 0, v[4:5]
	v_mov_b32_e32 v13, v3
	v_writelane_b32 v59, s91, 43
	v_writelane_b32 v59, s56, 44
	s_mov_b32 s81, s83
	v_lshl_add_u64 v[22:23], v[20:21], 0, v[0:1]
	v_writelane_b32 v59, s57, 45
	v_writelane_b32 v59, s92, 46
	v_mov_b32_e32 v29, v8
	v_lshl_add_u64 v[30:31], v[6:7], 4, s[8:9]
	v_lshl_add_u64 v[32:33], s[60:61], 0, v[0:1]
	v_lshl_or_b32 v55, v50, 3, v2
	s_lshl_b32 s94, s80, 2
	s_mov_b32 s87, 30
	s_mov_b64 s[14:15], 0
	v_mov_b64_e32 v[38:39], s[62:63]
	s_brev_b32 s86, 1
	v_mov_b64_e32 v[60:61], s[60:61]
	v_mov_b32_e32 v34, 1
	v_mov_b32_e32 v57, 0
	;; [unrolled: 1-line block ×4, first 2 shown]
	v_writelane_b32 v59, s93, 47
                                        ; implicit-def: $sgpr62_sgpr63
                                        ; implicit-def: $sgpr10_sgpr11
                                        ; implicit-def: $sgpr12_sgpr13
                                        ; implicit-def: $sgpr74_sgpr75
                                        ; implicit-def: $sgpr34_sgpr35
                                        ; implicit-def: $sgpr98_sgpr99
	v_writelane_b32 v59, s94, 48
	s_branch .LBB23_32
.LBB23_29:                              ;   in Loop: Header=BB23_32 Depth=1
	s_or_b64 exec, exec, s[16:17]
	s_and_b64 s[6:7], s[6:7], exec
	s_andn2_b64 s[26:27], s[26:27], exec
	s_andn2_b64 s[2:3], s[2:3], exec
	s_orn2_b64 s[20:21], s[8:9], exec
.LBB23_30:                              ;   in Loop: Header=BB23_32 Depth=1
	s_or_b64 exec, exec, s[0:1]
	s_andn2_b64 s[0:1], s[98:99], exec
	s_and_b64 s[6:7], s[6:7], exec
	s_or_b64 s[98:99], s[0:1], s[6:7]
	s_andn2_b64 s[0:1], s[34:35], exec
	s_and_b64 s[6:7], s[26:27], exec
	s_or_b64 s[34:35], s[0:1], s[6:7]
	;; [unrolled: 3-line block ×3, first 2 shown]
	s_orn2_b64 s[2:3], s[20:21], exec
.LBB23_31:                              ;   in Loop: Header=BB23_32 Depth=1
	s_or_b64 exec, exec, s[18:19]
	s_and_b64 s[0:1], exec, s[2:3]
	s_or_b64 s[14:15], s[0:1], s[14:15]
	s_andn2_b64 s[0:1], s[12:13], exec
	s_and_b64 s[2:3], s[98:99], exec
	s_or_b64 s[12:13], s[0:1], s[2:3]
	s_andn2_b64 s[0:1], s[10:11], exec
	s_and_b64 s[2:3], s[34:35], exec
	;; [unrolled: 3-line block ×3, first 2 shown]
	s_or_b64 s[62:63], s[0:1], s[2:3]
	v_mov_b64_e32 v[38:39], v[8:9]
	s_andn2_b64 exec, exec, s[14:15]
	s_cbranch_execz .LBB23_300
.LBB23_32:                              ; =>This Loop Header: Depth=1
                                        ;     Child Loop BB23_38 Depth 2
                                        ;     Child Loop BB23_52 Depth 2
	;; [unrolled: 1-line block ×17, first 2 shown]
	ds_read_b128 v[4:7], v3 offset:5120
	s_waitcnt lgkmcnt(0)
	v_readfirstlane_b32 s77, v5
	v_readfirstlane_b32 s76, v4
	s_nop 1
	v_cmp_gt_i64_e64 s[0:1], s[76:77], 0
	s_and_b64 vcc, exec, s[0:1]
	s_cbranch_vccnz .LBB23_65
; %bb.33:                               ;   in Loop: Header=BB23_32 Depth=1
	v_readlane_b32 s0, v59, 12
	v_readlane_b32 s1, v59, 13
	s_and_b64 vcc, exec, s[0:1]
	s_cbranch_vccz .LBB23_46
; %bb.34:                               ;   in Loop: Header=BB23_32 Depth=1
	s_mov_b64 s[0:1], 0x301
	v_cmp_gt_i64_e32 vcc, s[0:1], v[6:7]
	s_mov_b64 s[0:1], 0
	s_mov_b64 s[2:3], 0
	s_cbranch_vccz .LBB23_47
; %bb.35:                               ;   in Loop: Header=BB23_32 Depth=1
	s_mov_b64 s[6:7], exec
	v_readlane_b32 s2, v59, 14
	v_readlane_b32 s3, v59, 15
	s_and_b64 s[2:3], s[6:7], s[2:3]
	s_mov_b64 exec, s[2:3]
	s_cbranch_execz .LBB23_99
; %bb.36:                               ;   in Loop: Header=BB23_32 Depth=1
	global_load_ushort v6, v3, s[56:57]
	global_load_dword v8, v[16:17], off
	v_readlane_b32 s2, v59, 32
	v_readlane_b32 s3, v59, 33
	;; [unrolled: 1-line block ×4, first 2 shown]
	v_mov_b64_e32 v[4:5], s[2:3]
	s_mov_b64 s[8:9], 0
	s_waitcnt vmcnt(1)
	v_and_b32_e32 v2, 0xffff, v6
	v_readfirstlane_b32 s2, v6
	v_lshl_add_u64 v[6:7], v[0:1], 0, v[2:3]
	s_and_b32 s16, 0xffff, s2
	v_mad_u64_u32 v[4:5], s[2:3], s18, v6, v[4:5]
	v_mul_lo_u32 v7, s18, v7
	v_mul_lo_u32 v9, s19, v6
	s_mul_i32 s2, s19, s16
	s_mul_hi_u32 s3, s18, s16
	s_mul_i32 s18, s18, s16
	v_add3_u32 v5, v9, v5, v7
	s_add_i32 s19, s3, s2
	v_mov_b64_e32 v[6:7], v[0:1]
	s_branch .LBB23_38
.LBB23_37:                              ;   in Loop: Header=BB23_38 Depth=2
	s_or_b64 exec, exec, s[2:3]
	v_lshl_add_u64 v[4:5], v[4:5], 0, s[18:19]
	v_mov_b32_e32 v8, v9
	s_andn2_b64 exec, exec, s[8:9]
	s_cbranch_execz .LBB23_99
.LBB23_38:                              ;   Parent Loop BB23_32 Depth=1
                                        ; =>  This Inner Loop Header: Depth=2
	v_lshl_add_u64 v[6:7], v[6:7], 0, v[2:3]
	v_cmp_gt_i64_e64 s[2:3], s[60:61], v[6:7]
	v_cmp_le_i64_e32 vcc, s[60:61], v[6:7]
	s_waitcnt lgkmcnt(0)
	v_mov_b32_e32 v10, 0
	v_mov_b32_e32 v9, 0
	s_and_saveexec_b64 s[16:17], s[2:3]
	s_cbranch_execz .LBB23_40
; %bb.39:                               ;   in Loop: Header=BB23_38 Depth=2
	global_load_dword v9, v[4:5], off
.LBB23_40:                              ;   in Loop: Header=BB23_38 Depth=2
	s_or_b64 exec, exec, s[16:17]
	s_waitcnt vmcnt(0)
	v_bitop3_b32 v11, v8, v58, s86 bitop3:0x48
	v_cmp_eq_u32_e64 s[16:17], v11, v56
	s_cmp_lg_u64 s[16:17], 0
	s_cselect_b64 s[2:3], -1, 0
	s_and_b64 s[2:3], s[4:5], s[2:3]
	s_and_saveexec_b64 s[20:21], s[2:3]
	s_cbranch_execz .LBB23_44
; %bb.41:                               ;   in Loop: Header=BB23_38 Depth=2
	s_mov_b64 s[24:25], exec
	v_mbcnt_lo_u32_b32 v10, s24, 0
	v_mbcnt_hi_u32_b32 v10, s25, v10
	s_bcnt1_i32_b64 s26, s[16:17]
	v_cmp_eq_u32_e64 s[2:3], 0, v10
                                        ; implicit-def: $vgpr11
	s_and_saveexec_b64 s[22:23], s[2:3]
; %bb.42:                               ;   in Loop: Header=BB23_38 Depth=2
	s_bcnt1_i32_b64 s2, s[24:25]
	s_mul_i32 s2, s26, s2
	v_mov_b32_e32 v11, s2
	ds_add_rtn_u32 v11, v3, v11 offset:5136
; %bb.43:                               ;   in Loop: Header=BB23_38 Depth=2
	s_or_b64 exec, exec, s[22:23]
	s_waitcnt lgkmcnt(0)
	v_readfirstlane_b32 s2, v11
	s_nop 1
	v_mov_b32_e32 v11, s2
	v_mad_u32_u24 v10, s26, v10, v11
.LBB23_44:                              ;   in Loop: Header=BB23_38 Depth=2
	s_or_b64 exec, exec, s[20:21]
	ds_bpermute_b32 v10, v52, v10
	s_and_b64 s[2:3], exec, vcc
	s_or_b64 s[8:9], s[2:3], s[8:9]
	s_and_saveexec_b64 s[2:3], s[16:17]
	s_cbranch_execz .LBB23_37
; %bb.45:                               ;   in Loop: Header=BB23_38 Depth=2
	v_and_b32_e32 v35, s16, v18
	v_and_b32_e32 v11, s17, v19
	v_bcnt_u32_b32 v35, v35, 0
	v_bcnt_u32_b32 v11, v11, v35
	v_lshlrev_b32_e32 v11, 2, v11
	s_waitcnt lgkmcnt(0)
	v_lshl_add_u32 v10, v10, 2, v11
	ds_write_b32 v10, v8
	s_branch .LBB23_37
.LBB23_46:                              ;   in Loop: Header=BB23_32 Depth=1
	s_mov_b64 s[0:1], -1
	s_mov_b64 s[2:3], 0
.LBB23_47:                              ;   in Loop: Header=BB23_32 Depth=1
	s_and_b64 vcc, exec, s[0:1]
	s_cbranch_vccz .LBB23_63
.LBB23_48:                              ;   in Loop: Header=BB23_32 Depth=1
	s_mov_b64 s[0:1], exec
	v_readlane_b32 s2, v59, 16
	v_readlane_b32 s3, v59, 17
	s_and_b64 s[2:3], s[0:1], s[2:3]
	s_mov_b64 exec, s[2:3]
	s_cbranch_execz .LBB23_60
; %bb.49:                               ;   in Loop: Header=BB23_32 Depth=1
	global_load_ushort v2, v3, s[56:57]
	global_load_dword v10, v[16:17], off
	v_mov_b32_e32 v8, v0
	s_waitcnt vmcnt(1)
	v_readfirstlane_b32 s6, v2
	v_add_u32_sdwa v2, v2, v0 dst_sel:DWORD dst_unused:UNUSED_PAD src0_sel:WORD_0 src1_sel:DWORD
	v_cmp_gt_i64_e32 vcc, s[60:61], v[2:3]
	s_and_saveexec_b64 s[2:3], vcc
	s_cbranch_execz .LBB23_59
; %bb.50:                               ;   in Loop: Header=BB23_32 Depth=1
	s_and_b32 s82, s6, 0xffff
	s_cmp_eq_u32 s82, 1
	v_readlane_b32 s8, v59, 23
	s_cselect_b64 s[6:7], -1, 0
	v_readlane_b32 s9, v59, 24
	s_and_b64 s[16:17], s[8:9], s[6:7]
	s_mov_b64 s[8:9], -1
	v_mov_b64_e32 v[6:7], v[0:1]
	v_mov_b64_e32 v[4:5], v[2:3]
                                        ; implicit-def: $vgpr11
                                        ; implicit-def: $vgpr8_vgpr9
	s_and_saveexec_b64 s[6:7], s[16:17]
	s_cbranch_execz .LBB23_54
; %bb.51:                               ;   in Loop: Header=BB23_32 Depth=1
	v_lshl_add_u64 v[4:5], v[2:3], 0, 1
	v_mov_b64_e32 v[6:7], v[4:5]
	s_mov_b64 s[8:9], 0
	v_mov_b64_e32 v[8:9], v[20:21]
	v_mov_b32_e32 v35, v12
	v_mov_b64_e32 v[4:5], v[2:3]
.LBB23_52:                              ;   Parent Loop BB23_32 Depth=1
                                        ; =>  This Inner Loop Header: Depth=2
	v_mul_lo_u32 v44, v5, s92
	v_mul_lo_u32 v45, v4, s93
	v_mad_u64_u32 v[42:43], s[16:17], v4, s92, 0
	v_mul_lo_u32 v11, v7, s66
	v_mul_lo_u32 v36, v6, s67
	v_mad_u64_u32 v[40:41], s[16:17], v6, s66, 0
	v_add3_u32 v43, v43, v45, v44
	v_add3_u32 v41, v41, v36, v11
	v_lshl_add_u64 v[42:43], v[42:43], 2, s[96:97]
	v_lshl_add_u64 v[40:41], v[40:41], 2, s[96:97]
	global_load_dword v36, v[42:43], off
	global_load_dword v11, v[40:41], off
	v_lshl_add_u64 v[8:9], v[8:9], 0, -2
	v_cmp_eq_u64_e32 vcc, 0, v[8:9]
	v_lshl_add_u64 v[6:7], v[6:7], 0, 2
	v_lshl_add_u64 v[4:5], v[4:5], 0, 2
	s_or_b64 s[8:9], vcc, s[8:9]
	s_waitcnt vmcnt(1)
	ds_write2_b32 v35, v10, v36 offset1:1
	v_add_u32_e32 v35, 8, v35
	s_waitcnt vmcnt(0)
	v_mov_b32_e32 v10, v11
	s_andn2_b64 exec, exec, s[8:9]
	s_cbranch_execnz .LBB23_52
; %bb.53:                               ;   in Loop: Header=BB23_32 Depth=1
	s_or_b64 exec, exec, s[8:9]
	v_readlane_b32 s8, v59, 25
	v_lshl_add_u64 v[4:5], v[2:3], 0, v[20:21]
	v_readlane_b32 s9, v59, 26
	v_lshl_add_u64 v[8:9], v[4:5], 0, -1
	s_orn2_b64 s[8:9], s[8:9], exec
	v_mov_b32_e32 v10, v11
	v_mov_b64_e32 v[6:7], v[22:23]
.LBB23_54:                              ;   in Loop: Header=BB23_32 Depth=1
	s_or_b64 exec, exec, s[6:7]
	s_and_saveexec_b64 s[6:7], s[8:9]
	s_cbranch_execz .LBB23_58
; %bb.55:                               ;   in Loop: Header=BB23_32 Depth=1
	v_readlane_b32 s18, v59, 32
	v_readlane_b32 s19, v59, 33
	;; [unrolled: 1-line block ×4, first 2 shown]
	v_mov_b64_e32 v[8:9], s[18:19]
	v_mad_u64_u32 v[8:9], s[18:19], s20, v4, v[8:9]
	s_sub_u32 s8, 0, s82
	v_mul_lo_u32 v2, s20, v5
	v_mul_lo_u32 v7, s21, v4
	s_mul_i32 s18, s21, s82
	s_mul_hi_u32 s19, s20, s82
	s_mov_b64 s[16:17], 0
	s_subb_u32 s9, 0, 0
	v_add3_u32 v9, v7, v9, v2
	s_add_i32 s19, s19, s18
	s_mul_i32 s18, s20, s82
.LBB23_56:                              ;   Parent Loop BB23_32 Depth=1
                                        ; =>  This Inner Loop Header: Depth=2
	global_load_dword v11, v[8:9], off
	v_mov_b64_e32 v[40:41], v[4:5]
	v_lshl_add_u64 v[4:5], v[40:41], 0, s[82:83]
	v_lshlrev_b32_e32 v2, 2, v6
	v_cmp_le_i64_e32 vcc, s[60:61], v[4:5]
	v_lshl_add_u64 v[8:9], v[8:9], 0, s[18:19]
	s_waitcnt vmcnt(1)
	ds_write_b32 v2, v10
	v_mov_b64_e32 v[6:7], v[40:41]
	s_or_b64 s[16:17], vcc, s[16:17]
	s_waitcnt vmcnt(0)
	v_mov_b32_e32 v10, v11
	s_andn2_b64 exec, exec, s[16:17]
	s_cbranch_execnz .LBB23_56
; %bb.57:                               ;   in Loop: Header=BB23_32 Depth=1
	s_or_b64 exec, exec, s[16:17]
	v_lshl_add_u64 v[8:9], s[8:9], 0, v[4:5]
.LBB23_58:                              ;   in Loop: Header=BB23_32 Depth=1
	s_or_b64 exec, exec, s[6:7]
	s_waitcnt vmcnt(0)
	v_mov_b32_e32 v10, v11
.LBB23_59:                              ;   in Loop: Header=BB23_32 Depth=1
	s_or_b64 exec, exec, s[2:3]
	v_lshlrev_b32_e32 v2, 2, v8
	s_waitcnt vmcnt(0)
	ds_write_b32 v2, v10
.LBB23_60:                              ;   in Loop: Header=BB23_32 Depth=1
	s_or_b64 exec, exec, s[0:1]
	s_waitcnt lgkmcnt(0)
	s_barrier
	s_mov_b64 s[0:1], exec
	v_readlane_b32 s2, v59, 8
	v_readlane_b32 s3, v59, 9
	s_and_b64 s[2:3], s[0:1], s[2:3]
	s_mov_b64 exec, s[2:3]
; %bb.61:                               ;   in Loop: Header=BB23_32 Depth=1
	ds_write_b64 v3, v[60:61] offset:5120
; %bb.62:                               ;   in Loop: Header=BB23_32 Depth=1
	s_or_b64 exec, exec, s[0:1]
	s_waitcnt lgkmcnt(0)
	s_barrier
	s_mov_b64 s[2:3], -1
.LBB23_63:                              ;   in Loop: Header=BB23_32 Depth=1
	s_and_b64 vcc, exec, s[2:3]
	s_cbranch_vccz .LBB23_65
; %bb.64:                               ;   in Loop: Header=BB23_32 Depth=1
	ds_read_b64 v[4:5], v3 offset:5120
	s_waitcnt lgkmcnt(0)
	v_readfirstlane_b32 s76, v4
.LBB23_65:                              ;   in Loop: Header=BB23_32 Depth=1
	s_cmp_lt_i32 s76, 1
	s_mov_b64 s[0:1], -1
                                        ; implicit-def: $vgpr4_vgpr5
                                        ; implicit-def: $vgpr8_vgpr9
	s_cbranch_scc1 .LBB23_75
; %bb.66:                               ;   in Loop: Header=BB23_32 Depth=1
	s_and_b64 vcc, exec, s[0:1]
	s_cbranch_vccnz .LBB23_89
.LBB23_67:                              ;   in Loop: Header=BB23_32 Depth=1
	v_lshlrev_b32_e32 v2, 6, v57
	s_and_saveexec_b64 s[0:1], s[4:5]
	s_cbranch_execz .LBB23_69
.LBB23_68:                              ;   in Loop: Header=BB23_32 Depth=1
	v_lshl_add_u32 v35, v2, 3, v53
	ds_write_b128 v35, v[4:7]
	ds_write_b128 v35, v[8:11] offset:16
.LBB23_69:                              ;   in Loop: Header=BB23_32 Depth=1
	s_or_b64 exec, exec, s[0:1]
	s_waitcnt lgkmcnt(0)
	s_barrier
	s_and_saveexec_b64 s[0:1], s[90:91]
	s_cbranch_execz .LBB23_107
; %bb.70:                               ;   in Loop: Header=BB23_32 Depth=1
	v_readlane_b32 s2, v59, 18
	v_readlane_b32 s3, v59, 19
	s_andn2_b64 vcc, exec, s[2:3]
	v_mov_b64_e32 v[4:5], 0
	s_cbranch_vccnz .LBB23_106
; %bb.71:                               ;   in Loop: Header=BB23_32 Depth=1
	v_readlane_b32 s2, v59, 27
	v_readlane_b32 s3, v59, 28
	s_andn2_b64 vcc, exec, s[2:3]
	s_cbranch_vccnz .LBB23_102
; %bb.72:                               ;   in Loop: Header=BB23_32 Depth=1
	v_lshl_add_u32 v6, v57, 9, v55
	v_mov_b64_e32 v[4:5], 0
	s_mov_b32 s2, 0
.LBB23_73:                              ;   Parent Loop BB23_32 Depth=1
                                        ; =>  This Inner Loop Header: Depth=2
	ds_read2_b64 v[8:11], v6 offset1:4
	ds_read2_b64 v[40:43], v6 offset0:8 offset1:12
	ds_read2_b64 v[44:47], v6 offset0:16 offset1:20
	;; [unrolled: 1-line block ×3, first 2 shown]
	s_add_i32 s2, s2, 8
	s_waitcnt lgkmcnt(3)
	v_lshl_add_u64 v[4:5], v[8:9], 0, v[4:5]
	v_lshl_add_u64 v[4:5], v[10:11], 0, v[4:5]
	s_waitcnt lgkmcnt(2)
	v_lshl_add_u64 v[4:5], v[40:41], 0, v[4:5]
	v_lshl_add_u64 v[4:5], v[42:43], 0, v[4:5]
	;; [unrolled: 3-line block ×3, first 2 shown]
	s_waitcnt lgkmcnt(0)
	v_lshl_add_u64 v[4:5], v[62:63], 0, v[4:5]
	v_add_u32_e32 v6, 0x100, v6
	s_cmp_eq_u32 s33, s2
	v_lshl_add_u64 v[4:5], v[64:65], 0, v[4:5]
	s_cbranch_scc0 .LBB23_73
; %bb.74:                               ;   in Loop: Header=BB23_32 Depth=1
	s_mov_b32 s2, s33
	s_branch .LBB23_103
.LBB23_75:                              ;   in Loop: Header=BB23_32 Depth=1
	global_load_ushort v2, v3, s[56:57]
	s_mov_b32 s2, s83
	s_mov_b32 s3, s61
	s_waitcnt vmcnt(0)
	v_readfirstlane_b32 s0, v2
	s_and_b32 s0, s0, 0xffff
	s_lshl_b32 s82, s0, 2
	s_cmp_lg_u64 s[2:3], 0
	s_cbranch_scc0 .LBB23_98
; %bb.76:                               ;   in Loop: Header=BB23_32 Depth=1
	s_add_u32 s2, s82, 0
	s_addc_u32 s3, 0, 0
	s_xor_b64 s[2:3], s[2:3], 0
	v_cvt_f32_u32_e32 v2, s2
	v_cvt_f32_u32_e32 v4, s3
	s_sub_u32 s1, 0, s2
	s_subb_u32 s8, 0, s3
	v_fmac_f32_e32 v2, 0x4f800000, v4
	v_rcp_f32_e32 v2, v2
	s_nop 0
	v_mul_f32_e32 v2, 0x5f7ffffc, v2
	v_mul_f32_e32 v4, 0x2f800000, v2
	v_trunc_f32_e32 v4, v4
	v_fmac_f32_e32 v2, 0xcf800000, v4
	v_cvt_u32_f32_e32 v4, v4
	v_cvt_u32_f32_e32 v2, v2
	v_readfirstlane_b32 s9, v4
	v_readfirstlane_b32 s6, v2
	s_mul_i32 s7, s1, s9
	s_mul_hi_u32 s17, s1, s6
	s_mul_i32 s16, s8, s6
	s_add_i32 s7, s17, s7
	s_mul_i32 s18, s1, s6
	s_add_i32 s7, s7, s16
	s_mul_i32 s17, s6, s7
	s_mul_hi_u32 s19, s6, s18
	s_mul_hi_u32 s16, s6, s7
	s_add_u32 s17, s19, s17
	s_addc_u32 s16, 0, s16
	s_mul_hi_u32 s20, s9, s18
	s_mul_i32 s18, s9, s18
	s_add_u32 s17, s17, s18
	s_mul_hi_u32 s19, s9, s7
	s_addc_u32 s16, s16, s20
	s_addc_u32 s17, s19, 0
	s_mul_i32 s7, s9, s7
	s_add_u32 s7, s16, s7
	s_addc_u32 s16, 0, s17
	s_add_u32 s17, s6, s7
	s_cselect_b64 s[6:7], -1, 0
	s_cmp_lg_u64 s[6:7], 0
	s_addc_u32 s9, s9, s16
	s_mul_i32 s6, s1, s9
	s_mul_hi_u32 s7, s1, s17
	s_add_i32 s6, s7, s6
	s_mul_i32 s8, s8, s17
	s_add_i32 s6, s6, s8
	s_mul_i32 s1, s1, s17
	s_mul_hi_u32 s8, s9, s1
	s_mul_i32 s16, s9, s1
	s_mul_i32 s19, s17, s6
	s_mul_hi_u32 s1, s17, s1
	s_mul_hi_u32 s18, s17, s6
	s_add_u32 s1, s1, s19
	s_addc_u32 s18, 0, s18
	s_add_u32 s1, s1, s16
	s_mul_hi_u32 s7, s9, s6
	s_addc_u32 s1, s18, s8
	s_addc_u32 s7, s7, 0
	s_mul_i32 s6, s9, s6
	s_add_u32 s1, s1, s6
	s_addc_u32 s8, 0, s7
	s_add_u32 s1, s17, s1
	s_cselect_b64 s[6:7], -1, 0
	s_cmp_lg_u64 s[6:7], 0
	s_addc_u32 s16, s9, s8
	s_ashr_i32 s6, s61, 31
	s_add_u32 s8, s60, s6
	s_mov_b32 s7, s6
	s_addc_u32 s9, s61, s6
	s_xor_b64 s[8:9], s[8:9], s[6:7]
	s_mul_i32 s18, s8, s16
	s_mul_hi_u32 s19, s8, s1
	s_mul_hi_u32 s17, s8, s16
	s_add_u32 s18, s19, s18
	s_addc_u32 s17, 0, s17
	s_mul_hi_u32 s20, s9, s1
	s_mul_i32 s1, s9, s1
	s_add_u32 s1, s18, s1
	s_mul_hi_u32 s19, s9, s16
	s_addc_u32 s1, s17, s20
	s_addc_u32 s17, s19, 0
	s_mul_i32 s16, s9, s16
	s_add_u32 s1, s1, s16
	s_addc_u32 s16, 0, s17
	s_mul_i32 s16, s2, s16
	s_mul_hi_u32 s17, s2, s1
	s_add_i32 s16, s17, s16
	s_mul_i32 s17, s3, s1
	s_add_i32 s20, s16, s17
	s_sub_i32 s18, s9, s20
	s_mul_i32 s1, s2, s1
	s_sub_u32 s1, s8, s1
	s_cselect_b64 s[16:17], -1, 0
	s_cmp_lg_u64 s[16:17], 0
	s_subb_u32 s8, s18, s3
	s_sub_u32 s21, s1, s2
	s_cselect_b64 s[18:19], -1, 0
	s_cmp_lg_u64 s[18:19], 0
	s_subb_u32 s22, s8, 0
	s_cmp_ge_u32 s22, s3
	s_cselect_b32 s23, -1, 0
	s_cmp_ge_u32 s21, s2
	s_cselect_b32 s24, -1, 0
	s_cmp_eq_u32 s22, s3
	s_cselect_b32 s23, s24, s23
	s_cmp_lg_u64 s[18:19], 0
	s_subb_u32 s8, s8, s3
	s_sub_u32 s24, s21, s2
	s_cselect_b64 s[18:19], -1, 0
	s_cmp_lg_u64 s[18:19], 0
	s_subb_u32 s8, s8, 0
	s_cmp_lg_u32 s23, 0
	s_cselect_b32 s18, s24, s21
	s_cselect_b32 s8, s8, s22
	s_cmp_lg_u64 s[16:17], 0
	s_subb_u32 s9, s9, s20
	s_cmp_ge_u32 s9, s3
	s_cselect_b32 s16, -1, 0
	s_cmp_ge_u32 s1, s2
	s_cselect_b32 s2, -1, 0
	s_cmp_eq_u32 s9, s3
	s_cselect_b32 s2, s2, s16
	s_cmp_lg_u32 s2, 0
	s_cselect_b32 s3, s8, s9
	s_cselect_b32 s2, s18, s1
	s_xor_b64 s[2:3], s[2:3], s[6:7]
	s_sub_u32 s8, s2, s6
	s_subb_u32 s9, s3, s6
	s_cbranch_execnz .LBB23_78
.LBB23_77:                              ;   in Loop: Header=BB23_32 Depth=1
	v_cvt_f32_u32_e32 v2, s82
	s_sub_i32 s1, 0, s82
	s_mov_b32 s9, s83
	v_rcp_iflag_f32_e32 v2, v2
	s_nop 0
	v_mul_f32_e32 v2, 0x4f7ffffe, v2
	v_cvt_u32_f32_e32 v2, v2
	s_nop 0
	v_readfirstlane_b32 s2, v2
	s_mul_i32 s1, s1, s2
	s_mul_hi_u32 s1, s2, s1
	s_add_i32 s2, s2, s1
	s_mul_hi_u32 s1, s60, s2
	s_mul_i32 s1, s1, s82
	s_sub_i32 s1, s60, s1
	s_sub_i32 s2, s1, s82
	s_cmp_ge_u32 s1, s82
	s_cselect_b32 s1, s2, s1
	s_sub_i32 s2, s1, s82
	s_cmp_ge_u32 s1, s82
	s_cselect_b32 s8, s2, s1
.LBB23_78:                              ;   in Loop: Header=BB23_32 Depth=1
	s_sub_u32 s92, s60, s8
	s_subb_u32 s93, s61, s9
	s_mov_b32 s1, s83
	v_cmp_gt_i64_e32 vcc, s[92:93], v[12:13]
	v_mov_b64_e32 v[4:5], 0
	v_mov_b64_e32 v[6:7], 0
	;; [unrolled: 1-line block ×4, first 2 shown]
	s_and_saveexec_b64 s[6:7], vcc
	s_cbranch_execz .LBB23_82
; %bb.79:                               ;   in Loop: Header=BB23_32 Depth=1
	v_readlane_b32 s16, v59, 36
	v_readlane_b32 s17, v59, 37
	s_mul_i32 s2, s17, s0
	s_mul_hi_u32 s3, s16, s0
	s_mov_b32 s77, s95
	s_mov_b64 s[4:5], s[96:97]
	s_add_i32 s79, s3, s2
	s_mul_i32 s78, s16, s0
	s_mov_b64 s[90:91], 0
	v_mov_b64_e32 v[40:41], v[30:31]
	v_mov_b64_e32 v[42:43], v[28:29]
	;; [unrolled: 1-line block ×4, first 2 shown]
	s_mov_b64 s[96:97], 0
	s_mov_b64 s[94:95], 0
	s_mov_b64 s[88:89], 0
	s_mov_b64 s[70:71], 0
	v_mov_b64_e32 v[48:49], v[12:13]
.LBB23_80:                              ;   Parent Loop BB23_32 Depth=1
                                        ; =>  This Inner Loop Header: Depth=2
	v_lshl_add_u64 v[4:5], v[40:41], 0, s[84:85]
	v_lshl_add_u64 v[6:7], v[42:43], 0, s[84:85]
	;; [unrolled: 1-line block ×4, first 2 shown]
	global_load_dword v2, v[4:5], off
	s_nop 0
	global_load_dword v4, v[6:7], off
	global_load_dword v5, v[8:9], off
	s_nop 0
	global_load_dword v6, v[10:11], off
	v_lshl_add_u64 v[48:49], v[48:49], 0, s[82:83]
	v_cmp_le_i64_e32 vcc, s[92:93], v[48:49]
	v_lshl_add_u64 v[46:47], v[46:47], 0, s[78:79]
	v_lshl_add_u64 v[44:45], v[44:45], 0, s[78:79]
	;; [unrolled: 1-line block ×4, first 2 shown]
	s_waitcnt vmcnt(3)
	v_xor_b32_e32 v7, 0x80000000, v2
	v_bitop3_b32 v2, v2, v58, s86 bitop3:0x48
	s_waitcnt vmcnt(2)
	v_xor_b32_e32 v8, 0x80000000, v4
	v_bitop3_b32 v4, v4, v58, s86 bitop3:0x48
	v_cmp_eq_u32_e64 s[22:23], v2, v56
	v_bfe_u32 v2, v7, s87, 2
	s_waitcnt vmcnt(1)
	v_xor_b32_e32 v9, 0x80000000, v5
	v_bitop3_b32 v5, v5, v58, s86 bitop3:0x48
	v_cmp_eq_u32_e64 s[20:21], v4, v56
	v_bfe_u32 v4, v8, s87, 2
	v_cmp_eq_u32_e64 s[2:3], 0, v2
	s_waitcnt vmcnt(0)
	v_xor_b32_e32 v10, 0x80000000, v6
	v_bitop3_b32 v6, v6, v58, s86 bitop3:0x48
	v_cmp_eq_u32_e64 s[18:19], v5, v56
	v_bfe_u32 v5, v9, s87, 2
	v_cmp_eq_u32_e64 s[36:37], 0, v4
	s_and_b64 s[2:3], s[22:23], s[2:3]
	v_cmp_eq_u32_e64 s[16:17], v6, v56
	v_bfe_u32 v6, v10, s87, 2
	v_cmp_eq_u32_e64 s[38:39], 0, v5
	v_cmp_eq_u32_e64 s[42:43], 1, v2
	;; [unrolled: 1-line block ×4, first 2 shown]
	v_cndmask_b32_e64 v2, 0, 1, s[2:3]
	s_and_b64 s[2:3], s[20:21], s[36:37]
	v_cmp_eq_u32_e64 s[40:41], 0, v6
	v_cmp_eq_u32_e64 s[44:45], 1, v4
	v_cmp_eq_u32_e64 s[52:53], 2, v4
	v_cmp_eq_u32_e64 s[28:29], 3, v4
	v_cndmask_b32_e64 v4, 0, 1, s[2:3]
	s_and_b64 s[2:3], s[18:19], s[38:39]
	v_cmp_eq_u32_e64 s[46:47], 1, v5
	v_cmp_eq_u32_e64 s[54:55], 2, v5
	;; [unrolled: 1-line block ×3, first 2 shown]
	v_cndmask_b32_e64 v5, 0, 1, s[2:3]
	s_and_b64 s[2:3], s[16:17], s[40:41]
	v_cmp_eq_u32_e64 s[48:49], 1, v6
	v_cmp_eq_u32_e64 s[56:57], 2, v6
	;; [unrolled: 1-line block ×3, first 2 shown]
	v_cndmask_b32_e64 v6, 0, 1, s[2:3]
	v_cmp_ne_u32_e64 s[2:3], 0, v2
	v_cmp_ne_u32_e64 s[36:37], 0, v4
	v_cmp_ne_u32_e64 s[38:39], 0, v5
	v_cmp_ne_u32_e64 s[40:41], 0, v6
	s_bcnt1_i32_b64 s2, s[2:3]
	s_bcnt1_i32_b64 s3, s[36:37]
	s_bcnt1_i32_b64 s36, s[38:39]
	s_bcnt1_i32_b64 s37, s[40:41]
	s_add_u32 s2, s2, s70
	s_addc_u32 s38, 0, s71
	s_add_u32 s2, s2, s3
	s_addc_u32 s3, s38, 0
	s_add_u32 s2, s2, s36
	s_addc_u32 s3, s3, 0
	s_add_u32 s70, s2, s37
	s_addc_u32 s71, s3, 0
	s_and_b64 s[2:3], s[22:23], s[42:43]
	v_cndmask_b32_e64 v2, 0, 1, s[2:3]
	s_and_b64 s[2:3], s[20:21], s[44:45]
	v_cndmask_b32_e64 v6, 0, 1, s[2:3]
	s_and_b64 s[2:3], s[18:19], s[46:47]
	v_cndmask_b32_e64 v7, 0, 1, s[2:3]
	s_and_b64 s[2:3], s[16:17], s[48:49]
	v_cndmask_b32_e64 v8, 0, 1, s[2:3]
	v_cmp_ne_u32_e64 s[2:3], 0, v2
	v_cmp_ne_u32_e64 s[36:37], 0, v6
	v_cmp_ne_u32_e64 s[38:39], 0, v7
	v_cmp_ne_u32_e64 s[40:41], 0, v8
	s_bcnt1_i32_b64 s2, s[2:3]
	s_bcnt1_i32_b64 s3, s[36:37]
	s_bcnt1_i32_b64 s36, s[38:39]
	s_bcnt1_i32_b64 s37, s[40:41]
	s_add_u32 s2, s2, s88
	s_addc_u32 s38, 0, s89
	s_add_u32 s2, s2, s3
	s_addc_u32 s3, s38, 0
	s_add_u32 s2, s2, s36
	s_addc_u32 s3, s3, 0
	s_add_u32 s88, s2, s37
	s_addc_u32 s89, s3, 0
	s_and_b64 s[2:3], s[22:23], s[50:51]
	v_cndmask_b32_e64 v2, 0, 1, s[2:3]
	s_and_b64 s[2:3], s[20:21], s[52:53]
	v_cndmask_b32_e64 v8, 0, 1, s[2:3]
	s_and_b64 s[2:3], s[18:19], s[54:55]
	v_cndmask_b32_e64 v9, 0, 1, s[2:3]
	s_and_b64 s[2:3], s[16:17], s[56:57]
	;; [unrolled: 24-line block ×3, first 2 shown]
	v_cndmask_b32_e64 v35, 0, 1, s[2:3]
	v_cmp_ne_u32_e64 s[2:3], 0, v2
	v_cmp_ne_u32_e64 s[16:17], 0, v10
	;; [unrolled: 1-line block ×4, first 2 shown]
	s_bcnt1_i32_b64 s2, s[2:3]
	s_bcnt1_i32_b64 s3, s[16:17]
	;; [unrolled: 1-line block ×4, first 2 shown]
	s_add_u32 s2, s2, s96
	s_addc_u32 s18, 0, s97
	s_add_u32 s2, s2, s3
	s_addc_u32 s3, s18, 0
	s_add_u32 s2, s2, s16
	s_addc_u32 s3, s3, 0
	s_add_u32 s96, s2, s17
	s_addc_u32 s97, s3, 0
	v_mov_b64_e32 v[4:5], s[70:71]
	v_mov_b64_e32 v[6:7], s[88:89]
	;; [unrolled: 1-line block ×3, first 2 shown]
	s_or_b64 s[90:91], vcc, s[90:91]
	v_mov_b64_e32 v[10:11], s[96:97]
	s_andn2_b64 exec, exec, s[90:91]
	s_cbranch_execnz .LBB23_80
; %bb.81:                               ;   in Loop: Header=BB23_32 Depth=1
	s_or_b64 exec, exec, s[90:91]
	s_mov_b64 s[96:97], s[4:5]
	v_readlane_b32 s88, v59, 38
	v_readlane_b32 s4, v59, 40
	;; [unrolled: 1-line block ×7, first 2 shown]
	s_mov_b32 s95, s77
	v_readlane_b32 s57, v59, 45
	v_readlane_b32 s94, v59, 48
.LBB23_82:                              ;   in Loop: Header=BB23_32 Depth=1
	s_or_b64 exec, exec, s[6:7]
	v_lshl_add_u64 v[40:41], s[92:93], 0, v[0:1]
	v_cmp_gt_i64_e32 vcc, s[60:61], v[40:41]
	s_and_saveexec_b64 s[6:7], vcc
	v_readlane_b32 s92, v59, 46
	v_readlane_b32 s93, v59, 47
	s_cbranch_execz .LBB23_88
; %bb.83:                               ;   in Loop: Header=BB23_32 Depth=1
	v_mul_lo_u32 v2, v41, s66
	v_mul_lo_u32 v35, v40, s67
	v_mad_u64_u32 v[42:43], s[2:3], v40, s66, 0
	v_add3_u32 v43, v43, v35, v2
	v_lshl_add_u64 v[42:43], v[42:43], 2, s[96:97]
	global_load_dword v2, v[42:43], off
	v_lshl_add_u64 v[42:43], v[32:33], 0, s[0:1]
	v_readlane_b32 s2, v59, 32
	v_mov_b32_e32 v35, s9
	v_subrev_co_u32_e32 v36, vcc, s8, v42
	v_readlane_b32 s3, v59, 33
	s_nop 0
	v_subb_co_u32_e32 v35, vcc, v43, v35, vcc
	v_readlane_b32 s8, v59, 34
	v_mov_b64_e32 v[42:43], s[2:3]
	v_readlane_b32 s9, v59, 35
	v_mad_u64_u32 v[42:43], s[2:3], s8, v36, v[42:43]
	v_mul_lo_u32 v35, s8, v35
	v_mul_lo_u32 v44, s9, v36
	s_mul_i32 s2, s9, s0
	s_mul_hi_u32 s3, s8, s0
	v_add3_u32 v43, v44, v43, v35
	s_add_i32 s9, s3, s2
	s_mul_i32 s8, s8, s0
	s_mov_b64 s[16:17], 0
	s_branch .LBB23_85
.LBB23_84:                              ;   in Loop: Header=BB23_85 Depth=2
	s_or_b64 exec, exec, s[18:19]
	s_waitcnt vmcnt(0)
	v_xor_b32_e32 v36, 0x80000000, v2
	v_bitop3_b32 v2, v2, v58, s86 bitop3:0x48
	s_and_b64 s[2:3], exec, vcc
	v_cmp_eq_u32_e32 vcc, v2, v56
	v_bfe_u32 v2, v36, s87, 2
	s_or_b64 s[16:17], s[2:3], s[16:17]
	v_cmp_eq_u32_e64 s[2:3], 0, v2
	s_and_b64 s[2:3], vcc, s[2:3]
	v_lshl_add_u64 v[42:43], v[42:43], 0, s[8:9]
	v_cndmask_b32_e64 v36, 0, 1, s[2:3]
	v_cmp_ne_u32_e64 s[2:3], 0, v36
	s_bcnt1_i32_b64 s82, s[2:3]
	v_cmp_eq_u32_e64 s[2:3], 1, v2
	s_and_b64 s[2:3], vcc, s[2:3]
	v_lshl_add_u64 v[4:5], s[82:83], 0, v[4:5]
	v_cndmask_b32_e64 v36, 0, 1, s[2:3]
	v_cmp_ne_u32_e64 s[2:3], 0, v36
	s_bcnt1_i32_b64 s82, s[2:3]
	;; [unrolled: 6-line block ×3, first 2 shown]
	v_cmp_eq_u32_e64 s[2:3], 3, v2
	s_and_b64 s[2:3], vcc, s[2:3]
	v_lshl_add_u64 v[8:9], s[82:83], 0, v[8:9]
	v_cndmask_b32_e64 v2, 0, 1, s[2:3]
	v_cmp_ne_u32_e32 vcc, 0, v2
	s_bcnt1_i32_b64 s82, vcc
	v_lshl_add_u64 v[10:11], s[82:83], 0, v[10:11]
	v_mov_b32_e32 v2, v35
	s_andn2_b64 exec, exec, s[16:17]
	s_cbranch_execz .LBB23_87
.LBB23_85:                              ;   Parent Loop BB23_32 Depth=1
                                        ; =>  This Inner Loop Header: Depth=2
	v_lshl_add_u64 v[40:41], v[40:41], 0, s[0:1]
	v_cmp_gt_i64_e64 s[2:3], s[60:61], v[40:41]
	v_cmp_le_i64_e32 vcc, s[60:61], v[40:41]
	v_mov_b32_e32 v35, 0
	s_and_saveexec_b64 s[18:19], s[2:3]
	s_cbranch_execz .LBB23_84
; %bb.86:                               ;   in Loop: Header=BB23_85 Depth=2
	global_load_dword v35, v[42:43], off
	s_branch .LBB23_84
.LBB23_87:                              ;   in Loop: Header=BB23_32 Depth=1
	s_or_b64 exec, exec, s[16:17]
.LBB23_88:                              ;   in Loop: Header=BB23_32 Depth=1
	s_or_b64 exec, exec, s[6:7]
	s_branch .LBB23_67
.LBB23_89:                              ;   in Loop: Header=BB23_32 Depth=1
	global_load_ushort v2, v3, s[56:57]
	v_mov_b64_e32 v[8:9], 0
	s_waitcnt vmcnt(0)
	v_readfirstlane_b32 s0, v2
	s_and_b32 s2, 0xffff, s0
	s_lshl_b32 s0, s2, 2
	v_cvt_f32_u32_e32 v4, s0
	s_sub_i32 s3, 0, s0
	v_rcp_iflag_f32_e32 v6, v4
	v_mov_b64_e32 v[4:5], 0
	v_mul_f32_e32 v6, 0x4f7ffffe, v6
	v_cvt_u32_f32_e32 v10, v6
	v_mov_b64_e32 v[6:7], 0
	v_readfirstlane_b32 s6, v10
	s_mul_i32 s3, s3, s6
	s_mul_hi_u32 s3, s6, s3
	s_add_i32 s6, s6, s3
	s_mul_hi_u32 s3, s76, s6
	s_mul_i32 s6, s3, s0
	s_sub_i32 s6, s76, s6
	s_add_i32 s7, s3, 1
	s_sub_i32 s8, s6, s0
	s_cmp_ge_u32 s6, s0
	s_cselect_b32 s3, s7, s3
	s_cselect_b32 s6, s8, s6
	s_add_i32 s7, s3, 1
	s_cmp_ge_u32 s6, s0
	s_cselect_b32 s3, s7, s3
	s_mul_hi_u32 s9, s2, s3
	s_mul_i32 s8, s2, s3
	s_lshl_b64 s[6:7], s[8:9], 2
	v_cmp_gt_u64_e32 vcc, s[6:7], v[12:13]
	v_mov_b64_e32 v[10:11], 0
	s_and_saveexec_b64 s[78:79], vcc
	s_cbranch_execz .LBB23_93
; %bb.90:                               ;   in Loop: Header=BB23_32 Depth=1
	s_mov_b32 s1, s83
	s_mov_b32 s77, s95
	s_lshl_b32 s9, s2, 4
	s_mov_b64 s[70:71], 0
	v_mov_b32_e32 v35, v54
	s_mov_b64 s[88:89], 0
	s_mov_b64 s[90:91], 0
	;; [unrolled: 1-line block ×4, first 2 shown]
	v_mov_b64_e32 v[40:41], v[12:13]
.LBB23_91:                              ;   Parent Loop BB23_32 Depth=1
                                        ; =>  This Inner Loop Header: Depth=2
	ds_read_b128 v[4:7], v35
	v_lshl_add_u64 v[40:41], v[40:41], 0, s[0:1]
	v_cmp_le_u64_e32 vcc, s[6:7], v[40:41]
	v_add_u32_e32 v35, s9, v35
	s_waitcnt lgkmcnt(0)
	v_xor_b32_e32 v8, 0x80000000, v4
	v_bitop3_b32 v4, v4, v58, s86 bitop3:0x48
	v_xor_b32_e32 v9, 0x80000000, v5
	v_bitop3_b32 v5, v5, v58, s86 bitop3:0x48
	v_cmp_eq_u32_e64 s[22:23], v4, v56
	v_bfe_u32 v4, v8, s87, 2
	v_xor_b32_e32 v10, 0x80000000, v6
	v_bitop3_b32 v6, v6, v58, s86 bitop3:0x48
	v_cmp_eq_u32_e64 s[20:21], v5, v56
	v_bfe_u32 v5, v9, s87, 2
	v_cmp_eq_u32_e64 s[2:3], 0, v4
	v_xor_b32_e32 v11, 0x80000000, v7
	v_bitop3_b32 v7, v7, v58, s86 bitop3:0x48
	v_cmp_eq_u32_e64 s[18:19], v6, v56
	v_bfe_u32 v6, v10, s87, 2
	v_cmp_eq_u32_e64 s[36:37], 0, v5
	s_and_b64 s[2:3], s[22:23], s[2:3]
	v_cmp_eq_u32_e64 s[16:17], v7, v56
	v_bfe_u32 v7, v11, s87, 2
	v_cmp_eq_u32_e64 s[38:39], 0, v6
	v_cmp_eq_u32_e64 s[42:43], 1, v4
	;; [unrolled: 1-line block ×4, first 2 shown]
	v_cndmask_b32_e64 v4, 0, 1, s[2:3]
	s_and_b64 s[2:3], s[20:21], s[36:37]
	v_cmp_eq_u32_e64 s[40:41], 0, v7
	v_cmp_eq_u32_e64 s[44:45], 1, v5
	;; [unrolled: 1-line block ×4, first 2 shown]
	v_cndmask_b32_e64 v5, 0, 1, s[2:3]
	s_and_b64 s[2:3], s[18:19], s[38:39]
	v_cmp_eq_u32_e64 s[46:47], 1, v6
	v_cmp_eq_u32_e64 s[54:55], 2, v6
	;; [unrolled: 1-line block ×3, first 2 shown]
	v_cndmask_b32_e64 v6, 0, 1, s[2:3]
	s_and_b64 s[2:3], s[16:17], s[40:41]
	v_cmp_eq_u32_e64 s[48:49], 1, v7
	v_cmp_eq_u32_e64 s[56:57], 2, v7
	;; [unrolled: 1-line block ×3, first 2 shown]
	v_cndmask_b32_e64 v7, 0, 1, s[2:3]
	v_cmp_ne_u32_e64 s[2:3], 0, v4
	v_cmp_ne_u32_e64 s[36:37], 0, v5
	v_cmp_ne_u32_e64 s[38:39], 0, v6
	v_cmp_ne_u32_e64 s[40:41], 0, v7
	s_bcnt1_i32_b64 s2, s[2:3]
	s_bcnt1_i32_b64 s3, s[36:37]
	s_bcnt1_i32_b64 s36, s[38:39]
	s_bcnt1_i32_b64 s37, s[40:41]
	s_add_u32 s2, s2, s94
	s_addc_u32 s38, 0, s95
	s_add_u32 s2, s2, s3
	s_addc_u32 s3, s38, 0
	s_add_u32 s2, s2, s36
	s_addc_u32 s3, s3, 0
	s_add_u32 s94, s2, s37
	s_addc_u32 s95, s3, 0
	s_and_b64 s[2:3], s[22:23], s[42:43]
	v_cndmask_b32_e64 v6, 0, 1, s[2:3]
	s_and_b64 s[2:3], s[20:21], s[44:45]
	v_cndmask_b32_e64 v7, 0, 1, s[2:3]
	s_and_b64 s[2:3], s[18:19], s[46:47]
	v_cndmask_b32_e64 v8, 0, 1, s[2:3]
	s_and_b64 s[2:3], s[16:17], s[48:49]
	v_cndmask_b32_e64 v9, 0, 1, s[2:3]
	v_cmp_ne_u32_e64 s[2:3], 0, v6
	v_cmp_ne_u32_e64 s[36:37], 0, v7
	v_cmp_ne_u32_e64 s[38:39], 0, v8
	v_cmp_ne_u32_e64 s[40:41], 0, v9
	s_bcnt1_i32_b64 s2, s[2:3]
	s_bcnt1_i32_b64 s3, s[36:37]
	s_bcnt1_i32_b64 s36, s[38:39]
	s_bcnt1_i32_b64 s37, s[40:41]
	s_add_u32 s2, s2, s92
	s_addc_u32 s38, 0, s93
	s_add_u32 s2, s2, s3
	s_addc_u32 s3, s38, 0
	s_add_u32 s2, s2, s36
	s_addc_u32 s3, s3, 0
	s_add_u32 s92, s2, s37
	s_addc_u32 s93, s3, 0
	s_and_b64 s[2:3], s[22:23], s[50:51]
	v_cndmask_b32_e64 v8, 0, 1, s[2:3]
	s_and_b64 s[2:3], s[20:21], s[52:53]
	v_cndmask_b32_e64 v9, 0, 1, s[2:3]
	s_and_b64 s[2:3], s[18:19], s[54:55]
	v_cndmask_b32_e64 v10, 0, 1, s[2:3]
	s_and_b64 s[2:3], s[16:17], s[56:57]
	v_cndmask_b32_e64 v11, 0, 1, s[2:3]
	v_cmp_ne_u32_e64 s[2:3], 0, v8
	v_cmp_ne_u32_e64 s[36:37], 0, v9
	v_cmp_ne_u32_e64 s[38:39], 0, v10
	v_cmp_ne_u32_e64 s[40:41], 0, v11
	s_bcnt1_i32_b64 s2, s[2:3]
	s_bcnt1_i32_b64 s3, s[36:37]
	s_bcnt1_i32_b64 s36, s[38:39]
	s_bcnt1_i32_b64 s37, s[40:41]
	s_add_u32 s2, s2, s90
	s_addc_u32 s38, 0, s91
	s_add_u32 s2, s2, s3
	s_addc_u32 s3, s38, 0
	s_add_u32 s2, s2, s36
	s_addc_u32 s3, s3, 0
	s_add_u32 s90, s2, s37
	s_addc_u32 s91, s3, 0
	s_and_b64 s[2:3], s[22:23], s[30:31]
	v_cndmask_b32_e64 v10, 0, 1, s[2:3]
	s_and_b64 s[2:3], s[20:21], s[28:29]
	v_cndmask_b32_e64 v11, 0, 1, s[2:3]
	s_and_b64 s[2:3], s[18:19], s[26:27]
	v_cndmask_b32_e64 v36, 0, 1, s[2:3]
	s_and_b64 s[2:3], s[16:17], s[24:25]
	v_cndmask_b32_e64 v42, 0, 1, s[2:3]
	v_cmp_ne_u32_e64 s[2:3], 0, v10
	v_cmp_ne_u32_e64 s[16:17], 0, v11
	;; [unrolled: 1-line block ×4, first 2 shown]
	s_bcnt1_i32_b64 s2, s[2:3]
	s_bcnt1_i32_b64 s3, s[16:17]
	;; [unrolled: 1-line block ×4, first 2 shown]
	s_add_u32 s2, s2, s88
	s_addc_u32 s18, 0, s89
	s_add_u32 s2, s2, s3
	s_addc_u32 s3, s18, 0
	;; [unrolled: 2-line block ×4, first 2 shown]
	v_mov_b64_e32 v[4:5], s[94:95]
	v_mov_b64_e32 v[6:7], s[92:93]
	;; [unrolled: 1-line block ×3, first 2 shown]
	s_or_b64 s[70:71], vcc, s[70:71]
	v_mov_b64_e32 v[10:11], s[88:89]
	s_andn2_b64 exec, exec, s[70:71]
	s_cbranch_execnz .LBB23_91
; %bb.92:                               ;   in Loop: Header=BB23_32 Depth=1
	s_or_b64 exec, exec, s[70:71]
	v_readlane_b32 s88, v59, 38
	v_readlane_b32 s4, v59, 40
	;; [unrolled: 1-line block ×7, first 2 shown]
	s_mov_b32 s95, s77
	v_readlane_b32 s57, v59, 45
	v_readlane_b32 s92, v59, 46
	;; [unrolled: 1-line block ×4, first 2 shown]
.LBB23_93:                              ;   in Loop: Header=BB23_32 Depth=1
	s_or_b64 exec, exec, s[78:79]
	s_and_b32 s24, s76, 0x7fffffff
	s_mov_b32 s25, s83
	v_lshl_add_u64 v[40:41], s[6:7], 0, v[0:1]
	v_and_b32_e32 v2, 0xffff, v2
	v_cmp_gt_u64_e32 vcc, s[24:25], v[40:41]
	s_and_saveexec_b64 s[6:7], vcc
	s_cbranch_execz .LBB23_97
; %bb.94:                               ;   in Loop: Header=BB23_32 Depth=1
	v_lshl_add_u32 v35, s8, 4, v12
	s_mov_b64 s[8:9], 0
.LBB23_95:                              ;   Parent Loop BB23_32 Depth=1
                                        ; =>  This Inner Loop Header: Depth=2
	ds_read_b32 v36, v35
	v_lshl_add_u64 v[40:41], v[40:41], 0, v[2:3]
	v_cmp_le_u64_e32 vcc, s[24:25], v[40:41]
	v_add_u32_e32 v35, s0, v35
	s_waitcnt lgkmcnt(0)
	v_xor_b32_e32 v42, 0x80000000, v36
	v_bitop3_b32 v36, v36, v58, s86 bitop3:0x48
	v_cmp_eq_u32_e64 s[2:3], v36, v56
	v_bfe_u32 v36, v42, s87, 2
	v_cmp_eq_u32_e64 s[16:17], 0, v36
	v_cmp_eq_u32_e64 s[18:19], 1, v36
	s_and_b64 s[16:17], s[2:3], s[16:17]
	v_cmp_eq_u32_e64 s[20:21], 2, v36
	v_cmp_eq_u32_e64 s[22:23], 3, v36
	v_cndmask_b32_e64 v36, 0, 1, s[16:17]
	s_and_b64 s[16:17], s[2:3], s[18:19]
	v_cndmask_b32_e64 v42, 0, 1, s[16:17]
	s_and_b64 s[16:17], s[2:3], s[20:21]
	s_and_b64 s[2:3], s[2:3], s[22:23]
	v_cndmask_b32_e64 v44, 0, 1, s[2:3]
	v_cmp_ne_u32_e64 s[2:3], 0, v36
	v_cndmask_b32_e64 v43, 0, 1, s[16:17]
	v_cmp_ne_u32_e64 s[16:17], 0, v42
	s_bcnt1_i32_b64 s82, s[2:3]
	v_cmp_ne_u32_e64 s[18:19], 0, v43
	v_lshl_add_u64 v[4:5], s[82:83], 0, v[4:5]
	s_bcnt1_i32_b64 s82, s[16:17]
	v_cmp_ne_u32_e64 s[20:21], 0, v44
	v_lshl_add_u64 v[6:7], s[82:83], 0, v[6:7]
	s_bcnt1_i32_b64 s82, s[18:19]
	v_lshl_add_u64 v[8:9], s[82:83], 0, v[8:9]
	s_bcnt1_i32_b64 s82, s[20:21]
	s_or_b64 s[8:9], vcc, s[8:9]
	v_lshl_add_u64 v[10:11], s[82:83], 0, v[10:11]
	s_andn2_b64 exec, exec, s[8:9]
	s_cbranch_execnz .LBB23_95
; %bb.96:                               ;   in Loop: Header=BB23_32 Depth=1
	s_or_b64 exec, exec, s[8:9]
.LBB23_97:                              ;   in Loop: Header=BB23_32 Depth=1
	s_or_b64 exec, exec, s[6:7]
	v_lshlrev_b32_e32 v2, 6, v57
	s_and_saveexec_b64 s[0:1], s[4:5]
	s_cbranch_execnz .LBB23_68
	s_branch .LBB23_69
.LBB23_98:                              ;   in Loop: Header=BB23_32 Depth=1
                                        ; implicit-def: $sgpr8_sgpr9
	s_branch .LBB23_77
.LBB23_99:                              ;   in Loop: Header=BB23_32 Depth=1
	s_or_b64 exec, exec, s[6:7]
	s_waitcnt lgkmcnt(0)
	s_barrier
	s_mov_b64 s[2:3], exec
	v_readlane_b32 s6, v59, 8
	v_readlane_b32 s7, v59, 9
	s_and_b64 s[6:7], s[2:3], s[6:7]
	s_mov_b64 exec, s[6:7]
	s_cbranch_execz .LBB23_101
; %bb.100:                              ;   in Loop: Header=BB23_32 Depth=1
	ds_read_b32 v4, v3 offset:5136
	s_waitcnt lgkmcnt(0)
	v_ashrrev_i32_e32 v5, 31, v4
	ds_write_b64 v3, v[4:5] offset:5120
.LBB23_101:                             ;   in Loop: Header=BB23_32 Depth=1
	s_or_b64 exec, exec, s[2:3]
	s_waitcnt lgkmcnt(0)
	s_barrier
	s_mov_b64 s[2:3], -1
	s_and_b64 vcc, exec, s[0:1]
	s_cbranch_vccnz .LBB23_48
	s_branch .LBB23_63
.LBB23_102:                             ;   in Loop: Header=BB23_32 Depth=1
	s_mov_b32 s2, 0
	v_mov_b64_e32 v[4:5], 0
.LBB23_103:                             ;   in Loop: Header=BB23_32 Depth=1
	v_readlane_b32 s6, v59, 30
	v_readlane_b32 s7, v59, 31
	s_andn2_b64 vcc, exec, s[6:7]
	s_cbranch_vccnz .LBB23_106
; %bb.104:                              ;   in Loop: Header=BB23_32 Depth=1
	v_lshlrev_b32_e32 v6, 9, v57
	s_lshl_b32 s2, s2, 5
	v_add_u32_e32 v6, s2, v6
	v_add_u32_e32 v6, v55, v6
	v_readlane_b32 s2, v59, 29
.LBB23_105:                             ;   Parent Loop BB23_32 Depth=1
                                        ; =>  This Inner Loop Header: Depth=2
	ds_read_b64 v[8:9], v6
	s_add_i32 s2, s2, -1
	v_add_u32_e32 v6, 32, v6
	s_cmp_lg_u32 s2, 0
	s_waitcnt lgkmcnt(0)
	v_lshl_add_u64 v[4:5], v[8:9], 0, v[4:5]
	s_cbranch_scc1 .LBB23_105
.LBB23_106:                             ;   in Loop: Header=BB23_32 Depth=1
	v_add_lshl_u32 v6, v2, v50, 3
	ds_write_b64 v6, v[4:5] offset:3072
.LBB23_107:                             ;   in Loop: Header=BB23_32 Depth=1
	s_or_b64 exec, exec, s[0:1]
	v_lshlrev_b32_e32 v2, 3, v2
	s_waitcnt lgkmcnt(0)
	s_barrier
	ds_read_b128 v[8:11], v2 offset:3088
	ds_read_b128 v[4:7], v2 offset:3072
	s_lshl_b32 s76, 3, s87
	v_cmp_eq_u64_e64 s[2:3], 1, v[38:39]
	s_not_b32 s54, s76
	s_waitcnt lgkmcnt(1)
	v_readfirstlane_b32 s24, v8
	s_waitcnt lgkmcnt(0)
	v_cmp_eq_u64_e32 vcc, 1, v[4:5]
	v_readfirstlane_b32 s25, v9
	v_readfirstlane_b32 s16, v10
	;; [unrolled: 1-line block ×3, first 2 shown]
	s_and_b64 s[20:21], vcc, s[2:3]
	s_mov_b64 s[2:3], -1
	s_mov_b64 s[22:23], -1
                                        ; implicit-def: $sgpr8_sgpr9
                                        ; implicit-def: $sgpr6_sgpr7
	s_and_saveexec_b64 s[0:1], s[20:21]
	s_cbranch_execz .LBB23_141
; %bb.108:                              ;   in Loop: Header=BB23_32 Depth=1
	ds_read_b64 v[8:9], v3 offset:5120
	s_waitcnt lgkmcnt(0)
	s_barrier
	v_readfirstlane_b32 s18, v8
	v_readfirstlane_b32 s19, v9
	s_mov_b64 s[6:7], exec
	v_readlane_b32 s8, v59, 10
	v_readlane_b32 s9, v59, 11
	s_and_b64 s[8:9], s[6:7], s[8:9]
	s_mov_b64 exec, s[8:9]
; %bb.109:                              ;   in Loop: Header=BB23_32 Depth=1
	ds_write_b32 v51, v3
; %bb.110:                              ;   in Loop: Header=BB23_32 Depth=1
	s_or_b64 exec, exec, s[6:7]
	v_cmp_lt_i64_e64 s[22:23], s[18:19], 1
	v_and_b32_e32 v56, s54, v56
	v_or_b32_e32 v58, s76, v58
	s_mov_b64 s[6:7], -1
	s_mov_b64 s[8:9], 0
	s_and_b64 vcc, exec, s[22:23]
	s_mov_b64 s[22:23], 0
	s_mov_b64 s[26:27], -1
	s_waitcnt lgkmcnt(0)
	s_barrier
                                        ; implicit-def: $vgpr37
	s_cbranch_vccz .LBB23_126
; %bb.111:                              ;   in Loop: Header=BB23_32 Depth=1
	s_mov_b32 s94, s83
	s_cmp_lg_u64 s[94:95], 0
	s_cbranch_scc0 .LBB23_113
; %bb.112:                              ;   in Loop: Header=BB23_32 Depth=1
	s_add_u32 s22, s80, 0
	s_addc_u32 s23, 0, 0
	s_xor_b64 s[22:23], s[22:23], 0
	v_cvt_f32_u32_e32 v2, s22
	v_cvt_f32_u32_e32 v8, s23
	s_sub_u32 s28, 0, s22
	s_subb_u32 s29, 0, s23
	v_fmac_f32_e32 v2, 0x4f800000, v8
	v_rcp_f32_e32 v2, v2
	s_nop 0
	v_mul_f32_e32 v2, 0x5f7ffffc, v2
	v_mul_f32_e32 v8, 0x2f800000, v2
	v_trunc_f32_e32 v8, v8
	v_fmac_f32_e32 v2, 0xcf800000, v8
	v_cvt_u32_f32_e32 v8, v8
	v_cvt_u32_f32_e32 v2, v2
	v_readfirstlane_b32 s30, v8
	v_readfirstlane_b32 s26, v2
	s_mul_i32 s27, s28, s30
	s_mul_hi_u32 s36, s28, s26
	s_mul_i32 s31, s29, s26
	s_add_i32 s27, s36, s27
	s_mul_i32 s37, s28, s26
	s_add_i32 s27, s27, s31
	s_mul_i32 s36, s26, s27
	s_mul_hi_u32 s38, s26, s37
	s_mul_hi_u32 s31, s26, s27
	s_add_u32 s36, s38, s36
	s_addc_u32 s31, 0, s31
	s_mul_hi_u32 s39, s30, s37
	s_mul_i32 s37, s30, s37
	s_add_u32 s36, s36, s37
	s_mul_hi_u32 s38, s30, s27
	s_addc_u32 s31, s31, s39
	s_addc_u32 s36, s38, 0
	s_mul_i32 s27, s30, s27
	s_add_u32 s27, s31, s27
	s_addc_u32 s31, 0, s36
	s_add_u32 s36, s26, s27
	s_cselect_b64 s[26:27], -1, 0
	s_cmp_lg_u64 s[26:27], 0
	s_addc_u32 s30, s30, s31
	s_mul_i32 s26, s28, s30
	s_mul_hi_u32 s27, s28, s36
	s_add_i32 s26, s27, s26
	s_mul_i32 s29, s29, s36
	s_add_i32 s26, s26, s29
	s_mul_i32 s28, s28, s36
	s_mul_hi_u32 s29, s30, s28
	s_mul_i32 s31, s30, s28
	s_mul_i32 s38, s36, s26
	s_mul_hi_u32 s28, s36, s28
	s_mul_hi_u32 s37, s36, s26
	s_add_u32 s28, s28, s38
	s_addc_u32 s37, 0, s37
	s_add_u32 s28, s28, s31
	s_mul_hi_u32 s27, s30, s26
	s_addc_u32 s28, s37, s29
	s_addc_u32 s27, s27, 0
	s_mul_i32 s26, s30, s26
	s_add_u32 s26, s28, s26
	s_addc_u32 s28, 0, s27
	s_add_u32 s31, s36, s26
	s_cselect_b64 s[26:27], -1, 0
	s_cmp_lg_u64 s[26:27], 0
	s_addc_u32 s30, s30, s28
	s_ashr_i32 s26, s95, 31
	v_readlane_b32 s28, v59, 21
	s_add_u32 s28, s28, s26
	s_mov_b32 s27, s26
	s_addc_u32 s29, s95, s26
	s_xor_b64 s[28:29], s[28:29], s[26:27]
	s_mul_i32 s37, s28, s30
	s_mul_hi_u32 s38, s28, s31
	s_mul_hi_u32 s36, s28, s30
	s_add_u32 s37, s38, s37
	s_addc_u32 s36, 0, s36
	s_mul_hi_u32 s39, s29, s31
	s_mul_i32 s31, s29, s31
	s_add_u32 s31, s37, s31
	s_mul_hi_u32 s38, s29, s30
	s_addc_u32 s31, s36, s39
	s_addc_u32 s36, s38, 0
	s_mul_i32 s30, s29, s30
	s_add_u32 s30, s31, s30
	s_addc_u32 s31, 0, s36
	s_mul_i32 s31, s22, s31
	s_mul_hi_u32 s36, s22, s30
	s_add_i32 s31, s36, s31
	s_mul_i32 s36, s23, s30
	s_add_i32 s38, s31, s36
	s_sub_i32 s36, s29, s38
	s_mul_i32 s30, s22, s30
	s_sub_u32 s28, s28, s30
	s_cselect_b64 s[30:31], -1, 0
	s_cmp_lg_u64 s[30:31], 0
	s_subb_u32 s39, s36, s23
	s_sub_u32 s40, s28, s22
	s_cselect_b64 s[36:37], -1, 0
	s_cmp_lg_u64 s[36:37], 0
	s_subb_u32 s41, s39, 0
	s_cmp_ge_u32 s41, s23
	s_cselect_b32 s42, -1, 0
	s_cmp_ge_u32 s40, s22
	s_cselect_b32 s43, -1, 0
	s_cmp_eq_u32 s41, s23
	s_cselect_b32 s42, s43, s42
	s_cmp_lg_u64 s[36:37], 0
	s_subb_u32 s39, s39, s23
	s_sub_u32 s43, s40, s22
	s_cselect_b64 s[36:37], -1, 0
	s_cmp_lg_u64 s[36:37], 0
	s_subb_u32 s36, s39, 0
	s_cmp_lg_u32 s42, 0
	s_cselect_b32 s37, s43, s40
	s_cselect_b32 s36, s36, s41
	s_cmp_lg_u64 s[30:31], 0
	s_subb_u32 s29, s29, s38
	s_cmp_ge_u32 s29, s23
	s_cselect_b32 s30, -1, 0
	s_cmp_ge_u32 s28, s22
	s_cselect_b32 s22, -1, 0
	s_cmp_eq_u32 s29, s23
	s_cselect_b32 s22, s22, s30
	s_cmp_lg_u32 s22, 0
	s_cselect_b32 s23, s36, s29
	s_cselect_b32 s22, s37, s28
	s_xor_b64 s[22:23], s[22:23], s[26:27]
	s_sub_u32 s22, s22, s26
	s_subb_u32 s23, s23, s26
	s_mov_b64 s[26:27], 0
	s_branch .LBB23_114
.LBB23_113:                             ;   in Loop: Header=BB23_32 Depth=1
                                        ; implicit-def: $sgpr22_sgpr23
.LBB23_114:                             ;   in Loop: Header=BB23_32 Depth=1
	s_andn2_b64 vcc, exec, s[26:27]
	v_readlane_b32 s94, v59, 48
	s_cbranch_vccnz .LBB23_116
; %bb.115:                              ;   in Loop: Header=BB23_32 Depth=1
	v_cvt_f32_u32_e32 v2, s80
	s_sub_i32 s22, 0, s80
	v_readlane_b32 s26, v59, 21
	v_rcp_iflag_f32_e32 v2, v2
	s_nop 0
	v_mul_f32_e32 v2, 0x4f7ffffe, v2
	v_cvt_u32_f32_e32 v2, v2
	s_nop 0
	v_readfirstlane_b32 s23, v2
	s_mul_i32 s22, s22, s23
	s_mul_hi_u32 s22, s23, s22
	s_add_i32 s23, s23, s22
	s_mul_hi_u32 s22, s26, s23
	s_mul_i32 s22, s22, s80
	s_sub_i32 s22, s26, s22
	s_sub_i32 s23, s22, s80
	s_cmp_ge_u32 s22, s80
	s_cselect_b32 s22, s23, s22
	s_sub_i32 s23, s22, s80
	s_cmp_ge_u32 s22, s80
	s_cselect_b32 s82, s23, s22
	s_mov_b64 s[22:23], s[82:83]
.LBB23_116:                             ;   in Loop: Header=BB23_32 Depth=1
	v_readlane_b32 s26, v59, 21
	s_sub_u32 s30, s26, s22
	s_subb_u32 s31, s95, s23
	v_cmp_gt_i64_e32 vcc, s[30:31], v[0:1]
	s_mov_b64 s[26:27], 0
	s_mov_b64 s[22:23], 0
                                        ; implicit-def: $vgpr37
	s_and_saveexec_b64 s[28:29], vcc
	s_cbranch_execz .LBB23_125
; %bb.117:                              ;   in Loop: Header=BB23_32 Depth=1
	v_mov_b64_e32 v[8:9], v[14:15]
	v_mov_b64_e32 v[10:11], v[0:1]
                                        ; implicit-def: $sgpr36_sgpr37
	s_branch .LBB23_120
.LBB23_118:                             ;   in Loop: Header=BB23_120 Depth=2
	s_or_b64 exec, exec, s[38:39]
	s_waitcnt lgkmcnt(0)
	s_barrier
	ds_read_b64 v[36:37], v3 offset:3072
	s_mov_b64 s[38:39], -1
	s_mov_b64 s[40:41], -1
	s_waitcnt lgkmcnt(0)
	s_barrier
	v_cmp_ne_u32_e32 vcc, 0, v36
	s_cbranch_vccz .LBB23_123
.LBB23_119:                             ;   in Loop: Header=BB23_120 Depth=2
	s_and_b64 s[38:39], exec, s[38:39]
	s_or_b64 s[22:23], s[38:39], s[22:23]
	s_andn2_b64 s[36:37], s[36:37], exec
	s_and_b64 s[38:39], s[40:41], exec
	s_or_b64 s[36:37], s[36:37], s[38:39]
	s_andn2_b64 exec, exec, s[22:23]
	s_cbranch_execz .LBB23_124
.LBB23_120:                             ;   Parent Loop BB23_32 Depth=1
                                        ; =>  This Inner Loop Header: Depth=2
	v_cmp_gt_i64_e32 vcc, s[60:61], v[10:11]
	s_and_saveexec_b64 s[38:39], vcc
	s_cbranch_execz .LBB23_118
; %bb.121:                              ;   in Loop: Header=BB23_120 Depth=2
	global_load_dword v35, v[8:9], off
	s_waitcnt vmcnt(0)
	v_bitop3_b32 v2, v35, v58, s86 bitop3:0x48
	v_cmp_eq_u32_e32 vcc, v2, v56
	s_and_b64 exec, exec, vcc
	s_cbranch_execz .LBB23_118
; %bb.122:                              ;   in Loop: Header=BB23_120 Depth=2
	ds_write_b64 v3, v[34:35] offset:3072
	s_branch .LBB23_118
.LBB23_123:                             ;   in Loop: Header=BB23_120 Depth=2
	v_lshl_add_u64 v[10:11], v[10:11], 0, s[80:81]
	v_cmp_le_i64_e32 vcc, s[30:31], v[10:11]
	v_lshl_add_u64 v[8:9], v[8:9], 0, s[88:89]
	s_mov_b64 s[40:41], 0
	s_orn2_b64 s[38:39], vcc, exec
	s_branch .LBB23_119
.LBB23_124:                             ;   in Loop: Header=BB23_32 Depth=1
	s_or_b64 exec, exec, s[22:23]
	s_and_b64 s[22:23], s[36:37], exec
.LBB23_125:                             ;   in Loop: Header=BB23_32 Depth=1
	s_or_b64 exec, exec, s[28:29]
.LBB23_126:                             ;   in Loop: Header=BB23_32 Depth=1
	s_and_b64 vcc, exec, s[26:27]
	s_cbranch_vccz .LBB23_140
; %bb.127:                              ;   in Loop: Header=BB23_32 Depth=1
	v_readlane_b32 s6, v59, 20
	s_add_u32 s28, s18, s6
	v_readlane_b32 s6, v59, 22
	s_addc_u32 s7, s19, s6
	s_mov_b32 s6, s83
	s_cmp_lg_u64 s[6:7], 0
	s_cbranch_scc0 .LBB23_158
; %bb.128:                              ;   in Loop: Header=BB23_32 Depth=1
	s_add_u32 s8, s80, 0
	s_addc_u32 s9, 0, 0
	s_xor_b64 s[8:9], s[8:9], 0
	v_cvt_f32_u32_e32 v2, s8
	v_cvt_f32_u32_e32 v8, s9
	s_sub_u32 s6, 0, s8
	s_subb_u32 s29, 0, s9
	v_fmac_f32_e32 v2, 0x4f800000, v8
	v_rcp_f32_e32 v2, v2
	s_nop 0
	v_mul_f32_e32 v2, 0x5f7ffffc, v2
	v_mul_f32_e32 v8, 0x2f800000, v2
	v_trunc_f32_e32 v8, v8
	v_fmac_f32_e32 v2, 0xcf800000, v8
	v_cvt_u32_f32_e32 v8, v8
	v_cvt_u32_f32_e32 v2, v2
	v_readfirstlane_b32 s30, v8
	v_readfirstlane_b32 s26, v2
	s_mul_i32 s27, s6, s30
	s_mul_hi_u32 s36, s6, s26
	s_mul_i32 s31, s29, s26
	s_add_i32 s27, s36, s27
	s_mul_i32 s37, s6, s26
	s_add_i32 s27, s27, s31
	s_mul_i32 s36, s26, s27
	s_mul_hi_u32 s38, s26, s37
	s_mul_hi_u32 s31, s26, s27
	s_add_u32 s36, s38, s36
	s_addc_u32 s31, 0, s31
	s_mul_hi_u32 s39, s30, s37
	s_mul_i32 s37, s30, s37
	s_add_u32 s36, s36, s37
	s_mul_hi_u32 s38, s30, s27
	s_addc_u32 s31, s31, s39
	s_addc_u32 s36, s38, 0
	s_mul_i32 s27, s30, s27
	s_add_u32 s27, s31, s27
	s_addc_u32 s31, 0, s36
	s_add_u32 s36, s26, s27
	s_cselect_b64 s[26:27], -1, 0
	s_cmp_lg_u64 s[26:27], 0
	s_addc_u32 s30, s30, s31
	s_mul_i32 s26, s6, s30
	s_mul_hi_u32 s27, s6, s36
	s_add_i32 s26, s27, s26
	s_mul_i32 s29, s29, s36
	s_add_i32 s26, s26, s29
	s_mul_i32 s6, s6, s36
	s_mul_hi_u32 s29, s30, s6
	s_mul_i32 s31, s30, s6
	s_mul_i32 s38, s36, s26
	s_mul_hi_u32 s6, s36, s6
	s_mul_hi_u32 s37, s36, s26
	s_add_u32 s6, s6, s38
	s_addc_u32 s37, 0, s37
	s_add_u32 s6, s6, s31
	s_mul_hi_u32 s27, s30, s26
	s_addc_u32 s6, s37, s29
	s_addc_u32 s27, s27, 0
	s_mul_i32 s26, s30, s26
	s_add_u32 s6, s6, s26
	s_addc_u32 s29, 0, s27
	s_add_u32 s6, s36, s6
	s_cselect_b64 s[26:27], -1, 0
	s_cmp_lg_u64 s[26:27], 0
	s_addc_u32 s29, s30, s29
	s_ashr_i32 s26, s7, 31
	s_add_u32 s30, s28, s26
	s_mov_b32 s27, s26
	s_addc_u32 s31, s7, s26
	s_xor_b64 s[30:31], s[30:31], s[26:27]
	s_mul_i32 s37, s30, s29
	s_mul_hi_u32 s38, s30, s6
	s_mul_hi_u32 s36, s30, s29
	s_add_u32 s37, s38, s37
	s_addc_u32 s36, 0, s36
	s_mul_hi_u32 s39, s31, s6
	s_mul_i32 s6, s31, s6
	s_add_u32 s6, s37, s6
	s_mul_hi_u32 s38, s31, s29
	s_addc_u32 s6, s36, s39
	s_addc_u32 s36, s38, 0
	s_mul_i32 s29, s31, s29
	s_add_u32 s6, s6, s29
	s_addc_u32 s29, 0, s36
	s_mul_i32 s29, s8, s29
	s_mul_hi_u32 s36, s8, s6
	s_add_i32 s29, s36, s29
	s_mul_i32 s36, s9, s6
	s_add_i32 s29, s29, s36
	s_sub_i32 s38, s31, s29
	s_mul_i32 s6, s8, s6
	s_sub_u32 s6, s30, s6
	s_cselect_b64 s[36:37], -1, 0
	s_cmp_lg_u64 s[36:37], 0
	s_subb_u32 s30, s38, s9
	s_sub_u32 s40, s6, s8
	s_cselect_b64 s[38:39], -1, 0
	s_cmp_lg_u64 s[38:39], 0
	s_subb_u32 s41, s30, 0
	s_cmp_ge_u32 s41, s9
	s_cselect_b32 s42, -1, 0
	s_cmp_ge_u32 s40, s8
	s_cselect_b32 s43, -1, 0
	s_cmp_eq_u32 s41, s9
	s_cselect_b32 s42, s43, s42
	s_cmp_lg_u64 s[38:39], 0
	s_subb_u32 s30, s30, s9
	s_sub_u32 s43, s40, s8
	s_cselect_b64 s[38:39], -1, 0
	s_cmp_lg_u64 s[38:39], 0
	s_subb_u32 s30, s30, 0
	s_cmp_lg_u32 s42, 0
	s_cselect_b32 s38, s43, s40
	s_cselect_b32 s30, s30, s41
	s_cmp_lg_u64 s[36:37], 0
	s_subb_u32 s29, s31, s29
	s_cmp_ge_u32 s29, s9
	s_cselect_b32 s31, -1, 0
	s_cmp_ge_u32 s6, s8
	s_cselect_b32 s8, -1, 0
	s_cmp_eq_u32 s29, s9
	s_cselect_b32 s8, s8, s31
	s_cmp_lg_u32 s8, 0
	s_cselect_b32 s9, s30, s29
	s_cselect_b32 s8, s38, s6
	s_xor_b64 s[8:9], s[8:9], s[26:27]
	s_sub_u32 s8, s8, s26
	s_subb_u32 s9, s9, s26
	s_cbranch_execnz .LBB23_130
.LBB23_129:                             ;   in Loop: Header=BB23_32 Depth=1
	v_cvt_f32_u32_e32 v2, s80
	s_sub_i32 s6, 0, s80
	v_rcp_iflag_f32_e32 v2, v2
	s_nop 0
	v_mul_f32_e32 v2, 0x4f7ffffe, v2
	v_cvt_u32_f32_e32 v2, v2
	s_nop 0
	v_readfirstlane_b32 s8, v2
	s_mul_i32 s6, s6, s8
	s_mul_hi_u32 s6, s8, s6
	s_add_i32 s8, s8, s6
	s_mul_hi_u32 s6, s28, s8
	s_mul_i32 s6, s6, s80
	s_sub_i32 s6, s28, s6
	s_sub_i32 s8, s6, s80
	s_cmp_ge_u32 s6, s80
	s_cselect_b32 s6, s8, s6
	s_sub_i32 s8, s6, s80
	s_cmp_ge_u32 s6, s80
	s_cselect_b32 s82, s8, s6
	s_mov_b64 s[8:9], s[82:83]
.LBB23_130:                             ;   in Loop: Header=BB23_32 Depth=1
	s_sub_u32 s8, s28, s8
	s_subb_u32 s9, s7, s9
	v_cmp_gt_i64_e32 vcc, s[8:9], v[0:1]
                                        ; implicit-def: $vgpr37
	s_and_saveexec_b64 s[6:7], vcc
	s_cbranch_execz .LBB23_139
; %bb.131:                              ;   in Loop: Header=BB23_32 Depth=1
	s_mov_b64 s[26:27], 0
	v_mov_b32_e32 v2, v12
	v_mov_b64_e32 v[8:9], v[0:1]
                                        ; implicit-def: $sgpr28_sgpr29
	s_branch .LBB23_134
.LBB23_132:                             ;   in Loop: Header=BB23_134 Depth=2
	s_or_b64 exec, exec, s[30:31]
	s_waitcnt lgkmcnt(0)
	s_barrier
	ds_read_b64 v[36:37], v3 offset:3072
	s_mov_b64 s[30:31], -1
	s_mov_b64 s[36:37], -1
	s_waitcnt lgkmcnt(0)
	s_barrier
	v_cmp_ne_u32_e32 vcc, 0, v36
	s_cbranch_vccz .LBB23_137
.LBB23_133:                             ;   in Loop: Header=BB23_134 Depth=2
	s_and_b64 s[30:31], exec, s[30:31]
	s_or_b64 s[26:27], s[30:31], s[26:27]
	s_andn2_b64 s[28:29], s[28:29], exec
	s_and_b64 s[30:31], s[36:37], exec
	s_or_b64 s[28:29], s[28:29], s[30:31]
	s_andn2_b64 exec, exec, s[26:27]
	s_cbranch_execz .LBB23_138
.LBB23_134:                             ;   Parent Loop BB23_32 Depth=1
                                        ; =>  This Inner Loop Header: Depth=2
	v_cmp_gt_u64_e32 vcc, s[18:19], v[8:9]
	s_and_saveexec_b64 s[30:31], vcc
	s_cbranch_execz .LBB23_132
; %bb.135:                              ;   in Loop: Header=BB23_134 Depth=2
	ds_read_b32 v35, v2
	s_waitcnt lgkmcnt(0)
	v_bitop3_b32 v10, v35, v58, s86 bitop3:0x48
	v_cmp_eq_u32_e32 vcc, v10, v56
	s_and_b64 exec, exec, vcc
	s_cbranch_execz .LBB23_132
; %bb.136:                              ;   in Loop: Header=BB23_134 Depth=2
	ds_write_b64 v3, v[34:35] offset:3072
	s_branch .LBB23_132
.LBB23_137:                             ;   in Loop: Header=BB23_134 Depth=2
	v_lshl_add_u64 v[8:9], v[8:9], 0, s[80:81]
	v_cmp_le_i64_e32 vcc, s[8:9], v[8:9]
	v_add_u32_e32 v2, s94, v2
	s_mov_b64 s[36:37], 0
	s_orn2_b64 s[30:31], vcc, exec
	s_branch .LBB23_133
.LBB23_138:                             ;   in Loop: Header=BB23_32 Depth=1
	s_or_b64 exec, exec, s[26:27]
	s_andn2_b64 s[8:9], s[22:23], exec
	s_and_b64 s[18:19], s[28:29], exec
	s_or_b64 s[22:23], s[8:9], s[18:19]
.LBB23_139:                             ;   in Loop: Header=BB23_32 Depth=1
	s_or_b64 exec, exec, s[6:7]
	s_mov_b64 s[6:7], 0
	s_mov_b64 s[8:9], -1
.LBB23_140:                             ;   in Loop: Header=BB23_32 Depth=1
	s_orn2_b64 s[22:23], s[22:23], exec
.LBB23_141:                             ;   in Loop: Header=BB23_32 Depth=1
	s_or_b64 exec, exec, s[0:1]
	s_andn2_b64 s[0:1], s[34:35], exec
	s_and_b64 s[8:9], s[8:9], exec
	s_or_b64 s[34:35], s[0:1], s[8:9]
	s_andn2_b64 s[0:1], s[74:75], exec
	s_and_b64 s[6:7], s[6:7], exec
	s_andn2_b64 s[98:99], s[98:99], exec
	s_or_b64 s[74:75], s[0:1], s[6:7]
                                        ; implicit-def: $vgpr8_vgpr9
	s_and_saveexec_b64 s[18:19], s[22:23]
	s_cbranch_execz .LBB23_31
; %bb.142:                              ;   in Loop: Header=BB23_32 Depth=1
	s_xor_b64 s[2:3], s[20:21], -1
	v_mov_b32_e32 v2, 1
	s_mov_b64 s[6:7], 0
	v_mov_b64_e32 v[8:9], 1
	s_and_saveexec_b64 s[0:1], s[2:3]
	s_cbranch_execz .LBB23_151
; %bb.143:                              ;   in Loop: Header=BB23_32 Depth=1
	v_cmp_le_i64_e32 vcc, v[38:39], v[4:5]
	s_and_saveexec_b64 s[2:3], vcc
	s_xor_b64 s[2:3], exec, s[2:3]
	s_cbranch_execz .LBB23_148
; %bb.144:                              ;   in Loop: Header=BB23_32 Depth=1
	ds_read_b64 v[8:9], v3 offset:5120
	v_and_b32_e32 v56, s54, v56
	v_or_b32_e32 v58, s76, v58
	s_waitcnt lgkmcnt(0)
	v_cmp_ne_u64_e32 vcc, 0, v[8:9]
	s_cbranch_vccnz .LBB23_148
; %bb.145:                              ;   in Loop: Header=BB23_32 Depth=1
	s_mov_b64 s[6:7], exec
	v_readlane_b32 s8, v59, 8
	v_readlane_b32 s9, v59, 9
	s_and_b64 s[8:9], s[6:7], s[8:9]
	s_mov_b64 exec, s[8:9]
; %bb.146:                              ;   in Loop: Header=BB23_32 Depth=1
	ds_write_b64 v3, v[4:5] offset:5128
; %bb.147:                              ;   in Loop: Header=BB23_32 Depth=1
	s_or_b64 exec, exec, s[6:7]
	s_waitcnt lgkmcnt(0)
	s_barrier
.LBB23_148:                             ;   in Loop: Header=BB23_32 Depth=1
	s_or_saveexec_b64 s[2:3], s[2:3]
	s_mov_b64 s[6:7], 0
	v_mov_b32_e32 v2, 8
	s_xor_b64 exec, exec, s[2:3]
; %bb.149:                              ;   in Loop: Header=BB23_32 Depth=1
	v_sub_co_u32_e32 v38, vcc, v38, v4
	s_mov_b64 s[6:7], exec
	s_nop 0
	v_subb_co_u32_e32 v39, vcc, v39, v5, vcc
	v_mov_b32_e32 v2, 0
; %bb.150:                              ;   in Loop: Header=BB23_32 Depth=1
	s_or_b64 exec, exec, s[2:3]
	s_and_b64 s[6:7], s[6:7], exec
	v_mov_b64_e32 v[8:9], v[38:39]
.LBB23_151:                             ;   in Loop: Header=BB23_32 Depth=1
	s_or_b64 exec, exec, s[0:1]
	s_mov_b64 s[20:21], -1
	s_mov_b64 s[0:1], -1
                                        ; implicit-def: $sgpr2_sgpr3
                                        ; implicit-def: $sgpr26_sgpr27
	s_and_saveexec_b64 s[8:9], s[6:7]
	s_xor_b64 s[22:23], exec, s[8:9]
	s_cbranch_execz .LBB23_296
; %bb.152:                              ;   in Loop: Header=BB23_32 Depth=1
	v_cmp_eq_u64_e32 vcc, 1, v[6:7]
	v_cmp_eq_u64_e64 s[2:3], 1, v[8:9]
	s_and_b64 s[0:1], vcc, s[2:3]
	s_mov_b64 s[6:7], -1
                                        ; implicit-def: $sgpr26_sgpr27
                                        ; implicit-def: $sgpr2_sgpr3
	s_and_saveexec_b64 s[28:29], s[0:1]
	s_cbranch_execz .LBB23_187
; %bb.153:                              ;   in Loop: Header=BB23_32 Depth=1
	ds_read_b64 v[4:5], v3 offset:5120
	s_waitcnt lgkmcnt(0)
	s_barrier
	v_readfirstlane_b32 s30, v4
	v_readfirstlane_b32 s31, v5
	s_mov_b64 s[2:3], exec
	v_readlane_b32 s6, v59, 10
	v_readlane_b32 s7, v59, 11
	s_and_b64 s[6:7], s[2:3], s[6:7]
	s_mov_b64 exec, s[6:7]
; %bb.154:                              ;   in Loop: Header=BB23_32 Depth=1
	ds_write_b32 v51, v3
; %bb.155:                              ;   in Loop: Header=BB23_32 Depth=1
	s_or_b64 exec, exec, s[2:3]
	v_and_b32_e32 v4, s54, v56
	v_cmp_gt_i64_e64 s[6:7], s[30:31], 0
	v_lshl_or_b32 v56, 1, s87, v4
	v_or_b32_e32 v58, s76, v58
	s_mov_b64 s[2:3], -1
	s_mov_b64 s[26:27], 0
	s_and_b64 vcc, exec, s[6:7]
	s_mov_b64 s[6:7], 0
	s_mov_b64 s[8:9], -1
	s_waitcnt lgkmcnt(0)
	s_barrier
                                        ; implicit-def: $vgpr37
	s_cbranch_vccnz .LBB23_172
; %bb.156:                              ;   in Loop: Header=BB23_32 Depth=1
	s_mov_b32 s94, s83
	s_cmp_lg_u64 s[94:95], 0
	s_cbranch_scc0 .LBB23_159
; %bb.157:                              ;   in Loop: Header=BB23_32 Depth=1
	s_add_u32 s6, s80, 0
	s_addc_u32 s7, 0, 0
	s_xor_b64 s[6:7], s[6:7], 0
	v_cvt_f32_u32_e32 v4, s6
	v_cvt_f32_u32_e32 v5, s7
	s_sub_u32 s36, 0, s6
	s_subb_u32 s37, 0, s7
	v_fmac_f32_e32 v4, 0x4f800000, v5
	v_rcp_f32_e32 v4, v4
	s_nop 0
	v_mul_f32_e32 v4, 0x5f7ffffc, v4
	v_mul_f32_e32 v5, 0x2f800000, v4
	v_trunc_f32_e32 v5, v5
	v_fmac_f32_e32 v4, 0xcf800000, v5
	v_cvt_u32_f32_e32 v5, v5
	v_cvt_u32_f32_e32 v4, v4
	v_readfirstlane_b32 s38, v5
	v_readfirstlane_b32 s8, v4
	s_mul_i32 s9, s36, s38
	s_mul_hi_u32 s40, s36, s8
	s_mul_i32 s39, s37, s8
	s_add_i32 s9, s40, s9
	s_mul_i32 s41, s36, s8
	s_add_i32 s9, s9, s39
	s_mul_i32 s40, s8, s9
	s_mul_hi_u32 s42, s8, s41
	s_mul_hi_u32 s39, s8, s9
	s_add_u32 s40, s42, s40
	s_addc_u32 s39, 0, s39
	s_mul_hi_u32 s43, s38, s41
	s_mul_i32 s41, s38, s41
	s_add_u32 s40, s40, s41
	s_mul_hi_u32 s42, s38, s9
	s_addc_u32 s39, s39, s43
	s_addc_u32 s40, s42, 0
	s_mul_i32 s9, s38, s9
	s_add_u32 s9, s39, s9
	s_addc_u32 s39, 0, s40
	s_add_u32 s40, s8, s9
	s_cselect_b64 s[8:9], -1, 0
	s_cmp_lg_u64 s[8:9], 0
	s_addc_u32 s38, s38, s39
	s_mul_i32 s8, s36, s38
	s_mul_hi_u32 s9, s36, s40
	s_add_i32 s8, s9, s8
	s_mul_i32 s37, s37, s40
	s_add_i32 s8, s8, s37
	s_mul_i32 s36, s36, s40
	s_mul_hi_u32 s37, s38, s36
	s_mul_i32 s39, s38, s36
	s_mul_i32 s42, s40, s8
	s_mul_hi_u32 s36, s40, s36
	s_mul_hi_u32 s41, s40, s8
	s_add_u32 s36, s36, s42
	s_addc_u32 s41, 0, s41
	s_add_u32 s36, s36, s39
	s_mul_hi_u32 s9, s38, s8
	s_addc_u32 s36, s41, s37
	s_addc_u32 s9, s9, 0
	s_mul_i32 s8, s38, s8
	s_add_u32 s8, s36, s8
	s_addc_u32 s36, 0, s9
	s_add_u32 s39, s40, s8
	s_cselect_b64 s[8:9], -1, 0
	s_cmp_lg_u64 s[8:9], 0
	s_addc_u32 s38, s38, s36
	s_ashr_i32 s8, s95, 31
	v_readlane_b32 s36, v59, 21
	s_add_u32 s36, s36, s8
	s_mov_b32 s9, s8
	s_addc_u32 s37, s95, s8
	s_xor_b64 s[36:37], s[36:37], s[8:9]
	s_mul_i32 s41, s36, s38
	s_mul_hi_u32 s42, s36, s39
	s_mul_hi_u32 s40, s36, s38
	s_add_u32 s41, s42, s41
	s_addc_u32 s40, 0, s40
	s_mul_hi_u32 s43, s37, s39
	s_mul_i32 s39, s37, s39
	s_add_u32 s39, s41, s39
	s_mul_hi_u32 s42, s37, s38
	s_addc_u32 s39, s40, s43
	s_addc_u32 s40, s42, 0
	s_mul_i32 s38, s37, s38
	s_add_u32 s38, s39, s38
	s_addc_u32 s39, 0, s40
	s_mul_i32 s39, s6, s39
	s_mul_hi_u32 s40, s6, s38
	s_add_i32 s39, s40, s39
	s_mul_i32 s40, s7, s38
	s_add_i32 s42, s39, s40
	s_sub_i32 s40, s37, s42
	s_mul_i32 s38, s6, s38
	s_sub_u32 s36, s36, s38
	s_cselect_b64 s[38:39], -1, 0
	s_cmp_lg_u64 s[38:39], 0
	s_subb_u32 s43, s40, s7
	s_sub_u32 s44, s36, s6
	s_cselect_b64 s[40:41], -1, 0
	s_cmp_lg_u64 s[40:41], 0
	s_subb_u32 s45, s43, 0
	s_cmp_ge_u32 s45, s7
	s_cselect_b32 s46, -1, 0
	s_cmp_ge_u32 s44, s6
	s_cselect_b32 s47, -1, 0
	s_cmp_eq_u32 s45, s7
	s_cselect_b32 s46, s47, s46
	s_cmp_lg_u64 s[40:41], 0
	s_subb_u32 s43, s43, s7
	s_sub_u32 s47, s44, s6
	s_cselect_b64 s[40:41], -1, 0
	s_cmp_lg_u64 s[40:41], 0
	s_subb_u32 s40, s43, 0
	s_cmp_lg_u32 s46, 0
	s_cselect_b32 s41, s47, s44
	s_cselect_b32 s40, s40, s45
	s_cmp_lg_u64 s[38:39], 0
	s_subb_u32 s37, s37, s42
	s_cmp_ge_u32 s37, s7
	s_cselect_b32 s38, -1, 0
	s_cmp_ge_u32 s36, s6
	s_cselect_b32 s6, -1, 0
	s_cmp_eq_u32 s37, s7
	s_cselect_b32 s6, s6, s38
	s_cmp_lg_u32 s6, 0
	s_cselect_b32 s7, s40, s37
	s_cselect_b32 s6, s41, s36
	s_xor_b64 s[6:7], s[6:7], s[8:9]
	s_sub_u32 s6, s6, s8
	s_subb_u32 s7, s7, s8
	s_mov_b64 s[8:9], 0
	s_branch .LBB23_160
.LBB23_158:                             ;   in Loop: Header=BB23_32 Depth=1
                                        ; implicit-def: $sgpr8_sgpr9
	s_branch .LBB23_129
.LBB23_159:                             ;   in Loop: Header=BB23_32 Depth=1
                                        ; implicit-def: $sgpr6_sgpr7
.LBB23_160:                             ;   in Loop: Header=BB23_32 Depth=1
	s_andn2_b64 vcc, exec, s[8:9]
	v_readlane_b32 s94, v59, 48
	s_cbranch_vccnz .LBB23_162
; %bb.161:                              ;   in Loop: Header=BB23_32 Depth=1
	v_cvt_f32_u32_e32 v4, s80
	s_sub_i32 s6, 0, s80
	v_readlane_b32 s8, v59, 21
	v_rcp_iflag_f32_e32 v4, v4
	s_nop 0
	v_mul_f32_e32 v4, 0x4f7ffffe, v4
	v_cvt_u32_f32_e32 v4, v4
	s_nop 0
	v_readfirstlane_b32 s7, v4
	s_mul_i32 s6, s6, s7
	s_mul_hi_u32 s6, s7, s6
	s_add_i32 s7, s7, s6
	s_mul_hi_u32 s6, s8, s7
	s_mul_i32 s6, s6, s80
	s_sub_i32 s6, s8, s6
	s_sub_i32 s7, s6, s80
	s_cmp_ge_u32 s6, s80
	s_cselect_b32 s6, s7, s6
	s_sub_i32 s7, s6, s80
	s_cmp_ge_u32 s6, s80
	s_cselect_b32 s82, s7, s6
	s_mov_b64 s[6:7], s[82:83]
.LBB23_162:                             ;   in Loop: Header=BB23_32 Depth=1
	v_readlane_b32 s8, v59, 21
	s_sub_u32 s38, s8, s6
	s_subb_u32 s39, s95, s7
	v_cmp_gt_i64_e32 vcc, s[38:39], v[0:1]
	s_mov_b64 s[8:9], 0
	s_mov_b64 s[6:7], 0
                                        ; implicit-def: $vgpr37
	s_and_saveexec_b64 s[36:37], vcc
	s_cbranch_execz .LBB23_171
; %bb.163:                              ;   in Loop: Header=BB23_32 Depth=1
	v_mov_b64_e32 v[4:5], v[14:15]
	v_mov_b64_e32 v[10:11], v[0:1]
                                        ; implicit-def: $sgpr40_sgpr41
	s_branch .LBB23_166
.LBB23_164:                             ;   in Loop: Header=BB23_166 Depth=2
	s_or_b64 exec, exec, s[42:43]
	s_waitcnt lgkmcnt(0)
	s_barrier
	ds_read_b64 v[36:37], v3 offset:3072
	s_mov_b64 s[42:43], -1
	s_mov_b64 s[44:45], -1
	s_waitcnt lgkmcnt(0)
	s_barrier
	v_cmp_ne_u32_e32 vcc, 0, v36
	s_cbranch_vccz .LBB23_169
.LBB23_165:                             ;   in Loop: Header=BB23_166 Depth=2
	s_and_b64 s[42:43], exec, s[42:43]
	s_or_b64 s[6:7], s[42:43], s[6:7]
	s_andn2_b64 s[40:41], s[40:41], exec
	s_and_b64 s[42:43], s[44:45], exec
	s_or_b64 s[40:41], s[40:41], s[42:43]
	s_andn2_b64 exec, exec, s[6:7]
	s_cbranch_execz .LBB23_170
.LBB23_166:                             ;   Parent Loop BB23_32 Depth=1
                                        ; =>  This Inner Loop Header: Depth=2
	v_cmp_gt_i64_e32 vcc, s[60:61], v[10:11]
	s_and_saveexec_b64 s[42:43], vcc
	s_cbranch_execz .LBB23_164
; %bb.167:                              ;   in Loop: Header=BB23_166 Depth=2
	global_load_dword v35, v[4:5], off
	s_waitcnt vmcnt(0)
	v_bitop3_b32 v36, v35, v58, s86 bitop3:0x48
	v_cmp_eq_u32_e32 vcc, v36, v56
	s_and_b64 exec, exec, vcc
	s_cbranch_execz .LBB23_164
; %bb.168:                              ;   in Loop: Header=BB23_166 Depth=2
	ds_write_b64 v3, v[34:35] offset:3072
	s_branch .LBB23_164
.LBB23_169:                             ;   in Loop: Header=BB23_166 Depth=2
	v_lshl_add_u64 v[10:11], v[10:11], 0, s[80:81]
	v_cmp_le_i64_e32 vcc, s[38:39], v[10:11]
	v_lshl_add_u64 v[4:5], v[4:5], 0, s[88:89]
	s_mov_b64 s[44:45], 0
	s_orn2_b64 s[42:43], vcc, exec
	s_branch .LBB23_165
.LBB23_170:                             ;   in Loop: Header=BB23_32 Depth=1
	s_or_b64 exec, exec, s[6:7]
	s_and_b64 s[6:7], s[40:41], exec
.LBB23_171:                             ;   in Loop: Header=BB23_32 Depth=1
	s_or_b64 exec, exec, s[36:37]
.LBB23_172:                             ;   in Loop: Header=BB23_32 Depth=1
	s_and_b64 vcc, exec, s[8:9]
	s_cbranch_vccz .LBB23_186
; %bb.173:                              ;   in Loop: Header=BB23_32 Depth=1
	v_readlane_b32 s2, v59, 20
	s_add_u32 s36, s30, s2
	v_readlane_b32 s2, v59, 22
	s_addc_u32 s3, s31, s2
	s_mov_b32 s2, s83
	s_cmp_lg_u64 s[2:3], 0
	s_cbranch_scc0 .LBB23_205
; %bb.174:                              ;   in Loop: Header=BB23_32 Depth=1
	s_add_u32 s8, s80, 0
	s_addc_u32 s9, 0, 0
	s_xor_b64 s[8:9], s[8:9], 0
	v_cvt_f32_u32_e32 v4, s8
	v_cvt_f32_u32_e32 v5, s9
	s_sub_u32 s2, 0, s8
	s_subb_u32 s37, 0, s9
	v_fmac_f32_e32 v4, 0x4f800000, v5
	v_rcp_f32_e32 v4, v4
	s_nop 0
	v_mul_f32_e32 v4, 0x5f7ffffc, v4
	v_mul_f32_e32 v5, 0x2f800000, v4
	v_trunc_f32_e32 v5, v5
	v_fmac_f32_e32 v4, 0xcf800000, v5
	v_cvt_u32_f32_e32 v5, v5
	v_cvt_u32_f32_e32 v4, v4
	v_readfirstlane_b32 s38, v5
	v_readfirstlane_b32 s26, v4
	s_mul_i32 s27, s2, s38
	s_mul_hi_u32 s40, s2, s26
	s_mul_i32 s39, s37, s26
	s_add_i32 s27, s40, s27
	s_mul_i32 s41, s2, s26
	s_add_i32 s27, s27, s39
	s_mul_i32 s40, s26, s27
	s_mul_hi_u32 s42, s26, s41
	s_mul_hi_u32 s39, s26, s27
	s_add_u32 s40, s42, s40
	s_addc_u32 s39, 0, s39
	s_mul_hi_u32 s43, s38, s41
	s_mul_i32 s41, s38, s41
	s_add_u32 s40, s40, s41
	s_mul_hi_u32 s42, s38, s27
	s_addc_u32 s39, s39, s43
	s_addc_u32 s40, s42, 0
	s_mul_i32 s27, s38, s27
	s_add_u32 s27, s39, s27
	s_addc_u32 s39, 0, s40
	s_add_u32 s40, s26, s27
	s_cselect_b64 s[26:27], -1, 0
	s_cmp_lg_u64 s[26:27], 0
	s_addc_u32 s38, s38, s39
	s_mul_i32 s26, s2, s38
	s_mul_hi_u32 s27, s2, s40
	s_add_i32 s26, s27, s26
	s_mul_i32 s37, s37, s40
	s_add_i32 s26, s26, s37
	s_mul_i32 s2, s2, s40
	s_mul_hi_u32 s37, s38, s2
	s_mul_i32 s39, s38, s2
	s_mul_i32 s42, s40, s26
	s_mul_hi_u32 s2, s40, s2
	s_mul_hi_u32 s41, s40, s26
	s_add_u32 s2, s2, s42
	s_addc_u32 s41, 0, s41
	s_add_u32 s2, s2, s39
	s_mul_hi_u32 s27, s38, s26
	s_addc_u32 s2, s41, s37
	s_addc_u32 s27, s27, 0
	s_mul_i32 s26, s38, s26
	s_add_u32 s2, s2, s26
	s_addc_u32 s37, 0, s27
	s_add_u32 s2, s40, s2
	s_cselect_b64 s[26:27], -1, 0
	s_cmp_lg_u64 s[26:27], 0
	s_addc_u32 s37, s38, s37
	s_ashr_i32 s26, s3, 31
	s_add_u32 s38, s36, s26
	s_mov_b32 s27, s26
	s_addc_u32 s39, s3, s26
	s_xor_b64 s[38:39], s[38:39], s[26:27]
	s_mul_i32 s41, s38, s37
	s_mul_hi_u32 s42, s38, s2
	s_mul_hi_u32 s40, s38, s37
	s_add_u32 s41, s42, s41
	s_addc_u32 s40, 0, s40
	s_mul_hi_u32 s43, s39, s2
	s_mul_i32 s2, s39, s2
	s_add_u32 s2, s41, s2
	s_mul_hi_u32 s42, s39, s37
	s_addc_u32 s2, s40, s43
	s_addc_u32 s40, s42, 0
	s_mul_i32 s37, s39, s37
	s_add_u32 s2, s2, s37
	s_addc_u32 s37, 0, s40
	s_mul_i32 s37, s8, s37
	s_mul_hi_u32 s40, s8, s2
	s_add_i32 s37, s40, s37
	s_mul_i32 s40, s9, s2
	s_add_i32 s37, s37, s40
	s_sub_i32 s42, s39, s37
	s_mul_i32 s2, s8, s2
	s_sub_u32 s2, s38, s2
	s_cselect_b64 s[40:41], -1, 0
	s_cmp_lg_u64 s[40:41], 0
	s_subb_u32 s38, s42, s9
	s_sub_u32 s44, s2, s8
	s_cselect_b64 s[42:43], -1, 0
	s_cmp_lg_u64 s[42:43], 0
	s_subb_u32 s45, s38, 0
	s_cmp_ge_u32 s45, s9
	s_cselect_b32 s46, -1, 0
	s_cmp_ge_u32 s44, s8
	s_cselect_b32 s47, -1, 0
	s_cmp_eq_u32 s45, s9
	s_cselect_b32 s46, s47, s46
	s_cmp_lg_u64 s[42:43], 0
	s_subb_u32 s38, s38, s9
	s_sub_u32 s47, s44, s8
	s_cselect_b64 s[42:43], -1, 0
	s_cmp_lg_u64 s[42:43], 0
	s_subb_u32 s38, s38, 0
	s_cmp_lg_u32 s46, 0
	s_cselect_b32 s42, s47, s44
	s_cselect_b32 s38, s38, s45
	s_cmp_lg_u64 s[40:41], 0
	s_subb_u32 s37, s39, s37
	s_cmp_ge_u32 s37, s9
	s_cselect_b32 s39, -1, 0
	s_cmp_ge_u32 s2, s8
	s_cselect_b32 s8, -1, 0
	s_cmp_eq_u32 s37, s9
	s_cselect_b32 s8, s8, s39
	s_cmp_lg_u32 s8, 0
	s_cselect_b32 s9, s38, s37
	s_cselect_b32 s8, s42, s2
	s_xor_b64 s[8:9], s[8:9], s[26:27]
	s_sub_u32 s8, s8, s26
	s_subb_u32 s9, s9, s26
	s_cbranch_execnz .LBB23_176
.LBB23_175:                             ;   in Loop: Header=BB23_32 Depth=1
	v_cvt_f32_u32_e32 v4, s80
	s_sub_i32 s2, 0, s80
	v_rcp_iflag_f32_e32 v4, v4
	s_nop 0
	v_mul_f32_e32 v4, 0x4f7ffffe, v4
	v_cvt_u32_f32_e32 v4, v4
	s_nop 0
	v_readfirstlane_b32 s8, v4
	s_mul_i32 s2, s2, s8
	s_mul_hi_u32 s2, s8, s2
	s_add_i32 s8, s8, s2
	s_mul_hi_u32 s2, s36, s8
	s_mul_i32 s2, s2, s80
	s_sub_i32 s2, s36, s2
	s_sub_i32 s8, s2, s80
	s_cmp_ge_u32 s2, s80
	s_cselect_b32 s2, s8, s2
	s_sub_i32 s8, s2, s80
	s_cmp_ge_u32 s2, s80
	s_cselect_b32 s82, s8, s2
	s_mov_b64 s[8:9], s[82:83]
.LBB23_176:                             ;   in Loop: Header=BB23_32 Depth=1
	s_sub_u32 s8, s36, s8
	s_subb_u32 s9, s3, s9
	v_cmp_gt_i64_e32 vcc, s[8:9], v[0:1]
                                        ; implicit-def: $vgpr37
	s_and_saveexec_b64 s[2:3], vcc
	s_cbranch_execz .LBB23_185
; %bb.177:                              ;   in Loop: Header=BB23_32 Depth=1
	s_mov_b64 s[26:27], 0
	v_mov_b32_e32 v10, v12
	v_mov_b64_e32 v[4:5], v[0:1]
                                        ; implicit-def: $sgpr36_sgpr37
	s_branch .LBB23_180
.LBB23_178:                             ;   in Loop: Header=BB23_180 Depth=2
	s_or_b64 exec, exec, s[38:39]
	s_waitcnt lgkmcnt(0)
	s_barrier
	ds_read_b64 v[36:37], v3 offset:3072
	s_mov_b64 s[38:39], -1
	s_mov_b64 s[40:41], -1
	s_waitcnt lgkmcnt(0)
	s_barrier
	v_cmp_eq_u32_e32 vcc, 0, v36
	s_cbranch_vccnz .LBB23_183
.LBB23_179:                             ;   in Loop: Header=BB23_180 Depth=2
	s_and_b64 s[38:39], exec, s[38:39]
	s_or_b64 s[26:27], s[38:39], s[26:27]
	s_andn2_b64 s[36:37], s[36:37], exec
	s_and_b64 s[38:39], s[40:41], exec
	s_or_b64 s[36:37], s[36:37], s[38:39]
	s_andn2_b64 exec, exec, s[26:27]
	s_cbranch_execz .LBB23_184
.LBB23_180:                             ;   Parent Loop BB23_32 Depth=1
                                        ; =>  This Inner Loop Header: Depth=2
	v_cmp_gt_u64_e32 vcc, s[30:31], v[4:5]
	s_and_saveexec_b64 s[38:39], vcc
	s_cbranch_execz .LBB23_178
; %bb.181:                              ;   in Loop: Header=BB23_180 Depth=2
	ds_read_b32 v35, v10
	s_waitcnt lgkmcnt(0)
	v_bitop3_b32 v11, v35, v58, s86 bitop3:0x48
	v_cmp_eq_u32_e32 vcc, v11, v56
	s_and_b64 exec, exec, vcc
	s_cbranch_execz .LBB23_178
; %bb.182:                              ;   in Loop: Header=BB23_180 Depth=2
	ds_write_b64 v3, v[34:35] offset:3072
	s_branch .LBB23_178
.LBB23_183:                             ;   in Loop: Header=BB23_180 Depth=2
	v_lshl_add_u64 v[4:5], v[4:5], 0, s[80:81]
	v_cmp_le_i64_e32 vcc, s[8:9], v[4:5]
	v_add_u32_e32 v10, s94, v10
	s_mov_b64 s[40:41], 0
	s_orn2_b64 s[38:39], vcc, exec
	s_branch .LBB23_179
.LBB23_184:                             ;   in Loop: Header=BB23_32 Depth=1
	s_or_b64 exec, exec, s[26:27]
	s_andn2_b64 s[6:7], s[6:7], exec
	s_and_b64 s[8:9], s[36:37], exec
	s_or_b64 s[6:7], s[6:7], s[8:9]
.LBB23_185:                             ;   in Loop: Header=BB23_32 Depth=1
	s_or_b64 exec, exec, s[2:3]
	s_mov_b64 s[2:3], 0
	s_mov_b64 s[26:27], -1
.LBB23_186:                             ;   in Loop: Header=BB23_32 Depth=1
	s_orn2_b64 s[6:7], s[6:7], exec
.LBB23_187:                             ;   in Loop: Header=BB23_32 Depth=1
	s_or_b64 exec, exec, s[28:29]
	s_mov_b64 s[8:9], 0
	s_and_saveexec_b64 s[28:29], s[6:7]
	s_cbranch_execz .LBB23_295
; %bb.188:                              ;   in Loop: Header=BB23_32 Depth=1
	s_xor_b64 s[8:9], s[0:1], -1
	v_mov_b32_e32 v2, 1
	s_mov_b64 s[6:7], 0
	v_mov_b64_e32 v[4:5], 1
	s_and_saveexec_b64 s[0:1], s[8:9]
	s_cbranch_execz .LBB23_198
; %bb.189:                              ;   in Loop: Header=BB23_32 Depth=1
	v_cmp_le_i64_e32 vcc, v[8:9], v[6:7]
	s_and_saveexec_b64 s[6:7], vcc
	s_xor_b64 s[6:7], exec, s[6:7]
	s_cbranch_execz .LBB23_195
; %bb.190:                              ;   in Loop: Header=BB23_32 Depth=1
	ds_read_b64 v[4:5], v3 offset:5120
	v_and_b32_e32 v2, s54, v56
	v_lshl_or_b32 v56, 1, s87, v2
	v_or_b32_e32 v58, s76, v58
	s_waitcnt lgkmcnt(0)
	v_cmp_ne_u64_e32 vcc, 0, v[4:5]
	s_cbranch_vccnz .LBB23_194
; %bb.191:                              ;   in Loop: Header=BB23_32 Depth=1
	s_mov_b64 s[8:9], exec
	v_readlane_b32 s30, v59, 8
	v_readlane_b32 s31, v59, 9
	s_and_b64 s[30:31], s[8:9], s[30:31]
	s_mov_b64 exec, s[30:31]
; %bb.192:                              ;   in Loop: Header=BB23_32 Depth=1
	ds_write_b64 v3, v[6:7] offset:5128
; %bb.193:                              ;   in Loop: Header=BB23_32 Depth=1
	s_or_b64 exec, exec, s[8:9]
	s_waitcnt lgkmcnt(0)
	s_barrier
.LBB23_194:                             ;   in Loop: Header=BB23_32 Depth=1
                                        ; implicit-def: $vgpr4_vgpr5_vgpr6_vgpr7
.LBB23_195:                             ;   in Loop: Header=BB23_32 Depth=1
	s_or_saveexec_b64 s[6:7], s[6:7]
	s_mov_b64 s[8:9], 0
	v_mov_b32_e32 v2, 8
	s_xor_b64 exec, exec, s[6:7]
; %bb.196:                              ;   in Loop: Header=BB23_32 Depth=1
	v_sub_co_u32_e32 v8, vcc, v8, v6
	s_mov_b64 s[8:9], exec
	s_nop 0
	v_subb_co_u32_e32 v9, vcc, v9, v7, vcc
	v_mov_b32_e32 v2, 0
; %bb.197:                              ;   in Loop: Header=BB23_32 Depth=1
	s_or_b64 exec, exec, s[6:7]
	s_and_b64 s[6:7], s[8:9], exec
	v_mov_b64_e32 v[4:5], v[8:9]
.LBB23_198:                             ;   in Loop: Header=BB23_32 Depth=1
	s_or_b64 exec, exec, s[0:1]
	s_mov_b64 s[0:1], -1
                                        ; implicit-def: $sgpr36_sgpr37
                                        ; implicit-def: $sgpr38_sgpr39
	s_and_saveexec_b64 s[30:31], s[6:7]
	s_cbranch_execz .LBB23_294
; %bb.199:                              ;   in Loop: Header=BB23_32 Depth=1
	s_cmp_eq_u64 s[24:25], 1
	s_cselect_b64 s[0:1], -1, 0
	v_cmp_eq_u64_e32 vcc, 1, v[4:5]
	s_and_b64 s[0:1], s[0:1], vcc
	s_mov_b64 s[6:7], -1
                                        ; implicit-def: $sgpr38_sgpr39
                                        ; implicit-def: $sgpr36_sgpr37
	s_and_saveexec_b64 s[40:41], s[0:1]
	s_cbranch_execz .LBB23_234
; %bb.200:                              ;   in Loop: Header=BB23_32 Depth=1
	ds_read_b64 v[6:7], v3 offset:5120
	s_waitcnt lgkmcnt(0)
	s_barrier
	v_readfirstlane_b32 s42, v6
	v_readfirstlane_b32 s43, v7
	s_mov_b64 s[6:7], exec
	v_readlane_b32 s8, v59, 10
	v_readlane_b32 s9, v59, 11
	s_and_b64 s[8:9], s[6:7], s[8:9]
	s_mov_b64 exec, s[8:9]
; %bb.201:                              ;   in Loop: Header=BB23_32 Depth=1
	ds_write_b32 v51, v3
; %bb.202:                              ;   in Loop: Header=BB23_32 Depth=1
	s_or_b64 exec, exec, s[6:7]
	v_and_b32_e32 v6, s54, v56
	v_cmp_gt_i64_e64 s[6:7], s[42:43], 0
	v_lshl_or_b32 v56, 2, s87, v6
	v_or_b32_e32 v58, s76, v58
	s_mov_b64 s[36:37], -1
	s_mov_b64 s[38:39], 0
	s_and_b64 vcc, exec, s[6:7]
	s_mov_b64 s[6:7], 0
	s_mov_b64 s[8:9], -1
	s_waitcnt lgkmcnt(0)
	s_barrier
                                        ; implicit-def: $vgpr37
	s_cbranch_vccnz .LBB23_219
; %bb.203:                              ;   in Loop: Header=BB23_32 Depth=1
	s_mov_b32 s94, s83
	s_cmp_lg_u64 s[94:95], 0
	s_cbranch_scc0 .LBB23_206
; %bb.204:                              ;   in Loop: Header=BB23_32 Depth=1
	s_add_u32 s6, s80, 0
	s_addc_u32 s7, 0, 0
	s_xor_b64 s[6:7], s[6:7], 0
	v_cvt_f32_u32_e32 v6, s6
	v_cvt_f32_u32_e32 v7, s7
	s_sub_u32 s44, 0, s6
	s_subb_u32 s45, 0, s7
	v_fmac_f32_e32 v6, 0x4f800000, v7
	v_rcp_f32_e32 v6, v6
	s_nop 0
	v_mul_f32_e32 v6, 0x5f7ffffc, v6
	v_mul_f32_e32 v7, 0x2f800000, v6
	v_trunc_f32_e32 v7, v7
	v_fmac_f32_e32 v6, 0xcf800000, v7
	v_cvt_u32_f32_e32 v7, v7
	v_cvt_u32_f32_e32 v6, v6
	v_readfirstlane_b32 s46, v7
	v_readfirstlane_b32 s8, v6
	s_mul_i32 s9, s44, s46
	s_mul_hi_u32 s48, s44, s8
	s_mul_i32 s47, s45, s8
	s_add_i32 s9, s48, s9
	s_mul_i32 s49, s44, s8
	s_add_i32 s9, s9, s47
	s_mul_i32 s48, s8, s9
	s_mul_hi_u32 s50, s8, s49
	s_mul_hi_u32 s47, s8, s9
	s_add_u32 s48, s50, s48
	s_addc_u32 s47, 0, s47
	s_mul_hi_u32 s51, s46, s49
	s_mul_i32 s49, s46, s49
	s_add_u32 s48, s48, s49
	s_mul_hi_u32 s50, s46, s9
	s_addc_u32 s47, s47, s51
	s_addc_u32 s48, s50, 0
	s_mul_i32 s9, s46, s9
	s_add_u32 s9, s47, s9
	s_addc_u32 s47, 0, s48
	s_add_u32 s48, s8, s9
	s_cselect_b64 s[8:9], -1, 0
	s_cmp_lg_u64 s[8:9], 0
	s_addc_u32 s46, s46, s47
	s_mul_i32 s8, s44, s46
	s_mul_hi_u32 s9, s44, s48
	s_add_i32 s8, s9, s8
	s_mul_i32 s45, s45, s48
	s_add_i32 s8, s8, s45
	s_mul_i32 s44, s44, s48
	s_mul_hi_u32 s45, s46, s44
	s_mul_i32 s47, s46, s44
	s_mul_i32 s50, s48, s8
	s_mul_hi_u32 s44, s48, s44
	s_mul_hi_u32 s49, s48, s8
	s_add_u32 s44, s44, s50
	s_addc_u32 s49, 0, s49
	s_add_u32 s44, s44, s47
	s_mul_hi_u32 s9, s46, s8
	s_addc_u32 s44, s49, s45
	s_addc_u32 s9, s9, 0
	s_mul_i32 s8, s46, s8
	s_add_u32 s8, s44, s8
	s_addc_u32 s44, 0, s9
	s_add_u32 s47, s48, s8
	s_cselect_b64 s[8:9], -1, 0
	s_cmp_lg_u64 s[8:9], 0
	s_addc_u32 s46, s46, s44
	s_ashr_i32 s8, s95, 31
	v_readlane_b32 s44, v59, 21
	s_add_u32 s44, s44, s8
	s_mov_b32 s9, s8
	s_addc_u32 s45, s95, s8
	s_xor_b64 s[44:45], s[44:45], s[8:9]
	s_mul_i32 s49, s44, s46
	s_mul_hi_u32 s50, s44, s47
	s_mul_hi_u32 s48, s44, s46
	s_add_u32 s49, s50, s49
	s_addc_u32 s48, 0, s48
	s_mul_hi_u32 s51, s45, s47
	s_mul_i32 s47, s45, s47
	s_add_u32 s47, s49, s47
	s_mul_hi_u32 s50, s45, s46
	s_addc_u32 s47, s48, s51
	s_addc_u32 s48, s50, 0
	s_mul_i32 s46, s45, s46
	s_add_u32 s46, s47, s46
	s_addc_u32 s47, 0, s48
	s_mul_i32 s47, s6, s47
	s_mul_hi_u32 s48, s6, s46
	s_add_i32 s47, s48, s47
	s_mul_i32 s48, s7, s46
	s_add_i32 s50, s47, s48
	s_sub_i32 s48, s45, s50
	s_mul_i32 s46, s6, s46
	s_sub_u32 s44, s44, s46
	s_cselect_b64 s[46:47], -1, 0
	s_cmp_lg_u64 s[46:47], 0
	s_subb_u32 s51, s48, s7
	s_sub_u32 s52, s44, s6
	s_cselect_b64 s[48:49], -1, 0
	s_cmp_lg_u64 s[48:49], 0
	s_subb_u32 s53, s51, 0
	s_cmp_ge_u32 s53, s7
	s_cselect_b32 s55, -1, 0
	s_cmp_ge_u32 s52, s6
	s_cselect_b32 s56, -1, 0
	s_cmp_eq_u32 s53, s7
	s_cselect_b32 s55, s56, s55
	s_cmp_lg_u64 s[48:49], 0
	s_subb_u32 s51, s51, s7
	s_sub_u32 s56, s52, s6
	s_cselect_b64 s[48:49], -1, 0
	s_cmp_lg_u64 s[48:49], 0
	s_subb_u32 s48, s51, 0
	s_cmp_lg_u32 s55, 0
	s_cselect_b32 s49, s56, s52
	s_cselect_b32 s48, s48, s53
	s_cmp_lg_u64 s[46:47], 0
	s_subb_u32 s45, s45, s50
	s_cmp_ge_u32 s45, s7
	s_cselect_b32 s46, -1, 0
	s_cmp_ge_u32 s44, s6
	s_cselect_b32 s6, -1, 0
	s_cmp_eq_u32 s45, s7
	s_cselect_b32 s6, s6, s46
	s_cmp_lg_u32 s6, 0
	s_cselect_b32 s7, s48, s45
	s_cselect_b32 s6, s49, s44
	s_xor_b64 s[6:7], s[6:7], s[8:9]
	s_sub_u32 s6, s6, s8
	s_subb_u32 s7, s7, s8
	s_mov_b64 s[8:9], 0
	s_branch .LBB23_207
.LBB23_205:                             ;   in Loop: Header=BB23_32 Depth=1
                                        ; implicit-def: $sgpr8_sgpr9
	s_branch .LBB23_175
.LBB23_206:                             ;   in Loop: Header=BB23_32 Depth=1
                                        ; implicit-def: $sgpr6_sgpr7
.LBB23_207:                             ;   in Loop: Header=BB23_32 Depth=1
	s_andn2_b64 vcc, exec, s[8:9]
	v_readlane_b32 s94, v59, 48
	s_cbranch_vccnz .LBB23_209
; %bb.208:                              ;   in Loop: Header=BB23_32 Depth=1
	v_cvt_f32_u32_e32 v6, s80
	s_sub_i32 s6, 0, s80
	v_readlane_b32 s8, v59, 21
	v_rcp_iflag_f32_e32 v6, v6
	s_nop 0
	v_mul_f32_e32 v6, 0x4f7ffffe, v6
	v_cvt_u32_f32_e32 v6, v6
	s_nop 0
	v_readfirstlane_b32 s7, v6
	s_mul_i32 s6, s6, s7
	s_mul_hi_u32 s6, s7, s6
	s_add_i32 s7, s7, s6
	s_mul_hi_u32 s6, s8, s7
	s_mul_i32 s6, s6, s80
	s_sub_i32 s6, s8, s6
	s_sub_i32 s7, s6, s80
	s_cmp_ge_u32 s6, s80
	s_cselect_b32 s6, s7, s6
	s_sub_i32 s7, s6, s80
	s_cmp_ge_u32 s6, s80
	s_cselect_b32 s82, s7, s6
	s_mov_b64 s[6:7], s[82:83]
.LBB23_209:                             ;   in Loop: Header=BB23_32 Depth=1
	v_readlane_b32 s8, v59, 21
	s_sub_u32 s46, s8, s6
	s_subb_u32 s47, s95, s7
	v_cmp_gt_i64_e32 vcc, s[46:47], v[0:1]
	s_mov_b64 s[8:9], 0
	s_mov_b64 s[6:7], 0
                                        ; implicit-def: $vgpr37
	s_and_saveexec_b64 s[44:45], vcc
	v_readlane_b32 s56, v59, 44
	v_readlane_b32 s57, v59, 45
	s_cbranch_execz .LBB23_218
; %bb.210:                              ;   in Loop: Header=BB23_32 Depth=1
	v_mov_b64_e32 v[6:7], v[14:15]
	v_mov_b64_e32 v[8:9], v[0:1]
                                        ; implicit-def: $sgpr48_sgpr49
	s_branch .LBB23_213
.LBB23_211:                             ;   in Loop: Header=BB23_213 Depth=2
	s_or_b64 exec, exec, s[50:51]
	s_waitcnt lgkmcnt(0)
	s_barrier
	ds_read_b64 v[36:37], v3 offset:3072
	s_mov_b64 s[50:51], -1
	s_mov_b64 s[52:53], -1
	s_waitcnt lgkmcnt(0)
	s_barrier
	v_cmp_ne_u32_e32 vcc, 0, v36
	s_cbranch_vccz .LBB23_216
.LBB23_212:                             ;   in Loop: Header=BB23_213 Depth=2
	s_and_b64 s[50:51], exec, s[50:51]
	s_or_b64 s[6:7], s[50:51], s[6:7]
	s_andn2_b64 s[48:49], s[48:49], exec
	s_and_b64 s[50:51], s[52:53], exec
	s_or_b64 s[48:49], s[48:49], s[50:51]
	s_andn2_b64 exec, exec, s[6:7]
	s_cbranch_execz .LBB23_217
.LBB23_213:                             ;   Parent Loop BB23_32 Depth=1
                                        ; =>  This Inner Loop Header: Depth=2
	v_cmp_gt_i64_e32 vcc, s[60:61], v[8:9]
	s_and_saveexec_b64 s[50:51], vcc
	s_cbranch_execz .LBB23_211
; %bb.214:                              ;   in Loop: Header=BB23_213 Depth=2
	global_load_dword v35, v[6:7], off
	s_waitcnt vmcnt(0)
	v_bitop3_b32 v10, v35, v58, s86 bitop3:0x48
	v_cmp_eq_u32_e32 vcc, v10, v56
	s_and_b64 exec, exec, vcc
	s_cbranch_execz .LBB23_211
; %bb.215:                              ;   in Loop: Header=BB23_213 Depth=2
	ds_write_b64 v3, v[34:35] offset:3072
	s_branch .LBB23_211
.LBB23_216:                             ;   in Loop: Header=BB23_213 Depth=2
	v_lshl_add_u64 v[8:9], v[8:9], 0, s[80:81]
	v_cmp_le_i64_e32 vcc, s[46:47], v[8:9]
	v_lshl_add_u64 v[6:7], v[6:7], 0, s[88:89]
	s_mov_b64 s[52:53], 0
	s_orn2_b64 s[50:51], vcc, exec
	s_branch .LBB23_212
.LBB23_217:                             ;   in Loop: Header=BB23_32 Depth=1
	s_or_b64 exec, exec, s[6:7]
	s_and_b64 s[6:7], s[48:49], exec
.LBB23_218:                             ;   in Loop: Header=BB23_32 Depth=1
	s_or_b64 exec, exec, s[44:45]
.LBB23_219:                             ;   in Loop: Header=BB23_32 Depth=1
	s_and_b64 vcc, exec, s[8:9]
	s_cbranch_vccz .LBB23_233
; %bb.220:                              ;   in Loop: Header=BB23_32 Depth=1
	v_readlane_b32 s8, v59, 20
	s_add_u32 s44, s42, s8
	v_readlane_b32 s8, v59, 22
	s_addc_u32 s9, s43, s8
	s_mov_b32 s8, s83
	s_cmp_lg_u64 s[8:9], 0
	s_cbranch_scc0 .LBB23_251
; %bb.221:                              ;   in Loop: Header=BB23_32 Depth=1
	s_add_u32 s36, s80, 0
	s_addc_u32 s37, 0, 0
	s_xor_b64 s[36:37], s[36:37], 0
	v_cvt_f32_u32_e32 v6, s36
	v_cvt_f32_u32_e32 v7, s37
	s_sub_u32 s8, 0, s36
	s_subb_u32 s45, 0, s37
	v_fmac_f32_e32 v6, 0x4f800000, v7
	v_rcp_f32_e32 v6, v6
	s_nop 0
	v_mul_f32_e32 v6, 0x5f7ffffc, v6
	v_mul_f32_e32 v7, 0x2f800000, v6
	v_trunc_f32_e32 v7, v7
	v_fmac_f32_e32 v6, 0xcf800000, v7
	v_cvt_u32_f32_e32 v7, v7
	v_cvt_u32_f32_e32 v6, v6
	v_readfirstlane_b32 s46, v7
	v_readfirstlane_b32 s38, v6
	s_mul_i32 s39, s8, s46
	s_mul_hi_u32 s48, s8, s38
	s_mul_i32 s47, s45, s38
	s_add_i32 s39, s48, s39
	s_mul_i32 s49, s8, s38
	s_add_i32 s39, s39, s47
	s_mul_i32 s48, s38, s39
	s_mul_hi_u32 s50, s38, s49
	s_mul_hi_u32 s47, s38, s39
	s_add_u32 s48, s50, s48
	s_addc_u32 s47, 0, s47
	s_mul_hi_u32 s51, s46, s49
	s_mul_i32 s49, s46, s49
	s_add_u32 s48, s48, s49
	s_mul_hi_u32 s50, s46, s39
	s_addc_u32 s47, s47, s51
	s_addc_u32 s48, s50, 0
	s_mul_i32 s39, s46, s39
	s_add_u32 s39, s47, s39
	s_addc_u32 s47, 0, s48
	s_add_u32 s48, s38, s39
	s_cselect_b64 s[38:39], -1, 0
	s_cmp_lg_u64 s[38:39], 0
	s_addc_u32 s46, s46, s47
	s_mul_i32 s38, s8, s46
	s_mul_hi_u32 s39, s8, s48
	s_add_i32 s38, s39, s38
	s_mul_i32 s45, s45, s48
	s_add_i32 s38, s38, s45
	s_mul_i32 s8, s8, s48
	s_mul_hi_u32 s45, s46, s8
	s_mul_i32 s47, s46, s8
	s_mul_i32 s50, s48, s38
	s_mul_hi_u32 s8, s48, s8
	s_mul_hi_u32 s49, s48, s38
	s_add_u32 s8, s8, s50
	s_addc_u32 s49, 0, s49
	s_add_u32 s8, s8, s47
	s_mul_hi_u32 s39, s46, s38
	s_addc_u32 s8, s49, s45
	s_addc_u32 s39, s39, 0
	s_mul_i32 s38, s46, s38
	s_add_u32 s8, s8, s38
	s_addc_u32 s45, 0, s39
	s_add_u32 s8, s48, s8
	s_cselect_b64 s[38:39], -1, 0
	s_cmp_lg_u64 s[38:39], 0
	s_addc_u32 s45, s46, s45
	s_ashr_i32 s38, s9, 31
	s_add_u32 s46, s44, s38
	s_mov_b32 s39, s38
	s_addc_u32 s47, s9, s38
	s_xor_b64 s[46:47], s[46:47], s[38:39]
	s_mul_i32 s49, s46, s45
	s_mul_hi_u32 s50, s46, s8
	s_mul_hi_u32 s48, s46, s45
	s_add_u32 s49, s50, s49
	s_addc_u32 s48, 0, s48
	s_mul_hi_u32 s51, s47, s8
	s_mul_i32 s8, s47, s8
	s_add_u32 s8, s49, s8
	s_mul_hi_u32 s50, s47, s45
	s_addc_u32 s8, s48, s51
	s_addc_u32 s48, s50, 0
	s_mul_i32 s45, s47, s45
	s_add_u32 s8, s8, s45
	s_addc_u32 s45, 0, s48
	s_mul_i32 s45, s36, s45
	s_mul_hi_u32 s48, s36, s8
	s_add_i32 s45, s48, s45
	s_mul_i32 s48, s37, s8
	s_add_i32 s45, s45, s48
	s_sub_i32 s50, s47, s45
	s_mul_i32 s8, s36, s8
	s_sub_u32 s8, s46, s8
	s_cselect_b64 s[48:49], -1, 0
	s_cmp_lg_u64 s[48:49], 0
	s_subb_u32 s46, s50, s37
	s_sub_u32 s52, s8, s36
	s_cselect_b64 s[50:51], -1, 0
	s_cmp_lg_u64 s[50:51], 0
	s_subb_u32 s53, s46, 0
	s_cmp_ge_u32 s53, s37
	s_cselect_b32 s55, -1, 0
	s_cmp_ge_u32 s52, s36
	s_cselect_b32 s56, -1, 0
	s_cmp_eq_u32 s53, s37
	s_cselect_b32 s55, s56, s55
	s_cmp_lg_u64 s[50:51], 0
	s_subb_u32 s46, s46, s37
	s_sub_u32 s56, s52, s36
	s_cselect_b64 s[50:51], -1, 0
	s_cmp_lg_u64 s[50:51], 0
	s_subb_u32 s46, s46, 0
	s_cmp_lg_u32 s55, 0
	s_cselect_b32 s50, s56, s52
	s_cselect_b32 s46, s46, s53
	s_cmp_lg_u64 s[48:49], 0
	s_subb_u32 s45, s47, s45
	s_cmp_ge_u32 s45, s37
	s_cselect_b32 s47, -1, 0
	s_cmp_ge_u32 s8, s36
	s_cselect_b32 s36, -1, 0
	s_cmp_eq_u32 s45, s37
	s_cselect_b32 s36, s36, s47
	s_cmp_lg_u32 s36, 0
	s_cselect_b32 s37, s46, s45
	s_cselect_b32 s36, s50, s8
	s_xor_b64 s[36:37], s[36:37], s[38:39]
	v_readlane_b32 s56, v59, 44
	s_sub_u32 s36, s36, s38
	v_readlane_b32 s57, v59, 45
	s_subb_u32 s37, s37, s38
	s_cbranch_execnz .LBB23_223
.LBB23_222:                             ;   in Loop: Header=BB23_32 Depth=1
	v_cvt_f32_u32_e32 v6, s80
	s_sub_i32 s8, 0, s80
	v_rcp_iflag_f32_e32 v6, v6
	s_nop 0
	v_mul_f32_e32 v6, 0x4f7ffffe, v6
	v_cvt_u32_f32_e32 v6, v6
	s_nop 0
	v_readfirstlane_b32 s36, v6
	s_mul_i32 s8, s8, s36
	s_mul_hi_u32 s8, s36, s8
	s_add_i32 s36, s36, s8
	s_mul_hi_u32 s8, s44, s36
	s_mul_i32 s8, s8, s80
	s_sub_i32 s8, s44, s8
	s_sub_i32 s36, s8, s80
	s_cmp_ge_u32 s8, s80
	s_cselect_b32 s8, s36, s8
	s_sub_i32 s36, s8, s80
	s_cmp_ge_u32 s8, s80
	s_cselect_b32 s82, s36, s8
	s_mov_b64 s[36:37], s[82:83]
.LBB23_223:                             ;   in Loop: Header=BB23_32 Depth=1
	s_sub_u32 s36, s44, s36
	s_subb_u32 s37, s9, s37
	v_cmp_gt_i64_e32 vcc, s[36:37], v[0:1]
                                        ; implicit-def: $vgpr37
	s_and_saveexec_b64 s[8:9], vcc
	s_cbranch_execz .LBB23_232
; %bb.224:                              ;   in Loop: Header=BB23_32 Depth=1
	s_mov_b64 s[38:39], 0
	v_mov_b32_e32 v8, v12
	v_mov_b64_e32 v[6:7], v[0:1]
                                        ; implicit-def: $sgpr44_sgpr45
	s_branch .LBB23_227
.LBB23_225:                             ;   in Loop: Header=BB23_227 Depth=2
	s_or_b64 exec, exec, s[46:47]
	s_waitcnt lgkmcnt(0)
	s_barrier
	ds_read_b64 v[36:37], v3 offset:3072
	s_mov_b64 s[46:47], -1
	s_mov_b64 s[48:49], -1
	s_waitcnt lgkmcnt(0)
	s_barrier
	v_cmp_eq_u32_e32 vcc, 0, v36
	s_cbranch_vccnz .LBB23_230
.LBB23_226:                             ;   in Loop: Header=BB23_227 Depth=2
	s_and_b64 s[46:47], exec, s[46:47]
	s_or_b64 s[38:39], s[46:47], s[38:39]
	s_andn2_b64 s[44:45], s[44:45], exec
	s_and_b64 s[46:47], s[48:49], exec
	s_or_b64 s[44:45], s[44:45], s[46:47]
	s_andn2_b64 exec, exec, s[38:39]
	s_cbranch_execz .LBB23_231
.LBB23_227:                             ;   Parent Loop BB23_32 Depth=1
                                        ; =>  This Inner Loop Header: Depth=2
	v_cmp_gt_u64_e32 vcc, s[42:43], v[6:7]
	s_and_saveexec_b64 s[46:47], vcc
	s_cbranch_execz .LBB23_225
; %bb.228:                              ;   in Loop: Header=BB23_227 Depth=2
	ds_read_b32 v35, v8
	s_waitcnt lgkmcnt(0)
	v_bitop3_b32 v9, v35, v58, s86 bitop3:0x48
	v_cmp_eq_u32_e32 vcc, v9, v56
	s_and_b64 exec, exec, vcc
	s_cbranch_execz .LBB23_225
; %bb.229:                              ;   in Loop: Header=BB23_227 Depth=2
	ds_write_b64 v3, v[34:35] offset:3072
	s_branch .LBB23_225
.LBB23_230:                             ;   in Loop: Header=BB23_227 Depth=2
	v_lshl_add_u64 v[6:7], v[6:7], 0, s[80:81]
	v_cmp_le_i64_e32 vcc, s[36:37], v[6:7]
	v_add_u32_e32 v8, s94, v8
	s_mov_b64 s[48:49], 0
	s_orn2_b64 s[46:47], vcc, exec
	s_branch .LBB23_226
.LBB23_231:                             ;   in Loop: Header=BB23_32 Depth=1
	s_or_b64 exec, exec, s[38:39]
	s_andn2_b64 s[6:7], s[6:7], exec
	s_and_b64 s[36:37], s[44:45], exec
	s_or_b64 s[6:7], s[6:7], s[36:37]
.LBB23_232:                             ;   in Loop: Header=BB23_32 Depth=1
	s_or_b64 exec, exec, s[8:9]
	s_mov_b64 s[36:37], 0
	s_mov_b64 s[38:39], -1
.LBB23_233:                             ;   in Loop: Header=BB23_32 Depth=1
	s_orn2_b64 s[6:7], s[6:7], exec
.LBB23_234:                             ;   in Loop: Header=BB23_32 Depth=1
	s_or_b64 exec, exec, s[40:41]
	s_mov_b64 s[8:9], 0
	s_and_saveexec_b64 s[40:41], s[6:7]
	s_cbranch_execz .LBB23_293
; %bb.235:                              ;   in Loop: Header=BB23_32 Depth=1
	s_xor_b64 s[8:9], s[0:1], -1
	v_mov_b32_e32 v2, 1
	s_mov_b64 s[6:7], 0
	v_mov_b64_e32 v[6:7], 1
	s_and_saveexec_b64 s[0:1], s[8:9]
	s_cbranch_execz .LBB23_244
; %bb.236:                              ;   in Loop: Header=BB23_32 Depth=1
	v_cmp_ge_i64_e32 vcc, s[24:25], v[4:5]
	s_and_saveexec_b64 s[6:7], vcc
	s_xor_b64 s[6:7], exec, s[6:7]
	s_cbranch_execz .LBB23_241
; %bb.237:                              ;   in Loop: Header=BB23_32 Depth=1
	ds_read_b64 v[6:7], v3 offset:5120
	v_and_b32_e32 v2, s54, v56
	v_lshl_or_b32 v56, 2, s87, v2
	v_or_b32_e32 v58, s76, v58
	s_waitcnt lgkmcnt(0)
	v_cmp_ne_u64_e32 vcc, 0, v[6:7]
	s_cbranch_vccnz .LBB23_241
; %bb.238:                              ;   in Loop: Header=BB23_32 Depth=1
	s_mov_b64 s[8:9], exec
	v_readlane_b32 s42, v59, 8
	v_readlane_b32 s43, v59, 9
	s_and_b64 s[42:43], s[8:9], s[42:43]
	s_mov_b64 exec, s[42:43]
; %bb.239:                              ;   in Loop: Header=BB23_32 Depth=1
	v_mov_b64_e32 v[6:7], s[24:25]
	ds_write_b64 v3, v[6:7] offset:5128
; %bb.240:                              ;   in Loop: Header=BB23_32 Depth=1
	s_or_b64 exec, exec, s[8:9]
	s_waitcnt lgkmcnt(0)
	s_barrier
.LBB23_241:                             ;   in Loop: Header=BB23_32 Depth=1
	s_or_saveexec_b64 s[6:7], s[6:7]
	s_mov_b64 s[8:9], 0
	v_mov_b32_e32 v2, 8
	s_xor_b64 exec, exec, s[6:7]
; %bb.242:                              ;   in Loop: Header=BB23_32 Depth=1
	v_mov_b32_e32 v2, s25
	v_subrev_co_u32_e32 v4, vcc, s24, v4
	s_mov_b64 s[8:9], exec
	s_nop 0
	v_subb_co_u32_e32 v5, vcc, v5, v2, vcc
	v_mov_b32_e32 v2, 0
; %bb.243:                              ;   in Loop: Header=BB23_32 Depth=1
	s_or_b64 exec, exec, s[6:7]
	s_and_b64 s[6:7], s[8:9], exec
	v_mov_b64_e32 v[6:7], v[4:5]
.LBB23_244:                             ;   in Loop: Header=BB23_32 Depth=1
	s_or_b64 exec, exec, s[0:1]
	s_mov_b64 s[0:1], -1
                                        ; implicit-def: $sgpr48_sgpr49
                                        ; implicit-def: $sgpr46_sgpr47
	s_and_saveexec_b64 s[24:25], s[6:7]
	s_cbranch_execz .LBB23_292
; %bb.245:                              ;   in Loop: Header=BB23_32 Depth=1
	s_cmp_eq_u64 s[16:17], 1
	s_cselect_b64 s[0:1], -1, 0
	v_cmp_eq_u64_e32 vcc, 1, v[6:7]
	s_and_b64 s[0:1], s[0:1], vcc
	s_mov_b64 s[8:9], -1
                                        ; implicit-def: $sgpr48_sgpr49
                                        ; implicit-def: $sgpr46_sgpr47
	s_and_saveexec_b64 s[42:43], s[0:1]
	s_cbranch_execz .LBB23_280
; %bb.246:                              ;   in Loop: Header=BB23_32 Depth=1
	ds_read_b64 v[4:5], v3 offset:5120
	s_waitcnt lgkmcnt(0)
	s_barrier
	v_readfirstlane_b32 s44, v4
	v_readfirstlane_b32 s45, v5
	s_mov_b64 s[6:7], exec
	v_readlane_b32 s8, v59, 10
	v_readlane_b32 s9, v59, 11
	s_and_b64 s[8:9], s[6:7], s[8:9]
	s_mov_b64 exec, s[8:9]
; %bb.247:                              ;   in Loop: Header=BB23_32 Depth=1
	ds_write_b32 v51, v3
; %bb.248:                              ;   in Loop: Header=BB23_32 Depth=1
	s_or_b64 exec, exec, s[6:7]
	v_cmp_gt_i64_e64 s[6:7], s[44:45], 0
	v_or_b32_e32 v56, s76, v56
	v_or_b32_e32 v58, s76, v58
	s_mov_b64 s[46:47], -1
	s_mov_b64 s[48:49], 0
	s_and_b64 vcc, exec, s[6:7]
	s_mov_b64 s[6:7], 0
	s_mov_b64 s[8:9], -1
	s_waitcnt lgkmcnt(0)
	s_barrier
                                        ; implicit-def: $vgpr37
	s_cbranch_vccnz .LBB23_265
; %bb.249:                              ;   in Loop: Header=BB23_32 Depth=1
	s_mov_b32 s94, s83
	s_cmp_lg_u64 s[94:95], 0
	s_cbranch_scc0 .LBB23_252
; %bb.250:                              ;   in Loop: Header=BB23_32 Depth=1
	s_add_u32 s6, s80, 0
	s_addc_u32 s7, 0, 0
	s_xor_b64 s[6:7], s[6:7], 0
	v_cvt_f32_u32_e32 v4, s6
	v_cvt_f32_u32_e32 v5, s7
	s_sub_u32 s50, 0, s6
	s_subb_u32 s51, 0, s7
	v_fmac_f32_e32 v4, 0x4f800000, v5
	v_rcp_f32_e32 v4, v4
	s_nop 0
	v_mul_f32_e32 v4, 0x5f7ffffc, v4
	v_mul_f32_e32 v5, 0x2f800000, v4
	v_trunc_f32_e32 v5, v5
	v_fmac_f32_e32 v4, 0xcf800000, v5
	v_cvt_u32_f32_e32 v5, v5
	v_cvt_u32_f32_e32 v4, v4
	v_readfirstlane_b32 s52, v5
	v_readfirstlane_b32 s8, v4
	s_mul_i32 s9, s50, s52
	s_mul_hi_u32 s54, s50, s8
	s_mul_i32 s53, s51, s8
	s_add_i32 s9, s54, s9
	s_mul_i32 s55, s50, s8
	s_add_i32 s9, s9, s53
	s_mul_i32 s54, s8, s9
	s_mul_hi_u32 s56, s8, s55
	s_mul_hi_u32 s53, s8, s9
	s_add_u32 s54, s56, s54
	s_addc_u32 s53, 0, s53
	s_mul_hi_u32 s57, s52, s55
	s_mul_i32 s55, s52, s55
	s_add_u32 s54, s54, s55
	s_mul_hi_u32 s56, s52, s9
	s_addc_u32 s53, s53, s57
	s_addc_u32 s54, s56, 0
	s_mul_i32 s9, s52, s9
	s_add_u32 s9, s53, s9
	s_addc_u32 s53, 0, s54
	s_add_u32 s54, s8, s9
	s_cselect_b64 s[8:9], -1, 0
	s_cmp_lg_u64 s[8:9], 0
	s_addc_u32 s52, s52, s53
	s_mul_i32 s8, s50, s52
	s_mul_hi_u32 s9, s50, s54
	s_add_i32 s8, s9, s8
	s_mul_i32 s51, s51, s54
	s_add_i32 s8, s8, s51
	s_mul_i32 s50, s50, s54
	s_mul_hi_u32 s51, s52, s50
	s_mul_i32 s53, s52, s50
	s_mul_i32 s56, s54, s8
	s_mul_hi_u32 s50, s54, s50
	s_mul_hi_u32 s55, s54, s8
	s_add_u32 s50, s50, s56
	s_addc_u32 s55, 0, s55
	s_add_u32 s50, s50, s53
	s_mul_hi_u32 s9, s52, s8
	s_addc_u32 s50, s55, s51
	s_addc_u32 s9, s9, 0
	s_mul_i32 s8, s52, s8
	s_add_u32 s8, s50, s8
	s_addc_u32 s50, 0, s9
	s_add_u32 s53, s54, s8
	s_cselect_b64 s[8:9], -1, 0
	s_cmp_lg_u64 s[8:9], 0
	s_addc_u32 s52, s52, s50
	s_ashr_i32 s8, s95, 31
	v_readlane_b32 s50, v59, 21
	s_add_u32 s50, s50, s8
	s_mov_b32 s9, s8
	s_addc_u32 s51, s95, s8
	s_xor_b64 s[50:51], s[50:51], s[8:9]
	s_mul_i32 s55, s50, s52
	s_mul_hi_u32 s56, s50, s53
	s_mul_hi_u32 s54, s50, s52
	s_add_u32 s55, s56, s55
	s_addc_u32 s54, 0, s54
	s_mul_hi_u32 s57, s51, s53
	s_mul_i32 s53, s51, s53
	s_add_u32 s53, s55, s53
	s_mul_hi_u32 s56, s51, s52
	s_addc_u32 s53, s54, s57
	s_addc_u32 s54, s56, 0
	s_mul_i32 s52, s51, s52
	s_add_u32 s52, s53, s52
	s_addc_u32 s53, 0, s54
	s_mul_i32 s53, s6, s53
	s_mul_hi_u32 s54, s6, s52
	s_add_i32 s53, s54, s53
	s_mul_i32 s54, s7, s52
	s_add_i32 s56, s53, s54
	s_sub_i32 s54, s51, s56
	s_mul_i32 s52, s6, s52
	s_sub_u32 s50, s50, s52
	s_cselect_b64 s[52:53], -1, 0
	s_cmp_lg_u64 s[52:53], 0
	s_subb_u32 s57, s54, s7
	s_sub_u32 s70, s50, s6
	s_cselect_b64 s[54:55], -1, 0
	s_cmp_lg_u64 s[54:55], 0
	s_subb_u32 s71, s57, 0
	s_cmp_ge_u32 s71, s7
	s_cselect_b32 s77, -1, 0
	s_cmp_ge_u32 s70, s6
	s_cselect_b32 s78, -1, 0
	s_cmp_eq_u32 s71, s7
	s_cselect_b32 s77, s78, s77
	s_cmp_lg_u64 s[54:55], 0
	s_subb_u32 s57, s57, s7
	s_sub_u32 s78, s70, s6
	s_cselect_b64 s[54:55], -1, 0
	s_cmp_lg_u64 s[54:55], 0
	s_subb_u32 s54, s57, 0
	s_cmp_lg_u32 s77, 0
	s_cselect_b32 s55, s78, s70
	s_cselect_b32 s54, s54, s71
	s_cmp_lg_u64 s[52:53], 0
	s_subb_u32 s51, s51, s56
	s_cmp_ge_u32 s51, s7
	s_cselect_b32 s52, -1, 0
	s_cmp_ge_u32 s50, s6
	s_cselect_b32 s6, -1, 0
	s_cmp_eq_u32 s51, s7
	s_cselect_b32 s6, s6, s52
	s_cmp_lg_u32 s6, 0
	s_cselect_b32 s7, s54, s51
	s_cselect_b32 s6, s55, s50
	s_xor_b64 s[6:7], s[6:7], s[8:9]
	s_sub_u32 s6, s6, s8
	s_subb_u32 s7, s7, s8
	s_mov_b64 s[8:9], 0
	s_branch .LBB23_253
.LBB23_251:                             ;   in Loop: Header=BB23_32 Depth=1
                                        ; implicit-def: $sgpr36_sgpr37
	s_branch .LBB23_222
.LBB23_252:                             ;   in Loop: Header=BB23_32 Depth=1
                                        ; implicit-def: $sgpr6_sgpr7
.LBB23_253:                             ;   in Loop: Header=BB23_32 Depth=1
	s_andn2_b64 vcc, exec, s[8:9]
	v_readlane_b32 s94, v59, 48
	s_cbranch_vccnz .LBB23_255
; %bb.254:                              ;   in Loop: Header=BB23_32 Depth=1
	v_cvt_f32_u32_e32 v4, s80
	s_sub_i32 s6, 0, s80
	v_readlane_b32 s8, v59, 21
	v_rcp_iflag_f32_e32 v4, v4
	s_nop 0
	v_mul_f32_e32 v4, 0x4f7ffffe, v4
	v_cvt_u32_f32_e32 v4, v4
	s_nop 0
	v_readfirstlane_b32 s7, v4
	s_mul_i32 s6, s6, s7
	s_mul_hi_u32 s6, s7, s6
	s_add_i32 s7, s7, s6
	s_mul_hi_u32 s6, s8, s7
	s_mul_i32 s6, s6, s80
	s_sub_i32 s6, s8, s6
	s_sub_i32 s7, s6, s80
	s_cmp_ge_u32 s6, s80
	s_cselect_b32 s6, s7, s6
	s_sub_i32 s7, s6, s80
	s_cmp_ge_u32 s6, s80
	s_cselect_b32 s82, s7, s6
	s_mov_b64 s[6:7], s[82:83]
.LBB23_255:                             ;   in Loop: Header=BB23_32 Depth=1
	v_readlane_b32 s8, v59, 21
	s_sub_u32 s52, s8, s6
	s_subb_u32 s53, s95, s7
	v_cmp_gt_i64_e32 vcc, s[52:53], v[0:1]
	s_mov_b64 s[8:9], 0
	s_mov_b64 s[6:7], 0
                                        ; implicit-def: $vgpr37
	s_and_saveexec_b64 s[50:51], vcc
	s_cbranch_execz .LBB23_264
; %bb.256:                              ;   in Loop: Header=BB23_32 Depth=1
	v_mov_b64_e32 v[4:5], v[14:15]
	v_mov_b64_e32 v[8:9], v[0:1]
                                        ; implicit-def: $sgpr54_sgpr55
	s_branch .LBB23_259
.LBB23_257:                             ;   in Loop: Header=BB23_259 Depth=2
	s_or_b64 exec, exec, s[56:57]
	s_waitcnt lgkmcnt(0)
	s_barrier
	ds_read_b64 v[36:37], v3 offset:3072
	s_mov_b64 s[56:57], -1
	s_mov_b64 s[70:71], -1
	s_waitcnt lgkmcnt(0)
	s_barrier
	v_cmp_ne_u32_e32 vcc, 0, v36
	s_cbranch_vccz .LBB23_262
.LBB23_258:                             ;   in Loop: Header=BB23_259 Depth=2
	s_and_b64 s[56:57], exec, s[56:57]
	s_or_b64 s[6:7], s[56:57], s[6:7]
	s_andn2_b64 s[54:55], s[54:55], exec
	s_and_b64 s[56:57], s[70:71], exec
	s_or_b64 s[54:55], s[54:55], s[56:57]
	s_andn2_b64 exec, exec, s[6:7]
	s_cbranch_execz .LBB23_263
.LBB23_259:                             ;   Parent Loop BB23_32 Depth=1
                                        ; =>  This Inner Loop Header: Depth=2
	v_cmp_gt_i64_e32 vcc, s[60:61], v[8:9]
	s_and_saveexec_b64 s[56:57], vcc
	s_cbranch_execz .LBB23_257
; %bb.260:                              ;   in Loop: Header=BB23_259 Depth=2
	global_load_dword v35, v[4:5], off
	s_waitcnt vmcnt(0)
	v_bitop3_b32 v10, v35, v58, s86 bitop3:0x48
	v_cmp_eq_u32_e32 vcc, v10, v56
	s_and_b64 exec, exec, vcc
	s_cbranch_execz .LBB23_257
; %bb.261:                              ;   in Loop: Header=BB23_259 Depth=2
	ds_write_b64 v3, v[34:35] offset:3072
	s_branch .LBB23_257
.LBB23_262:                             ;   in Loop: Header=BB23_259 Depth=2
	v_lshl_add_u64 v[8:9], v[8:9], 0, s[80:81]
	v_cmp_le_i64_e32 vcc, s[52:53], v[8:9]
	v_lshl_add_u64 v[4:5], v[4:5], 0, s[88:89]
	s_mov_b64 s[70:71], 0
	s_orn2_b64 s[56:57], vcc, exec
	s_branch .LBB23_258
.LBB23_263:                             ;   in Loop: Header=BB23_32 Depth=1
	s_or_b64 exec, exec, s[6:7]
	s_and_b64 s[6:7], s[54:55], exec
.LBB23_264:                             ;   in Loop: Header=BB23_32 Depth=1
	s_or_b64 exec, exec, s[50:51]
	v_readlane_b32 s56, v59, 44
	v_readlane_b32 s57, v59, 45
.LBB23_265:                             ;   in Loop: Header=BB23_32 Depth=1
	s_and_b64 vcc, exec, s[8:9]
	s_cbranch_vccz .LBB23_279
; %bb.266:                              ;   in Loop: Header=BB23_32 Depth=1
	v_readlane_b32 s8, v59, 20
	s_add_u32 s50, s44, s8
	v_readlane_b32 s8, v59, 22
	s_addc_u32 s9, s45, s8
	s_mov_b32 s8, s83
	s_cmp_lg_u64 s[8:9], 0
	s_cbranch_scc0 .LBB23_299
; %bb.267:                              ;   in Loop: Header=BB23_32 Depth=1
	s_add_u32 s46, s80, 0
	s_addc_u32 s47, 0, 0
	s_xor_b64 s[46:47], s[46:47], 0
	v_cvt_f32_u32_e32 v4, s46
	v_cvt_f32_u32_e32 v5, s47
	s_sub_u32 s8, 0, s46
	s_subb_u32 s51, 0, s47
	v_fmac_f32_e32 v4, 0x4f800000, v5
	v_rcp_f32_e32 v4, v4
	s_nop 0
	v_mul_f32_e32 v4, 0x5f7ffffc, v4
	v_mul_f32_e32 v5, 0x2f800000, v4
	v_trunc_f32_e32 v5, v5
	v_fmac_f32_e32 v4, 0xcf800000, v5
	v_cvt_u32_f32_e32 v5, v5
	v_cvt_u32_f32_e32 v4, v4
	v_readfirstlane_b32 s52, v5
	v_readfirstlane_b32 s48, v4
	s_mul_i32 s49, s8, s52
	s_mul_hi_u32 s54, s8, s48
	s_mul_i32 s53, s51, s48
	s_add_i32 s49, s54, s49
	s_mul_i32 s55, s8, s48
	s_add_i32 s49, s49, s53
	s_mul_i32 s54, s48, s49
	s_mul_hi_u32 s56, s48, s55
	s_mul_hi_u32 s53, s48, s49
	s_add_u32 s54, s56, s54
	s_addc_u32 s53, 0, s53
	s_mul_hi_u32 s57, s52, s55
	s_mul_i32 s55, s52, s55
	s_add_u32 s54, s54, s55
	s_mul_hi_u32 s56, s52, s49
	s_addc_u32 s53, s53, s57
	s_addc_u32 s54, s56, 0
	s_mul_i32 s49, s52, s49
	s_add_u32 s49, s53, s49
	s_addc_u32 s53, 0, s54
	s_add_u32 s54, s48, s49
	s_cselect_b64 s[48:49], -1, 0
	s_cmp_lg_u64 s[48:49], 0
	s_addc_u32 s52, s52, s53
	s_mul_i32 s48, s8, s52
	s_mul_hi_u32 s49, s8, s54
	s_add_i32 s48, s49, s48
	s_mul_i32 s51, s51, s54
	s_add_i32 s48, s48, s51
	s_mul_i32 s8, s8, s54
	s_mul_hi_u32 s51, s52, s8
	s_mul_i32 s53, s52, s8
	s_mul_i32 s56, s54, s48
	s_mul_hi_u32 s8, s54, s8
	s_mul_hi_u32 s55, s54, s48
	s_add_u32 s8, s8, s56
	s_addc_u32 s55, 0, s55
	s_add_u32 s8, s8, s53
	s_mul_hi_u32 s49, s52, s48
	s_addc_u32 s8, s55, s51
	s_addc_u32 s49, s49, 0
	s_mul_i32 s48, s52, s48
	s_add_u32 s8, s8, s48
	s_addc_u32 s51, 0, s49
	s_add_u32 s8, s54, s8
	s_cselect_b64 s[48:49], -1, 0
	s_cmp_lg_u64 s[48:49], 0
	s_addc_u32 s51, s52, s51
	s_ashr_i32 s48, s9, 31
	s_add_u32 s52, s50, s48
	s_mov_b32 s49, s48
	s_addc_u32 s53, s9, s48
	s_xor_b64 s[52:53], s[52:53], s[48:49]
	s_mul_i32 s55, s52, s51
	s_mul_hi_u32 s56, s52, s8
	s_mul_hi_u32 s54, s52, s51
	s_add_u32 s55, s56, s55
	s_addc_u32 s54, 0, s54
	s_mul_hi_u32 s57, s53, s8
	s_mul_i32 s8, s53, s8
	s_add_u32 s8, s55, s8
	s_mul_hi_u32 s56, s53, s51
	s_addc_u32 s8, s54, s57
	s_addc_u32 s54, s56, 0
	s_mul_i32 s51, s53, s51
	s_add_u32 s8, s8, s51
	s_addc_u32 s51, 0, s54
	s_mul_i32 s51, s46, s51
	s_mul_hi_u32 s54, s46, s8
	s_add_i32 s51, s54, s51
	s_mul_i32 s54, s47, s8
	s_add_i32 s51, s51, s54
	s_sub_i32 s56, s53, s51
	s_mul_i32 s8, s46, s8
	s_sub_u32 s8, s52, s8
	s_cselect_b64 s[54:55], -1, 0
	s_cmp_lg_u64 s[54:55], 0
	s_subb_u32 s52, s56, s47
	s_sub_u32 s70, s8, s46
	s_cselect_b64 s[56:57], -1, 0
	s_cmp_lg_u64 s[56:57], 0
	s_subb_u32 s71, s52, 0
	s_cmp_ge_u32 s71, s47
	s_cselect_b32 s77, -1, 0
	s_cmp_ge_u32 s70, s46
	s_cselect_b32 s78, -1, 0
	s_cmp_eq_u32 s71, s47
	s_cselect_b32 s77, s78, s77
	s_cmp_lg_u64 s[56:57], 0
	s_subb_u32 s52, s52, s47
	s_sub_u32 s78, s70, s46
	s_cselect_b64 s[56:57], -1, 0
	s_cmp_lg_u64 s[56:57], 0
	s_subb_u32 s52, s52, 0
	s_cmp_lg_u32 s77, 0
	s_cselect_b32 s56, s78, s70
	s_cselect_b32 s52, s52, s71
	s_cmp_lg_u64 s[54:55], 0
	s_subb_u32 s51, s53, s51
	s_cmp_ge_u32 s51, s47
	s_cselect_b32 s53, -1, 0
	s_cmp_ge_u32 s8, s46
	s_cselect_b32 s46, -1, 0
	s_cmp_eq_u32 s51, s47
	s_cselect_b32 s46, s46, s53
	s_cmp_lg_u32 s46, 0
	s_cselect_b32 s47, s52, s51
	s_cselect_b32 s46, s56, s8
	s_xor_b64 s[46:47], s[46:47], s[48:49]
	v_readlane_b32 s56, v59, 44
	s_sub_u32 s46, s46, s48
	v_readlane_b32 s57, v59, 45
	s_subb_u32 s47, s47, s48
	s_cbranch_execnz .LBB23_269
.LBB23_268:                             ;   in Loop: Header=BB23_32 Depth=1
	v_cvt_f32_u32_e32 v4, s80
	s_sub_i32 s8, 0, s80
	v_rcp_iflag_f32_e32 v4, v4
	s_nop 0
	v_mul_f32_e32 v4, 0x4f7ffffe, v4
	v_cvt_u32_f32_e32 v4, v4
	s_nop 0
	v_readfirstlane_b32 s46, v4
	s_mul_i32 s8, s8, s46
	s_mul_hi_u32 s8, s46, s8
	s_add_i32 s46, s46, s8
	s_mul_hi_u32 s8, s50, s46
	s_mul_i32 s8, s8, s80
	s_sub_i32 s8, s50, s8
	s_sub_i32 s46, s8, s80
	s_cmp_ge_u32 s8, s80
	s_cselect_b32 s8, s46, s8
	s_sub_i32 s46, s8, s80
	s_cmp_ge_u32 s8, s80
	s_cselect_b32 s82, s46, s8
	s_mov_b64 s[46:47], s[82:83]
.LBB23_269:                             ;   in Loop: Header=BB23_32 Depth=1
	s_sub_u32 s46, s50, s46
	s_subb_u32 s47, s9, s47
	v_cmp_gt_i64_e32 vcc, s[46:47], v[0:1]
                                        ; implicit-def: $vgpr37
	s_and_saveexec_b64 s[8:9], vcc
	s_cbranch_execz .LBB23_278
; %bb.270:                              ;   in Loop: Header=BB23_32 Depth=1
	s_mov_b64 s[48:49], 0
	v_mov_b32_e32 v8, v12
	v_mov_b64_e32 v[4:5], v[0:1]
                                        ; implicit-def: $sgpr50_sgpr51
	s_branch .LBB23_273
.LBB23_271:                             ;   in Loop: Header=BB23_273 Depth=2
	s_or_b64 exec, exec, s[52:53]
	s_waitcnt lgkmcnt(0)
	s_barrier
	ds_read_b64 v[36:37], v3 offset:3072
	s_mov_b64 s[52:53], -1
	s_mov_b64 s[54:55], -1
	s_waitcnt lgkmcnt(0)
	s_barrier
	v_cmp_eq_u32_e32 vcc, 0, v36
	s_cbranch_vccnz .LBB23_276
.LBB23_272:                             ;   in Loop: Header=BB23_273 Depth=2
	s_and_b64 s[52:53], exec, s[52:53]
	s_or_b64 s[48:49], s[52:53], s[48:49]
	s_andn2_b64 s[50:51], s[50:51], exec
	s_and_b64 s[52:53], s[54:55], exec
	s_or_b64 s[50:51], s[50:51], s[52:53]
	s_andn2_b64 exec, exec, s[48:49]
	s_cbranch_execz .LBB23_277
.LBB23_273:                             ;   Parent Loop BB23_32 Depth=1
                                        ; =>  This Inner Loop Header: Depth=2
	v_cmp_gt_u64_e32 vcc, s[44:45], v[4:5]
	s_and_saveexec_b64 s[52:53], vcc
	s_cbranch_execz .LBB23_271
; %bb.274:                              ;   in Loop: Header=BB23_273 Depth=2
	ds_read_b32 v35, v8
	s_waitcnt lgkmcnt(0)
	v_bitop3_b32 v9, v35, v58, s86 bitop3:0x48
	v_cmp_eq_u32_e32 vcc, v9, v56
	s_and_b64 exec, exec, vcc
	s_cbranch_execz .LBB23_271
; %bb.275:                              ;   in Loop: Header=BB23_273 Depth=2
	ds_write_b64 v3, v[34:35] offset:3072
	s_branch .LBB23_271
.LBB23_276:                             ;   in Loop: Header=BB23_273 Depth=2
	v_lshl_add_u64 v[4:5], v[4:5], 0, s[80:81]
	v_cmp_le_i64_e32 vcc, s[46:47], v[4:5]
	v_add_u32_e32 v8, s94, v8
	s_mov_b64 s[54:55], 0
	s_orn2_b64 s[52:53], vcc, exec
	s_branch .LBB23_272
.LBB23_277:                             ;   in Loop: Header=BB23_32 Depth=1
	s_or_b64 exec, exec, s[48:49]
	s_andn2_b64 s[6:7], s[6:7], exec
	s_and_b64 s[44:45], s[50:51], exec
	s_or_b64 s[6:7], s[6:7], s[44:45]
.LBB23_278:                             ;   in Loop: Header=BB23_32 Depth=1
	s_or_b64 exec, exec, s[8:9]
	s_mov_b64 s[46:47], 0
	s_mov_b64 s[48:49], -1
.LBB23_279:                             ;   in Loop: Header=BB23_32 Depth=1
	s_orn2_b64 s[8:9], s[6:7], exec
.LBB23_280:                             ;   in Loop: Header=BB23_32 Depth=1
	s_or_b64 exec, exec, s[42:43]
	s_mov_b64 s[42:43], 0
	s_and_saveexec_b64 s[6:7], s[8:9]
	s_cbranch_execz .LBB23_291
; %bb.281:                              ;   in Loop: Header=BB23_32 Depth=1
	s_xor_b64 s[8:9], s[0:1], -1
	v_mov_b64_e32 v[4:5], 1
	v_mov_b32_e32 v2, 1
	s_and_saveexec_b64 s[0:1], s[8:9]
	s_cbranch_execz .LBB23_290
; %bb.282:                              ;   in Loop: Header=BB23_32 Depth=1
	v_cmp_ge_i64_e32 vcc, s[16:17], v[6:7]
	s_and_saveexec_b64 s[8:9], vcc
	s_xor_b64 s[8:9], exec, s[8:9]
	s_cbranch_execz .LBB23_287
; %bb.283:                              ;   in Loop: Header=BB23_32 Depth=1
	ds_read_b64 v[4:5], v3 offset:5120
	v_or_b32_e32 v56, s76, v56
	v_or_b32_e32 v58, s76, v58
	s_waitcnt lgkmcnt(0)
	v_cmp_ne_u64_e32 vcc, 0, v[4:5]
	s_cbranch_vccnz .LBB23_287
; %bb.284:                              ;   in Loop: Header=BB23_32 Depth=1
	s_mov_b64 s[42:43], exec
	v_readlane_b32 s44, v59, 8
	v_readlane_b32 s45, v59, 9
	s_and_b64 s[44:45], s[42:43], s[44:45]
	s_mov_b64 exec, s[44:45]
; %bb.285:                              ;   in Loop: Header=BB23_32 Depth=1
	v_mov_b64_e32 v[4:5], s[16:17]
	ds_write_b64 v3, v[4:5] offset:5128
; %bb.286:                              ;   in Loop: Header=BB23_32 Depth=1
	s_or_b64 exec, exec, s[42:43]
	s_waitcnt lgkmcnt(0)
	s_barrier
.LBB23_287:                             ;   in Loop: Header=BB23_32 Depth=1
	s_andn2_saveexec_b64 s[8:9], s[8:9]
; %bb.288:                              ;   in Loop: Header=BB23_32 Depth=1
	v_mov_b32_e32 v2, s17
	v_subrev_co_u32_e32 v6, vcc, s16, v6
	s_nop 1
	v_subb_co_u32_e32 v7, vcc, v7, v2, vcc
; %bb.289:                              ;   in Loop: Header=BB23_32 Depth=1
	s_or_b64 exec, exec, s[8:9]
	v_mov_b32_e32 v2, 8
	v_mov_b64_e32 v[4:5], v[6:7]
.LBB23_290:                             ;   in Loop: Header=BB23_32 Depth=1
	s_or_b64 exec, exec, s[0:1]
	s_mov_b64 s[42:43], exec
	v_mov_b64_e32 v[6:7], v[4:5]
.LBB23_291:                             ;   in Loop: Header=BB23_32 Depth=1
	s_or_b64 exec, exec, s[6:7]
	s_orn2_b64 s[0:1], s[42:43], exec
.LBB23_292:                             ;   in Loop: Header=BB23_32 Depth=1
	s_or_b64 exec, exec, s[24:25]
	s_andn2_b64 s[6:7], s[38:39], exec
	s_and_b64 s[8:9], s[48:49], exec
	s_or_b64 s[38:39], s[6:7], s[8:9]
	s_andn2_b64 s[6:7], s[36:37], exec
	s_and_b64 s[8:9], s[46:47], exec
	s_or_b64 s[36:37], s[6:7], s[8:9]
	s_and_b64 s[8:9], s[0:1], exec
	v_mov_b64_e32 v[4:5], v[6:7]
.LBB23_293:                             ;   in Loop: Header=BB23_32 Depth=1
	s_or_b64 exec, exec, s[40:41]
	s_orn2_b64 s[0:1], s[8:9], exec
.LBB23_294:                             ;   in Loop: Header=BB23_32 Depth=1
	s_or_b64 exec, exec, s[30:31]
	s_andn2_b64 s[6:7], s[26:27], exec
	s_and_b64 s[8:9], s[38:39], exec
	s_or_b64 s[26:27], s[6:7], s[8:9]
	s_andn2_b64 s[2:3], s[2:3], exec
	s_and_b64 s[6:7], s[36:37], exec
	s_or_b64 s[2:3], s[2:3], s[6:7]
	s_and_b64 s[8:9], s[0:1], exec
	v_mov_b64_e32 v[8:9], v[4:5]
.LBB23_295:                             ;   in Loop: Header=BB23_32 Depth=1
	s_or_b64 exec, exec, s[28:29]
	s_orn2_b64 s[0:1], s[8:9], exec
.LBB23_296:                             ;   in Loop: Header=BB23_32 Depth=1
	s_or_b64 exec, exec, s[22:23]
	s_mov_b64 s[6:7], 0
	s_and_saveexec_b64 s[8:9], s[0:1]
	s_xor_b64 s[0:1], exec, s[8:9]
	s_cbranch_execz .LBB23_30
; %bb.297:                              ;   in Loop: Header=BB23_32 Depth=1
	v_and_b32_e32 v2, 7, v2
	v_cmp_eq_u32_e32 vcc, 0, v2
	s_mov_b64 s[8:9], -1
	s_mov_b64 s[6:7], -1
	s_and_saveexec_b64 s[16:17], vcc
	s_cbranch_execz .LBB23_29
; %bb.298:                              ;   in Loop: Header=BB23_32 Depth=1
	s_add_i32 s20, s87, -2
	s_cmp_eq_u32 s87, 0
	s_cselect_b64 s[8:9], -1, 0
	v_xor_b32_e32 v57, 1, v57
	s_xor_b64 s[6:7], exec, -1
	s_orn2_b64 s[8:9], s[8:9], exec
	s_mov_b32 s87, s20
	s_branch .LBB23_29
.LBB23_299:                             ;   in Loop: Header=BB23_32 Depth=1
                                        ; implicit-def: $sgpr46_sgpr47
	s_branch .LBB23_268
.LBB23_300:
	s_or_b64 exec, exec, s[14:15]
	s_xor_b64 s[6:7], s[10:11], -1
	s_xor_b64 s[0:1], s[62:63], -1
	;; [unrolled: 1-line block ×3, first 2 shown]
	s_mov_b64 s[2:3], 0
	s_and_saveexec_b64 s[8:9], s[0:1]
	s_xor_b64 s[0:1], exec, s[8:9]
	s_cbranch_execnz .LBB23_305
; %bb.301:
	s_andn2_saveexec_b64 s[0:1], s[0:1]
	s_cbranch_execnz .LBB23_327
.LBB23_302:
	s_or_b64 exec, exec, s[0:1]
	s_and_saveexec_b64 s[0:1], s[2:3]
.LBB23_303:
	; divergent unreachable
.LBB23_304:
	s_endpgm
.LBB23_305:
	s_and_saveexec_b64 s[2:3], s[6:7]
	s_xor_b64 s[2:3], exec, s[2:3]
	s_cbranch_execz .LBB23_325
; %bb.306:
	s_and_saveexec_b64 s[6:7], s[4:5]
	s_xor_b64 s[4:5], exec, s[6:7]
; %bb.307:
	v_xor_b32_e32 v37, 0x80000000, v56
; %bb.308:
	s_or_b64 exec, exec, s[4:5]
	s_mov_b64 s[4:5], exec
	v_readlane_b32 s6, v59, 8
	v_readlane_b32 s7, v59, 9
	s_and_b64 s[6:7], s[4:5], s[6:7]
	s_mov_b64 exec, s[6:7]
; %bb.309:
	v_mov_b32_e32 v2, 0
	v_mov_b32_e32 v3, s60
	ds_write_b32 v2, v3 offset:5140
; %bb.310:
	s_or_b64 exec, exec, s[4:5]
	s_waitcnt lgkmcnt(0)
	s_barrier
	s_mov_b64 s[4:5], exec
	v_readlane_b32 s6, v59, 16
	v_readlane_b32 s7, v59, 17
	s_and_b64 s[6:7], s[4:5], s[6:7]
	s_mov_b64 exec, s[6:7]
	s_cbranch_execz .LBB23_322
; %bb.311:
	v_mov_b32_e32 v2, 0
	ds_read_b32 v4, v2 offset:5140
	s_mov_b64 s[6:7], 0
                                        ; implicit-def: $sgpr8_sgpr9
                                        ; implicit-def: $sgpr10_sgpr11
                                        ; implicit-def: $sgpr12_sgpr13
	s_waitcnt lgkmcnt(0)
	v_ashrrev_i32_e32 v5, 31, v4
	s_branch .LBB23_314
.LBB23_312:                             ;   in Loop: Header=BB23_314 Depth=1
	s_or_b64 exec, exec, s[20:21]
	s_andn2_b64 s[12:13], s[12:13], exec
	s_and_b64 s[18:19], s[18:19], exec
	s_andn2_b64 s[10:11], s[10:11], exec
	s_and_b64 s[16:17], s[16:17], exec
	s_or_b64 s[12:13], s[12:13], s[18:19]
	s_or_b64 s[10:11], s[10:11], s[16:17]
.LBB23_313:                             ;   in Loop: Header=BB23_314 Depth=1
	s_or_b64 exec, exec, s[14:15]
	s_and_b64 s[14:15], exec, s[10:11]
	s_or_b64 s[6:7], s[14:15], s[6:7]
	s_andn2_b64 s[8:9], s[8:9], exec
	s_and_b64 s[14:15], s[12:13], exec
	s_or_b64 s[8:9], s[8:9], s[14:15]
	s_andn2_b64 exec, exec, s[6:7]
	s_cbranch_execz .LBB23_317
.LBB23_314:                             ; =>This Inner Loop Header: Depth=1
	v_mov_b64_e32 v[2:3], v[0:1]
	v_cmp_lt_i64_e32 vcc, v[2:3], v[4:5]
	s_or_b64 s[12:13], s[12:13], exec
	s_or_b64 s[10:11], s[10:11], exec
                                        ; implicit-def: $vgpr0_vgpr1
	s_and_saveexec_b64 s[14:15], vcc
	s_cbranch_execz .LBB23_313
; %bb.315:                              ;   in Loop: Header=BB23_314 Depth=1
	global_load_dword v0, v[14:15], off
	s_mov_b64 s[16:17], -1
	s_mov_b64 s[18:19], 0
	s_waitcnt vmcnt(0)
	v_cmp_ne_u32_e32 vcc, v0, v37
                                        ; implicit-def: $vgpr0_vgpr1
	s_and_saveexec_b64 s[20:21], vcc
	s_cbranch_execz .LBB23_312
; %bb.316:                              ;   in Loop: Header=BB23_314 Depth=1
	v_lshl_add_u64 v[0:1], v[2:3], 0, s[80:81]
	v_cmp_le_i64_e32 vcc, s[60:61], v[0:1]
	s_mov_b64 s[18:19], exec
	v_lshl_add_u64 v[14:15], v[14:15], 0, s[88:89]
	s_orn2_b64 s[16:17], vcc, exec
	s_branch .LBB23_312
.LBB23_317:
	s_or_b64 exec, exec, s[6:7]
	s_xor_b64 s[6:7], s[8:9], -1
	s_and_saveexec_b64 s[8:9], s[6:7]
	s_xor_b64 s[8:9], exec, s[8:9]
	s_cbranch_execz .LBB23_322
; %bb.318:
	s_mov_b64 s[6:7], exec
	s_brev_b32 s8, -2
.LBB23_319:                             ; =>This Inner Loop Header: Depth=1
	s_ff1_i32_b64 s9, s[6:7]
	v_readlane_b32 s12, v2, s9
	s_lshl_b64 s[10:11], 1, s9
	s_min_i32 s8, s8, s12
	s_andn2_b64 s[6:7], s[6:7], s[10:11]
	s_cmp_lg_u64 s[6:7], 0
	s_cbranch_scc1 .LBB23_319
; %bb.320:
	v_mbcnt_lo_u32_b32 v0, exec_lo, 0
	v_mbcnt_hi_u32_b32 v0, exec_hi, v0
	v_cmp_eq_u32_e32 vcc, 0, v0
	s_and_saveexec_b64 s[6:7], vcc
	s_xor_b64 s[6:7], exec, s[6:7]
; %bb.321:
	v_mov_b32_e32 v0, 0
	v_mov_b32_e32 v1, s8
	ds_min_i32 v0, v1 offset:5140
.LBB23_322:
	s_or_b64 exec, exec, s[4:5]
	s_waitcnt lgkmcnt(0)
	s_barrier
	s_mov_b64 s[4:5], exec
	v_readlane_b32 s6, v59, 8
	v_readlane_b32 s7, v59, 9
	s_and_b64 s[6:7], s[4:5], s[6:7]
	s_mov_b64 exec, s[6:7]
	s_cbranch_execz .LBB23_324
; %bb.323:
	v_readlane_b32 s8, v59, 0
	v_readlane_b32 s9, v59, 1
	s_mul_i32 s6, s8, s65
	s_mul_hi_u32 s7, s8, s64
	s_add_i32 s6, s7, s6
	s_mul_i32 s7, s9, s64
	v_readlane_b32 s10, v59, 2
	s_add_i32 s7, s6, s7
	s_mul_i32 s6, s8, s64
	v_readlane_b32 s11, v59, 3
	s_mul_i32 s8, s10, s73
	s_mul_hi_u32 s9, s10, s72
	s_add_i32 s8, s9, s8
	s_mul_i32 s9, s11, s72
	s_add_i32 s9, s8, s9
	s_mul_i32 s8, s10, s72
	s_lshl_b64 s[6:7], s[6:7], 2
	v_readlane_b32 s10, v59, 4
	v_readlane_b32 s11, v59, 5
	s_add_u32 s10, s10, s6
	s_addc_u32 s11, s11, s7
	s_lshl_b64 s[6:7], s[58:59], 2
	v_mov_b32_e32 v2, 0
	s_add_u32 s6, s10, s6
	ds_read_b32 v0, v2 offset:5140
	s_addc_u32 s7, s11, s7
	s_lshl_b64 s[8:9], s[8:9], 3
	v_readlane_b32 s10, v59, 6
	v_readlane_b32 s11, v59, 7
	s_add_u32 s10, s10, s8
	s_addc_u32 s11, s11, s9
	s_lshl_b64 s[8:9], s[68:69], 3
	s_add_u32 s8, s10, s8
	s_addc_u32 s9, s11, s9
	s_waitcnt lgkmcnt(0)
	v_ashrrev_i32_e32 v1, 31, v0
	global_store_dwordx2 v2, v[0:1], s[8:9]
	global_store_dword v2, v37, s[6:7]
.LBB23_324:
	s_or_b64 exec, exec, s[4:5]
.LBB23_325:
	s_or_saveexec_b64 s[2:3], s[2:3]
	s_mov_b64 s[4:5], 0
	s_xor_b64 exec, exec, s[2:3]
	s_cbranch_execnz .LBB23_328
.LBB23_326:
	s_or_b64 exec, exec, s[2:3]
	s_and_b64 s[2:3], s[4:5], exec
	s_andn2_saveexec_b64 s[0:1], s[0:1]
	s_cbranch_execz .LBB23_302
.LBB23_327:
	s_or_b64 s[2:3], s[2:3], exec
	s_trap 2
	s_or_b64 exec, exec, s[0:1]
	s_and_saveexec_b64 s[0:1], s[2:3]
	s_cbranch_execnz .LBB23_303
	s_branch .LBB23_304
.LBB23_328:
	s_mov_b64 s[4:5], exec
	s_trap 2
	s_branch .LBB23_326
	.section	.rodata,"a",@progbits
	.p2align	6, 0x0
	.amdhsa_kernel _ZN2at6native12_GLOBAL__N_114gatherKthValueIilLin1EEEvNS_4cuda6detail10TensorInfoIKT_T0_EES8_S8_S8_S8_NS5_IS6_S8_EENS5_IlS8_EE
		.amdhsa_group_segment_fixed_size 5144
		.amdhsa_private_segment_fixed_size 0
		.amdhsa_kernarg_size 1536
		.amdhsa_user_sgpr_count 2
		.amdhsa_user_sgpr_dispatch_ptr 0
		.amdhsa_user_sgpr_queue_ptr 0
		.amdhsa_user_sgpr_kernarg_segment_ptr 1
		.amdhsa_user_sgpr_dispatch_id 0
		.amdhsa_user_sgpr_kernarg_preload_length 0
		.amdhsa_user_sgpr_kernarg_preload_offset 0
		.amdhsa_user_sgpr_private_segment_size 0
		.amdhsa_uses_dynamic_stack 0
		.amdhsa_enable_private_segment 0
		.amdhsa_system_sgpr_workgroup_id_x 1
		.amdhsa_system_sgpr_workgroup_id_y 1
		.amdhsa_system_sgpr_workgroup_id_z 1
		.amdhsa_system_sgpr_workgroup_info 0
		.amdhsa_system_vgpr_workitem_id 0
		.amdhsa_next_free_vgpr 66
		.amdhsa_next_free_sgpr 100
		.amdhsa_accum_offset 68
		.amdhsa_reserve_vcc 1
		.amdhsa_float_round_mode_32 0
		.amdhsa_float_round_mode_16_64 0
		.amdhsa_float_denorm_mode_32 3
		.amdhsa_float_denorm_mode_16_64 3
		.amdhsa_dx10_clamp 1
		.amdhsa_ieee_mode 1
		.amdhsa_fp16_overflow 0
		.amdhsa_tg_split 0
		.amdhsa_exception_fp_ieee_invalid_op 0
		.amdhsa_exception_fp_denorm_src 0
		.amdhsa_exception_fp_ieee_div_zero 0
		.amdhsa_exception_fp_ieee_overflow 0
		.amdhsa_exception_fp_ieee_underflow 0
		.amdhsa_exception_fp_ieee_inexact 0
		.amdhsa_exception_int_div_zero 0
	.end_amdhsa_kernel
	.section	.text._ZN2at6native12_GLOBAL__N_114gatherKthValueIilLin1EEEvNS_4cuda6detail10TensorInfoIKT_T0_EES8_S8_S8_S8_NS5_IS6_S8_EENS5_IlS8_EE,"axG",@progbits,_ZN2at6native12_GLOBAL__N_114gatherKthValueIilLin1EEEvNS_4cuda6detail10TensorInfoIKT_T0_EES8_S8_S8_S8_NS5_IS6_S8_EENS5_IlS8_EE,comdat
.Lfunc_end23:
	.size	_ZN2at6native12_GLOBAL__N_114gatherKthValueIilLin1EEEvNS_4cuda6detail10TensorInfoIKT_T0_EES8_S8_S8_S8_NS5_IS6_S8_EENS5_IlS8_EE, .Lfunc_end23-_ZN2at6native12_GLOBAL__N_114gatherKthValueIilLin1EEEvNS_4cuda6detail10TensorInfoIKT_T0_EES8_S8_S8_S8_NS5_IS6_S8_EENS5_IlS8_EE
                                        ; -- End function
	.set _ZN2at6native12_GLOBAL__N_114gatherKthValueIilLin1EEEvNS_4cuda6detail10TensorInfoIKT_T0_EES8_S8_S8_S8_NS5_IS6_S8_EENS5_IlS8_EE.num_vgpr, 66
	.set _ZN2at6native12_GLOBAL__N_114gatherKthValueIilLin1EEEvNS_4cuda6detail10TensorInfoIKT_T0_EES8_S8_S8_S8_NS5_IS6_S8_EENS5_IlS8_EE.num_agpr, 0
	.set _ZN2at6native12_GLOBAL__N_114gatherKthValueIilLin1EEEvNS_4cuda6detail10TensorInfoIKT_T0_EES8_S8_S8_S8_NS5_IS6_S8_EENS5_IlS8_EE.numbered_sgpr, 100
	.set _ZN2at6native12_GLOBAL__N_114gatherKthValueIilLin1EEEvNS_4cuda6detail10TensorInfoIKT_T0_EES8_S8_S8_S8_NS5_IS6_S8_EENS5_IlS8_EE.num_named_barrier, 0
	.set _ZN2at6native12_GLOBAL__N_114gatherKthValueIilLin1EEEvNS_4cuda6detail10TensorInfoIKT_T0_EES8_S8_S8_S8_NS5_IS6_S8_EENS5_IlS8_EE.private_seg_size, 0
	.set _ZN2at6native12_GLOBAL__N_114gatherKthValueIilLin1EEEvNS_4cuda6detail10TensorInfoIKT_T0_EES8_S8_S8_S8_NS5_IS6_S8_EENS5_IlS8_EE.uses_vcc, 1
	.set _ZN2at6native12_GLOBAL__N_114gatherKthValueIilLin1EEEvNS_4cuda6detail10TensorInfoIKT_T0_EES8_S8_S8_S8_NS5_IS6_S8_EENS5_IlS8_EE.uses_flat_scratch, 0
	.set _ZN2at6native12_GLOBAL__N_114gatherKthValueIilLin1EEEvNS_4cuda6detail10TensorInfoIKT_T0_EES8_S8_S8_S8_NS5_IS6_S8_EENS5_IlS8_EE.has_dyn_sized_stack, 0
	.set _ZN2at6native12_GLOBAL__N_114gatherKthValueIilLin1EEEvNS_4cuda6detail10TensorInfoIKT_T0_EES8_S8_S8_S8_NS5_IS6_S8_EENS5_IlS8_EE.has_recursion, 0
	.set _ZN2at6native12_GLOBAL__N_114gatherKthValueIilLin1EEEvNS_4cuda6detail10TensorInfoIKT_T0_EES8_S8_S8_S8_NS5_IS6_S8_EENS5_IlS8_EE.has_indirect_call, 0
	.section	.AMDGPU.csdata,"",@progbits
; Kernel info:
; codeLenInByte = 19016
; TotalNumSgprs: 106
; NumVgprs: 66
; NumAgprs: 0
; TotalNumVgprs: 66
; ScratchSize: 0
; MemoryBound: 0
; FloatMode: 240
; IeeeMode: 1
; LDSByteSize: 5144 bytes/workgroup (compile time only)
; SGPRBlocks: 13
; VGPRBlocks: 8
; NumSGPRsForWavesPerEU: 106
; NumVGPRsForWavesPerEU: 66
; AccumOffset: 68
; Occupancy: 7
; WaveLimiterHint : 1
; COMPUTE_PGM_RSRC2:SCRATCH_EN: 0
; COMPUTE_PGM_RSRC2:USER_SGPR: 2
; COMPUTE_PGM_RSRC2:TRAP_HANDLER: 0
; COMPUTE_PGM_RSRC2:TGID_X_EN: 1
; COMPUTE_PGM_RSRC2:TGID_Y_EN: 1
; COMPUTE_PGM_RSRC2:TGID_Z_EN: 1
; COMPUTE_PGM_RSRC2:TIDIG_COMP_CNT: 0
; COMPUTE_PGM_RSRC3_GFX90A:ACCUM_OFFSET: 16
; COMPUTE_PGM_RSRC3_GFX90A:TG_SPLIT: 0
	.section	.text._ZN2at6native12_GLOBAL__N_114gatherKthValueIliLi1EEEvNS_4cuda6detail10TensorInfoIKT_T0_EES8_S8_S8_S8_NS5_IS6_S8_EENS5_IlS8_EE,"axG",@progbits,_ZN2at6native12_GLOBAL__N_114gatherKthValueIliLi1EEEvNS_4cuda6detail10TensorInfoIKT_T0_EES8_S8_S8_S8_NS5_IS6_S8_EENS5_IlS8_EE,comdat
	.globl	_ZN2at6native12_GLOBAL__N_114gatherKthValueIliLi1EEEvNS_4cuda6detail10TensorInfoIKT_T0_EES8_S8_S8_S8_NS5_IS6_S8_EENS5_IlS8_EE ; -- Begin function _ZN2at6native12_GLOBAL__N_114gatherKthValueIliLi1EEEvNS_4cuda6detail10TensorInfoIKT_T0_EES8_S8_S8_S8_NS5_IS6_S8_EENS5_IlS8_EE
	.p2align	8
	.type	_ZN2at6native12_GLOBAL__N_114gatherKthValueIliLi1EEEvNS_4cuda6detail10TensorInfoIKT_T0_EES8_S8_S8_S8_NS5_IS6_S8_EENS5_IlS8_EE,@function
_ZN2at6native12_GLOBAL__N_114gatherKthValueIliLi1EEEvNS_4cuda6detail10TensorInfoIKT_T0_EES8_S8_S8_S8_NS5_IS6_S8_EENS5_IlS8_EE: ; @_ZN2at6native12_GLOBAL__N_114gatherKthValueIliLi1EEEvNS_4cuda6detail10TensorInfoIKT_T0_EES8_S8_S8_S8_NS5_IS6_S8_EENS5_IlS8_EE
; %bb.0:
	s_load_dwordx2 s[12:13], s[0:1], 0x298
	s_load_dwordx4 s[60:63], s[0:1], 0xd8
	s_add_u32 s10, s0, 0x298
	s_addc_u32 s11, s1, 0
	s_waitcnt lgkmcnt(0)
	s_mul_i32 s4, s13, s4
	s_add_i32 s3, s4, s3
	s_mul_i32 s3, s3, s12
	s_add_i32 s13, s3, s2
	s_cmp_ge_i32 s13, s62
	s_cbranch_scc1 .LBB24_238
; %bb.1:
	s_load_dwordx2 s[4:5], s[0:1], 0x1c0
                                        ; implicit-def: $vgpr60 : SGPR spill to VGPR lane
	v_cmp_eq_u32_e64 s[18:19], 0, v0
	s_waitcnt lgkmcnt(0)
	v_writelane_b32 v60, s4, 0
	s_nop 1
	v_writelane_b32 v60, s5, 1
	s_load_dwordx2 s[4:5], s[0:1], 0xe8
	s_waitcnt lgkmcnt(0)
	v_writelane_b32 v60, s4, 2
	s_nop 1
	v_writelane_b32 v60, s5, 3
	s_load_dword s3, s[0:1], 0x6c
	s_load_dwordx2 s[4:5], s[0:1], 0x0
	s_and_saveexec_b64 s[6:7], s[18:19]
; %bb.2:
	v_mov_b32_e32 v2, 0
	v_mov_b32_e32 v3, s60
	;; [unrolled: 1-line block ×3, first 2 shown]
	ds_write_b96 v2, v[2:4] offset:4096
; %bb.3:
	s_or_b64 exec, exec, s[6:7]
	s_load_dword s6, s[0:1], 0x22c
                                        ; kill: killed $sgpr0 killed $sgpr1
	s_waitcnt lgkmcnt(0)
	s_barrier
	v_mbcnt_lo_u32_b32 v1, -1, 0
	v_writelane_b32 v60, s6, 4
	s_load_dword s6, s[0:1], 0x154
	s_mul_i32 s0, s3, s13
	s_load_dword s3, s[10:11], 0xc
	s_ashr_i32 s1, s0, 31
	s_lshl_b64 s[0:1], s[0:1], 3
	s_add_u32 s68, s4, s0
	s_addc_u32 s69, s5, s1
	s_waitcnt lgkmcnt(0)
	s_and_b32 s62, s3, 0xffff
	v_mbcnt_hi_u32_b32 v34, -1, v1
	v_writelane_b32 v60, s6, 5
	v_cmp_gt_u32_e32 vcc, 64, v0
	v_cmp_gt_i32_e64 s[4:5], 4, v34
	s_add_i32 s6, s62, -1
	s_lshl_b32 s70, s62, 2
	s_and_b64 s[72:73], vcc, s[4:5]
	s_add_i32 s79, s6, s60
	s_cmpk_gt_i32 s60, 0x180
	v_writelane_b32 v60, s13, 6
	s_cselect_b64 s[74:75], -1, 0
	s_cmp_gt_u32 s62, 63
	v_writelane_b32 v60, s6, 7
	v_cmp_gt_i32_e64 s[8:9], s60, v0
	s_cselect_b64 s[76:77], -1, 0
	s_cmp_lt_u32 s2, s12
	v_writelane_b32 v60, s8, 8
	s_cselect_b32 s2, 12, 18
	v_lshlrev_b64 v[2:3], v34, -1
	v_writelane_b32 v60, s9, 9
	s_add_u32 s8, s10, s2
	s_addc_u32 s9, s11, 0
	v_writelane_b32 v60, s8, 10
	v_not_b32_e32 v22, v2
	v_lshrrev_b32_e32 v2, 2, v0
	v_writelane_b32 v60, s9, 11
	s_bfe_u32 s8, s3, 0xa0006
	s_add_i32 s2, s8, -2
	s_lshr_b32 s3, s2, 1
	s_add_i32 s3, s3, 1
	s_cmpk_gt_u32 s62, 0x7f
	v_and_b32_e32 v2, 0xf0, v2
	s_cselect_b64 s[10:11], -1, 0
	v_or_b32_e32 v37, 0xc00, v2
	v_writelane_b32 v60, s10, 12
	v_cvt_f32_u32_e32 v2, s70
	s_and_b32 s9, s8, 0x3fe
	v_writelane_b32 v60, s11, 13
	s_and_b32 s10, s3, 7
	s_cmp_gt_u32 s2, 13
	s_cselect_b64 s[12:13], -1, 0
	v_writelane_b32 v60, s12, 14
	v_rcp_iflag_f32_e32 v2, v2
	s_and_b32 s2, s3, -8
	v_writelane_b32 v60, s13, 15
	v_writelane_b32 v60, s2, 16
	s_cmp_lg_u32 s10, 0
	v_writelane_b32 v60, s10, 17
	s_cselect_b64 s[2:3], -1, 0
	v_writelane_b32 v60, s2, 18
	v_mul_f32_e32 v2, 0x4f7ffffe, v2
	v_cvt_u32_f32_e32 v2, v2
	v_writelane_b32 v60, s3, 19
	v_writelane_b32 v60, s8, 20
	s_cmp_lg_u32 s9, s8
	v_writelane_b32 v60, s9, 21
	s_cselect_b64 s[2:3], -1, 0
	v_writelane_b32 v60, s2, 22
	v_not_b32_e32 v1, v3
	v_cvt_f32_u32_e32 v3, s62
	v_writelane_b32 v60, s3, 23
	s_sub_i32 s2, 0, s70
	v_readfirstlane_b32 s3, v2
	s_mul_i32 s2, s2, s3
	s_mul_hi_u32 s2, s3, s2
	s_add_i32 s8, s3, s2
	s_mul_hi_u32 s2, s60, s8
	s_mul_i32 s2, s2, s70
	s_sub_i32 s2, s60, s2
	s_sub_i32 s3, s2, s70
	s_cmp_ge_u32 s2, s70
	s_cselect_b32 s2, s3, s2
	s_sub_i32 s3, s2, s70
	s_cmp_ge_u32 s2, s70
	s_cselect_b32 s2, s3, s2
	s_sub_i32 s9, s60, s2
	v_rcp_iflag_f32_e32 v5, v3
	v_add_u32_e32 v38, s9, v0
	v_mul_lo_u32 v2, v38, s63
	v_ashrrev_i32_e32 v3, 31, v2
	v_lshl_add_u64 v[24:25], v[2:3], 3, s[68:69]
	v_mul_f32_e32 v2, 0x4f7ffffe, v5
	v_cvt_u32_f32_e32 v2, v2
	s_sub_i32 s17, 0, s62
	s_abs_i32 s16, s79
	s_ashr_i32 s3, s79, 31
	v_readfirstlane_b32 s20, v2
	s_mul_i32 s17, s17, s20
	s_mul_hi_u32 s17, s20, s17
	s_add_i32 s17, s20, s17
	v_writelane_b32 v60, s17, 24
	s_mul_hi_u32 s17, s16, s17
	s_mul_i32 s17, s17, s62
	s_sub_i32 s16, s16, s17
	s_sub_i32 s17, s16, s62
	s_cmp_ge_u32 s16, s62
	s_cselect_b32 s16, s17, s16
	s_sub_i32 s17, s16, s62
	s_cmp_ge_u32 s16, s62
	s_cselect_b32 s16, s17, s16
	v_lshlrev_b32_e32 v23, 2, v0
	s_xor_b32 s16, s16, s3
	s_sub_i32 s3, s3, s16
	v_mul_lo_u32 v2, s63, v23
	s_add_i32 s79, s79, s3
	v_add_u32_e32 v39, s63, v2
	v_or_b32_e32 v2, 2, v23
	v_cmp_gt_i32_e64 s[16:17], s79, v0
	v_mul_lo_u32 v40, s63, v2
	v_or_b32_e32 v2, 3, v23
	s_add_i32 s3, s62, s60
	v_mov_b32_e32 v19, 0
	v_writelane_b32 v60, s16, 25
	v_mul_lo_u32 v41, s63, v2
	v_add_u32_e32 v2, s3, v0
	v_lshlrev_b32_e32 v35, 3, v0
	v_mul_lo_u32 v16, s63, v0
	v_mov_b32_e32 v17, v19
	v_lshlrev_b32_e32 v4, 2, v34
	s_mov_b32 s22, 0
	s_mov_b32 s23, 1
	v_writelane_b32 v60, s17, 26
	s_mul_i32 s33, s63, s62
	v_subrev_u32_e32 v2, s2, v2
	v_cmp_eq_u32_e64 s[0:1], 0, v34
	v_cmp_gt_u32_e64 s[4:5], 2, v0
	v_add_u32_e32 v36, 0xc00, v35
	v_cmp_gt_u32_e64 s[6:7], s60, v0
	v_lshl_add_u64 v[20:21], v[16:17], 3, s[68:69]
	v_and_b32_e32 v17, 0x100, v4
	v_cmp_gt_i32_e64 s[10:11], s9, v23
	v_cmp_gt_u32_e64 s[12:13], s60, v38
	v_cmp_gt_i32_e64 s[14:15], s60, v38
	s_lshl_b32 s80, s33, 2
	v_lshlrev_b32_e32 v42, 2, v16
	v_mul_lo_u32 v43, s63, v2
	v_lshlrev_b32_e32 v44, 5, v0
	s_lshl_b32 s81, s62, 5
	s_lshl_b32 s16, s62, 3
	v_or_b32_e32 v45, 0xc00, v4
	s_mov_b32 s17, 62
	s_mov_b64 s[88:89], 0
	v_mov_b64_e32 v[6:7], 0
	v_mov_b32_e32 v47, s61
	v_mov_b64_e32 v[26:27], 0
	v_mov_b64_e32 v[28:29], 0
	v_mov_b32_e32 v49, s60
	v_mov_b32_e32 v2, 1
	;; [unrolled: 1-line block ×5, first 2 shown]
	v_writelane_b32 v60, s22, 27
	s_mov_b32 s61, s22
                                        ; implicit-def: $sgpr90_sgpr91
                                        ; implicit-def: $sgpr94_sgpr95
                                        ; implicit-def: $sgpr92_sgpr93
                                        ; implicit-def: $sgpr98_sgpr99
                                        ; implicit-def: $sgpr64_sgpr65
                                        ; implicit-def: $sgpr96_sgpr97
	s_nop 0
	v_writelane_b32 v60, s23, 28
	s_branch .LBB24_7
.LBB24_4:                               ;   in Loop: Header=BB24_7 Depth=1
	s_or_b64 exec, exec, s[30:31]
	s_and_b64 s[24:25], s[24:25], exec
	s_andn2_b64 s[28:29], s[28:29], exec
	s_andn2_b64 s[26:27], s[26:27], exec
	s_orn2_b64 s[22:23], s[22:23], exec
.LBB24_5:                               ;   in Loop: Header=BB24_7 Depth=1
	s_or_b64 exec, exec, s[2:3]
	s_andn2_b64 s[2:3], s[96:97], exec
	s_and_b64 s[24:25], s[24:25], exec
	s_or_b64 s[96:97], s[2:3], s[24:25]
	s_andn2_b64 s[2:3], s[64:65], exec
	s_and_b64 s[24:25], s[28:29], exec
	s_or_b64 s[64:65], s[2:3], s[24:25]
	;; [unrolled: 3-line block ×3, first 2 shown]
	s_orn2_b64 s[22:23], s[22:23], exec
.LBB24_6:                               ;   in Loop: Header=BB24_7 Depth=1
	s_or_b64 exec, exec, s[20:21]
	s_and_b64 s[2:3], exec, s[22:23]
	s_or_b64 s[88:89], s[2:3], s[88:89]
	s_andn2_b64 s[2:3], s[92:93], exec
	s_and_b64 s[20:21], s[96:97], exec
	s_or_b64 s[92:93], s[2:3], s[20:21]
	s_andn2_b64 s[2:3], s[94:95], exec
	s_and_b64 s[20:21], s[64:65], exec
	;; [unrolled: 3-line block ×3, first 2 shown]
	s_or_b64 s[90:91], s[2:3], s[20:21]
	s_mov_b32 s61, s37
	s_mov_b32 s17, s36
	v_mov_b32_e32 v47, v11
	s_andn2_b64 exec, exec, s[88:89]
	s_cbranch_execz .LBB24_234
.LBB24_7:                               ; =>This Loop Header: Depth=1
                                        ;     Child Loop BB24_13 Depth 2
                                        ;     Child Loop BB24_28 Depth 2
	;; [unrolled: 1-line block ×17, first 2 shown]
	s_waitcnt vmcnt(0)
	ds_read_b64 v[4:5], v19 offset:4096
	s_waitcnt lgkmcnt(0)
	v_readfirstlane_b32 s71, v4
	s_cmp_gt_i32 s71, 0
	s_cbranch_scc1 .LBB24_35
; %bb.8:                                ;   in Loop: Header=BB24_7 Depth=1
	s_and_b64 vcc, exec, s[74:75]
	s_cbranch_vccz .LBB24_21
; %bb.9:                                ;   in Loop: Header=BB24_7 Depth=1
	s_movk_i32 s2, 0x181
	v_cmp_gt_i32_e32 vcc, s2, v5
	s_mov_b64 s[20:21], 0
	s_mov_b64 s[2:3], 0
	s_cbranch_vccz .LBB24_22
; %bb.10:                               ;   in Loop: Header=BB24_7 Depth=1
	s_and_saveexec_b64 s[22:23], s[6:7]
	s_cbranch_execz .LBB24_67
; %bb.11:                               ;   in Loop: Header=BB24_7 Depth=1
	v_readlane_b32 s2, v60, 10
	v_readlane_b32 s3, v60, 11
	s_nop 4
	global_load_ushort v3, v19, s[2:3]
	global_load_dwordx2 v[4:5], v[20:21], off
	s_mov_b64 s[24:25], 0
	v_mov_b32_e32 v11, v0
	s_waitcnt vmcnt(1)
	v_add_u32_e32 v8, v0, v3
	v_mul_lo_u32 v10, s63, v3
	v_mul_lo_u32 v18, s63, v8
	s_branch .LBB24_13
.LBB24_12:                              ;   in Loop: Header=BB24_13 Depth=2
	s_or_b64 exec, exec, s[2:3]
	v_cmp_le_i32_e32 vcc, s60, v11
	v_add_u32_e32 v18, v18, v10
	s_or_b64 s[24:25], vcc, s[24:25]
	v_mov_b64_e32 v[4:5], v[8:9]
	s_andn2_b64 exec, exec, s[24:25]
	s_cbranch_execz .LBB24_67
.LBB24_13:                              ;   Parent Loop BB24_7 Depth=1
                                        ; =>  This Inner Loop Header: Depth=2
	v_add_u32_e32 v11, v11, v3
	v_cmp_gt_u32_e32 vcc, s60, v11
	v_mov_b64_e32 v[8:9], 0
	s_and_saveexec_b64 s[2:3], vcc
	s_cbranch_execz .LBB24_15
; %bb.14:                               ;   in Loop: Header=BB24_13 Depth=2
	v_lshl_add_u64 v[8:9], v[18:19], 3, s[68:69]
	global_load_dwordx2 v[8:9], v[8:9], off
.LBB24_15:                              ;   in Loop: Header=BB24_13 Depth=2
	s_or_b64 exec, exec, s[2:3]
	s_waitcnt vmcnt(0) lgkmcnt(0)
	v_xor_b32_e32 v12, 0x80000000, v5
	v_and_b32_e32 v13, v12, v29
	v_and_b32_e32 v12, v4, v28
	v_cmp_eq_u64_e32 vcc, v[12:13], v[26:27]
	s_cmp_lg_u64 vcc, 0
	s_cselect_b64 s[2:3], -1, 0
	s_and_b64 s[2:3], s[0:1], s[2:3]
	v_mov_b32_e32 v12, 0
	s_and_saveexec_b64 s[26:27], s[2:3]
	s_cbranch_execz .LBB24_19
; %bb.16:                               ;   in Loop: Header=BB24_13 Depth=2
	s_mov_b64 s[30:31], exec
	v_mbcnt_lo_u32_b32 v12, s30, 0
	v_mbcnt_hi_u32_b32 v12, s31, v12
	s_bcnt1_i32_b64 s34, vcc
	v_cmp_eq_u32_e64 s[2:3], 0, v12
                                        ; implicit-def: $vgpr13
	s_and_saveexec_b64 s[28:29], s[2:3]
; %bb.17:                               ;   in Loop: Header=BB24_13 Depth=2
	s_bcnt1_i32_b64 s2, s[30:31]
	s_mul_i32 s2, s34, s2
	v_mov_b32_e32 v13, s2
	ds_add_rtn_u32 v13, v19, v13 offset:4104
; %bb.18:                               ;   in Loop: Header=BB24_13 Depth=2
	s_or_b64 exec, exec, s[28:29]
	s_waitcnt lgkmcnt(0)
	v_readfirstlane_b32 s2, v13
	s_nop 1
	v_mov_b32_e32 v13, s2
	v_mad_u32_u24 v12, s34, v12, v13
.LBB24_19:                              ;   in Loop: Header=BB24_13 Depth=2
	s_or_b64 exec, exec, s[26:27]
	ds_bpermute_b32 v12, v17, v12
	s_and_saveexec_b64 s[2:3], vcc
	s_cbranch_execz .LBB24_12
; %bb.20:                               ;   in Loop: Header=BB24_13 Depth=2
	v_and_b32_e32 v14, vcc_lo, v22
	v_and_b32_e32 v13, vcc_hi, v1
	v_bcnt_u32_b32 v14, v14, 0
	v_bcnt_u32_b32 v13, v13, v14
	v_lshlrev_b32_e32 v13, 3, v13
	s_waitcnt lgkmcnt(0)
	v_lshl_add_u32 v12, v12, 3, v13
	ds_write_b64 v12, v[4:5]
	s_branch .LBB24_12
.LBB24_21:                              ;   in Loop: Header=BB24_7 Depth=1
	s_mov_b64 s[20:21], -1
	s_mov_b64 s[2:3], 0
.LBB24_22:                              ;   in Loop: Header=BB24_7 Depth=1
	s_and_b64 vcc, exec, s[20:21]
	s_cbranch_vccz .LBB24_33
.LBB24_23:                              ;   in Loop: Header=BB24_7 Depth=1
	v_mov_b64_e32 v[4:5], 0
	s_and_saveexec_b64 s[2:3], s[6:7]
	s_cbranch_execz .LBB24_25
; %bb.24:                               ;   in Loop: Header=BB24_7 Depth=1
	global_load_dwordx2 v[4:5], v[20:21], off
.LBB24_25:                              ;   in Loop: Header=BB24_7 Depth=1
	s_or_b64 exec, exec, s[2:3]
	s_mov_b64 s[2:3], exec
	v_readlane_b32 s20, v60, 8
	v_readlane_b32 s21, v60, 9
	s_and_b64 s[20:21], s[2:3], s[20:21]
	s_mov_b64 exec, s[20:21]
	s_cbranch_execz .LBB24_30
; %bb.26:                               ;   in Loop: Header=BB24_7 Depth=1
	v_readlane_b32 s20, v60, 10
	v_readlane_b32 s21, v60, 11
	v_mov_b32_e32 v10, v35
	v_mov_b32_e32 v13, v0
	s_nop 2
	global_load_ushort v3, v19, s[20:21]
	s_mov_b64 s[20:21], 0
	s_waitcnt vmcnt(0)
	v_add_u32_e32 v8, v0, v3
	v_lshlrev_b32_e32 v11, 3, v3
	v_mul_lo_u32 v12, s63, v3
	v_mul_lo_u32 v18, s63, v8
	s_branch .LBB24_28
.LBB24_27:                              ;   in Loop: Header=BB24_28 Depth=2
	s_or_b64 exec, exec, s[22:23]
	v_cmp_le_i32_e32 vcc, s60, v13
	ds_write_b64 v10, v[4:5]
	v_add_u32_e32 v10, v10, v11
	v_add_u32_e32 v18, v18, v12
	s_or_b64 s[20:21], vcc, s[20:21]
	s_waitcnt vmcnt(0)
	v_mov_b64_e32 v[4:5], v[8:9]
	s_andn2_b64 exec, exec, s[20:21]
	s_cbranch_execz .LBB24_30
.LBB24_28:                              ;   Parent Loop BB24_7 Depth=1
                                        ; =>  This Inner Loop Header: Depth=2
	v_add_u32_e32 v13, v13, v3
	v_cmp_gt_u32_e32 vcc, s60, v13
	v_mov_b64_e32 v[8:9], 0
	s_and_saveexec_b64 s[22:23], vcc
	s_cbranch_execz .LBB24_27
; %bb.29:                               ;   in Loop: Header=BB24_28 Depth=2
	v_lshl_add_u64 v[8:9], v[18:19], 3, s[68:69]
	global_load_dwordx2 v[8:9], v[8:9], off
	s_branch .LBB24_27
.LBB24_30:                              ;   in Loop: Header=BB24_7 Depth=1
	s_or_b64 exec, exec, s[2:3]
	s_waitcnt lgkmcnt(0)
	s_barrier
	s_and_saveexec_b64 s[2:3], s[18:19]
; %bb.31:                               ;   in Loop: Header=BB24_7 Depth=1
	ds_write_b32 v19, v49 offset:4096
; %bb.32:                               ;   in Loop: Header=BB24_7 Depth=1
	s_or_b64 exec, exec, s[2:3]
	s_mov_b64 s[2:3], -1
	s_waitcnt lgkmcnt(0)
	s_barrier
.LBB24_33:                              ;   in Loop: Header=BB24_7 Depth=1
	s_and_b64 vcc, exec, s[2:3]
	s_cbranch_vccz .LBB24_35
; %bb.34:                               ;   in Loop: Header=BB24_7 Depth=1
	ds_read_b32 v3, v19 offset:4096
	s_waitcnt lgkmcnt(0)
	v_readfirstlane_b32 s71, v3
.LBB24_35:                              ;   in Loop: Header=BB24_7 Depth=1
	s_cmp_lt_i32 s71, 1
	s_mov_b64 s[2:3], -1
                                        ; implicit-def: $vgpr10_vgpr11
	s_cbranch_scc1 .LBB24_45
; %bb.36:                               ;   in Loop: Header=BB24_7 Depth=1
	s_and_b64 vcc, exec, s[2:3]
	s_cbranch_vccnz .LBB24_58
.LBB24_37:                              ;   in Loop: Header=BB24_7 Depth=1
	s_lshl_b32 s22, s61, 6
	s_and_saveexec_b64 s[2:3], s[0:1]
.LBB24_38:                              ;   in Loop: Header=BB24_7 Depth=1
	v_lshl_add_u32 v3, s22, 2, v37
	ds_write_b128 v3, v[8:11]
.LBB24_39:                              ;   in Loop: Header=BB24_7 Depth=1
	s_or_b64 exec, exec, s[2:3]
	s_waitcnt lgkmcnt(0)
	s_barrier
	s_and_saveexec_b64 s[2:3], s[72:73]
	s_cbranch_execz .LBB24_78
; %bb.40:                               ;   in Loop: Header=BB24_7 Depth=1
	v_add_u32_e32 v3, s22, v34
	s_andn2_b64 vcc, exec, s[76:77]
	s_waitcnt vmcnt(0)
	v_mov_b32_e32 v4, 0
	s_cbranch_vccnz .LBB24_77
; %bb.41:                               ;   in Loop: Header=BB24_7 Depth=1
	v_readlane_b32 s20, v60, 12
	v_readlane_b32 s21, v60, 13
	s_andn2_b64 vcc, exec, s[20:21]
	s_cbranch_vccnz .LBB24_70
; %bb.42:                               ;   in Loop: Header=BB24_7 Depth=1
	v_readlane_b32 s20, v60, 14
	v_readlane_b32 s21, v60, 15
	s_andn2_b64 vcc, exec, s[20:21]
	v_lshl_add_u32 v8, v3, 2, v46
	s_cbranch_vccnz .LBB24_71
; %bb.43:                               ;   in Loop: Header=BB24_7 Depth=1
	s_mov_b32 s21, 1
	s_mov_b32 s20, 0
	v_mov_b32_e32 v4, 0
	v_mov_b32_e32 v5, 0
	v_readlane_b32 s23, v60, 16
.LBB24_44:                              ;   Parent Loop BB24_7 Depth=1
                                        ; =>  This Inner Loop Header: Depth=2
	v_lshl_add_u32 v9, s20, 4, v8
	v_lshl_add_u32 v18, s21, 4, v8
	ds_read2_b32 v[10:11], v9 offset1:8
	ds_read2_b32 v[12:13], v18 offset1:8
	ds_read2_b32 v[14:15], v9 offset0:16 offset1:24
	ds_read2_b32 v[30:31], v18 offset0:16 offset1:24
	;; [unrolled: 1-line block ×6, first 2 shown]
	s_waitcnt lgkmcnt(7)
	v_add3_u32 v4, v10, v4, v11
	s_waitcnt lgkmcnt(6)
	v_add3_u32 v5, v12, v5, v13
	;; [unrolled: 2-line block ×3, first 2 shown]
	v_add3_u32 v4, v14, v4, v15
	s_add_i32 s21, s21, 16
	s_add_i32 s20, s20, 16
	s_add_i32 s23, s23, -8
	s_waitcnt lgkmcnt(3)
	v_add3_u32 v4, v32, v4, v33
	s_waitcnt lgkmcnt(2)
	v_add3_u32 v5, v52, v5, v53
	s_cmp_lg_u32 s23, 0
	s_waitcnt lgkmcnt(0)
	v_add3_u32 v5, v56, v5, v57
	v_add3_u32 v4, v54, v4, v55
	s_cbranch_scc1 .LBB24_44
	s_branch .LBB24_72
.LBB24_45:                              ;   in Loop: Header=BB24_7 Depth=1
	v_mov_b32_e32 v18, v19
	v_mov_b64_e32 v[10:11], v[18:19]
	v_mov_b64_e32 v[8:9], v[18:19]
	s_and_saveexec_b64 s[66:67], s[10:11]
	s_cbranch_execnz .LBB24_48
; %bb.46:                               ;   in Loop: Header=BB24_7 Depth=1
	s_or_b64 exec, exec, s[66:67]
	v_mov_b64_e32 v[12:13], 0
	s_and_saveexec_b64 s[2:3], s[12:13]
	s_cbranch_execnz .LBB24_51
.LBB24_47:                              ;   in Loop: Header=BB24_7 Depth=1
	s_or_b64 exec, exec, s[2:3]
	s_and_saveexec_b64 s[20:21], s[14:15]
	s_cbranch_execnz .LBB24_52
	s_branch .LBB24_57
.LBB24_48:                              ;   in Loop: Header=BB24_7 Depth=1
	s_mov_b32 s78, 0
	s_mov_b64 s[82:83], 0
	v_mov_b32_e32 v3, v23
	s_mov_b32 s84, 0
	s_mov_b32 s85, s78
	s_mov_b32 s86, 0
	s_mov_b32 s87, s78
.LBB24_49:                              ;   Parent Loop BB24_7 Depth=1
                                        ; =>  This Inner Loop Header: Depth=2
	s_waitcnt vmcnt(0)
	v_add_u32_e32 v4, s78, v42
	v_add_u32_e32 v8, s78, v39
	v_add_u32_e32 v10, s78, v40
	v_add_u32_e32 v12, s78, v41
	v_ashrrev_i32_e32 v5, 31, v4
	v_ashrrev_i32_e32 v9, 31, v8
	;; [unrolled: 1-line block ×4, first 2 shown]
	v_lshl_add_u64 v[4:5], v[4:5], 3, s[68:69]
	v_lshl_add_u64 v[8:9], v[8:9], 3, s[68:69]
	;; [unrolled: 1-line block ×4, first 2 shown]
	global_load_dwordx2 v[4:5], v[4:5], off
	s_nop 0
	global_load_dwordx2 v[8:9], v[8:9], off
	s_nop 0
	;; [unrolled: 2-line block ×3, first 2 shown]
	global_load_dwordx2 v[12:13], v[12:13], off
	v_mov_b32_e32 v15, v19
	v_mov_b32_e32 v31, v19
	;; [unrolled: 1-line block ×3, first 2 shown]
	v_add_u32_e32 v3, s70, v3
	s_add_i32 s78, s78, s80
	v_cmp_le_i32_e32 vcc, s9, v3
	s_waitcnt vmcnt(3)
	v_xor_b32_e32 v5, 0x80000000, v5
	s_waitcnt vmcnt(2)
	v_xor_b32_e32 v9, 0x80000000, v9
	v_and_b32_e32 v52, v4, v28
	v_and_b32_e32 v53, v5, v29
	v_lshrrev_b64 v[4:5], s17, v[4:5]
	s_waitcnt vmcnt(1)
	v_xor_b32_e32 v11, 0x80000000, v11
	v_and_b32_e32 v54, v8, v28
	v_and_b32_e32 v55, v9, v29
	v_lshrrev_b64 v[8:9], s17, v[8:9]
	v_and_b32_e32 v18, 3, v4
	s_waitcnt vmcnt(0)
	v_xor_b32_e32 v13, 0x80000000, v13
	v_and_b32_e32 v56, v10, v28
	v_and_b32_e32 v57, v11, v29
	v_lshrrev_b64 v[10:11], s17, v[10:11]
	v_cmp_eq_u64_e64 s[2:3], v[52:53], v[26:27]
	v_and_b32_e32 v14, 3, v8
	v_cmp_eq_u64_e64 s[26:27], 0, v[18:19]
	v_and_b32_e32 v58, v12, v28
	v_and_b32_e32 v59, v13, v29
	v_lshrrev_b64 v[12:13], s17, v[12:13]
	v_cmp_eq_u64_e64 s[20:21], v[54:55], v[26:27]
	v_and_b32_e32 v30, 3, v10
	v_cmp_eq_u64_e64 s[28:29], 0, v[14:15]
	s_and_b64 s[26:27], s[2:3], s[26:27]
	v_cmp_eq_u64_e64 s[22:23], v[56:57], v[26:27]
	v_and_b32_e32 v32, 3, v12
	v_cmp_eq_u64_e64 s[30:31], 0, v[30:31]
	v_cndmask_b32_e64 v4, 0, 1, s[26:27]
	s_and_b64 s[26:27], s[20:21], s[28:29]
	v_cmp_eq_u64_e64 s[24:25], v[58:59], v[26:27]
	v_cmp_eq_u64_e64 s[34:35], 0, v[32:33]
	v_cndmask_b32_e64 v5, 0, 1, s[26:27]
	s_and_b64 s[26:27], s[22:23], s[30:31]
	v_cmp_eq_u64_e64 s[36:37], 1, v[18:19]
	v_cndmask_b32_e64 v8, 0, 1, s[26:27]
	s_and_b64 s[26:27], s[24:25], s[34:35]
	;; [unrolled: 3-line block ×5, first 2 shown]
	v_cmp_eq_u64_e64 s[44:45], 2, v[18:19]
	v_cmp_eq_u64_e64 s[52:53], 3, v[18:19]
	v_cndmask_b32_e64 v12, 0, 1, s[26:27]
	s_and_b64 s[26:27], s[24:25], s[42:43]
	v_cmp_eq_u64_e64 s[46:47], 2, v[14:15]
	v_cmp_eq_u64_e64 s[54:55], 3, v[14:15]
	v_cndmask_b32_e64 v13, 0, 1, s[26:27]
	s_and_b64 s[26:27], s[2:3], s[44:45]
	s_and_b64 s[2:3], s[2:3], s[52:53]
	v_cmp_eq_u64_e64 s[48:49], 2, v[30:31]
	v_cmp_eq_u64_e64 s[56:57], 3, v[30:31]
	v_cndmask_b32_e64 v14, 0, 1, s[26:27]
	s_and_b64 s[26:27], s[20:21], s[46:47]
	v_cndmask_b32_e64 v31, 0, 1, s[2:3]
	s_and_b64 s[2:3], s[20:21], s[54:55]
	v_cmp_eq_u64_e64 s[50:51], 2, v[32:33]
	v_cmp_eq_u64_e64 s[58:59], 3, v[32:33]
	v_cndmask_b32_e64 v15, 0, 1, s[26:27]
	s_and_b64 s[26:27], s[22:23], s[48:49]
	v_cndmask_b32_e64 v32, 0, 1, s[2:3]
	s_and_b64 s[2:3], s[22:23], s[56:57]
	v_cndmask_b32_e64 v18, 0, 1, s[26:27]
	s_and_b64 s[26:27], s[24:25], s[50:51]
	v_cndmask_b32_e64 v33, 0, 1, s[2:3]
	s_and_b64 s[2:3], s[24:25], s[58:59]
	v_cndmask_b32_e64 v30, 0, 1, s[26:27]
	v_cndmask_b32_e64 v48, 0, 1, s[2:3]
	v_cmp_ne_u32_e64 s[2:3], 0, v4
	v_cmp_ne_u32_e64 s[20:21], 0, v5
	;; [unrolled: 1-line block ×11, first 2 shown]
	s_bcnt1_i32_b64 s2, s[2:3]
	s_bcnt1_i32_b64 s3, s[20:21]
	;; [unrolled: 1-line block ×8, first 2 shown]
	v_cmp_ne_u32_e64 s[34:35], 0, v13
	v_cmp_ne_u32_e64 s[40:41], 0, v18
	;; [unrolled: 1-line block ×3, first 2 shown]
	s_bcnt1_i32_b64 s23, s[28:29]
	s_bcnt1_i32_b64 s27, s[38:39]
	;; [unrolled: 1-line block ×3, first 2 shown]
	s_add_i32 s2, s84, s2
	s_add_i32 s22, s85, s22
	;; [unrolled: 1-line block ×4, first 2 shown]
	v_cmp_ne_u32_e64 s[42:43], 0, v30
	v_cmp_ne_u32_e64 s[50:51], 0, v48
	s_bcnt1_i32_b64 s25, s[34:35]
	s_bcnt1_i32_b64 s28, s[40:41]
	;; [unrolled: 1-line block ×3, first 2 shown]
	s_add_i32 s22, s22, s23
	s_add_i32 s2, s2, s3
	;; [unrolled: 1-line block ×4, first 2 shown]
	s_bcnt1_i32_b64 s29, s[42:43]
	s_bcnt1_i32_b64 s35, s[50:51]
	s_add_i32 s2, s2, s20
	s_add_i32 s20, s22, s24
	;; [unrolled: 1-line block ×8, first 2 shown]
	s_or_b64 s[82:83], vcc, s[82:83]
	v_mov_b64_e32 v[8:9], s[84:85]
	v_mov_b64_e32 v[10:11], s[86:87]
	s_andn2_b64 exec, exec, s[82:83]
	s_cbranch_execnz .LBB24_49
; %bb.50:                               ;   in Loop: Header=BB24_7 Depth=1
	s_or_b64 exec, exec, s[82:83]
	s_or_b64 exec, exec, s[66:67]
	v_mov_b64_e32 v[12:13], 0
	s_and_saveexec_b64 s[2:3], s[12:13]
	s_cbranch_execz .LBB24_47
.LBB24_51:                              ;   in Loop: Header=BB24_7 Depth=1
	global_load_dwordx2 v[12:13], v[24:25], off
	s_or_b64 exec, exec, s[2:3]
	s_and_saveexec_b64 s[20:21], s[14:15]
	s_cbranch_execz .LBB24_57
.LBB24_52:                              ;   in Loop: Header=BB24_7 Depth=1
	s_mov_b64 s[22:23], 0
	s_waitcnt vmcnt(0)
	v_mov_b32_e32 v4, v43
	v_mov_b32_e32 v3, v38
	s_branch .LBB24_54
.LBB24_53:                              ;   in Loop: Header=BB24_54 Depth=2
	s_or_b64 exec, exec, s[2:3]
	v_xor_b32_e32 v13, 0x80000000, v13
	v_and_b32_e32 v31, v13, v29
	v_and_b32_e32 v30, v12, v28
	v_lshrrev_b64 v[12:13], s17, v[12:13]
	v_and_b32_e32 v18, 3, v12
	v_cmp_eq_u64_e32 vcc, v[30:31], v[26:27]
	v_cmp_eq_u64_e64 s[2:3], 0, v[18:19]
	s_and_b64 s[2:3], vcc, s[2:3]
	v_add_u32_e32 v4, s33, v4
	v_cndmask_b32_e64 v5, 0, 1, s[2:3]
	v_cmp_ne_u32_e64 s[2:3], 0, v5
	s_bcnt1_i32_b64 s24, s[2:3]
	v_cmp_eq_u64_e64 s[2:3], 1, v[18:19]
	s_and_b64 s[2:3], vcc, s[2:3]
	v_add_u32_e32 v8, s24, v8
	v_cndmask_b32_e64 v5, 0, 1, s[2:3]
	v_cmp_ne_u32_e64 s[2:3], 0, v5
	s_bcnt1_i32_b64 s2, s[2:3]
	s_waitcnt vmcnt(0)
	v_mov_b64_e32 v[12:13], v[14:15]
	v_add_u32_e32 v9, s2, v9
	v_cmp_eq_u64_e64 s[2:3], 2, v[18:19]
	s_and_b64 s[2:3], vcc, s[2:3]
	s_nop 0
	v_cndmask_b32_e64 v5, 0, 1, s[2:3]
	v_cmp_ne_u32_e64 s[2:3], 0, v5
	s_bcnt1_i32_b64 s24, s[2:3]
	v_cmp_eq_u64_e64 s[2:3], 3, v[18:19]
	s_and_b64 s[2:3], vcc, s[2:3]
	v_add_u32_e32 v10, s24, v10
	v_cndmask_b32_e64 v5, 0, 1, s[2:3]
	v_cmp_ne_u32_e32 vcc, 0, v5
	s_bcnt1_i32_b64 s2, vcc
	v_cmp_le_i32_e32 vcc, s60, v3
	v_add_u32_e32 v11, s2, v11
	s_or_b64 s[22:23], vcc, s[22:23]
	s_andn2_b64 exec, exec, s[22:23]
	s_cbranch_execz .LBB24_56
.LBB24_54:                              ;   Parent Loop BB24_7 Depth=1
                                        ; =>  This Inner Loop Header: Depth=2
	v_add_u32_e32 v3, s62, v3
	v_cmp_gt_u32_e32 vcc, s60, v3
	v_mov_b64_e32 v[14:15], 0
	s_and_saveexec_b64 s[2:3], vcc
	s_cbranch_execz .LBB24_53
; %bb.55:                               ;   in Loop: Header=BB24_54 Depth=2
	v_ashrrev_i32_e32 v5, 31, v4
	v_lshl_add_u64 v[14:15], v[4:5], 3, s[68:69]
	global_load_dwordx2 v[14:15], v[14:15], off
	s_branch .LBB24_53
.LBB24_56:                              ;   in Loop: Header=BB24_7 Depth=1
	s_or_b64 exec, exec, s[22:23]
.LBB24_57:                              ;   in Loop: Header=BB24_7 Depth=1
	s_or_b64 exec, exec, s[20:21]
	s_branch .LBB24_37
.LBB24_58:                              ;   in Loop: Header=BB24_7 Depth=1
	s_mul_hi_u32 s2, s71, s8
	s_mul_i32 s2, s2, s70
	s_sub_i32 s2, s71, s2
	s_sub_i32 s3, s2, s70
	s_cmp_ge_u32 s2, s70
	s_cselect_b32 s2, s3, s2
	s_sub_i32 s3, s2, s70
	s_cmp_ge_u32 s2, s70
	s_cselect_b32 s2, s3, s2
	s_sub_i32 s78, s71, s2
	v_mov_b32_e32 v18, v19
	v_cmp_gt_u32_e32 vcc, s78, v23
	v_mov_b64_e32 v[10:11], v[18:19]
	v_mov_b64_e32 v[8:9], v[18:19]
	s_and_saveexec_b64 s[66:67], vcc
	s_cbranch_execz .LBB24_62
; %bb.59:                               ;   in Loop: Header=BB24_7 Depth=1
	s_mov_b32 s84, 0
	s_mov_b64 s[82:83], 0
	v_mov_b32_e32 v3, v44
	v_mov_b32_e32 v48, v23
	s_mov_b32 s85, s84
	s_mov_b32 s86, s84
	;; [unrolled: 1-line block ×3, first 2 shown]
.LBB24_60:                              ;   Parent Loop BB24_7 Depth=1
                                        ; =>  This Inner Loop Header: Depth=2
	s_waitcnt vmcnt(0)
	ds_read_b128 v[12:15], v3
	ds_read_b128 v[8:11], v3 offset:16
	v_mov_b32_e32 v5, v19
	v_mov_b32_e32 v31, v19
	;; [unrolled: 1-line block ×3, first 2 shown]
	s_waitcnt lgkmcnt(1)
	v_xor_b32_e32 v13, 0x80000000, v13
	v_xor_b32_e32 v15, 0x80000000, v15
	v_and_b32_e32 v52, v12, v28
	v_and_b32_e32 v53, v13, v29
	v_lshrrev_b64 v[12:13], s17, v[12:13]
	s_waitcnt lgkmcnt(0)
	v_xor_b32_e32 v9, 0x80000000, v9
	v_and_b32_e32 v54, v14, v28
	v_and_b32_e32 v55, v15, v29
	v_lshrrev_b64 v[14:15], s17, v[14:15]
	v_and_b32_e32 v18, 3, v12
	v_xor_b32_e32 v11, 0x80000000, v11
	v_and_b32_e32 v56, v8, v28
	v_and_b32_e32 v57, v9, v29
	v_lshrrev_b64 v[8:9], s17, v[8:9]
	v_cmp_eq_u64_e64 s[2:3], v[52:53], v[26:27]
	v_and_b32_e32 v4, 3, v14
	v_cmp_eq_u64_e64 s[26:27], 0, v[18:19]
	v_and_b32_e32 v58, v10, v28
	v_and_b32_e32 v59, v11, v29
	v_lshrrev_b64 v[10:11], s17, v[10:11]
	v_cmp_eq_u64_e64 s[20:21], v[54:55], v[26:27]
	v_and_b32_e32 v30, 3, v8
	v_cmp_eq_u64_e64 s[28:29], 0, v[4:5]
	s_and_b64 s[26:27], s[2:3], s[26:27]
	v_cmp_eq_u64_e64 s[22:23], v[56:57], v[26:27]
	v_and_b32_e32 v32, 3, v10
	v_cmp_eq_u64_e64 s[30:31], 0, v[30:31]
	v_cmp_eq_u64_e64 s[38:39], 1, v[4:5]
	;; [unrolled: 1-line block ×4, first 2 shown]
	v_cndmask_b32_e64 v4, 0, 1, s[26:27]
	s_and_b64 s[26:27], s[20:21], s[28:29]
	v_cmp_eq_u64_e64 s[24:25], v[58:59], v[26:27]
	v_cmp_eq_u64_e64 s[34:35], 0, v[32:33]
	v_cndmask_b32_e64 v5, 0, 1, s[26:27]
	s_and_b64 s[26:27], s[22:23], s[30:31]
	v_cmp_eq_u64_e64 s[36:37], 1, v[18:19]
	v_cndmask_b32_e64 v8, 0, 1, s[26:27]
	s_and_b64 s[26:27], s[24:25], s[34:35]
	v_cndmask_b32_e64 v9, 0, 1, s[26:27]
	s_and_b64 s[26:27], s[2:3], s[36:37]
	v_cmp_eq_u64_e64 s[40:41], 1, v[30:31]
	v_cndmask_b32_e64 v10, 0, 1, s[26:27]
	s_and_b64 s[26:27], s[20:21], s[38:39]
	v_cmp_eq_u64_e64 s[42:43], 1, v[32:33]
	;; [unrolled: 3-line block ×3, first 2 shown]
	v_cmp_eq_u64_e64 s[52:53], 3, v[18:19]
	v_cndmask_b32_e64 v12, 0, 1, s[26:27]
	s_and_b64 s[26:27], s[24:25], s[42:43]
	v_cndmask_b32_e64 v13, 0, 1, s[26:27]
	s_and_b64 s[26:27], s[2:3], s[44:45]
	s_and_b64 s[2:3], s[2:3], s[52:53]
	v_cmp_eq_u64_e64 s[48:49], 2, v[30:31]
	v_cmp_eq_u64_e64 s[56:57], 3, v[30:31]
	v_cndmask_b32_e64 v14, 0, 1, s[26:27]
	s_and_b64 s[26:27], s[20:21], s[46:47]
	v_cndmask_b32_e64 v31, 0, 1, s[2:3]
	s_and_b64 s[2:3], s[20:21], s[54:55]
	v_cmp_eq_u64_e64 s[50:51], 2, v[32:33]
	v_cmp_eq_u64_e64 s[58:59], 3, v[32:33]
	v_cndmask_b32_e64 v15, 0, 1, s[26:27]
	s_and_b64 s[26:27], s[22:23], s[48:49]
	v_cndmask_b32_e64 v32, 0, 1, s[2:3]
	s_and_b64 s[2:3], s[22:23], s[56:57]
	;; [unrolled: 2-line block ×4, first 2 shown]
	v_cndmask_b32_e64 v30, 0, 1, s[26:27]
	v_cndmask_b32_e64 v52, 0, 1, s[2:3]
	v_cmp_ne_u32_e64 s[2:3], 0, v4
	v_cmp_ne_u32_e64 s[20:21], 0, v5
	;; [unrolled: 1-line block ×11, first 2 shown]
	s_bcnt1_i32_b64 s2, s[2:3]
	s_bcnt1_i32_b64 s3, s[20:21]
	;; [unrolled: 1-line block ×8, first 2 shown]
	v_cmp_ne_u32_e64 s[34:35], 0, v13
	v_cmp_ne_u32_e64 s[40:41], 0, v18
	;; [unrolled: 1-line block ×3, first 2 shown]
	s_bcnt1_i32_b64 s23, s[28:29]
	s_bcnt1_i32_b64 s27, s[38:39]
	;; [unrolled: 1-line block ×3, first 2 shown]
	s_add_i32 s2, s84, s2
	s_add_i32 s22, s85, s22
	;; [unrolled: 1-line block ×4, first 2 shown]
	v_cmp_ne_u32_e64 s[42:43], 0, v30
	v_cmp_ne_u32_e64 s[50:51], 0, v52
	s_bcnt1_i32_b64 s25, s[34:35]
	s_bcnt1_i32_b64 s28, s[40:41]
	;; [unrolled: 1-line block ×3, first 2 shown]
	s_add_i32 s22, s22, s23
	s_add_i32 s2, s2, s3
	;; [unrolled: 1-line block ×4, first 2 shown]
	v_add_u32_e32 v48, s70, v48
	s_bcnt1_i32_b64 s29, s[42:43]
	s_bcnt1_i32_b64 s35, s[50:51]
	s_add_i32 s2, s2, s20
	s_add_i32 s20, s22, s24
	;; [unrolled: 1-line block ×4, first 2 shown]
	v_cmp_le_i32_e32 vcc, s78, v48
	s_add_i32 s85, s20, s25
	s_add_i32 s84, s2, s21
	;; [unrolled: 1-line block ×4, first 2 shown]
	v_add_u32_e32 v3, s81, v3
	s_or_b64 s[82:83], vcc, s[82:83]
	v_mov_b64_e32 v[8:9], s[84:85]
	v_mov_b64_e32 v[10:11], s[86:87]
	s_andn2_b64 exec, exec, s[82:83]
	s_cbranch_execnz .LBB24_60
; %bb.61:                               ;   in Loop: Header=BB24_7 Depth=1
	s_or_b64 exec, exec, s[82:83]
.LBB24_62:                              ;   in Loop: Header=BB24_7 Depth=1
	s_or_b64 exec, exec, s[66:67]
	v_add_u32_e32 v3, s78, v0
	v_cmp_gt_i32_e32 vcc, s71, v3
	s_and_saveexec_b64 s[28:29], vcc
	s_cbranch_execz .LBB24_66
; %bb.63:                               ;   in Loop: Header=BB24_7 Depth=1
	s_waitcnt vmcnt(0)
	v_lshlrev_b32_e32 v4, 3, v3
	s_mov_b64 s[30:31], 0
.LBB24_64:                              ;   Parent Loop BB24_7 Depth=1
                                        ; =>  This Inner Loop Header: Depth=2
	ds_read_b64 v[12:13], v4
	v_add_u32_e32 v3, s62, v3
	v_cmp_le_i32_e32 vcc, s71, v3
	v_add_u32_e32 v4, s16, v4
	s_waitcnt lgkmcnt(0)
	v_xor_b32_e32 v13, 0x80000000, v13
	v_and_b32_e32 v14, v12, v28
	v_and_b32_e32 v15, v13, v29
	v_lshrrev_b64 v[12:13], s17, v[12:13]
	v_and_b32_e32 v18, 3, v12
	v_cmp_eq_u64_e64 s[2:3], v[14:15], v[26:27]
	v_cmp_eq_u64_e64 s[20:21], 0, v[18:19]
	;; [unrolled: 1-line block ×3, first 2 shown]
	s_and_b64 s[20:21], s[2:3], s[20:21]
	v_cmp_eq_u64_e64 s[24:25], 2, v[18:19]
	v_cmp_eq_u64_e64 s[26:27], 3, v[18:19]
	v_cndmask_b32_e64 v5, 0, 1, s[20:21]
	s_and_b64 s[20:21], s[2:3], s[22:23]
	v_cndmask_b32_e64 v12, 0, 1, s[20:21]
	s_and_b64 s[20:21], s[2:3], s[24:25]
	s_and_b64 s[2:3], s[2:3], s[26:27]
	v_cndmask_b32_e64 v13, 0, 1, s[20:21]
	v_cndmask_b32_e64 v14, 0, 1, s[2:3]
	v_cmp_ne_u32_e64 s[2:3], 0, v5
	v_cmp_ne_u32_e64 s[20:21], 0, v12
	;; [unrolled: 1-line block ×4, first 2 shown]
	s_bcnt1_i32_b64 s2, s[2:3]
	s_bcnt1_i32_b64 s3, s[20:21]
	;; [unrolled: 1-line block ×4, first 2 shown]
	v_add_u32_e32 v9, s3, v9
	v_add_u32_e32 v8, s2, v8
	;; [unrolled: 1-line block ×3, first 2 shown]
	s_or_b64 s[30:31], vcc, s[30:31]
	v_add_u32_e32 v10, s20, v10
	s_andn2_b64 exec, exec, s[30:31]
	s_cbranch_execnz .LBB24_64
; %bb.65:                               ;   in Loop: Header=BB24_7 Depth=1
	s_or_b64 exec, exec, s[30:31]
.LBB24_66:                              ;   in Loop: Header=BB24_7 Depth=1
	s_or_b64 exec, exec, s[28:29]
	s_lshl_b32 s22, s61, 6
	s_and_saveexec_b64 s[2:3], s[0:1]
	s_cbranch_execnz .LBB24_38
	s_branch .LBB24_39
.LBB24_67:                              ;   in Loop: Header=BB24_7 Depth=1
	s_or_b64 exec, exec, s[22:23]
	s_waitcnt lgkmcnt(0)
	s_barrier
	s_and_saveexec_b64 s[2:3], s[18:19]
	s_cbranch_execz .LBB24_69
; %bb.68:                               ;   in Loop: Header=BB24_7 Depth=1
	ds_read_b32 v3, v19 offset:4104
	s_waitcnt lgkmcnt(0)
	ds_write_b32 v19, v3 offset:4096
.LBB24_69:                              ;   in Loop: Header=BB24_7 Depth=1
	s_or_b64 exec, exec, s[2:3]
	s_waitcnt lgkmcnt(0)
	s_barrier
	s_mov_b64 s[2:3], -1
	s_and_b64 vcc, exec, s[20:21]
	s_cbranch_vccnz .LBB24_23
	s_branch .LBB24_33
.LBB24_70:                              ;   in Loop: Header=BB24_7 Depth=1
	v_mov_b32_e32 v4, 0
	s_mov_b32 s23, 0
	s_cbranch_execnz .LBB24_75
	s_branch .LBB24_77
.LBB24_71:                              ;   in Loop: Header=BB24_7 Depth=1
	v_mov_b32_e32 v18, v19
	v_readlane_b32 s20, v60, 27
	v_mov_b64_e32 v[4:5], v[18:19]
	v_readlane_b32 s21, v60, 28
.LBB24_72:                              ;   in Loop: Header=BB24_7 Depth=1
	v_readlane_b32 s24, v60, 18
	v_readlane_b32 s25, v60, 19
	s_andn2_b64 vcc, exec, s[24:25]
	v_readlane_b32 s23, v60, 17
	s_cbranch_vccnz .LBB24_74
.LBB24_73:                              ;   Parent Loop BB24_7 Depth=1
                                        ; =>  This Inner Loop Header: Depth=2
	v_lshl_add_u32 v9, s20, 4, v8
	v_lshl_add_u32 v10, s21, 4, v8
	ds_read_b32 v10, v10
	ds_read_b32 v9, v9
	s_add_i32 s21, s21, 2
	s_add_i32 s20, s20, 2
	s_add_i32 s23, s23, -1
	s_cmp_lg_u32 s23, 0
	s_waitcnt lgkmcnt(1)
	v_add_u32_e32 v5, v10, v5
	s_waitcnt lgkmcnt(0)
	v_add_u32_e32 v4, v9, v4
	s_cbranch_scc1 .LBB24_73
.LBB24_74:                              ;   in Loop: Header=BB24_7 Depth=1
	v_readlane_b32 s20, v60, 22
	v_add_u32_e32 v4, v4, v5
	v_readlane_b32 s23, v60, 21
	v_readlane_b32 s21, v60, 23
	s_and_b64 vcc, exec, s[20:21]
	s_cbranch_vccz .LBB24_77
.LBB24_75:                              ;   in Loop: Header=BB24_7 Depth=1
	s_lshl_b32 s20, s61, 8
	s_lshl_b32 s21, s23, 4
	s_add_i32 s20, s20, s21
	v_add_u32_e32 v5, s20, v45
	v_readlane_b32 s20, v60, 20
	s_sub_i32 s20, s20, s23
.LBB24_76:                              ;   Parent Loop BB24_7 Depth=1
                                        ; =>  This Inner Loop Header: Depth=2
	ds_read_b32 v8, v5
	s_add_i32 s20, s20, -1
	v_add_u32_e32 v5, 16, v5
	s_cmp_eq_u32 s20, 0
	s_waitcnt lgkmcnt(0)
	v_add_u32_e32 v4, v8, v4
	s_cbranch_scc0 .LBB24_76
.LBB24_77:                              ;   in Loop: Header=BB24_7 Depth=1
	v_lshlrev_b32_e32 v3, 2, v3
	ds_write_b32 v3, v4 offset:3072
.LBB24_78:                              ;   in Loop: Header=BB24_7 Depth=1
	s_or_b64 exec, exec, s[2:3]
	s_lshl_b32 s2, s22, 2
	v_mov_b32_e32 v3, s2
	s_waitcnt lgkmcnt(0)
	s_barrier
	ds_read_b128 v[8:11], v3 offset:3072
	s_lshl_b64 s[2:3], 3, s17
	s_not_b64 s[30:31], s[2:3]
	v_cmp_eq_u32_e32 vcc, 1, v47
	s_mov_b64 s[22:23], -1
	s_waitcnt lgkmcnt(0)
	v_readfirstlane_b32 s46, v8
	s_cmp_eq_u32 s46, 1
	s_cselect_b64 s[20:21], -1, 0
	v_readfirstlane_b32 s50, v9
	v_readfirstlane_b32 s58, v10
	;; [unrolled: 1-line block ×3, first 2 shown]
	s_and_b64 s[24:25], s[20:21], vcc
	s_mov_b64 s[34:35], -1
                                        ; implicit-def: $sgpr28_sgpr29
                                        ; implicit-def: $sgpr26_sgpr27
	s_and_saveexec_b64 s[20:21], s[24:25]
	s_cbranch_execz .LBB24_104
; %bb.79:                               ;   in Loop: Header=BB24_7 Depth=1
	ds_read_b32 v3, v19 offset:4096
	s_waitcnt lgkmcnt(0)
	s_barrier
	v_readfirstlane_b32 s47, v3
	s_and_saveexec_b64 s[26:27], s[4:5]
; %bb.80:                               ;   in Loop: Header=BB24_7 Depth=1
	ds_write_b64 v36, v[50:51]
; %bb.81:                               ;   in Loop: Header=BB24_7 Depth=1
	s_or_b64 exec, exec, s[26:27]
	v_and_b32_e32 v27, s31, v27
	v_and_b32_e32 v26, s30, v26
	v_or_b32_e32 v29, s3, v29
	v_or_b32_e32 v28, s2, v28
	s_mov_b64 s[26:27], -1
	s_mov_b64 s[28:29], 0
	s_cmp_lt_i32 s47, 1
	s_mov_b64 s[34:35], 0
	s_mov_b64 s[36:37], -1
	s_waitcnt lgkmcnt(0)
	s_barrier
                                        ; implicit-def: $vgpr6_vgpr7
	s_cbranch_scc0 .LBB24_92
; %bb.82:                               ;   in Loop: Header=BB24_7 Depth=1
	s_mov_b64 s[36:37], 0
                                        ; implicit-def: $vgpr6_vgpr7
	s_mov_b64 s[38:39], exec
	v_readlane_b32 s40, v60, 25
	v_readlane_b32 s41, v60, 26
	s_and_b64 s[40:41], s[38:39], s[40:41]
	s_mov_b64 exec, s[40:41]
	s_cbranch_execz .LBB24_91
; %bb.83:                               ;   in Loop: Header=BB24_7 Depth=1
	v_mov_b32_e32 v8, v16
	v_mov_b32_e32 v10, v0
                                        ; implicit-def: $sgpr40_sgpr41
	s_branch .LBB24_86
.LBB24_84:                              ;   in Loop: Header=BB24_86 Depth=2
	s_or_b64 exec, exec, s[42:43]
	s_waitcnt lgkmcnt(0)
	s_barrier
	s_waitcnt vmcnt(0)
	ds_read_b128 v[4:7], v19 offset:3072
	s_mov_b64 s[42:43], -1
	s_mov_b64 s[44:45], -1
	s_waitcnt lgkmcnt(0)
	s_barrier
	v_cmp_ne_u64_e32 vcc, 0, v[4:5]
	s_cbranch_vccz .LBB24_89
.LBB24_85:                              ;   in Loop: Header=BB24_86 Depth=2
	s_and_b64 s[42:43], exec, s[42:43]
	s_or_b64 s[34:35], s[42:43], s[34:35]
	s_andn2_b64 s[40:41], s[40:41], exec
	s_and_b64 s[42:43], s[44:45], exec
	s_or_b64 s[40:41], s[40:41], s[42:43]
	s_andn2_b64 exec, exec, s[34:35]
	s_cbranch_execz .LBB24_90
.LBB24_86:                              ;   Parent Loop BB24_7 Depth=1
                                        ; =>  This Inner Loop Header: Depth=2
	v_cmp_gt_i32_e32 vcc, s60, v10
	s_and_saveexec_b64 s[42:43], vcc
	s_cbranch_execz .LBB24_84
; %bb.87:                               ;   in Loop: Header=BB24_86 Depth=2
	v_ashrrev_i32_e32 v9, 31, v8
	s_waitcnt vmcnt(0)
	v_lshl_add_u64 v[4:5], v[8:9], 3, s[68:69]
	global_load_dwordx2 v[4:5], v[4:5], off
	s_waitcnt vmcnt(0)
	v_xor_b32_e32 v3, 0x80000000, v5
	v_and_b32_e32 v7, v3, v29
	v_and_b32_e32 v6, v4, v28
	v_cmp_eq_u64_e32 vcc, v[6:7], v[26:27]
	s_and_b64 exec, exec, vcc
	s_cbranch_execz .LBB24_84
; %bb.88:                               ;   in Loop: Header=BB24_86 Depth=2
	v_mov_b32_e32 v3, v19
	ds_write_b128 v19, v[2:5] offset:3072
	s_branch .LBB24_84
.LBB24_89:                              ;   in Loop: Header=BB24_86 Depth=2
	v_add_u32_e32 v10, s62, v10
	v_cmp_le_i32_e32 vcc, s79, v10
	v_add_u32_e32 v8, s33, v8
	s_mov_b64 s[44:45], 0
	s_orn2_b64 s[42:43], vcc, exec
	s_branch .LBB24_85
.LBB24_90:                              ;   in Loop: Header=BB24_7 Depth=1
	s_or_b64 exec, exec, s[34:35]
	s_and_b64 s[34:35], s[40:41], exec
.LBB24_91:                              ;   in Loop: Header=BB24_7 Depth=1
	s_or_b64 exec, exec, s[38:39]
.LBB24_92:                              ;   in Loop: Header=BB24_7 Depth=1
	s_and_b64 vcc, exec, s[36:37]
	s_cbranch_vccz .LBB24_103
; %bb.93:                               ;   in Loop: Header=BB24_7 Depth=1
	v_readlane_b32 s26, v60, 7
	s_add_i32 s42, s47, s26
	s_abs_i32 s27, s42
	v_readlane_b32 s28, v60, 24
	s_mul_hi_u32 s28, s27, s28
	s_mul_i32 s28, s28, s62
	s_sub_i32 s27, s27, s28
	s_ashr_i32 s26, s42, 31
	s_sub_i32 s28, s27, s62
	s_cmp_ge_u32 s27, s62
	s_cselect_b32 s27, s28, s27
	s_sub_i32 s28, s27, s62
	s_cmp_ge_u32 s27, s62
	s_cselect_b32 s27, s28, s27
	s_xor_b32 s27, s27, s26
	s_sub_i32 s26, s26, s27
	s_add_i32 s42, s42, s26
	v_cmp_gt_i32_e32 vcc, s42, v0
                                        ; implicit-def: $vgpr6_vgpr7
	s_and_saveexec_b64 s[26:27], vcc
	s_cbranch_execz .LBB24_102
; %bb.94:                               ;   in Loop: Header=BB24_7 Depth=1
	s_mov_b64 s[36:37], 0
	v_mov_b32_e32 v8, v35
	v_mov_b32_e32 v9, v0
                                        ; implicit-def: $sgpr28_sgpr29
	s_branch .LBB24_97
.LBB24_95:                              ;   in Loop: Header=BB24_97 Depth=2
	s_or_b64 exec, exec, s[38:39]
	s_waitcnt lgkmcnt(0)
	s_barrier
	s_waitcnt vmcnt(0)
	ds_read_b128 v[4:7], v19 offset:3072
	s_mov_b64 s[38:39], -1
	s_mov_b64 s[40:41], -1
	s_waitcnt lgkmcnt(0)
	s_barrier
	v_cmp_ne_u64_e32 vcc, 0, v[4:5]
	s_cbranch_vccz .LBB24_100
.LBB24_96:                              ;   in Loop: Header=BB24_97 Depth=2
	s_and_b64 s[38:39], exec, s[38:39]
	s_or_b64 s[36:37], s[38:39], s[36:37]
	s_andn2_b64 s[28:29], s[28:29], exec
	s_and_b64 s[38:39], s[40:41], exec
	s_or_b64 s[28:29], s[28:29], s[38:39]
	s_andn2_b64 exec, exec, s[36:37]
	s_cbranch_execz .LBB24_101
.LBB24_97:                              ;   Parent Loop BB24_7 Depth=1
                                        ; =>  This Inner Loop Header: Depth=2
	v_cmp_gt_i32_e32 vcc, s47, v9
	s_and_saveexec_b64 s[38:39], vcc
	s_cbranch_execz .LBB24_95
; %bb.98:                               ;   in Loop: Header=BB24_97 Depth=2
	s_waitcnt vmcnt(0)
	ds_read_b64 v[4:5], v8
	s_waitcnt lgkmcnt(0)
	v_xor_b32_e32 v3, 0x80000000, v5
	v_and_b32_e32 v7, v3, v29
	v_and_b32_e32 v6, v4, v28
	v_cmp_eq_u64_e32 vcc, v[6:7], v[26:27]
	s_and_b64 exec, exec, vcc
	s_cbranch_execz .LBB24_95
; %bb.99:                               ;   in Loop: Header=BB24_97 Depth=2
	v_mov_b32_e32 v3, v19
	ds_write_b128 v19, v[2:5] offset:3072
	s_branch .LBB24_95
.LBB24_100:                             ;   in Loop: Header=BB24_97 Depth=2
	v_add_u32_e32 v9, s62, v9
	v_cmp_le_i32_e32 vcc, s42, v9
	v_add_u32_e32 v8, s16, v8
	s_mov_b64 s[40:41], 0
	s_orn2_b64 s[38:39], vcc, exec
	s_branch .LBB24_96
.LBB24_101:                             ;   in Loop: Header=BB24_7 Depth=1
	s_or_b64 exec, exec, s[36:37]
	s_andn2_b64 s[34:35], s[34:35], exec
	s_and_b64 s[28:29], s[28:29], exec
	s_or_b64 s[34:35], s[34:35], s[28:29]
.LBB24_102:                             ;   in Loop: Header=BB24_7 Depth=1
	s_or_b64 exec, exec, s[26:27]
	s_mov_b64 s[26:27], 0
	s_mov_b64 s[28:29], -1
.LBB24_103:                             ;   in Loop: Header=BB24_7 Depth=1
	s_orn2_b64 s[34:35], s[34:35], exec
.LBB24_104:                             ;   in Loop: Header=BB24_7 Depth=1
	s_or_b64 exec, exec, s[20:21]
	s_andn2_b64 s[20:21], s[64:65], exec
	s_and_b64 s[28:29], s[28:29], exec
	s_or_b64 s[64:65], s[20:21], s[28:29]
	s_andn2_b64 s[20:21], s[98:99], exec
	s_and_b64 s[26:27], s[26:27], exec
	v_readfirstlane_b32 s36, v0
	v_readfirstlane_b32 s37, v0
	s_andn2_b64 s[96:97], s[96:97], exec
	s_or_b64 s[98:99], s[20:21], s[26:27]
                                        ; implicit-def: $vgpr11
	s_and_saveexec_b64 s[20:21], s[34:35]
	s_cbranch_execz .LBB24_6
; %bb.105:                              ;   in Loop: Header=BB24_7 Depth=1
	s_xor_b64 s[26:27], s[24:25], -1
	s_mov_b64 s[24:25], 0
	v_mov_b32_e32 v11, 1
	v_mov_b32_e32 v10, 1
	s_and_saveexec_b64 s[22:23], s[26:27]
	s_cbranch_execz .LBB24_114
; %bb.106:                              ;   in Loop: Header=BB24_7 Depth=1
	v_cmp_ge_i32_e32 vcc, s46, v47
	s_and_saveexec_b64 s[24:25], vcc
	s_xor_b64 s[24:25], exec, s[24:25]
	s_cbranch_execz .LBB24_111
; %bb.107:                              ;   in Loop: Header=BB24_7 Depth=1
	ds_read_b32 v3, v19 offset:4096
	v_and_b32_e32 v27, s31, v27
	v_and_b32_e32 v26, s30, v26
	v_or_b32_e32 v29, s3, v29
	v_or_b32_e32 v28, s2, v28
	s_waitcnt lgkmcnt(0)
	v_cmp_ne_u32_e32 vcc, 0, v3
	s_cbranch_vccnz .LBB24_111
; %bb.108:                              ;   in Loop: Header=BB24_7 Depth=1
	s_and_saveexec_b64 s[26:27], s[18:19]
; %bb.109:                              ;   in Loop: Header=BB24_7 Depth=1
	v_mov_b32_e32 v3, s46
	ds_write_b32 v19, v3 offset:4100
; %bb.110:                              ;   in Loop: Header=BB24_7 Depth=1
	s_or_b64 exec, exec, s[26:27]
	s_waitcnt lgkmcnt(0)
	s_barrier
.LBB24_111:                             ;   in Loop: Header=BB24_7 Depth=1
	s_or_saveexec_b64 s[24:25], s[24:25]
	s_mov_b64 s[26:27], 0
	v_mov_b32_e32 v10, 8
	s_xor_b64 exec, exec, s[24:25]
; %bb.112:                              ;   in Loop: Header=BB24_7 Depth=1
	s_mov_b64 s[26:27], exec
	v_subrev_u32_e32 v47, s46, v47
	v_mov_b32_e32 v10, 0
; %bb.113:                              ;   in Loop: Header=BB24_7 Depth=1
	s_or_b64 exec, exec, s[24:25]
	s_and_b64 s[24:25], s[26:27], exec
	v_mov_b32_e32 v11, v47
.LBB24_114:                             ;   in Loop: Header=BB24_7 Depth=1
	s_or_b64 exec, exec, s[22:23]
	s_mov_b64 s[22:23], -1
	s_mov_b64 s[34:35], -1
                                        ; implicit-def: $sgpr26_sgpr27
                                        ; implicit-def: $sgpr28_sgpr29
	s_and_saveexec_b64 s[36:37], s[24:25]
	s_xor_b64 s[24:25], exec, s[36:37]
	s_cbranch_execz .LBB24_231
; %bb.115:                              ;   in Loop: Header=BB24_7 Depth=1
	s_cmp_eq_u32 s50, 1
	s_cselect_b64 s[26:27], -1, 0
	v_cmp_eq_u32_e32 vcc, 1, v11
	s_and_b64 s[36:37], s[26:27], vcc
	s_mov_b64 s[38:39], -1
                                        ; implicit-def: $sgpr28_sgpr29
                                        ; implicit-def: $sgpr26_sgpr27
	s_and_saveexec_b64 s[34:35], s[36:37]
	s_cbranch_execz .LBB24_141
; %bb.116:                              ;   in Loop: Header=BB24_7 Depth=1
	ds_read_b32 v3, v19 offset:4096
	s_waitcnt lgkmcnt(0)
	s_barrier
	v_readfirstlane_b32 s51, v3
	s_and_saveexec_b64 s[26:27], s[4:5]
; %bb.117:                              ;   in Loop: Header=BB24_7 Depth=1
	ds_write_b64 v36, v[50:51]
; %bb.118:                              ;   in Loop: Header=BB24_7 Depth=1
	s_or_b64 exec, exec, s[26:27]
	s_lshl_b64 s[26:27], 1, s17
	v_and_b32_e32 v3, s31, v27
	s_waitcnt vmcnt(0)
	v_and_b32_e32 v4, s30, v26
	v_or_b32_e32 v27, s27, v3
	v_or_b32_e32 v26, s26, v4
	;; [unrolled: 1-line block ×4, first 2 shown]
	s_mov_b64 s[26:27], -1
	s_mov_b64 s[28:29], 0
	s_cmp_gt_i32 s51, 0
	s_mov_b64 s[38:39], 0
	s_mov_b64 s[40:41], -1
	s_waitcnt lgkmcnt(0)
	s_barrier
                                        ; implicit-def: $vgpr6_vgpr7
	s_cbranch_scc1 .LBB24_129
; %bb.119:                              ;   in Loop: Header=BB24_7 Depth=1
	s_mov_b64 s[40:41], 0
                                        ; implicit-def: $vgpr6_vgpr7
	s_mov_b64 s[42:43], exec
	v_readlane_b32 s44, v60, 25
	v_readlane_b32 s45, v60, 26
	s_and_b64 s[44:45], s[42:43], s[44:45]
	s_mov_b64 exec, s[44:45]
	s_cbranch_execz .LBB24_128
; %bb.120:                              ;   in Loop: Header=BB24_7 Depth=1
	v_mov_b32_e32 v8, v16
	v_mov_b32_e32 v12, v0
                                        ; implicit-def: $sgpr44_sgpr45
	s_branch .LBB24_123
.LBB24_121:                             ;   in Loop: Header=BB24_123 Depth=2
	s_or_b64 exec, exec, s[46:47]
	s_waitcnt lgkmcnt(0)
	s_barrier
	ds_read_b128 v[4:7], v19 offset:3072
	s_mov_b64 s[46:47], -1
	s_mov_b64 s[48:49], -1
	s_waitcnt lgkmcnt(0)
	s_barrier
	v_cmp_ne_u64_e32 vcc, 0, v[4:5]
	s_cbranch_vccz .LBB24_126
.LBB24_122:                             ;   in Loop: Header=BB24_123 Depth=2
	s_and_b64 s[46:47], exec, s[46:47]
	s_or_b64 s[38:39], s[46:47], s[38:39]
	s_andn2_b64 s[44:45], s[44:45], exec
	s_and_b64 s[46:47], s[48:49], exec
	s_or_b64 s[44:45], s[44:45], s[46:47]
	s_andn2_b64 exec, exec, s[38:39]
	s_cbranch_execz .LBB24_127
.LBB24_123:                             ;   Parent Loop BB24_7 Depth=1
                                        ; =>  This Inner Loop Header: Depth=2
	v_cmp_gt_i32_e32 vcc, s60, v12
	s_and_saveexec_b64 s[46:47], vcc
	s_cbranch_execz .LBB24_121
; %bb.124:                              ;   in Loop: Header=BB24_123 Depth=2
	v_ashrrev_i32_e32 v9, 31, v8
	v_lshl_add_u64 v[4:5], v[8:9], 3, s[68:69]
	global_load_dwordx2 v[4:5], v[4:5], off
	s_waitcnt vmcnt(0)
	v_xor_b32_e32 v3, 0x80000000, v5
	v_and_b32_e32 v7, v3, v29
	v_and_b32_e32 v6, v4, v28
	v_cmp_eq_u64_e32 vcc, v[6:7], v[26:27]
	s_and_b64 exec, exec, vcc
	s_cbranch_execz .LBB24_121
; %bb.125:                              ;   in Loop: Header=BB24_123 Depth=2
	v_mov_b32_e32 v3, v19
	ds_write_b128 v19, v[2:5] offset:3072
	s_branch .LBB24_121
.LBB24_126:                             ;   in Loop: Header=BB24_123 Depth=2
	v_add_u32_e32 v12, s62, v12
	v_cmp_le_i32_e32 vcc, s79, v12
	v_add_u32_e32 v8, s33, v8
	s_mov_b64 s[48:49], 0
	s_orn2_b64 s[46:47], vcc, exec
	s_branch .LBB24_122
.LBB24_127:                             ;   in Loop: Header=BB24_7 Depth=1
	s_or_b64 exec, exec, s[38:39]
	s_and_b64 s[38:39], s[44:45], exec
.LBB24_128:                             ;   in Loop: Header=BB24_7 Depth=1
	s_or_b64 exec, exec, s[42:43]
.LBB24_129:                             ;   in Loop: Header=BB24_7 Depth=1
	s_and_b64 vcc, exec, s[40:41]
	s_cbranch_vccz .LBB24_140
; %bb.130:                              ;   in Loop: Header=BB24_7 Depth=1
	v_readlane_b32 s26, v60, 7
	s_add_i32 s46, s51, s26
	s_abs_i32 s27, s46
	v_readlane_b32 s28, v60, 24
	s_mul_hi_u32 s28, s27, s28
	s_mul_i32 s28, s28, s62
	s_sub_i32 s27, s27, s28
	s_ashr_i32 s26, s46, 31
	s_sub_i32 s28, s27, s62
	s_cmp_ge_u32 s27, s62
	s_cselect_b32 s27, s28, s27
	s_sub_i32 s28, s27, s62
	s_cmp_ge_u32 s27, s62
	s_cselect_b32 s27, s28, s27
	s_xor_b32 s27, s27, s26
	s_sub_i32 s26, s26, s27
	s_add_i32 s46, s46, s26
	v_cmp_gt_i32_e32 vcc, s46, v0
                                        ; implicit-def: $vgpr6_vgpr7
	s_and_saveexec_b64 s[26:27], vcc
	s_cbranch_execz .LBB24_139
; %bb.131:                              ;   in Loop: Header=BB24_7 Depth=1
	s_mov_b64 s[28:29], 0
	v_mov_b32_e32 v8, v35
	v_mov_b32_e32 v9, v0
                                        ; implicit-def: $sgpr40_sgpr41
	s_branch .LBB24_134
.LBB24_132:                             ;   in Loop: Header=BB24_134 Depth=2
	s_or_b64 exec, exec, s[42:43]
	s_waitcnt lgkmcnt(0)
	s_barrier
	ds_read_b128 v[4:7], v19 offset:3072
	s_mov_b64 s[42:43], -1
	s_mov_b64 s[44:45], -1
	s_waitcnt lgkmcnt(0)
	s_barrier
	v_cmp_eq_u64_e32 vcc, 0, v[4:5]
	s_cbranch_vccnz .LBB24_137
.LBB24_133:                             ;   in Loop: Header=BB24_134 Depth=2
	s_and_b64 s[42:43], exec, s[42:43]
	s_or_b64 s[28:29], s[42:43], s[28:29]
	s_andn2_b64 s[40:41], s[40:41], exec
	s_and_b64 s[42:43], s[44:45], exec
	s_or_b64 s[40:41], s[40:41], s[42:43]
	s_andn2_b64 exec, exec, s[28:29]
	s_cbranch_execz .LBB24_138
.LBB24_134:                             ;   Parent Loop BB24_7 Depth=1
                                        ; =>  This Inner Loop Header: Depth=2
	v_cmp_gt_i32_e32 vcc, s51, v9
	s_and_saveexec_b64 s[42:43], vcc
	s_cbranch_execz .LBB24_132
; %bb.135:                              ;   in Loop: Header=BB24_134 Depth=2
	ds_read_b64 v[4:5], v8
	s_waitcnt lgkmcnt(0)
	v_xor_b32_e32 v3, 0x80000000, v5
	v_and_b32_e32 v7, v3, v29
	v_and_b32_e32 v6, v4, v28
	v_cmp_eq_u64_e32 vcc, v[6:7], v[26:27]
	s_and_b64 exec, exec, vcc
	s_cbranch_execz .LBB24_132
; %bb.136:                              ;   in Loop: Header=BB24_134 Depth=2
	v_mov_b32_e32 v3, v19
	ds_write_b128 v19, v[2:5] offset:3072
	s_branch .LBB24_132
.LBB24_137:                             ;   in Loop: Header=BB24_134 Depth=2
	v_add_u32_e32 v9, s62, v9
	v_cmp_le_i32_e32 vcc, s46, v9
	v_add_u32_e32 v8, s16, v8
	s_mov_b64 s[44:45], 0
	s_orn2_b64 s[42:43], vcc, exec
	s_branch .LBB24_133
.LBB24_138:                             ;   in Loop: Header=BB24_7 Depth=1
	s_or_b64 exec, exec, s[28:29]
	s_andn2_b64 s[28:29], s[38:39], exec
	s_and_b64 s[38:39], s[40:41], exec
	s_or_b64 s[38:39], s[28:29], s[38:39]
.LBB24_139:                             ;   in Loop: Header=BB24_7 Depth=1
	s_or_b64 exec, exec, s[26:27]
	s_mov_b64 s[26:27], 0
	s_mov_b64 s[28:29], -1
.LBB24_140:                             ;   in Loop: Header=BB24_7 Depth=1
	s_orn2_b64 s[38:39], s[38:39], exec
.LBB24_141:                             ;   in Loop: Header=BB24_7 Depth=1
	s_or_b64 exec, exec, s[34:35]
	s_mov_b64 s[40:41], 0
	s_and_saveexec_b64 s[34:35], s[38:39]
	s_cbranch_execz .LBB24_230
; %bb.142:                              ;   in Loop: Header=BB24_7 Depth=1
	s_xor_b64 s[38:39], s[36:37], -1
	s_mov_b64 s[44:45], 0
	s_waitcnt vmcnt(0)
	v_mov_b32_e32 v12, 1
	v_mov_b32_e32 v10, 1
	s_and_saveexec_b64 s[36:37], s[38:39]
	s_cbranch_execz .LBB24_151
; %bb.143:                              ;   in Loop: Header=BB24_7 Depth=1
	v_cmp_ge_i32_e32 vcc, s50, v11
	s_and_saveexec_b64 s[38:39], vcc
	s_xor_b64 s[38:39], exec, s[38:39]
	s_cbranch_execz .LBB24_148
; %bb.144:                              ;   in Loop: Header=BB24_7 Depth=1
	ds_read_b32 v4, v19 offset:4096
	s_lshl_b64 s[40:41], 1, s17
	v_and_b32_e32 v3, s31, v27
	v_and_b32_e32 v5, s30, v26
	v_or_b32_e32 v27, s41, v3
	s_waitcnt lgkmcnt(0)
	v_cmp_ne_u32_e32 vcc, 0, v4
	v_or_b32_e32 v26, s40, v5
	v_or_b32_e32 v29, s3, v29
	;; [unrolled: 1-line block ×3, first 2 shown]
	s_cbranch_vccnz .LBB24_148
; %bb.145:                              ;   in Loop: Header=BB24_7 Depth=1
	s_and_saveexec_b64 s[40:41], s[18:19]
; %bb.146:                              ;   in Loop: Header=BB24_7 Depth=1
	v_mov_b32_e32 v3, s50
	ds_write_b32 v19, v3 offset:4100
; %bb.147:                              ;   in Loop: Header=BB24_7 Depth=1
	s_or_b64 exec, exec, s[40:41]
	s_waitcnt lgkmcnt(0)
	s_barrier
.LBB24_148:                             ;   in Loop: Header=BB24_7 Depth=1
	s_or_saveexec_b64 s[38:39], s[38:39]
	s_mov_b64 s[40:41], 0
	v_mov_b32_e32 v10, 8
	s_xor_b64 exec, exec, s[38:39]
; %bb.149:                              ;   in Loop: Header=BB24_7 Depth=1
	s_mov_b64 s[40:41], exec
	v_subrev_u32_e32 v11, s50, v11
	v_mov_b32_e32 v10, 0
; %bb.150:                              ;   in Loop: Header=BB24_7 Depth=1
	s_or_b64 exec, exec, s[38:39]
	s_and_b64 s[44:45], s[40:41], exec
	v_mov_b32_e32 v12, v11
.LBB24_151:                             ;   in Loop: Header=BB24_7 Depth=1
	s_or_b64 exec, exec, s[36:37]
	s_mov_b64 s[42:43], -1
                                        ; implicit-def: $sgpr38_sgpr39
                                        ; implicit-def: $sgpr40_sgpr41
	s_and_saveexec_b64 s[36:37], s[44:45]
	s_cbranch_execz .LBB24_229
; %bb.152:                              ;   in Loop: Header=BB24_7 Depth=1
	s_cmp_eq_u32 s58, 1
	s_cselect_b64 s[38:39], -1, 0
	v_cmp_eq_u32_e32 vcc, 1, v12
	s_and_b64 s[44:45], s[38:39], vcc
	s_mov_b64 s[46:47], -1
                                        ; implicit-def: $sgpr40_sgpr41
                                        ; implicit-def: $sgpr38_sgpr39
	s_and_saveexec_b64 s[42:43], s[44:45]
	s_cbranch_execz .LBB24_178
; %bb.153:                              ;   in Loop: Header=BB24_7 Depth=1
	ds_read_b32 v3, v19 offset:4096
	s_waitcnt lgkmcnt(0)
	s_barrier
	v_readfirstlane_b32 s59, v3
	s_and_saveexec_b64 s[38:39], s[4:5]
; %bb.154:                              ;   in Loop: Header=BB24_7 Depth=1
	ds_write_b64 v36, v[50:51]
; %bb.155:                              ;   in Loop: Header=BB24_7 Depth=1
	s_or_b64 exec, exec, s[38:39]
	s_lshl_b64 s[38:39], 2, s17
	v_and_b32_e32 v3, s31, v27
	v_and_b32_e32 v4, s30, v26
	v_or_b32_e32 v27, s39, v3
	v_or_b32_e32 v26, s38, v4
	v_or_b32_e32 v29, s3, v29
	v_or_b32_e32 v28, s2, v28
	s_mov_b64 s[38:39], -1
	s_mov_b64 s[40:41], 0
	s_cmp_gt_i32 s59, 0
	s_mov_b64 s[46:47], 0
	s_mov_b64 s[48:49], -1
	s_waitcnt lgkmcnt(0)
	s_barrier
                                        ; implicit-def: $vgpr6_vgpr7
	s_cbranch_scc1 .LBB24_166
; %bb.156:                              ;   in Loop: Header=BB24_7 Depth=1
	s_mov_b64 s[48:49], 0
                                        ; implicit-def: $vgpr6_vgpr7
	s_mov_b64 s[50:51], exec
	v_readlane_b32 s52, v60, 25
	v_readlane_b32 s53, v60, 26
	s_and_b64 s[52:53], s[50:51], s[52:53]
	s_mov_b64 exec, s[52:53]
	s_cbranch_execz .LBB24_165
; %bb.157:                              ;   in Loop: Header=BB24_7 Depth=1
	v_mov_b32_e32 v8, v16
	v_mov_b32_e32 v11, v0
                                        ; implicit-def: $sgpr52_sgpr53
	s_branch .LBB24_160
.LBB24_158:                             ;   in Loop: Header=BB24_160 Depth=2
	s_or_b64 exec, exec, s[54:55]
	s_waitcnt lgkmcnt(0)
	s_barrier
	ds_read_b128 v[4:7], v19 offset:3072
	s_mov_b64 s[54:55], -1
	s_mov_b64 s[56:57], -1
	s_waitcnt lgkmcnt(0)
	s_barrier
	v_cmp_ne_u64_e32 vcc, 0, v[4:5]
	s_cbranch_vccz .LBB24_163
.LBB24_159:                             ;   in Loop: Header=BB24_160 Depth=2
	s_and_b64 s[54:55], exec, s[54:55]
	s_or_b64 s[46:47], s[54:55], s[46:47]
	s_andn2_b64 s[52:53], s[52:53], exec
	s_and_b64 s[54:55], s[56:57], exec
	s_or_b64 s[52:53], s[52:53], s[54:55]
	s_andn2_b64 exec, exec, s[46:47]
	s_cbranch_execz .LBB24_164
.LBB24_160:                             ;   Parent Loop BB24_7 Depth=1
                                        ; =>  This Inner Loop Header: Depth=2
	v_cmp_gt_i32_e32 vcc, s60, v11
	s_and_saveexec_b64 s[54:55], vcc
	s_cbranch_execz .LBB24_158
; %bb.161:                              ;   in Loop: Header=BB24_160 Depth=2
	v_ashrrev_i32_e32 v9, 31, v8
	v_lshl_add_u64 v[4:5], v[8:9], 3, s[68:69]
	global_load_dwordx2 v[4:5], v[4:5], off
	s_waitcnt vmcnt(0)
	v_xor_b32_e32 v3, 0x80000000, v5
	v_and_b32_e32 v7, v3, v29
	v_and_b32_e32 v6, v4, v28
	v_cmp_eq_u64_e32 vcc, v[6:7], v[26:27]
	s_and_b64 exec, exec, vcc
	s_cbranch_execz .LBB24_158
; %bb.162:                              ;   in Loop: Header=BB24_160 Depth=2
	v_mov_b32_e32 v3, v19
	ds_write_b128 v19, v[2:5] offset:3072
	s_branch .LBB24_158
.LBB24_163:                             ;   in Loop: Header=BB24_160 Depth=2
	v_add_u32_e32 v11, s62, v11
	v_cmp_le_i32_e32 vcc, s79, v11
	v_add_u32_e32 v8, s33, v8
	s_mov_b64 s[56:57], 0
	s_orn2_b64 s[54:55], vcc, exec
	s_branch .LBB24_159
.LBB24_164:                             ;   in Loop: Header=BB24_7 Depth=1
	s_or_b64 exec, exec, s[46:47]
	s_and_b64 s[46:47], s[52:53], exec
.LBB24_165:                             ;   in Loop: Header=BB24_7 Depth=1
	s_or_b64 exec, exec, s[50:51]
.LBB24_166:                             ;   in Loop: Header=BB24_7 Depth=1
	s_and_b64 vcc, exec, s[48:49]
	s_cbranch_vccz .LBB24_177
; %bb.167:                              ;   in Loop: Header=BB24_7 Depth=1
	v_readlane_b32 s38, v60, 7
	s_add_i32 s54, s59, s38
	s_abs_i32 s39, s54
	v_readlane_b32 s40, v60, 24
	s_mul_hi_u32 s40, s39, s40
	s_mul_i32 s40, s40, s62
	s_sub_i32 s39, s39, s40
	s_ashr_i32 s38, s54, 31
	s_sub_i32 s40, s39, s62
	s_cmp_ge_u32 s39, s62
	s_cselect_b32 s39, s40, s39
	s_sub_i32 s40, s39, s62
	s_cmp_ge_u32 s39, s62
	s_cselect_b32 s39, s40, s39
	s_xor_b32 s39, s39, s38
	s_sub_i32 s38, s38, s39
	s_add_i32 s54, s54, s38
	v_cmp_gt_i32_e32 vcc, s54, v0
                                        ; implicit-def: $vgpr6_vgpr7
	s_and_saveexec_b64 s[38:39], vcc
	s_cbranch_execz .LBB24_176
; %bb.168:                              ;   in Loop: Header=BB24_7 Depth=1
	s_mov_b64 s[40:41], 0
	v_mov_b32_e32 v8, v35
	v_mov_b32_e32 v9, v0
                                        ; implicit-def: $sgpr48_sgpr49
	s_branch .LBB24_171
.LBB24_169:                             ;   in Loop: Header=BB24_171 Depth=2
	s_or_b64 exec, exec, s[50:51]
	s_waitcnt lgkmcnt(0)
	s_barrier
	ds_read_b128 v[4:7], v19 offset:3072
	s_mov_b64 s[50:51], -1
	s_mov_b64 s[52:53], -1
	s_waitcnt lgkmcnt(0)
	s_barrier
	v_cmp_eq_u64_e32 vcc, 0, v[4:5]
	s_cbranch_vccnz .LBB24_174
.LBB24_170:                             ;   in Loop: Header=BB24_171 Depth=2
	s_and_b64 s[50:51], exec, s[50:51]
	s_or_b64 s[40:41], s[50:51], s[40:41]
	s_andn2_b64 s[48:49], s[48:49], exec
	s_and_b64 s[50:51], s[52:53], exec
	s_or_b64 s[48:49], s[48:49], s[50:51]
	s_andn2_b64 exec, exec, s[40:41]
	s_cbranch_execz .LBB24_175
.LBB24_171:                             ;   Parent Loop BB24_7 Depth=1
                                        ; =>  This Inner Loop Header: Depth=2
	v_cmp_gt_i32_e32 vcc, s59, v9
	s_and_saveexec_b64 s[50:51], vcc
	s_cbranch_execz .LBB24_169
; %bb.172:                              ;   in Loop: Header=BB24_171 Depth=2
	ds_read_b64 v[4:5], v8
	s_waitcnt lgkmcnt(0)
	v_xor_b32_e32 v3, 0x80000000, v5
	v_and_b32_e32 v7, v3, v29
	v_and_b32_e32 v6, v4, v28
	v_cmp_eq_u64_e32 vcc, v[6:7], v[26:27]
	s_and_b64 exec, exec, vcc
	s_cbranch_execz .LBB24_169
; %bb.173:                              ;   in Loop: Header=BB24_171 Depth=2
	v_mov_b32_e32 v3, v19
	ds_write_b128 v19, v[2:5] offset:3072
	s_branch .LBB24_169
.LBB24_174:                             ;   in Loop: Header=BB24_171 Depth=2
	v_add_u32_e32 v9, s62, v9
	v_cmp_le_i32_e32 vcc, s54, v9
	v_add_u32_e32 v8, s16, v8
	s_mov_b64 s[52:53], 0
	s_orn2_b64 s[50:51], vcc, exec
	s_branch .LBB24_170
.LBB24_175:                             ;   in Loop: Header=BB24_7 Depth=1
	s_or_b64 exec, exec, s[40:41]
	s_andn2_b64 s[40:41], s[46:47], exec
	s_and_b64 s[46:47], s[48:49], exec
	s_or_b64 s[46:47], s[40:41], s[46:47]
.LBB24_176:                             ;   in Loop: Header=BB24_7 Depth=1
	s_or_b64 exec, exec, s[38:39]
	s_mov_b64 s[38:39], 0
	s_mov_b64 s[40:41], -1
.LBB24_177:                             ;   in Loop: Header=BB24_7 Depth=1
	s_orn2_b64 s[46:47], s[46:47], exec
.LBB24_178:                             ;   in Loop: Header=BB24_7 Depth=1
	s_or_b64 exec, exec, s[42:43]
	s_mov_b64 s[48:49], 0
	s_and_saveexec_b64 s[42:43], s[46:47]
	s_cbranch_execz .LBB24_228
; %bb.179:                              ;   in Loop: Header=BB24_7 Depth=1
	s_xor_b64 s[46:47], s[44:45], -1
	s_mov_b64 s[50:51], 0
	v_mov_b32_e32 v11, 1
	v_mov_b32_e32 v10, 1
	s_and_saveexec_b64 s[44:45], s[46:47]
	s_cbranch_execz .LBB24_188
; %bb.180:                              ;   in Loop: Header=BB24_7 Depth=1
	v_cmp_ge_i32_e32 vcc, s58, v12
	s_and_saveexec_b64 s[46:47], vcc
	s_xor_b64 s[46:47], exec, s[46:47]
	s_cbranch_execz .LBB24_185
; %bb.181:                              ;   in Loop: Header=BB24_7 Depth=1
	ds_read_b32 v4, v19 offset:4096
	s_lshl_b64 s[48:49], 2, s17
	v_and_b32_e32 v3, s31, v27
	v_and_b32_e32 v5, s30, v26
	v_or_b32_e32 v27, s49, v3
	s_waitcnt lgkmcnt(0)
	v_cmp_ne_u32_e32 vcc, 0, v4
	v_or_b32_e32 v26, s48, v5
	v_or_b32_e32 v29, s3, v29
	;; [unrolled: 1-line block ×3, first 2 shown]
	s_cbranch_vccnz .LBB24_185
; %bb.182:                              ;   in Loop: Header=BB24_7 Depth=1
	s_and_saveexec_b64 s[30:31], s[18:19]
; %bb.183:                              ;   in Loop: Header=BB24_7 Depth=1
	v_mov_b32_e32 v3, s58
	ds_write_b32 v19, v3 offset:4100
; %bb.184:                              ;   in Loop: Header=BB24_7 Depth=1
	s_or_b64 exec, exec, s[30:31]
	s_waitcnt lgkmcnt(0)
	s_barrier
.LBB24_185:                             ;   in Loop: Header=BB24_7 Depth=1
	s_or_saveexec_b64 s[30:31], s[46:47]
	s_mov_b64 s[46:47], 0
	v_mov_b32_e32 v10, 8
	s_xor_b64 exec, exec, s[30:31]
; %bb.186:                              ;   in Loop: Header=BB24_7 Depth=1
	s_mov_b64 s[46:47], exec
	v_subrev_u32_e32 v12, s58, v12
	v_mov_b32_e32 v10, 0
; %bb.187:                              ;   in Loop: Header=BB24_7 Depth=1
	s_or_b64 exec, exec, s[30:31]
	s_and_b64 s[50:51], s[46:47], exec
	v_mov_b32_e32 v11, v12
.LBB24_188:                             ;   in Loop: Header=BB24_7 Depth=1
	s_or_b64 exec, exec, s[44:45]
	s_mov_b64 s[44:45], -1
                                        ; implicit-def: $sgpr48_sgpr49
                                        ; implicit-def: $sgpr46_sgpr47
	s_and_saveexec_b64 s[30:31], s[50:51]
	s_cbranch_execz .LBB24_227
; %bb.189:                              ;   in Loop: Header=BB24_7 Depth=1
	s_cmp_eq_u32 s84, 1
	s_cselect_b64 s[44:45], -1, 0
	v_cmp_eq_u32_e32 vcc, 1, v11
	s_and_b64 s[44:45], s[44:45], vcc
	s_mov_b64 s[52:53], -1
                                        ; implicit-def: $sgpr48_sgpr49
                                        ; implicit-def: $sgpr46_sgpr47
	s_and_saveexec_b64 s[50:51], s[44:45]
	s_cbranch_execz .LBB24_215
; %bb.190:                              ;   in Loop: Header=BB24_7 Depth=1
	ds_read_b32 v3, v19 offset:4096
	s_waitcnt lgkmcnt(0)
	s_barrier
	v_readfirstlane_b32 s71, v3
	s_and_saveexec_b64 s[46:47], s[4:5]
; %bb.191:                              ;   in Loop: Header=BB24_7 Depth=1
	ds_write_b64 v36, v[50:51]
; %bb.192:                              ;   in Loop: Header=BB24_7 Depth=1
	s_or_b64 exec, exec, s[46:47]
	v_or_b32_e32 v27, s3, v27
	v_or_b32_e32 v26, s2, v26
	;; [unrolled: 1-line block ×4, first 2 shown]
	s_mov_b64 s[46:47], -1
	s_mov_b64 s[48:49], 0
	s_cmp_gt_i32 s71, 0
	s_mov_b64 s[52:53], 0
	s_mov_b64 s[54:55], -1
	s_waitcnt lgkmcnt(0)
	s_barrier
                                        ; implicit-def: $vgpr6_vgpr7
	s_cbranch_scc1 .LBB24_203
; %bb.193:                              ;   in Loop: Header=BB24_7 Depth=1
	s_mov_b64 s[54:55], 0
                                        ; implicit-def: $vgpr6_vgpr7
	s_mov_b64 s[56:57], exec
	v_readlane_b32 s58, v60, 25
	v_readlane_b32 s59, v60, 26
	s_and_b64 s[58:59], s[56:57], s[58:59]
	s_mov_b64 exec, s[58:59]
	s_cbranch_execz .LBB24_202
; %bb.194:                              ;   in Loop: Header=BB24_7 Depth=1
	v_mov_b32_e32 v8, v16
	v_mov_b32_e32 v12, v0
                                        ; implicit-def: $sgpr58_sgpr59
	s_branch .LBB24_197
.LBB24_195:                             ;   in Loop: Header=BB24_197 Depth=2
	s_or_b64 exec, exec, s[66:67]
	s_waitcnt lgkmcnt(0)
	s_barrier
	ds_read_b128 v[4:7], v19 offset:3072
	s_mov_b64 s[66:67], -1
	s_mov_b64 s[82:83], -1
	s_waitcnt lgkmcnt(0)
	s_barrier
	v_cmp_ne_u64_e32 vcc, 0, v[4:5]
	s_cbranch_vccz .LBB24_200
.LBB24_196:                             ;   in Loop: Header=BB24_197 Depth=2
	s_and_b64 s[66:67], exec, s[66:67]
	s_or_b64 s[52:53], s[66:67], s[52:53]
	s_andn2_b64 s[58:59], s[58:59], exec
	s_and_b64 s[66:67], s[82:83], exec
	s_or_b64 s[58:59], s[58:59], s[66:67]
	s_andn2_b64 exec, exec, s[52:53]
	s_cbranch_execz .LBB24_201
.LBB24_197:                             ;   Parent Loop BB24_7 Depth=1
                                        ; =>  This Inner Loop Header: Depth=2
	v_cmp_gt_i32_e32 vcc, s60, v12
	s_and_saveexec_b64 s[66:67], vcc
	s_cbranch_execz .LBB24_195
; %bb.198:                              ;   in Loop: Header=BB24_197 Depth=2
	v_ashrrev_i32_e32 v9, 31, v8
	v_lshl_add_u64 v[4:5], v[8:9], 3, s[68:69]
	global_load_dwordx2 v[4:5], v[4:5], off
	s_waitcnt vmcnt(0)
	v_xor_b32_e32 v3, 0x80000000, v5
	v_and_b32_e32 v7, v3, v29
	v_and_b32_e32 v6, v4, v28
	v_cmp_eq_u64_e32 vcc, v[6:7], v[26:27]
	s_and_b64 exec, exec, vcc
	s_cbranch_execz .LBB24_195
; %bb.199:                              ;   in Loop: Header=BB24_197 Depth=2
	v_mov_b32_e32 v3, v19
	ds_write_b128 v19, v[2:5] offset:3072
	s_branch .LBB24_195
.LBB24_200:                             ;   in Loop: Header=BB24_197 Depth=2
	v_add_u32_e32 v12, s62, v12
	v_cmp_le_i32_e32 vcc, s79, v12
	v_add_u32_e32 v8, s33, v8
	s_mov_b64 s[82:83], 0
	s_orn2_b64 s[66:67], vcc, exec
	s_branch .LBB24_196
.LBB24_201:                             ;   in Loop: Header=BB24_7 Depth=1
	s_or_b64 exec, exec, s[52:53]
	s_and_b64 s[52:53], s[58:59], exec
.LBB24_202:                             ;   in Loop: Header=BB24_7 Depth=1
	s_or_b64 exec, exec, s[56:57]
.LBB24_203:                             ;   in Loop: Header=BB24_7 Depth=1
	s_and_b64 vcc, exec, s[54:55]
	s_cbranch_vccz .LBB24_214
; %bb.204:                              ;   in Loop: Header=BB24_7 Depth=1
	v_readlane_b32 s46, v60, 7
	s_add_i32 s66, s71, s46
	s_abs_i32 s47, s66
	v_readlane_b32 s48, v60, 24
	s_mul_hi_u32 s48, s47, s48
	s_mul_i32 s48, s48, s62
	s_sub_i32 s47, s47, s48
	s_ashr_i32 s46, s66, 31
	s_sub_i32 s48, s47, s62
	s_cmp_ge_u32 s47, s62
	s_cselect_b32 s47, s48, s47
	s_sub_i32 s48, s47, s62
	s_cmp_ge_u32 s47, s62
	s_cselect_b32 s47, s48, s47
	s_xor_b32 s47, s47, s46
	s_sub_i32 s46, s46, s47
	s_add_i32 s66, s66, s46
	v_cmp_gt_i32_e32 vcc, s66, v0
                                        ; implicit-def: $vgpr6_vgpr7
	s_and_saveexec_b64 s[46:47], vcc
	s_cbranch_execz .LBB24_213
; %bb.205:                              ;   in Loop: Header=BB24_7 Depth=1
	s_mov_b64 s[48:49], 0
	v_mov_b32_e32 v8, v35
	v_mov_b32_e32 v9, v0
                                        ; implicit-def: $sgpr54_sgpr55
	s_branch .LBB24_208
.LBB24_206:                             ;   in Loop: Header=BB24_208 Depth=2
	s_or_b64 exec, exec, s[56:57]
	s_waitcnt lgkmcnt(0)
	s_barrier
	ds_read_b128 v[4:7], v19 offset:3072
	s_mov_b64 s[56:57], -1
	s_mov_b64 s[58:59], -1
	s_waitcnt lgkmcnt(0)
	s_barrier
	v_cmp_eq_u64_e32 vcc, 0, v[4:5]
	s_cbranch_vccnz .LBB24_211
.LBB24_207:                             ;   in Loop: Header=BB24_208 Depth=2
	s_and_b64 s[56:57], exec, s[56:57]
	s_or_b64 s[48:49], s[56:57], s[48:49]
	s_andn2_b64 s[54:55], s[54:55], exec
	s_and_b64 s[56:57], s[58:59], exec
	s_or_b64 s[54:55], s[54:55], s[56:57]
	s_andn2_b64 exec, exec, s[48:49]
	s_cbranch_execz .LBB24_212
.LBB24_208:                             ;   Parent Loop BB24_7 Depth=1
                                        ; =>  This Inner Loop Header: Depth=2
	v_cmp_gt_i32_e32 vcc, s71, v9
	s_and_saveexec_b64 s[56:57], vcc
	s_cbranch_execz .LBB24_206
; %bb.209:                              ;   in Loop: Header=BB24_208 Depth=2
	ds_read_b64 v[4:5], v8
	s_waitcnt lgkmcnt(0)
	v_xor_b32_e32 v3, 0x80000000, v5
	v_and_b32_e32 v7, v3, v29
	v_and_b32_e32 v6, v4, v28
	v_cmp_eq_u64_e32 vcc, v[6:7], v[26:27]
	s_and_b64 exec, exec, vcc
	s_cbranch_execz .LBB24_206
; %bb.210:                              ;   in Loop: Header=BB24_208 Depth=2
	v_mov_b32_e32 v3, v19
	ds_write_b128 v19, v[2:5] offset:3072
	s_branch .LBB24_206
.LBB24_211:                             ;   in Loop: Header=BB24_208 Depth=2
	v_add_u32_e32 v9, s62, v9
	v_cmp_le_i32_e32 vcc, s66, v9
	v_add_u32_e32 v8, s16, v8
	s_mov_b64 s[58:59], 0
	s_orn2_b64 s[56:57], vcc, exec
	s_branch .LBB24_207
.LBB24_212:                             ;   in Loop: Header=BB24_7 Depth=1
	s_or_b64 exec, exec, s[48:49]
	s_andn2_b64 s[48:49], s[52:53], exec
	s_and_b64 s[52:53], s[54:55], exec
	s_or_b64 s[52:53], s[48:49], s[52:53]
.LBB24_213:                             ;   in Loop: Header=BB24_7 Depth=1
	s_or_b64 exec, exec, s[46:47]
	s_mov_b64 s[46:47], 0
	s_mov_b64 s[48:49], -1
.LBB24_214:                             ;   in Loop: Header=BB24_7 Depth=1
	s_orn2_b64 s[52:53], s[52:53], exec
.LBB24_215:                             ;   in Loop: Header=BB24_7 Depth=1
	s_or_b64 exec, exec, s[50:51]
	s_mov_b64 s[54:55], 0
	s_and_saveexec_b64 s[50:51], s[52:53]
	s_cbranch_execz .LBB24_226
; %bb.216:                              ;   in Loop: Header=BB24_7 Depth=1
	s_xor_b64 s[52:53], s[44:45], -1
	v_mov_b32_e32 v10, 1
	v_mov_b32_e32 v3, 1
	s_and_saveexec_b64 s[44:45], s[52:53]
	s_cbranch_execz .LBB24_225
; %bb.217:                              ;   in Loop: Header=BB24_7 Depth=1
	v_cmp_ge_i32_e32 vcc, s84, v11
	s_and_saveexec_b64 s[52:53], vcc
	s_xor_b64 s[52:53], exec, s[52:53]
	s_cbranch_execz .LBB24_222
; %bb.218:                              ;   in Loop: Header=BB24_7 Depth=1
	ds_read_b32 v3, v19 offset:4096
	v_or_b32_e32 v27, s3, v27
	v_or_b32_e32 v26, s2, v26
	;; [unrolled: 1-line block ×4, first 2 shown]
	s_waitcnt lgkmcnt(0)
	v_cmp_ne_u32_e32 vcc, 0, v3
	s_cbranch_vccnz .LBB24_222
; %bb.219:                              ;   in Loop: Header=BB24_7 Depth=1
	s_and_saveexec_b64 s[2:3], s[18:19]
; %bb.220:                              ;   in Loop: Header=BB24_7 Depth=1
	v_mov_b32_e32 v3, s84
	ds_write_b32 v19, v3 offset:4100
; %bb.221:                              ;   in Loop: Header=BB24_7 Depth=1
	s_or_b64 exec, exec, s[2:3]
	s_waitcnt lgkmcnt(0)
	s_barrier
.LBB24_222:                             ;   in Loop: Header=BB24_7 Depth=1
	s_andn2_saveexec_b64 s[2:3], s[52:53]
; %bb.223:                              ;   in Loop: Header=BB24_7 Depth=1
	v_subrev_u32_e32 v11, s84, v11
; %bb.224:                              ;   in Loop: Header=BB24_7 Depth=1
	s_or_b64 exec, exec, s[2:3]
	v_mov_b32_e32 v10, 8
	v_mov_b32_e32 v3, v11
.LBB24_225:                             ;   in Loop: Header=BB24_7 Depth=1
	s_or_b64 exec, exec, s[44:45]
	s_mov_b64 s[54:55], exec
	v_mov_b32_e32 v11, v3
.LBB24_226:                             ;   in Loop: Header=BB24_7 Depth=1
	s_or_b64 exec, exec, s[50:51]
	s_orn2_b64 s[44:45], s[54:55], exec
.LBB24_227:                             ;   in Loop: Header=BB24_7 Depth=1
	s_or_b64 exec, exec, s[30:31]
	s_andn2_b64 s[2:3], s[40:41], exec
	s_and_b64 s[30:31], s[48:49], exec
	s_or_b64 s[40:41], s[2:3], s[30:31]
	s_andn2_b64 s[2:3], s[38:39], exec
	s_and_b64 s[30:31], s[46:47], exec
	s_or_b64 s[38:39], s[2:3], s[30:31]
	s_and_b64 s[48:49], s[44:45], exec
	v_mov_b32_e32 v12, v11
.LBB24_228:                             ;   in Loop: Header=BB24_7 Depth=1
	s_or_b64 exec, exec, s[42:43]
	s_orn2_b64 s[42:43], s[48:49], exec
.LBB24_229:                             ;   in Loop: Header=BB24_7 Depth=1
	s_or_b64 exec, exec, s[36:37]
	s_andn2_b64 s[2:3], s[28:29], exec
	s_and_b64 s[28:29], s[40:41], exec
	s_or_b64 s[28:29], s[2:3], s[28:29]
	s_andn2_b64 s[2:3], s[26:27], exec
	s_and_b64 s[26:27], s[38:39], exec
	s_or_b64 s[26:27], s[2:3], s[26:27]
	s_and_b64 s[40:41], s[42:43], exec
	v_mov_b32_e32 v11, v12
.LBB24_230:                             ;   in Loop: Header=BB24_7 Depth=1
	s_or_b64 exec, exec, s[34:35]
	s_orn2_b64 s[34:35], s[40:41], exec
.LBB24_231:                             ;   in Loop: Header=BB24_7 Depth=1
	s_or_b64 exec, exec, s[24:25]
	s_mov_b64 s[24:25], 0
                                        ; implicit-def: $sgpr36
                                        ; implicit-def: $sgpr37
	s_and_saveexec_b64 s[2:3], s[34:35]
	s_xor_b64 s[2:3], exec, s[2:3]
	s_cbranch_execz .LBB24_5
; %bb.232:                              ;   in Loop: Header=BB24_7 Depth=1
	v_and_b32_e32 v3, 7, v10
	v_cmp_eq_u32_e32 vcc, 0, v3
	s_mov_b64 s[22:23], -1
	s_mov_b64 s[24:25], -1
                                        ; implicit-def: $sgpr36
                                        ; implicit-def: $sgpr37
	s_and_saveexec_b64 s[30:31], vcc
	s_cbranch_execz .LBB24_4
; %bb.233:                              ;   in Loop: Header=BB24_7 Depth=1
	s_xor_b32 s37, s61, 1
	s_add_i32 s36, s17, -2
	s_cmp_eq_u32 s17, 0
	s_cselect_b64 s[22:23], -1, 0
	s_xor_b64 s[24:25], exec, -1
	s_orn2_b64 s[22:23], s[22:23], exec
	s_branch .LBB24_4
.LBB24_234:
	s_or_b64 exec, exec, s[88:89]
	s_xor_b64 s[6:7], s[94:95], -1
	s_xor_b64 s[0:1], s[90:91], -1
	;; [unrolled: 1-line block ×3, first 2 shown]
	s_mov_b64 s[2:3], 0
	s_and_saveexec_b64 s[8:9], s[0:1]
	s_xor_b64 s[0:1], exec, s[8:9]
	s_cbranch_execnz .LBB24_239
; %bb.235:
	s_andn2_saveexec_b64 s[0:1], s[0:1]
	s_cbranch_execnz .LBB24_259
.LBB24_236:
	s_or_b64 exec, exec, s[0:1]
	s_and_saveexec_b64 s[0:1], s[2:3]
.LBB24_237:
	; divergent unreachable
.LBB24_238:
	s_endpgm
.LBB24_239:
	s_and_saveexec_b64 s[2:3], s[6:7]
	s_xor_b64 s[2:3], exec, s[2:3]
	s_cbranch_execz .LBB24_257
; %bb.240:
	s_and_saveexec_b64 s[6:7], s[4:5]
	s_xor_b64 s[4:5], exec, s[6:7]
; %bb.241:
	v_xor_b32_e32 v27, 0x80000000, v27
	v_mov_b64_e32 v[6:7], v[26:27]
; %bb.242:
	s_or_b64 exec, exec, s[4:5]
	s_and_saveexec_b64 s[4:5], s[18:19]
	v_readlane_b32 s20, v60, 6
; %bb.243:
	v_mov_b32_e32 v1, 0
	v_mov_b32_e32 v2, s60
	ds_write_b32 v1, v2 offset:4108
; %bb.244:
	s_or_b64 exec, exec, s[4:5]
	v_mov_b32_e32 v1, 0
	s_waitcnt lgkmcnt(0)
	s_barrier
	ds_read_b32 v1, v1 offset:4108
	s_waitcnt lgkmcnt(0)
	v_min_i32_e32 v2, s60, v1
	v_cmp_lt_i32_e32 vcc, v0, v2
	s_and_saveexec_b64 s[4:5], vcc
	s_cbranch_execz .LBB24_254
; %bb.245:
	s_mov_b64 s[6:7], 0
                                        ; implicit-def: $sgpr8_sgpr9
                                        ; implicit-def: $sgpr12_sgpr13
                                        ; implicit-def: $sgpr10_sgpr11
	s_branch .LBB24_247
.LBB24_246:                             ;   in Loop: Header=BB24_247 Depth=1
	s_or_b64 exec, exec, s[14:15]
	s_and_b64 s[14:15], exec, s[12:13]
	s_or_b64 s[6:7], s[14:15], s[6:7]
	s_andn2_b64 s[8:9], s[8:9], exec
	s_and_b64 s[14:15], s[10:11], exec
	s_or_b64 s[8:9], s[8:9], s[14:15]
	s_andn2_b64 exec, exec, s[6:7]
	s_cbranch_execz .LBB24_249
.LBB24_247:                             ; =>This Inner Loop Header: Depth=1
	v_ashrrev_i32_e32 v17, 31, v16
	s_waitcnt vmcnt(0)
	v_lshl_add_u64 v[4:5], v[16:17], 3, s[68:69]
	global_load_dwordx2 v[4:5], v[4:5], off
	v_mov_b32_e32 v1, v0
	s_or_b64 s[10:11], s[10:11], exec
	s_or_b64 s[12:13], s[12:13], exec
                                        ; implicit-def: $vgpr0
	s_waitcnt vmcnt(0)
	v_cmp_ne_u64_e32 vcc, v[4:5], v[6:7]
	s_and_saveexec_b64 s[14:15], vcc
	s_cbranch_execz .LBB24_246
; %bb.248:                              ;   in Loop: Header=BB24_247 Depth=1
	v_add_u32_e32 v0, s62, v1
	v_cmp_ge_i32_e32 vcc, v0, v2
	s_andn2_b64 s[12:13], s[12:13], exec
	s_and_b64 s[16:17], vcc, exec
	v_add_u32_e32 v16, s33, v16
	s_andn2_b64 s[10:11], s[10:11], exec
	s_or_b64 s[12:13], s[12:13], s[16:17]
	s_branch .LBB24_246
.LBB24_249:
	s_or_b64 exec, exec, s[6:7]
	s_and_saveexec_b64 s[6:7], s[8:9]
	s_xor_b64 s[6:7], exec, s[6:7]
	s_cbranch_execz .LBB24_254
; %bb.250:
	s_mov_b64 s[6:7], exec
	s_brev_b32 s8, -2
.LBB24_251:                             ; =>This Inner Loop Header: Depth=1
	s_ff1_i32_b64 s9, s[6:7]
	v_readlane_b32 s12, v1, s9
	s_lshl_b64 s[10:11], 1, s9
	s_min_i32 s8, s8, s12
	s_andn2_b64 s[6:7], s[6:7], s[10:11]
	s_cmp_lg_u64 s[6:7], 0
	s_cbranch_scc1 .LBB24_251
; %bb.252:
	v_mbcnt_lo_u32_b32 v0, exec_lo, 0
	v_mbcnt_hi_u32_b32 v0, exec_hi, v0
	v_cmp_eq_u32_e32 vcc, 0, v0
	s_and_saveexec_b64 s[6:7], vcc
	s_xor_b64 s[6:7], exec, s[6:7]
; %bb.253:
	v_mov_b32_e32 v0, 0
	v_mov_b32_e32 v1, s8
	ds_min_i32 v0, v1 offset:4108
.LBB24_254:
	s_or_b64 exec, exec, s[4:5]
	s_waitcnt lgkmcnt(0)
	s_barrier
	s_and_saveexec_b64 s[4:5], s[18:19]
	s_cbranch_execz .LBB24_256
; %bb.255:
	v_readlane_b32 s6, v60, 5
	s_mul_i32 s6, s6, s20
	v_readlane_b32 s7, v60, 4
	s_mul_i32 s8, s7, s20
	s_ashr_i32 s7, s6, 31
	v_mov_b32_e32 v2, 0
	s_lshl_b64 s[6:7], s[6:7], 3
	v_readlane_b32 s10, v60, 2
	ds_read_b32 v0, v2 offset:4108
	v_readlane_b32 s11, v60, 3
	s_add_u32 s6, s10, s6
	s_addc_u32 s7, s11, s7
	s_ashr_i32 s9, s8, 31
	s_lshl_b64 s[8:9], s[8:9], 3
	v_readlane_b32 s10, v60, 0
	v_readlane_b32 s11, v60, 1
	s_add_u32 s8, s10, s8
	s_addc_u32 s9, s11, s9
	s_waitcnt lgkmcnt(0)
	v_ashrrev_i32_e32 v1, 31, v0
	global_store_dwordx2 v2, v[0:1], s[8:9]
	global_store_dwordx2 v2, v[6:7], s[6:7]
.LBB24_256:
	s_or_b64 exec, exec, s[4:5]
.LBB24_257:
	s_or_saveexec_b64 s[2:3], s[2:3]
	s_mov_b64 s[4:5], 0
	s_xor_b64 exec, exec, s[2:3]
	s_cbranch_execnz .LBB24_260
.LBB24_258:
	s_or_b64 exec, exec, s[2:3]
	s_and_b64 s[2:3], s[4:5], exec
	s_andn2_saveexec_b64 s[0:1], s[0:1]
	s_cbranch_execz .LBB24_236
.LBB24_259:
	s_or_b64 s[2:3], s[2:3], exec
	s_trap 2
	s_or_b64 exec, exec, s[0:1]
	s_and_saveexec_b64 s[0:1], s[2:3]
	s_cbranch_execnz .LBB24_237
	s_branch .LBB24_238
.LBB24_260:
	s_mov_b64 s[4:5], exec
	s_trap 2
	s_branch .LBB24_258
	.section	.rodata,"a",@progbits
	.p2align	6, 0x0
	.amdhsa_kernel _ZN2at6native12_GLOBAL__N_114gatherKthValueIliLi1EEEvNS_4cuda6detail10TensorInfoIKT_T0_EES8_S8_S8_S8_NS5_IS6_S8_EENS5_IlS8_EE
		.amdhsa_group_segment_fixed_size 4112
		.amdhsa_private_segment_fixed_size 0
		.amdhsa_kernarg_size 920
		.amdhsa_user_sgpr_count 2
		.amdhsa_user_sgpr_dispatch_ptr 0
		.amdhsa_user_sgpr_queue_ptr 0
		.amdhsa_user_sgpr_kernarg_segment_ptr 1
		.amdhsa_user_sgpr_dispatch_id 0
		.amdhsa_user_sgpr_kernarg_preload_length 0
		.amdhsa_user_sgpr_kernarg_preload_offset 0
		.amdhsa_user_sgpr_private_segment_size 0
		.amdhsa_uses_dynamic_stack 0
		.amdhsa_enable_private_segment 0
		.amdhsa_system_sgpr_workgroup_id_x 1
		.amdhsa_system_sgpr_workgroup_id_y 1
		.amdhsa_system_sgpr_workgroup_id_z 1
		.amdhsa_system_sgpr_workgroup_info 0
		.amdhsa_system_vgpr_workitem_id 0
		.amdhsa_next_free_vgpr 61
		.amdhsa_next_free_sgpr 100
		.amdhsa_accum_offset 64
		.amdhsa_reserve_vcc 1
		.amdhsa_float_round_mode_32 0
		.amdhsa_float_round_mode_16_64 0
		.amdhsa_float_denorm_mode_32 3
		.amdhsa_float_denorm_mode_16_64 3
		.amdhsa_dx10_clamp 1
		.amdhsa_ieee_mode 1
		.amdhsa_fp16_overflow 0
		.amdhsa_tg_split 0
		.amdhsa_exception_fp_ieee_invalid_op 0
		.amdhsa_exception_fp_denorm_src 0
		.amdhsa_exception_fp_ieee_div_zero 0
		.amdhsa_exception_fp_ieee_overflow 0
		.amdhsa_exception_fp_ieee_underflow 0
		.amdhsa_exception_fp_ieee_inexact 0
		.amdhsa_exception_int_div_zero 0
	.end_amdhsa_kernel
	.section	.text._ZN2at6native12_GLOBAL__N_114gatherKthValueIliLi1EEEvNS_4cuda6detail10TensorInfoIKT_T0_EES8_S8_S8_S8_NS5_IS6_S8_EENS5_IlS8_EE,"axG",@progbits,_ZN2at6native12_GLOBAL__N_114gatherKthValueIliLi1EEEvNS_4cuda6detail10TensorInfoIKT_T0_EES8_S8_S8_S8_NS5_IS6_S8_EENS5_IlS8_EE,comdat
.Lfunc_end24:
	.size	_ZN2at6native12_GLOBAL__N_114gatherKthValueIliLi1EEEvNS_4cuda6detail10TensorInfoIKT_T0_EES8_S8_S8_S8_NS5_IS6_S8_EENS5_IlS8_EE, .Lfunc_end24-_ZN2at6native12_GLOBAL__N_114gatherKthValueIliLi1EEEvNS_4cuda6detail10TensorInfoIKT_T0_EES8_S8_S8_S8_NS5_IS6_S8_EENS5_IlS8_EE
                                        ; -- End function
	.set _ZN2at6native12_GLOBAL__N_114gatherKthValueIliLi1EEEvNS_4cuda6detail10TensorInfoIKT_T0_EES8_S8_S8_S8_NS5_IS6_S8_EENS5_IlS8_EE.num_vgpr, 61
	.set _ZN2at6native12_GLOBAL__N_114gatherKthValueIliLi1EEEvNS_4cuda6detail10TensorInfoIKT_T0_EES8_S8_S8_S8_NS5_IS6_S8_EENS5_IlS8_EE.num_agpr, 0
	.set _ZN2at6native12_GLOBAL__N_114gatherKthValueIliLi1EEEvNS_4cuda6detail10TensorInfoIKT_T0_EES8_S8_S8_S8_NS5_IS6_S8_EENS5_IlS8_EE.numbered_sgpr, 100
	.set _ZN2at6native12_GLOBAL__N_114gatherKthValueIliLi1EEEvNS_4cuda6detail10TensorInfoIKT_T0_EES8_S8_S8_S8_NS5_IS6_S8_EENS5_IlS8_EE.num_named_barrier, 0
	.set _ZN2at6native12_GLOBAL__N_114gatherKthValueIliLi1EEEvNS_4cuda6detail10TensorInfoIKT_T0_EES8_S8_S8_S8_NS5_IS6_S8_EENS5_IlS8_EE.private_seg_size, 0
	.set _ZN2at6native12_GLOBAL__N_114gatherKthValueIliLi1EEEvNS_4cuda6detail10TensorInfoIKT_T0_EES8_S8_S8_S8_NS5_IS6_S8_EENS5_IlS8_EE.uses_vcc, 1
	.set _ZN2at6native12_GLOBAL__N_114gatherKthValueIliLi1EEEvNS_4cuda6detail10TensorInfoIKT_T0_EES8_S8_S8_S8_NS5_IS6_S8_EENS5_IlS8_EE.uses_flat_scratch, 0
	.set _ZN2at6native12_GLOBAL__N_114gatherKthValueIliLi1EEEvNS_4cuda6detail10TensorInfoIKT_T0_EES8_S8_S8_S8_NS5_IS6_S8_EENS5_IlS8_EE.has_dyn_sized_stack, 0
	.set _ZN2at6native12_GLOBAL__N_114gatherKthValueIliLi1EEEvNS_4cuda6detail10TensorInfoIKT_T0_EES8_S8_S8_S8_NS5_IS6_S8_EENS5_IlS8_EE.has_recursion, 0
	.set _ZN2at6native12_GLOBAL__N_114gatherKthValueIliLi1EEEvNS_4cuda6detail10TensorInfoIKT_T0_EES8_S8_S8_S8_NS5_IS6_S8_EENS5_IlS8_EE.has_indirect_call, 0
	.section	.AMDGPU.csdata,"",@progbits
; Kernel info:
; codeLenInByte = 9288
; TotalNumSgprs: 106
; NumVgprs: 61
; NumAgprs: 0
; TotalNumVgprs: 61
; ScratchSize: 0
; MemoryBound: 0
; FloatMode: 240
; IeeeMode: 1
; LDSByteSize: 4112 bytes/workgroup (compile time only)
; SGPRBlocks: 13
; VGPRBlocks: 7
; NumSGPRsForWavesPerEU: 106
; NumVGPRsForWavesPerEU: 61
; AccumOffset: 64
; Occupancy: 7
; WaveLimiterHint : 1
; COMPUTE_PGM_RSRC2:SCRATCH_EN: 0
; COMPUTE_PGM_RSRC2:USER_SGPR: 2
; COMPUTE_PGM_RSRC2:TRAP_HANDLER: 0
; COMPUTE_PGM_RSRC2:TGID_X_EN: 1
; COMPUTE_PGM_RSRC2:TGID_Y_EN: 1
; COMPUTE_PGM_RSRC2:TGID_Z_EN: 1
; COMPUTE_PGM_RSRC2:TIDIG_COMP_CNT: 0
; COMPUTE_PGM_RSRC3_GFX90A:ACCUM_OFFSET: 15
; COMPUTE_PGM_RSRC3_GFX90A:TG_SPLIT: 0
	.section	.text._ZN2at6native12_GLOBAL__N_114gatherKthValueIliLi2EEEvNS_4cuda6detail10TensorInfoIKT_T0_EES8_S8_S8_S8_NS5_IS6_S8_EENS5_IlS8_EE,"axG",@progbits,_ZN2at6native12_GLOBAL__N_114gatherKthValueIliLi2EEEvNS_4cuda6detail10TensorInfoIKT_T0_EES8_S8_S8_S8_NS5_IS6_S8_EENS5_IlS8_EE,comdat
	.globl	_ZN2at6native12_GLOBAL__N_114gatherKthValueIliLi2EEEvNS_4cuda6detail10TensorInfoIKT_T0_EES8_S8_S8_S8_NS5_IS6_S8_EENS5_IlS8_EE ; -- Begin function _ZN2at6native12_GLOBAL__N_114gatherKthValueIliLi2EEEvNS_4cuda6detail10TensorInfoIKT_T0_EES8_S8_S8_S8_NS5_IS6_S8_EENS5_IlS8_EE
	.p2align	8
	.type	_ZN2at6native12_GLOBAL__N_114gatherKthValueIliLi2EEEvNS_4cuda6detail10TensorInfoIKT_T0_EES8_S8_S8_S8_NS5_IS6_S8_EENS5_IlS8_EE,@function
_ZN2at6native12_GLOBAL__N_114gatherKthValueIliLi2EEEvNS_4cuda6detail10TensorInfoIKT_T0_EES8_S8_S8_S8_NS5_IS6_S8_EENS5_IlS8_EE: ; @_ZN2at6native12_GLOBAL__N_114gatherKthValueIliLi2EEEvNS_4cuda6detail10TensorInfoIKT_T0_EES8_S8_S8_S8_NS5_IS6_S8_EENS5_IlS8_EE
; %bb.0:
	s_load_dwordx2 s[12:13], s[0:1], 0x298
	s_load_dwordx4 s[60:63], s[0:1], 0xd8
	s_add_u32 s10, s0, 0x298
	s_addc_u32 s11, s1, 0
	s_waitcnt lgkmcnt(0)
	s_mul_i32 s4, s13, s4
	s_add_i32 s3, s4, s3
	s_mul_i32 s3, s3, s12
	s_add_i32 s18, s3, s2
	s_cmp_ge_i32 s18, s62
	s_cbranch_scc1 .LBB25_238
; %bb.1:
	s_load_dword s3, s[0:1], 0xc
	s_load_dwordx2 s[4:5], s[0:1], 0xe8
                                        ; implicit-def: $vgpr60 : SGPR spill to VGPR lane
                                        ; kill: killed $sgpr0 killed $sgpr1
	s_abs_i32 s21, s18
	s_ashr_i32 s20, s18, 31
	s_load_dword s22, s[0:1], 0xf4
	s_waitcnt lgkmcnt(0)
	s_abs_i32 s13, s3
	v_writelane_b32 v60, s4, 0
	v_cvt_f32_u32_e32 v1, s13
	s_ashr_i32 s14, s3, 31
	v_writelane_b32 v60, s5, 1
	s_load_dwordx2 s[6:7], s[0:1], 0x6c
	s_load_dwordx2 s[4:5], s[0:1], 0x0
	;; [unrolled: 1-line block ×3, first 2 shown]
	v_rcp_iflag_f32_e32 v1, v1
	s_waitcnt lgkmcnt(0)
	v_writelane_b32 v60, s8, 2
	s_nop 1
	v_writelane_b32 v60, s9, 3
	s_load_dword s19, s[0:1], 0x1cc
	s_load_dwordx2 s[8:9], s[0:1], 0x1c0
	v_mul_f32_e32 v1, 0x4f7ffffe, v1
	v_cvt_u32_f32_e32 v1, v1
	s_waitcnt lgkmcnt(0)
	v_writelane_b32 v60, s8, 4
	s_nop 1
	v_writelane_b32 v60, s9, 5
	s_load_dwordx2 s[8:9], s[0:1], 0x154
	v_readfirstlane_b32 s1, v1
	s_sub_i32 s0, 0, s13
	s_mul_i32 s0, s0, s1
	s_mul_hi_u32 s0, s1, s0
	s_waitcnt lgkmcnt(0)
	v_writelane_b32 v60, s8, 6
	s_add_i32 s1, s1, s0
	s_mul_hi_u32 s15, s21, s1
	v_writelane_b32 v60, s9, 7
	s_abs_i32 s9, s22
	v_cvt_f32_u32_e32 v2, s9
	s_abs_i32 s8, s19
	s_sub_i32 s0, 0, s9
	v_writelane_b32 v60, s9, 8
	v_rcp_iflag_f32_e32 v1, v2
	v_cvt_f32_u32_e32 v2, s8
	v_mul_f32_e32 v1, 0x4f7ffffe, v1
	v_cvt_u32_f32_e32 v1, v1
	v_rcp_iflag_f32_e32 v2, v2
	v_readfirstlane_b32 s1, v1
	v_mul_f32_e32 v1, 0x4f7ffffe, v2
	s_mul_i32 s0, s0, s1
	v_cvt_u32_f32_e32 v1, v1
	s_mul_hi_u32 s0, s1, s0
	s_add_i32 s1, s1, s0
	s_mul_hi_u32 s0, s21, s1
	v_writelane_b32 v60, s0, 9
	s_sub_i32 s0, 0, s8
	v_readfirstlane_b32 s1, v1
	s_mul_i32 s0, s0, s1
	s_mul_hi_u32 s0, s1, s0
	s_add_i32 s1, s1, s0
	v_writelane_b32 v60, s8, 10
	s_mul_hi_u32 s0, s21, s1
	v_writelane_b32 v60, s0, 11
	v_cmp_eq_u32_e64 s[0:1], 0, v0
	s_and_saveexec_b64 s[8:9], s[0:1]
; %bb.2:
	v_mov_b32_e32 v2, 0
	v_mov_b32_e32 v3, s60
	v_mov_b32_e32 v4, v2
	ds_write_b96 v2, v[2:4] offset:4096
; %bb.3:
	s_or_b64 exec, exec, s[8:9]
	v_writelane_b32 v60, s22, 12
	s_ashr_i32 s8, s22, 31
	v_writelane_b32 v60, s8, 13
	s_mul_i32 s9, s15, s13
	v_writelane_b32 v60, s19, 14
	s_ashr_i32 s8, s19, 31
	s_sub_i32 s9, s21, s9
	v_writelane_b32 v60, s8, 15
	s_xor_b32 s8, s20, s14
	s_add_i32 s14, s15, 1
	s_sub_i32 s16, s9, s13
	s_cmp_ge_u32 s9, s13
	s_cselect_b32 s14, s14, s15
	s_cselect_b32 s9, s16, s9
	s_add_i32 s15, s14, 1
	s_cmp_ge_u32 s9, s13
	s_cselect_b32 s9, s15, s14
	s_xor_b32 s9, s9, s8
	s_sub_i32 s8, s9, s8
	s_mul_i32 s3, s8, s3
	s_sub_i32 s3, s18, s3
	s_mul_i32 s3, s3, s7
	s_mul_i32 s6, s8, s6
	s_add_i32 s6, s6, s3
	s_waitcnt lgkmcnt(0)
	s_barrier
	s_load_dword s3, s[10:11], 0xc
	s_ashr_i32 s7, s6, 31
	s_lshl_b64 s[6:7], s[6:7], 3
	s_add_u32 s72, s4, s6
	v_mbcnt_lo_u32_b32 v1, -1, 0
	s_addc_u32 s73, s5, s7
	s_waitcnt lgkmcnt(0)
	s_and_b32 s62, s3, 0xffff
	v_mbcnt_hi_u32_b32 v34, -1, v1
	v_cmp_gt_u32_e32 vcc, 64, v0
	v_cmp_gt_i32_e64 s[4:5], 4, v34
	s_add_i32 s6, s62, -1
	v_writelane_b32 v60, s20, 16
	s_lshl_b32 s75, s62, 2
	s_and_b64 s[76:77], vcc, s[4:5]
	s_add_i32 s83, s6, s60
	v_writelane_b32 v60, s21, 17
	s_cmpk_gt_i32 s60, 0x180
	v_writelane_b32 v60, s18, 18
	s_cselect_b64 s[78:79], -1, 0
	s_cmp_gt_u32 s62, 63
	v_writelane_b32 v60, s6, 19
	v_cmp_gt_i32_e64 s[8:9], s60, v0
	s_cselect_b64 s[80:81], -1, 0
	s_cmp_lt_u32 s2, s12
	v_writelane_b32 v60, s8, 20
	s_cselect_b32 s2, 12, 18
	v_lshlrev_b64 v[2:3], v34, -1
	v_writelane_b32 v60, s9, 21
	s_add_u32 s8, s10, s2
	s_addc_u32 s9, s11, 0
	v_writelane_b32 v60, s8, 22
	v_not_b32_e32 v22, v2
	v_lshrrev_b32_e32 v2, 2, v0
	v_writelane_b32 v60, s9, 23
	s_bfe_u32 s8, s3, 0xa0006
	s_add_i32 s2, s8, -2
	s_lshr_b32 s3, s2, 1
	s_add_i32 s3, s3, 1
	s_cmpk_gt_u32 s62, 0x7f
	v_and_b32_e32 v2, 0xf0, v2
	s_cselect_b64 s[10:11], -1, 0
	v_or_b32_e32 v37, 0xc00, v2
	v_writelane_b32 v60, s10, 24
	v_cvt_f32_u32_e32 v2, s75
	s_and_b32 s9, s8, 0x3fe
	v_writelane_b32 v60, s11, 25
	s_and_b32 s10, s3, 7
	s_cmp_gt_u32 s2, 13
	s_cselect_b64 s[12:13], -1, 0
	v_writelane_b32 v60, s12, 26
	v_rcp_iflag_f32_e32 v2, v2
	s_and_b32 s2, s3, -8
	v_writelane_b32 v60, s13, 27
	v_writelane_b32 v60, s2, 28
	s_cmp_lg_u32 s10, 0
	v_writelane_b32 v60, s10, 29
	s_cselect_b64 s[2:3], -1, 0
	v_writelane_b32 v60, s2, 30
	v_mul_f32_e32 v2, 0x4f7ffffe, v2
	v_cvt_u32_f32_e32 v2, v2
	v_writelane_b32 v60, s3, 31
	v_writelane_b32 v60, s8, 32
	s_cmp_lg_u32 s9, s8
	v_writelane_b32 v60, s9, 33
	s_cselect_b64 s[2:3], -1, 0
	v_writelane_b32 v60, s2, 34
	v_not_b32_e32 v1, v3
	v_cvt_f32_u32_e32 v3, s62
	v_writelane_b32 v60, s3, 35
	s_sub_i32 s2, 0, s75
	v_readfirstlane_b32 s3, v2
	s_mul_i32 s2, s2, s3
	s_mul_hi_u32 s2, s3, s2
	s_add_i32 s8, s3, s2
	s_mul_hi_u32 s2, s60, s8
	s_mul_i32 s2, s2, s75
	s_sub_i32 s2, s60, s2
	s_sub_i32 s3, s2, s75
	s_cmp_ge_u32 s2, s75
	s_cselect_b32 s2, s3, s2
	s_sub_i32 s3, s2, s75
	s_cmp_ge_u32 s2, s75
	s_cselect_b32 s2, s3, s2
	s_sub_i32 s9, s60, s2
	v_rcp_iflag_f32_e32 v5, v3
	v_add_u32_e32 v38, s9, v0
	v_mul_lo_u32 v2, v38, s63
	v_ashrrev_i32_e32 v3, 31, v2
	v_lshl_add_u64 v[24:25], v[2:3], 3, s[72:73]
	v_mul_f32_e32 v2, 0x4f7ffffe, v5
	v_cvt_u32_f32_e32 v2, v2
	s_sub_i32 s17, 0, s62
	s_abs_i32 s16, s83
	s_ashr_i32 s3, s83, 31
	v_readfirstlane_b32 s20, v2
	s_mul_i32 s17, s17, s20
	s_mul_hi_u32 s17, s20, s17
	s_add_i32 s17, s20, s17
	v_writelane_b32 v60, s17, 36
	s_mul_hi_u32 s17, s16, s17
	s_mul_i32 s17, s17, s62
	s_sub_i32 s16, s16, s17
	s_sub_i32 s17, s16, s62
	s_cmp_ge_u32 s16, s62
	s_cselect_b32 s16, s17, s16
	s_sub_i32 s17, s16, s62
	s_cmp_ge_u32 s16, s62
	s_cselect_b32 s16, s17, s16
	v_lshlrev_b32_e32 v23, 2, v0
	s_xor_b32 s16, s16, s3
	s_sub_i32 s3, s3, s16
	v_mul_lo_u32 v2, s63, v23
	s_add_i32 s83, s83, s3
	v_add_u32_e32 v39, s63, v2
	v_or_b32_e32 v2, 2, v23
	v_cmp_gt_i32_e64 s[16:17], s83, v0
	v_mul_lo_u32 v40, s63, v2
	v_or_b32_e32 v2, 3, v23
	s_add_i32 s3, s62, s60
	v_mov_b32_e32 v19, 0
	v_writelane_b32 v60, s16, 37
	v_mul_lo_u32 v41, s63, v2
	v_add_u32_e32 v2, s3, v0
	s_mov_b32 s22, 0
	s_mov_b32 s23, 1
	v_lshlrev_b32_e32 v35, 3, v0
	v_mul_lo_u32 v16, s63, v0
	v_mov_b32_e32 v17, v19
	v_lshlrev_b32_e32 v4, 2, v34
	v_writelane_b32 v60, s17, 38
	s_mul_i32 s74, s63, s62
	v_subrev_u32_e32 v2, s2, v2
	v_cmp_eq_u32_e64 s[18:19], 0, v34
	v_cmp_gt_u32_e64 s[4:5], 2, v0
	v_add_u32_e32 v36, 0xc00, v35
	v_cmp_gt_u32_e64 s[6:7], s60, v0
	v_lshl_add_u64 v[20:21], v[16:17], 3, s[72:73]
	v_and_b32_e32 v17, 0x100, v4
	v_cmp_gt_i32_e64 s[10:11], s9, v23
	v_cmp_gt_u32_e64 s[12:13], s60, v38
	v_cmp_gt_i32_e64 s[14:15], s60, v38
	s_lshl_b32 s84, s74, 2
	v_lshlrev_b32_e32 v42, 2, v16
	v_mul_lo_u32 v43, s63, v2
	v_lshlrev_b32_e32 v44, 5, v0
	s_lshl_b32 s85, s62, 5
	s_lshl_b32 s16, s62, 3
	v_or_b32_e32 v45, 0xc00, v4
	s_mov_b32 s17, 62
	s_mov_b64 s[92:93], 0
	v_mov_b64_e32 v[6:7], 0
	v_mov_b32_e32 v47, s61
	v_mov_b64_e32 v[26:27], 0
	v_mov_b64_e32 v[28:29], 0
	v_mov_b32_e32 v49, s60
	v_mov_b32_e32 v2, 1
	;; [unrolled: 1-line block ×5, first 2 shown]
	v_writelane_b32 v60, s22, 39
	s_mov_b32 s61, s22
                                        ; implicit-def: $sgpr94_sgpr95
                                        ; implicit-def: $sgpr98_sgpr99
                                        ; implicit-def: $sgpr96_sgpr97
                                        ; implicit-def: $sgpr64_sgpr65
                                        ; implicit-def: $sgpr66_sgpr67
                                        ; implicit-def: $sgpr68_sgpr69
	s_nop 0
	v_writelane_b32 v60, s23, 40
	s_branch .LBB25_7
.LBB25_4:                               ;   in Loop: Header=BB25_7 Depth=1
	s_or_b64 exec, exec, s[30:31]
	s_and_b64 s[24:25], s[24:25], exec
	s_andn2_b64 s[28:29], s[28:29], exec
	s_andn2_b64 s[26:27], s[26:27], exec
	s_orn2_b64 s[22:23], s[22:23], exec
.LBB25_5:                               ;   in Loop: Header=BB25_7 Depth=1
	s_or_b64 exec, exec, s[2:3]
	s_andn2_b64 s[2:3], s[68:69], exec
	s_and_b64 s[24:25], s[24:25], exec
	s_or_b64 s[68:69], s[2:3], s[24:25]
	s_andn2_b64 s[2:3], s[66:67], exec
	s_and_b64 s[24:25], s[28:29], exec
	s_or_b64 s[66:67], s[2:3], s[24:25]
	;; [unrolled: 3-line block ×3, first 2 shown]
	s_orn2_b64 s[22:23], s[22:23], exec
.LBB25_6:                               ;   in Loop: Header=BB25_7 Depth=1
	s_or_b64 exec, exec, s[20:21]
	s_and_b64 s[2:3], exec, s[22:23]
	s_or_b64 s[92:93], s[2:3], s[92:93]
	s_andn2_b64 s[2:3], s[96:97], exec
	s_and_b64 s[20:21], s[68:69], exec
	s_or_b64 s[96:97], s[2:3], s[20:21]
	s_andn2_b64 s[2:3], s[98:99], exec
	s_and_b64 s[20:21], s[66:67], exec
	;; [unrolled: 3-line block ×3, first 2 shown]
	s_or_b64 s[94:95], s[2:3], s[20:21]
	s_mov_b32 s61, s37
	s_mov_b32 s17, s36
	v_mov_b32_e32 v47, v11
	s_andn2_b64 exec, exec, s[92:93]
	s_cbranch_execz .LBB25_234
.LBB25_7:                               ; =>This Loop Header: Depth=1
                                        ;     Child Loop BB25_13 Depth 2
                                        ;     Child Loop BB25_28 Depth 2
	;; [unrolled: 1-line block ×17, first 2 shown]
	s_waitcnt vmcnt(0)
	ds_read_b64 v[4:5], v19 offset:4096
	s_waitcnt lgkmcnt(0)
	v_readfirstlane_b32 s33, v4
	s_cmp_gt_i32 s33, 0
	s_cbranch_scc1 .LBB25_35
; %bb.8:                                ;   in Loop: Header=BB25_7 Depth=1
	s_and_b64 vcc, exec, s[78:79]
	s_cbranch_vccz .LBB25_21
; %bb.9:                                ;   in Loop: Header=BB25_7 Depth=1
	s_movk_i32 s2, 0x181
	v_cmp_gt_i32_e32 vcc, s2, v5
	s_mov_b64 s[20:21], 0
	s_mov_b64 s[2:3], 0
	s_cbranch_vccz .LBB25_22
; %bb.10:                               ;   in Loop: Header=BB25_7 Depth=1
	s_and_saveexec_b64 s[22:23], s[6:7]
	s_cbranch_execz .LBB25_67
; %bb.11:                               ;   in Loop: Header=BB25_7 Depth=1
	v_readlane_b32 s2, v60, 22
	v_readlane_b32 s3, v60, 23
	s_nop 4
	global_load_ushort v3, v19, s[2:3]
	global_load_dwordx2 v[4:5], v[20:21], off
	s_mov_b64 s[24:25], 0
	v_mov_b32_e32 v11, v0
	s_waitcnt vmcnt(1)
	v_add_u32_e32 v8, v0, v3
	v_mul_lo_u32 v10, s63, v3
	v_mul_lo_u32 v18, s63, v8
	s_branch .LBB25_13
.LBB25_12:                              ;   in Loop: Header=BB25_13 Depth=2
	s_or_b64 exec, exec, s[2:3]
	v_cmp_le_i32_e32 vcc, s60, v11
	v_add_u32_e32 v18, v18, v10
	s_or_b64 s[24:25], vcc, s[24:25]
	v_mov_b64_e32 v[4:5], v[8:9]
	s_andn2_b64 exec, exec, s[24:25]
	s_cbranch_execz .LBB25_67
.LBB25_13:                              ;   Parent Loop BB25_7 Depth=1
                                        ; =>  This Inner Loop Header: Depth=2
	v_add_u32_e32 v11, v11, v3
	v_cmp_gt_u32_e32 vcc, s60, v11
	v_mov_b64_e32 v[8:9], 0
	s_and_saveexec_b64 s[2:3], vcc
	s_cbranch_execz .LBB25_15
; %bb.14:                               ;   in Loop: Header=BB25_13 Depth=2
	v_lshl_add_u64 v[8:9], v[18:19], 3, s[72:73]
	global_load_dwordx2 v[8:9], v[8:9], off
.LBB25_15:                              ;   in Loop: Header=BB25_13 Depth=2
	s_or_b64 exec, exec, s[2:3]
	s_waitcnt vmcnt(0) lgkmcnt(0)
	v_xor_b32_e32 v12, 0x80000000, v5
	v_and_b32_e32 v13, v12, v29
	v_and_b32_e32 v12, v4, v28
	v_cmp_eq_u64_e32 vcc, v[12:13], v[26:27]
	s_cmp_lg_u64 vcc, 0
	s_cselect_b64 s[2:3], -1, 0
	s_and_b64 s[2:3], s[18:19], s[2:3]
	v_mov_b32_e32 v12, 0
	s_and_saveexec_b64 s[26:27], s[2:3]
	s_cbranch_execz .LBB25_19
; %bb.16:                               ;   in Loop: Header=BB25_13 Depth=2
	s_mov_b64 s[30:31], exec
	v_mbcnt_lo_u32_b32 v12, s30, 0
	v_mbcnt_hi_u32_b32 v12, s31, v12
	s_bcnt1_i32_b64 s34, vcc
	v_cmp_eq_u32_e64 s[2:3], 0, v12
                                        ; implicit-def: $vgpr13
	s_and_saveexec_b64 s[28:29], s[2:3]
; %bb.17:                               ;   in Loop: Header=BB25_13 Depth=2
	s_bcnt1_i32_b64 s2, s[30:31]
	s_mul_i32 s2, s34, s2
	v_mov_b32_e32 v13, s2
	ds_add_rtn_u32 v13, v19, v13 offset:4104
; %bb.18:                               ;   in Loop: Header=BB25_13 Depth=2
	s_or_b64 exec, exec, s[28:29]
	s_waitcnt lgkmcnt(0)
	v_readfirstlane_b32 s2, v13
	s_nop 1
	v_mov_b32_e32 v13, s2
	v_mad_u32_u24 v12, s34, v12, v13
.LBB25_19:                              ;   in Loop: Header=BB25_13 Depth=2
	s_or_b64 exec, exec, s[26:27]
	ds_bpermute_b32 v12, v17, v12
	s_and_saveexec_b64 s[2:3], vcc
	s_cbranch_execz .LBB25_12
; %bb.20:                               ;   in Loop: Header=BB25_13 Depth=2
	v_and_b32_e32 v14, vcc_lo, v22
	v_and_b32_e32 v13, vcc_hi, v1
	v_bcnt_u32_b32 v14, v14, 0
	v_bcnt_u32_b32 v13, v13, v14
	v_lshlrev_b32_e32 v13, 3, v13
	s_waitcnt lgkmcnt(0)
	v_lshl_add_u32 v12, v12, 3, v13
	ds_write_b64 v12, v[4:5]
	s_branch .LBB25_12
.LBB25_21:                              ;   in Loop: Header=BB25_7 Depth=1
	s_mov_b64 s[20:21], -1
	s_mov_b64 s[2:3], 0
.LBB25_22:                              ;   in Loop: Header=BB25_7 Depth=1
	s_and_b64 vcc, exec, s[20:21]
	s_cbranch_vccz .LBB25_33
.LBB25_23:                              ;   in Loop: Header=BB25_7 Depth=1
	v_mov_b64_e32 v[4:5], 0
	s_and_saveexec_b64 s[2:3], s[6:7]
	s_cbranch_execz .LBB25_25
; %bb.24:                               ;   in Loop: Header=BB25_7 Depth=1
	global_load_dwordx2 v[4:5], v[20:21], off
.LBB25_25:                              ;   in Loop: Header=BB25_7 Depth=1
	s_or_b64 exec, exec, s[2:3]
	s_mov_b64 s[2:3], exec
	v_readlane_b32 s20, v60, 20
	v_readlane_b32 s21, v60, 21
	s_and_b64 s[20:21], s[2:3], s[20:21]
	s_mov_b64 exec, s[20:21]
	s_cbranch_execz .LBB25_30
; %bb.26:                               ;   in Loop: Header=BB25_7 Depth=1
	v_readlane_b32 s20, v60, 22
	v_readlane_b32 s21, v60, 23
	v_mov_b32_e32 v10, v35
	v_mov_b32_e32 v13, v0
	s_nop 2
	global_load_ushort v3, v19, s[20:21]
	s_mov_b64 s[20:21], 0
	s_waitcnt vmcnt(0)
	v_add_u32_e32 v8, v0, v3
	v_lshlrev_b32_e32 v11, 3, v3
	v_mul_lo_u32 v12, s63, v3
	v_mul_lo_u32 v18, s63, v8
	s_branch .LBB25_28
.LBB25_27:                              ;   in Loop: Header=BB25_28 Depth=2
	s_or_b64 exec, exec, s[22:23]
	v_cmp_le_i32_e32 vcc, s60, v13
	ds_write_b64 v10, v[4:5]
	v_add_u32_e32 v10, v10, v11
	v_add_u32_e32 v18, v18, v12
	s_or_b64 s[20:21], vcc, s[20:21]
	s_waitcnt vmcnt(0)
	v_mov_b64_e32 v[4:5], v[8:9]
	s_andn2_b64 exec, exec, s[20:21]
	s_cbranch_execz .LBB25_30
.LBB25_28:                              ;   Parent Loop BB25_7 Depth=1
                                        ; =>  This Inner Loop Header: Depth=2
	v_add_u32_e32 v13, v13, v3
	v_cmp_gt_u32_e32 vcc, s60, v13
	v_mov_b64_e32 v[8:9], 0
	s_and_saveexec_b64 s[22:23], vcc
	s_cbranch_execz .LBB25_27
; %bb.29:                               ;   in Loop: Header=BB25_28 Depth=2
	v_lshl_add_u64 v[8:9], v[18:19], 3, s[72:73]
	global_load_dwordx2 v[8:9], v[8:9], off
	s_branch .LBB25_27
.LBB25_30:                              ;   in Loop: Header=BB25_7 Depth=1
	s_or_b64 exec, exec, s[2:3]
	s_waitcnt lgkmcnt(0)
	s_barrier
	s_and_saveexec_b64 s[2:3], s[0:1]
; %bb.31:                               ;   in Loop: Header=BB25_7 Depth=1
	ds_write_b32 v19, v49 offset:4096
; %bb.32:                               ;   in Loop: Header=BB25_7 Depth=1
	s_or_b64 exec, exec, s[2:3]
	s_mov_b64 s[2:3], -1
	s_waitcnt lgkmcnt(0)
	s_barrier
.LBB25_33:                              ;   in Loop: Header=BB25_7 Depth=1
	s_and_b64 vcc, exec, s[2:3]
	s_cbranch_vccz .LBB25_35
; %bb.34:                               ;   in Loop: Header=BB25_7 Depth=1
	ds_read_b32 v3, v19 offset:4096
	s_waitcnt lgkmcnt(0)
	v_readfirstlane_b32 s33, v3
.LBB25_35:                              ;   in Loop: Header=BB25_7 Depth=1
	s_cmp_lt_i32 s33, 1
	s_mov_b64 s[2:3], -1
                                        ; implicit-def: $vgpr10_vgpr11
	s_cbranch_scc1 .LBB25_45
; %bb.36:                               ;   in Loop: Header=BB25_7 Depth=1
	s_and_b64 vcc, exec, s[2:3]
	s_cbranch_vccnz .LBB25_58
.LBB25_37:                              ;   in Loop: Header=BB25_7 Depth=1
	s_lshl_b32 s22, s61, 6
	s_and_saveexec_b64 s[2:3], s[18:19]
.LBB25_38:                              ;   in Loop: Header=BB25_7 Depth=1
	v_lshl_add_u32 v3, s22, 2, v37
	ds_write_b128 v3, v[8:11]
.LBB25_39:                              ;   in Loop: Header=BB25_7 Depth=1
	s_or_b64 exec, exec, s[2:3]
	s_waitcnt lgkmcnt(0)
	s_barrier
	s_and_saveexec_b64 s[2:3], s[76:77]
	s_cbranch_execz .LBB25_78
; %bb.40:                               ;   in Loop: Header=BB25_7 Depth=1
	v_add_u32_e32 v3, s22, v34
	s_andn2_b64 vcc, exec, s[80:81]
	s_waitcnt vmcnt(0)
	v_mov_b32_e32 v4, 0
	s_cbranch_vccnz .LBB25_77
; %bb.41:                               ;   in Loop: Header=BB25_7 Depth=1
	v_readlane_b32 s20, v60, 24
	v_readlane_b32 s21, v60, 25
	s_andn2_b64 vcc, exec, s[20:21]
	s_cbranch_vccnz .LBB25_70
; %bb.42:                               ;   in Loop: Header=BB25_7 Depth=1
	v_readlane_b32 s20, v60, 26
	v_readlane_b32 s21, v60, 27
	s_andn2_b64 vcc, exec, s[20:21]
	v_lshl_add_u32 v8, v3, 2, v46
	s_cbranch_vccnz .LBB25_71
; %bb.43:                               ;   in Loop: Header=BB25_7 Depth=1
	s_mov_b32 s21, 1
	s_mov_b32 s20, 0
	v_mov_b32_e32 v4, 0
	v_mov_b32_e32 v5, 0
	v_readlane_b32 s23, v60, 28
.LBB25_44:                              ;   Parent Loop BB25_7 Depth=1
                                        ; =>  This Inner Loop Header: Depth=2
	v_lshl_add_u32 v9, s20, 4, v8
	v_lshl_add_u32 v18, s21, 4, v8
	ds_read2_b32 v[10:11], v9 offset1:8
	ds_read2_b32 v[12:13], v18 offset1:8
	ds_read2_b32 v[14:15], v9 offset0:16 offset1:24
	ds_read2_b32 v[30:31], v18 offset0:16 offset1:24
	;; [unrolled: 1-line block ×6, first 2 shown]
	s_waitcnt lgkmcnt(7)
	v_add3_u32 v4, v10, v4, v11
	s_waitcnt lgkmcnt(6)
	v_add3_u32 v5, v12, v5, v13
	s_waitcnt lgkmcnt(4)
	v_add3_u32 v5, v30, v5, v31
	v_add3_u32 v4, v14, v4, v15
	s_add_i32 s21, s21, 16
	s_add_i32 s20, s20, 16
	s_add_i32 s23, s23, -8
	s_waitcnt lgkmcnt(3)
	v_add3_u32 v4, v32, v4, v33
	s_waitcnt lgkmcnt(2)
	v_add3_u32 v5, v52, v5, v53
	s_cmp_lg_u32 s23, 0
	s_waitcnt lgkmcnt(0)
	v_add3_u32 v5, v56, v5, v57
	v_add3_u32 v4, v54, v4, v55
	s_cbranch_scc1 .LBB25_44
	s_branch .LBB25_72
.LBB25_45:                              ;   in Loop: Header=BB25_7 Depth=1
	v_mov_b32_e32 v18, v19
	v_mov_b64_e32 v[10:11], v[18:19]
	v_mov_b64_e32 v[8:9], v[18:19]
	s_and_saveexec_b64 s[70:71], s[10:11]
	s_cbranch_execnz .LBB25_48
; %bb.46:                               ;   in Loop: Header=BB25_7 Depth=1
	s_or_b64 exec, exec, s[70:71]
	v_mov_b64_e32 v[12:13], 0
	s_and_saveexec_b64 s[2:3], s[12:13]
	s_cbranch_execnz .LBB25_51
.LBB25_47:                              ;   in Loop: Header=BB25_7 Depth=1
	s_or_b64 exec, exec, s[2:3]
	s_and_saveexec_b64 s[20:21], s[14:15]
	s_cbranch_execnz .LBB25_52
	s_branch .LBB25_57
.LBB25_48:                              ;   in Loop: Header=BB25_7 Depth=1
	s_mov_b32 s82, 0
	s_mov_b64 s[86:87], 0
	v_mov_b32_e32 v3, v23
	s_mov_b32 s88, 0
	s_mov_b32 s89, s82
	;; [unrolled: 1-line block ×4, first 2 shown]
.LBB25_49:                              ;   Parent Loop BB25_7 Depth=1
                                        ; =>  This Inner Loop Header: Depth=2
	s_waitcnt vmcnt(0)
	v_add_u32_e32 v4, s82, v42
	v_add_u32_e32 v8, s82, v39
	;; [unrolled: 1-line block ×4, first 2 shown]
	v_ashrrev_i32_e32 v5, 31, v4
	v_ashrrev_i32_e32 v9, 31, v8
	;; [unrolled: 1-line block ×4, first 2 shown]
	v_lshl_add_u64 v[4:5], v[4:5], 3, s[72:73]
	v_lshl_add_u64 v[8:9], v[8:9], 3, s[72:73]
	;; [unrolled: 1-line block ×4, first 2 shown]
	global_load_dwordx2 v[4:5], v[4:5], off
	s_nop 0
	global_load_dwordx2 v[8:9], v[8:9], off
	s_nop 0
	;; [unrolled: 2-line block ×3, first 2 shown]
	global_load_dwordx2 v[12:13], v[12:13], off
	v_mov_b32_e32 v15, v19
	v_mov_b32_e32 v31, v19
	v_mov_b32_e32 v33, v19
	v_add_u32_e32 v3, s75, v3
	s_add_i32 s82, s82, s84
	v_cmp_le_i32_e32 vcc, s9, v3
	s_waitcnt vmcnt(3)
	v_xor_b32_e32 v5, 0x80000000, v5
	s_waitcnt vmcnt(2)
	v_xor_b32_e32 v9, 0x80000000, v9
	v_and_b32_e32 v52, v4, v28
	v_and_b32_e32 v53, v5, v29
	v_lshrrev_b64 v[4:5], s17, v[4:5]
	s_waitcnt vmcnt(1)
	v_xor_b32_e32 v11, 0x80000000, v11
	v_and_b32_e32 v54, v8, v28
	v_and_b32_e32 v55, v9, v29
	v_lshrrev_b64 v[8:9], s17, v[8:9]
	v_and_b32_e32 v18, 3, v4
	s_waitcnt vmcnt(0)
	v_xor_b32_e32 v13, 0x80000000, v13
	v_and_b32_e32 v56, v10, v28
	v_and_b32_e32 v57, v11, v29
	v_lshrrev_b64 v[10:11], s17, v[10:11]
	v_cmp_eq_u64_e64 s[2:3], v[52:53], v[26:27]
	v_and_b32_e32 v14, 3, v8
	v_cmp_eq_u64_e64 s[26:27], 0, v[18:19]
	v_and_b32_e32 v58, v12, v28
	v_and_b32_e32 v59, v13, v29
	v_lshrrev_b64 v[12:13], s17, v[12:13]
	v_cmp_eq_u64_e64 s[20:21], v[54:55], v[26:27]
	v_and_b32_e32 v30, 3, v10
	v_cmp_eq_u64_e64 s[28:29], 0, v[14:15]
	s_and_b64 s[26:27], s[2:3], s[26:27]
	v_cmp_eq_u64_e64 s[22:23], v[56:57], v[26:27]
	v_and_b32_e32 v32, 3, v12
	v_cmp_eq_u64_e64 s[30:31], 0, v[30:31]
	v_cndmask_b32_e64 v4, 0, 1, s[26:27]
	s_and_b64 s[26:27], s[20:21], s[28:29]
	v_cmp_eq_u64_e64 s[24:25], v[58:59], v[26:27]
	v_cmp_eq_u64_e64 s[34:35], 0, v[32:33]
	v_cndmask_b32_e64 v5, 0, 1, s[26:27]
	s_and_b64 s[26:27], s[22:23], s[30:31]
	v_cmp_eq_u64_e64 s[36:37], 1, v[18:19]
	v_cndmask_b32_e64 v8, 0, 1, s[26:27]
	s_and_b64 s[26:27], s[24:25], s[34:35]
	;; [unrolled: 3-line block ×5, first 2 shown]
	v_cmp_eq_u64_e64 s[44:45], 2, v[18:19]
	v_cmp_eq_u64_e64 s[52:53], 3, v[18:19]
	v_cndmask_b32_e64 v12, 0, 1, s[26:27]
	s_and_b64 s[26:27], s[24:25], s[42:43]
	v_cmp_eq_u64_e64 s[46:47], 2, v[14:15]
	v_cmp_eq_u64_e64 s[54:55], 3, v[14:15]
	v_cndmask_b32_e64 v13, 0, 1, s[26:27]
	s_and_b64 s[26:27], s[2:3], s[44:45]
	s_and_b64 s[2:3], s[2:3], s[52:53]
	v_cmp_eq_u64_e64 s[48:49], 2, v[30:31]
	v_cmp_eq_u64_e64 s[56:57], 3, v[30:31]
	v_cndmask_b32_e64 v14, 0, 1, s[26:27]
	s_and_b64 s[26:27], s[20:21], s[46:47]
	v_cndmask_b32_e64 v31, 0, 1, s[2:3]
	s_and_b64 s[2:3], s[20:21], s[54:55]
	v_cmp_eq_u64_e64 s[50:51], 2, v[32:33]
	v_cmp_eq_u64_e64 s[58:59], 3, v[32:33]
	v_cndmask_b32_e64 v15, 0, 1, s[26:27]
	s_and_b64 s[26:27], s[22:23], s[48:49]
	v_cndmask_b32_e64 v32, 0, 1, s[2:3]
	s_and_b64 s[2:3], s[22:23], s[56:57]
	;; [unrolled: 2-line block ×4, first 2 shown]
	v_cndmask_b32_e64 v30, 0, 1, s[26:27]
	v_cndmask_b32_e64 v48, 0, 1, s[2:3]
	v_cmp_ne_u32_e64 s[2:3], 0, v4
	v_cmp_ne_u32_e64 s[20:21], 0, v5
	;; [unrolled: 1-line block ×11, first 2 shown]
	s_bcnt1_i32_b64 s2, s[2:3]
	s_bcnt1_i32_b64 s3, s[20:21]
	;; [unrolled: 1-line block ×8, first 2 shown]
	v_cmp_ne_u32_e64 s[34:35], 0, v13
	v_cmp_ne_u32_e64 s[40:41], 0, v18
	v_cmp_ne_u32_e64 s[48:49], 0, v33
	s_bcnt1_i32_b64 s23, s[28:29]
	s_bcnt1_i32_b64 s27, s[38:39]
	;; [unrolled: 1-line block ×3, first 2 shown]
	s_add_i32 s2, s88, s2
	s_add_i32 s22, s89, s22
	;; [unrolled: 1-line block ×4, first 2 shown]
	v_cmp_ne_u32_e64 s[42:43], 0, v30
	v_cmp_ne_u32_e64 s[50:51], 0, v48
	s_bcnt1_i32_b64 s25, s[34:35]
	s_bcnt1_i32_b64 s28, s[40:41]
	;; [unrolled: 1-line block ×3, first 2 shown]
	s_add_i32 s22, s22, s23
	s_add_i32 s2, s2, s3
	;; [unrolled: 1-line block ×4, first 2 shown]
	s_bcnt1_i32_b64 s29, s[42:43]
	s_bcnt1_i32_b64 s35, s[50:51]
	s_add_i32 s2, s2, s20
	s_add_i32 s20, s22, s24
	;; [unrolled: 1-line block ×8, first 2 shown]
	s_or_b64 s[86:87], vcc, s[86:87]
	v_mov_b64_e32 v[8:9], s[88:89]
	v_mov_b64_e32 v[10:11], s[90:91]
	s_andn2_b64 exec, exec, s[86:87]
	s_cbranch_execnz .LBB25_49
; %bb.50:                               ;   in Loop: Header=BB25_7 Depth=1
	s_or_b64 exec, exec, s[86:87]
	s_or_b64 exec, exec, s[70:71]
	v_mov_b64_e32 v[12:13], 0
	s_and_saveexec_b64 s[2:3], s[12:13]
	s_cbranch_execz .LBB25_47
.LBB25_51:                              ;   in Loop: Header=BB25_7 Depth=1
	global_load_dwordx2 v[12:13], v[24:25], off
	s_or_b64 exec, exec, s[2:3]
	s_and_saveexec_b64 s[20:21], s[14:15]
	s_cbranch_execz .LBB25_57
.LBB25_52:                              ;   in Loop: Header=BB25_7 Depth=1
	s_mov_b64 s[22:23], 0
	s_waitcnt vmcnt(0)
	v_mov_b32_e32 v4, v43
	v_mov_b32_e32 v3, v38
	s_branch .LBB25_54
.LBB25_53:                              ;   in Loop: Header=BB25_54 Depth=2
	s_or_b64 exec, exec, s[2:3]
	v_xor_b32_e32 v13, 0x80000000, v13
	v_and_b32_e32 v31, v13, v29
	v_and_b32_e32 v30, v12, v28
	v_lshrrev_b64 v[12:13], s17, v[12:13]
	v_and_b32_e32 v18, 3, v12
	v_cmp_eq_u64_e32 vcc, v[30:31], v[26:27]
	v_cmp_eq_u64_e64 s[2:3], 0, v[18:19]
	s_and_b64 s[2:3], vcc, s[2:3]
	v_add_u32_e32 v4, s74, v4
	v_cndmask_b32_e64 v5, 0, 1, s[2:3]
	v_cmp_ne_u32_e64 s[2:3], 0, v5
	s_bcnt1_i32_b64 s24, s[2:3]
	v_cmp_eq_u64_e64 s[2:3], 1, v[18:19]
	s_and_b64 s[2:3], vcc, s[2:3]
	v_add_u32_e32 v8, s24, v8
	v_cndmask_b32_e64 v5, 0, 1, s[2:3]
	v_cmp_ne_u32_e64 s[2:3], 0, v5
	s_bcnt1_i32_b64 s2, s[2:3]
	s_waitcnt vmcnt(0)
	v_mov_b64_e32 v[12:13], v[14:15]
	v_add_u32_e32 v9, s2, v9
	v_cmp_eq_u64_e64 s[2:3], 2, v[18:19]
	s_and_b64 s[2:3], vcc, s[2:3]
	s_nop 0
	v_cndmask_b32_e64 v5, 0, 1, s[2:3]
	v_cmp_ne_u32_e64 s[2:3], 0, v5
	s_bcnt1_i32_b64 s24, s[2:3]
	v_cmp_eq_u64_e64 s[2:3], 3, v[18:19]
	s_and_b64 s[2:3], vcc, s[2:3]
	v_add_u32_e32 v10, s24, v10
	v_cndmask_b32_e64 v5, 0, 1, s[2:3]
	v_cmp_ne_u32_e32 vcc, 0, v5
	s_bcnt1_i32_b64 s2, vcc
	v_cmp_le_i32_e32 vcc, s60, v3
	v_add_u32_e32 v11, s2, v11
	s_or_b64 s[22:23], vcc, s[22:23]
	s_andn2_b64 exec, exec, s[22:23]
	s_cbranch_execz .LBB25_56
.LBB25_54:                              ;   Parent Loop BB25_7 Depth=1
                                        ; =>  This Inner Loop Header: Depth=2
	v_add_u32_e32 v3, s62, v3
	v_cmp_gt_u32_e32 vcc, s60, v3
	v_mov_b64_e32 v[14:15], 0
	s_and_saveexec_b64 s[2:3], vcc
	s_cbranch_execz .LBB25_53
; %bb.55:                               ;   in Loop: Header=BB25_54 Depth=2
	v_ashrrev_i32_e32 v5, 31, v4
	v_lshl_add_u64 v[14:15], v[4:5], 3, s[72:73]
	global_load_dwordx2 v[14:15], v[14:15], off
	s_branch .LBB25_53
.LBB25_56:                              ;   in Loop: Header=BB25_7 Depth=1
	s_or_b64 exec, exec, s[22:23]
.LBB25_57:                              ;   in Loop: Header=BB25_7 Depth=1
	s_or_b64 exec, exec, s[20:21]
	s_branch .LBB25_37
.LBB25_58:                              ;   in Loop: Header=BB25_7 Depth=1
	s_mul_hi_u32 s2, s33, s8
	s_mul_i32 s2, s2, s75
	s_sub_i32 s2, s33, s2
	s_sub_i32 s3, s2, s75
	s_cmp_ge_u32 s2, s75
	s_cselect_b32 s2, s3, s2
	s_sub_i32 s3, s2, s75
	s_cmp_ge_u32 s2, s75
	s_cselect_b32 s2, s3, s2
	s_sub_i32 s82, s33, s2
	v_mov_b32_e32 v18, v19
	v_cmp_gt_u32_e32 vcc, s82, v23
	v_mov_b64_e32 v[10:11], v[18:19]
	v_mov_b64_e32 v[8:9], v[18:19]
	s_and_saveexec_b64 s[70:71], vcc
	s_cbranch_execz .LBB25_62
; %bb.59:                               ;   in Loop: Header=BB25_7 Depth=1
	s_mov_b32 s88, 0
	s_mov_b64 s[86:87], 0
	v_mov_b32_e32 v3, v44
	v_mov_b32_e32 v48, v23
	s_mov_b32 s89, s88
	s_mov_b32 s90, s88
	s_mov_b32 s91, s88
.LBB25_60:                              ;   Parent Loop BB25_7 Depth=1
                                        ; =>  This Inner Loop Header: Depth=2
	s_waitcnt vmcnt(0)
	ds_read_b128 v[12:15], v3
	ds_read_b128 v[8:11], v3 offset:16
	v_mov_b32_e32 v5, v19
	v_mov_b32_e32 v31, v19
	;; [unrolled: 1-line block ×3, first 2 shown]
	s_waitcnt lgkmcnt(1)
	v_xor_b32_e32 v13, 0x80000000, v13
	v_xor_b32_e32 v15, 0x80000000, v15
	v_and_b32_e32 v52, v12, v28
	v_and_b32_e32 v53, v13, v29
	v_lshrrev_b64 v[12:13], s17, v[12:13]
	s_waitcnt lgkmcnt(0)
	v_xor_b32_e32 v9, 0x80000000, v9
	v_and_b32_e32 v54, v14, v28
	v_and_b32_e32 v55, v15, v29
	v_lshrrev_b64 v[14:15], s17, v[14:15]
	v_and_b32_e32 v18, 3, v12
	v_xor_b32_e32 v11, 0x80000000, v11
	v_and_b32_e32 v56, v8, v28
	v_and_b32_e32 v57, v9, v29
	v_lshrrev_b64 v[8:9], s17, v[8:9]
	v_cmp_eq_u64_e64 s[2:3], v[52:53], v[26:27]
	v_and_b32_e32 v4, 3, v14
	v_cmp_eq_u64_e64 s[26:27], 0, v[18:19]
	v_and_b32_e32 v58, v10, v28
	v_and_b32_e32 v59, v11, v29
	v_lshrrev_b64 v[10:11], s17, v[10:11]
	v_cmp_eq_u64_e64 s[20:21], v[54:55], v[26:27]
	v_and_b32_e32 v30, 3, v8
	v_cmp_eq_u64_e64 s[28:29], 0, v[4:5]
	s_and_b64 s[26:27], s[2:3], s[26:27]
	v_cmp_eq_u64_e64 s[22:23], v[56:57], v[26:27]
	v_and_b32_e32 v32, 3, v10
	v_cmp_eq_u64_e64 s[30:31], 0, v[30:31]
	v_cmp_eq_u64_e64 s[38:39], 1, v[4:5]
	;; [unrolled: 1-line block ×4, first 2 shown]
	v_cndmask_b32_e64 v4, 0, 1, s[26:27]
	s_and_b64 s[26:27], s[20:21], s[28:29]
	v_cmp_eq_u64_e64 s[24:25], v[58:59], v[26:27]
	v_cmp_eq_u64_e64 s[34:35], 0, v[32:33]
	v_cndmask_b32_e64 v5, 0, 1, s[26:27]
	s_and_b64 s[26:27], s[22:23], s[30:31]
	v_cmp_eq_u64_e64 s[36:37], 1, v[18:19]
	v_cndmask_b32_e64 v8, 0, 1, s[26:27]
	s_and_b64 s[26:27], s[24:25], s[34:35]
	v_cndmask_b32_e64 v9, 0, 1, s[26:27]
	s_and_b64 s[26:27], s[2:3], s[36:37]
	v_cmp_eq_u64_e64 s[40:41], 1, v[30:31]
	v_cndmask_b32_e64 v10, 0, 1, s[26:27]
	s_and_b64 s[26:27], s[20:21], s[38:39]
	v_cmp_eq_u64_e64 s[42:43], 1, v[32:33]
	;; [unrolled: 3-line block ×3, first 2 shown]
	v_cmp_eq_u64_e64 s[52:53], 3, v[18:19]
	v_cndmask_b32_e64 v12, 0, 1, s[26:27]
	s_and_b64 s[26:27], s[24:25], s[42:43]
	v_cndmask_b32_e64 v13, 0, 1, s[26:27]
	s_and_b64 s[26:27], s[2:3], s[44:45]
	s_and_b64 s[2:3], s[2:3], s[52:53]
	v_cmp_eq_u64_e64 s[48:49], 2, v[30:31]
	v_cmp_eq_u64_e64 s[56:57], 3, v[30:31]
	v_cndmask_b32_e64 v14, 0, 1, s[26:27]
	s_and_b64 s[26:27], s[20:21], s[46:47]
	v_cndmask_b32_e64 v31, 0, 1, s[2:3]
	s_and_b64 s[2:3], s[20:21], s[54:55]
	v_cmp_eq_u64_e64 s[50:51], 2, v[32:33]
	v_cmp_eq_u64_e64 s[58:59], 3, v[32:33]
	v_cndmask_b32_e64 v15, 0, 1, s[26:27]
	s_and_b64 s[26:27], s[22:23], s[48:49]
	v_cndmask_b32_e64 v32, 0, 1, s[2:3]
	s_and_b64 s[2:3], s[22:23], s[56:57]
	;; [unrolled: 2-line block ×4, first 2 shown]
	v_cndmask_b32_e64 v30, 0, 1, s[26:27]
	v_cndmask_b32_e64 v52, 0, 1, s[2:3]
	v_cmp_ne_u32_e64 s[2:3], 0, v4
	v_cmp_ne_u32_e64 s[20:21], 0, v5
	;; [unrolled: 1-line block ×11, first 2 shown]
	s_bcnt1_i32_b64 s2, s[2:3]
	s_bcnt1_i32_b64 s3, s[20:21]
	;; [unrolled: 1-line block ×8, first 2 shown]
	v_cmp_ne_u32_e64 s[34:35], 0, v13
	v_cmp_ne_u32_e64 s[40:41], 0, v18
	;; [unrolled: 1-line block ×3, first 2 shown]
	s_bcnt1_i32_b64 s23, s[28:29]
	s_bcnt1_i32_b64 s27, s[38:39]
	;; [unrolled: 1-line block ×3, first 2 shown]
	s_add_i32 s2, s88, s2
	s_add_i32 s22, s89, s22
	;; [unrolled: 1-line block ×4, first 2 shown]
	v_cmp_ne_u32_e64 s[42:43], 0, v30
	v_cmp_ne_u32_e64 s[50:51], 0, v52
	s_bcnt1_i32_b64 s25, s[34:35]
	s_bcnt1_i32_b64 s28, s[40:41]
	;; [unrolled: 1-line block ×3, first 2 shown]
	s_add_i32 s22, s22, s23
	s_add_i32 s2, s2, s3
	;; [unrolled: 1-line block ×4, first 2 shown]
	v_add_u32_e32 v48, s75, v48
	s_bcnt1_i32_b64 s29, s[42:43]
	s_bcnt1_i32_b64 s35, s[50:51]
	s_add_i32 s2, s2, s20
	s_add_i32 s20, s22, s24
	;; [unrolled: 1-line block ×4, first 2 shown]
	v_cmp_le_i32_e32 vcc, s82, v48
	s_add_i32 s89, s20, s25
	s_add_i32 s88, s2, s21
	;; [unrolled: 1-line block ×4, first 2 shown]
	v_add_u32_e32 v3, s85, v3
	s_or_b64 s[86:87], vcc, s[86:87]
	v_mov_b64_e32 v[8:9], s[88:89]
	v_mov_b64_e32 v[10:11], s[90:91]
	s_andn2_b64 exec, exec, s[86:87]
	s_cbranch_execnz .LBB25_60
; %bb.61:                               ;   in Loop: Header=BB25_7 Depth=1
	s_or_b64 exec, exec, s[86:87]
.LBB25_62:                              ;   in Loop: Header=BB25_7 Depth=1
	s_or_b64 exec, exec, s[70:71]
	v_add_u32_e32 v3, s82, v0
	v_cmp_gt_i32_e32 vcc, s33, v3
	s_and_saveexec_b64 s[28:29], vcc
	s_cbranch_execz .LBB25_66
; %bb.63:                               ;   in Loop: Header=BB25_7 Depth=1
	s_waitcnt vmcnt(0)
	v_lshlrev_b32_e32 v4, 3, v3
	s_mov_b64 s[30:31], 0
.LBB25_64:                              ;   Parent Loop BB25_7 Depth=1
                                        ; =>  This Inner Loop Header: Depth=2
	ds_read_b64 v[12:13], v4
	v_add_u32_e32 v3, s62, v3
	v_cmp_le_i32_e32 vcc, s33, v3
	v_add_u32_e32 v4, s16, v4
	s_waitcnt lgkmcnt(0)
	v_xor_b32_e32 v13, 0x80000000, v13
	v_and_b32_e32 v14, v12, v28
	v_and_b32_e32 v15, v13, v29
	v_lshrrev_b64 v[12:13], s17, v[12:13]
	v_and_b32_e32 v18, 3, v12
	v_cmp_eq_u64_e64 s[2:3], v[14:15], v[26:27]
	v_cmp_eq_u64_e64 s[20:21], 0, v[18:19]
	;; [unrolled: 1-line block ×3, first 2 shown]
	s_and_b64 s[20:21], s[2:3], s[20:21]
	v_cmp_eq_u64_e64 s[24:25], 2, v[18:19]
	v_cmp_eq_u64_e64 s[26:27], 3, v[18:19]
	v_cndmask_b32_e64 v5, 0, 1, s[20:21]
	s_and_b64 s[20:21], s[2:3], s[22:23]
	v_cndmask_b32_e64 v12, 0, 1, s[20:21]
	s_and_b64 s[20:21], s[2:3], s[24:25]
	s_and_b64 s[2:3], s[2:3], s[26:27]
	v_cndmask_b32_e64 v13, 0, 1, s[20:21]
	v_cndmask_b32_e64 v14, 0, 1, s[2:3]
	v_cmp_ne_u32_e64 s[2:3], 0, v5
	v_cmp_ne_u32_e64 s[20:21], 0, v12
	v_cmp_ne_u32_e64 s[22:23], 0, v13
	v_cmp_ne_u32_e64 s[24:25], 0, v14
	s_bcnt1_i32_b64 s2, s[2:3]
	s_bcnt1_i32_b64 s3, s[20:21]
	s_bcnt1_i32_b64 s20, s[22:23]
	s_bcnt1_i32_b64 s21, s[24:25]
	v_add_u32_e32 v9, s3, v9
	v_add_u32_e32 v8, s2, v8
	;; [unrolled: 1-line block ×3, first 2 shown]
	s_or_b64 s[30:31], vcc, s[30:31]
	v_add_u32_e32 v10, s20, v10
	s_andn2_b64 exec, exec, s[30:31]
	s_cbranch_execnz .LBB25_64
; %bb.65:                               ;   in Loop: Header=BB25_7 Depth=1
	s_or_b64 exec, exec, s[30:31]
.LBB25_66:                              ;   in Loop: Header=BB25_7 Depth=1
	s_or_b64 exec, exec, s[28:29]
	s_lshl_b32 s22, s61, 6
	s_and_saveexec_b64 s[2:3], s[18:19]
	s_cbranch_execnz .LBB25_38
	s_branch .LBB25_39
.LBB25_67:                              ;   in Loop: Header=BB25_7 Depth=1
	s_or_b64 exec, exec, s[22:23]
	s_waitcnt lgkmcnt(0)
	s_barrier
	s_and_saveexec_b64 s[2:3], s[0:1]
	s_cbranch_execz .LBB25_69
; %bb.68:                               ;   in Loop: Header=BB25_7 Depth=1
	ds_read_b32 v3, v19 offset:4104
	s_waitcnt lgkmcnt(0)
	ds_write_b32 v19, v3 offset:4096
.LBB25_69:                              ;   in Loop: Header=BB25_7 Depth=1
	s_or_b64 exec, exec, s[2:3]
	s_waitcnt lgkmcnt(0)
	s_barrier
	s_mov_b64 s[2:3], -1
	s_and_b64 vcc, exec, s[20:21]
	s_cbranch_vccnz .LBB25_23
	s_branch .LBB25_33
.LBB25_70:                              ;   in Loop: Header=BB25_7 Depth=1
	v_mov_b32_e32 v4, 0
	s_mov_b32 s23, 0
	s_cbranch_execnz .LBB25_75
	s_branch .LBB25_77
.LBB25_71:                              ;   in Loop: Header=BB25_7 Depth=1
	v_mov_b32_e32 v18, v19
	v_readlane_b32 s20, v60, 39
	v_mov_b64_e32 v[4:5], v[18:19]
	v_readlane_b32 s21, v60, 40
.LBB25_72:                              ;   in Loop: Header=BB25_7 Depth=1
	v_readlane_b32 s24, v60, 30
	v_readlane_b32 s25, v60, 31
	s_andn2_b64 vcc, exec, s[24:25]
	v_readlane_b32 s23, v60, 29
	s_cbranch_vccnz .LBB25_74
.LBB25_73:                              ;   Parent Loop BB25_7 Depth=1
                                        ; =>  This Inner Loop Header: Depth=2
	v_lshl_add_u32 v9, s20, 4, v8
	v_lshl_add_u32 v10, s21, 4, v8
	ds_read_b32 v10, v10
	ds_read_b32 v9, v9
	s_add_i32 s21, s21, 2
	s_add_i32 s20, s20, 2
	s_add_i32 s23, s23, -1
	s_cmp_lg_u32 s23, 0
	s_waitcnt lgkmcnt(1)
	v_add_u32_e32 v5, v10, v5
	s_waitcnt lgkmcnt(0)
	v_add_u32_e32 v4, v9, v4
	s_cbranch_scc1 .LBB25_73
.LBB25_74:                              ;   in Loop: Header=BB25_7 Depth=1
	v_readlane_b32 s20, v60, 34
	v_add_u32_e32 v4, v4, v5
	v_readlane_b32 s23, v60, 33
	v_readlane_b32 s21, v60, 35
	s_and_b64 vcc, exec, s[20:21]
	s_cbranch_vccz .LBB25_77
.LBB25_75:                              ;   in Loop: Header=BB25_7 Depth=1
	s_lshl_b32 s20, s61, 8
	s_lshl_b32 s21, s23, 4
	s_add_i32 s20, s20, s21
	v_add_u32_e32 v5, s20, v45
	v_readlane_b32 s20, v60, 32
	s_sub_i32 s20, s20, s23
.LBB25_76:                              ;   Parent Loop BB25_7 Depth=1
                                        ; =>  This Inner Loop Header: Depth=2
	ds_read_b32 v8, v5
	s_add_i32 s20, s20, -1
	v_add_u32_e32 v5, 16, v5
	s_cmp_eq_u32 s20, 0
	s_waitcnt lgkmcnt(0)
	v_add_u32_e32 v4, v8, v4
	s_cbranch_scc0 .LBB25_76
.LBB25_77:                              ;   in Loop: Header=BB25_7 Depth=1
	v_lshlrev_b32_e32 v3, 2, v3
	ds_write_b32 v3, v4 offset:3072
.LBB25_78:                              ;   in Loop: Header=BB25_7 Depth=1
	s_or_b64 exec, exec, s[2:3]
	s_lshl_b32 s2, s22, 2
	v_mov_b32_e32 v3, s2
	s_waitcnt lgkmcnt(0)
	s_barrier
	ds_read_b128 v[8:11], v3 offset:3072
	s_lshl_b64 s[2:3], 3, s17
	s_not_b64 s[30:31], s[2:3]
	v_cmp_eq_u32_e32 vcc, 1, v47
	s_mov_b64 s[22:23], -1
	s_waitcnt lgkmcnt(0)
	v_readfirstlane_b32 s46, v8
	s_cmp_eq_u32 s46, 1
	s_cselect_b64 s[20:21], -1, 0
	v_readfirstlane_b32 s33, v9
	v_readfirstlane_b32 s58, v10
	;; [unrolled: 1-line block ×3, first 2 shown]
	s_and_b64 s[24:25], s[20:21], vcc
	s_mov_b64 s[34:35], -1
                                        ; implicit-def: $sgpr28_sgpr29
                                        ; implicit-def: $sgpr26_sgpr27
	s_and_saveexec_b64 s[20:21], s[24:25]
	s_cbranch_execz .LBB25_104
; %bb.79:                               ;   in Loop: Header=BB25_7 Depth=1
	ds_read_b32 v3, v19 offset:4096
	s_waitcnt lgkmcnt(0)
	s_barrier
	v_readfirstlane_b32 s47, v3
	s_and_saveexec_b64 s[26:27], s[4:5]
; %bb.80:                               ;   in Loop: Header=BB25_7 Depth=1
	ds_write_b64 v36, v[50:51]
; %bb.81:                               ;   in Loop: Header=BB25_7 Depth=1
	s_or_b64 exec, exec, s[26:27]
	v_and_b32_e32 v27, s31, v27
	v_and_b32_e32 v26, s30, v26
	v_or_b32_e32 v29, s3, v29
	v_or_b32_e32 v28, s2, v28
	s_mov_b64 s[26:27], -1
	s_mov_b64 s[28:29], 0
	s_cmp_lt_i32 s47, 1
	s_mov_b64 s[34:35], 0
	s_mov_b64 s[36:37], -1
	s_waitcnt lgkmcnt(0)
	s_barrier
                                        ; implicit-def: $vgpr6_vgpr7
	s_cbranch_scc0 .LBB25_92
; %bb.82:                               ;   in Loop: Header=BB25_7 Depth=1
	s_mov_b64 s[36:37], 0
                                        ; implicit-def: $vgpr6_vgpr7
	s_mov_b64 s[38:39], exec
	v_readlane_b32 s40, v60, 37
	v_readlane_b32 s41, v60, 38
	s_and_b64 s[40:41], s[38:39], s[40:41]
	s_mov_b64 exec, s[40:41]
	s_cbranch_execz .LBB25_91
; %bb.83:                               ;   in Loop: Header=BB25_7 Depth=1
	v_mov_b32_e32 v8, v16
	v_mov_b32_e32 v10, v0
                                        ; implicit-def: $sgpr40_sgpr41
	s_branch .LBB25_86
.LBB25_84:                              ;   in Loop: Header=BB25_86 Depth=2
	s_or_b64 exec, exec, s[42:43]
	s_waitcnt lgkmcnt(0)
	s_barrier
	s_waitcnt vmcnt(0)
	ds_read_b128 v[4:7], v19 offset:3072
	s_mov_b64 s[42:43], -1
	s_mov_b64 s[44:45], -1
	s_waitcnt lgkmcnt(0)
	s_barrier
	v_cmp_ne_u64_e32 vcc, 0, v[4:5]
	s_cbranch_vccz .LBB25_89
.LBB25_85:                              ;   in Loop: Header=BB25_86 Depth=2
	s_and_b64 s[42:43], exec, s[42:43]
	s_or_b64 s[34:35], s[42:43], s[34:35]
	s_andn2_b64 s[40:41], s[40:41], exec
	s_and_b64 s[42:43], s[44:45], exec
	s_or_b64 s[40:41], s[40:41], s[42:43]
	s_andn2_b64 exec, exec, s[34:35]
	s_cbranch_execz .LBB25_90
.LBB25_86:                              ;   Parent Loop BB25_7 Depth=1
                                        ; =>  This Inner Loop Header: Depth=2
	v_cmp_gt_i32_e32 vcc, s60, v10
	s_and_saveexec_b64 s[42:43], vcc
	s_cbranch_execz .LBB25_84
; %bb.87:                               ;   in Loop: Header=BB25_86 Depth=2
	v_ashrrev_i32_e32 v9, 31, v8
	s_waitcnt vmcnt(0)
	v_lshl_add_u64 v[4:5], v[8:9], 3, s[72:73]
	global_load_dwordx2 v[4:5], v[4:5], off
	s_waitcnt vmcnt(0)
	v_xor_b32_e32 v3, 0x80000000, v5
	v_and_b32_e32 v7, v3, v29
	v_and_b32_e32 v6, v4, v28
	v_cmp_eq_u64_e32 vcc, v[6:7], v[26:27]
	s_and_b64 exec, exec, vcc
	s_cbranch_execz .LBB25_84
; %bb.88:                               ;   in Loop: Header=BB25_86 Depth=2
	v_mov_b32_e32 v3, v19
	ds_write_b128 v19, v[2:5] offset:3072
	s_branch .LBB25_84
.LBB25_89:                              ;   in Loop: Header=BB25_86 Depth=2
	v_add_u32_e32 v10, s62, v10
	v_cmp_le_i32_e32 vcc, s83, v10
	v_add_u32_e32 v8, s74, v8
	s_mov_b64 s[44:45], 0
	s_orn2_b64 s[42:43], vcc, exec
	s_branch .LBB25_85
.LBB25_90:                              ;   in Loop: Header=BB25_7 Depth=1
	s_or_b64 exec, exec, s[34:35]
	s_and_b64 s[34:35], s[40:41], exec
.LBB25_91:                              ;   in Loop: Header=BB25_7 Depth=1
	s_or_b64 exec, exec, s[38:39]
.LBB25_92:                              ;   in Loop: Header=BB25_7 Depth=1
	s_and_b64 vcc, exec, s[36:37]
	s_cbranch_vccz .LBB25_103
; %bb.93:                               ;   in Loop: Header=BB25_7 Depth=1
	v_readlane_b32 s26, v60, 19
	s_add_i32 s42, s47, s26
	s_abs_i32 s27, s42
	v_readlane_b32 s28, v60, 36
	s_mul_hi_u32 s28, s27, s28
	s_mul_i32 s28, s28, s62
	s_sub_i32 s27, s27, s28
	s_ashr_i32 s26, s42, 31
	s_sub_i32 s28, s27, s62
	s_cmp_ge_u32 s27, s62
	s_cselect_b32 s27, s28, s27
	s_sub_i32 s28, s27, s62
	s_cmp_ge_u32 s27, s62
	s_cselect_b32 s27, s28, s27
	s_xor_b32 s27, s27, s26
	s_sub_i32 s26, s26, s27
	s_add_i32 s42, s42, s26
	v_cmp_gt_i32_e32 vcc, s42, v0
                                        ; implicit-def: $vgpr6_vgpr7
	s_and_saveexec_b64 s[26:27], vcc
	s_cbranch_execz .LBB25_102
; %bb.94:                               ;   in Loop: Header=BB25_7 Depth=1
	s_mov_b64 s[36:37], 0
	v_mov_b32_e32 v8, v35
	v_mov_b32_e32 v9, v0
                                        ; implicit-def: $sgpr28_sgpr29
	s_branch .LBB25_97
.LBB25_95:                              ;   in Loop: Header=BB25_97 Depth=2
	s_or_b64 exec, exec, s[38:39]
	s_waitcnt lgkmcnt(0)
	s_barrier
	s_waitcnt vmcnt(0)
	ds_read_b128 v[4:7], v19 offset:3072
	s_mov_b64 s[38:39], -1
	s_mov_b64 s[40:41], -1
	s_waitcnt lgkmcnt(0)
	s_barrier
	v_cmp_ne_u64_e32 vcc, 0, v[4:5]
	s_cbranch_vccz .LBB25_100
.LBB25_96:                              ;   in Loop: Header=BB25_97 Depth=2
	s_and_b64 s[38:39], exec, s[38:39]
	s_or_b64 s[36:37], s[38:39], s[36:37]
	s_andn2_b64 s[28:29], s[28:29], exec
	s_and_b64 s[38:39], s[40:41], exec
	s_or_b64 s[28:29], s[28:29], s[38:39]
	s_andn2_b64 exec, exec, s[36:37]
	s_cbranch_execz .LBB25_101
.LBB25_97:                              ;   Parent Loop BB25_7 Depth=1
                                        ; =>  This Inner Loop Header: Depth=2
	v_cmp_gt_i32_e32 vcc, s47, v9
	s_and_saveexec_b64 s[38:39], vcc
	s_cbranch_execz .LBB25_95
; %bb.98:                               ;   in Loop: Header=BB25_97 Depth=2
	s_waitcnt vmcnt(0)
	ds_read_b64 v[4:5], v8
	s_waitcnt lgkmcnt(0)
	v_xor_b32_e32 v3, 0x80000000, v5
	v_and_b32_e32 v7, v3, v29
	v_and_b32_e32 v6, v4, v28
	v_cmp_eq_u64_e32 vcc, v[6:7], v[26:27]
	s_and_b64 exec, exec, vcc
	s_cbranch_execz .LBB25_95
; %bb.99:                               ;   in Loop: Header=BB25_97 Depth=2
	v_mov_b32_e32 v3, v19
	ds_write_b128 v19, v[2:5] offset:3072
	s_branch .LBB25_95
.LBB25_100:                             ;   in Loop: Header=BB25_97 Depth=2
	v_add_u32_e32 v9, s62, v9
	v_cmp_le_i32_e32 vcc, s42, v9
	v_add_u32_e32 v8, s16, v8
	s_mov_b64 s[40:41], 0
	s_orn2_b64 s[38:39], vcc, exec
	s_branch .LBB25_96
.LBB25_101:                             ;   in Loop: Header=BB25_7 Depth=1
	s_or_b64 exec, exec, s[36:37]
	s_andn2_b64 s[34:35], s[34:35], exec
	s_and_b64 s[28:29], s[28:29], exec
	s_or_b64 s[34:35], s[34:35], s[28:29]
.LBB25_102:                             ;   in Loop: Header=BB25_7 Depth=1
	s_or_b64 exec, exec, s[26:27]
	s_mov_b64 s[26:27], 0
	s_mov_b64 s[28:29], -1
.LBB25_103:                             ;   in Loop: Header=BB25_7 Depth=1
	s_orn2_b64 s[34:35], s[34:35], exec
.LBB25_104:                             ;   in Loop: Header=BB25_7 Depth=1
	s_or_b64 exec, exec, s[20:21]
	s_andn2_b64 s[20:21], s[66:67], exec
	s_and_b64 s[28:29], s[28:29], exec
	s_or_b64 s[66:67], s[20:21], s[28:29]
	s_andn2_b64 s[20:21], s[64:65], exec
	s_and_b64 s[26:27], s[26:27], exec
	v_readfirstlane_b32 s36, v0
	v_readfirstlane_b32 s37, v0
	s_andn2_b64 s[68:69], s[68:69], exec
	s_or_b64 s[64:65], s[20:21], s[26:27]
                                        ; implicit-def: $vgpr11
	s_and_saveexec_b64 s[20:21], s[34:35]
	s_cbranch_execz .LBB25_6
; %bb.105:                              ;   in Loop: Header=BB25_7 Depth=1
	s_xor_b64 s[26:27], s[24:25], -1
	s_mov_b64 s[24:25], 0
	v_mov_b32_e32 v11, 1
	v_mov_b32_e32 v10, 1
	s_and_saveexec_b64 s[22:23], s[26:27]
	s_cbranch_execz .LBB25_114
; %bb.106:                              ;   in Loop: Header=BB25_7 Depth=1
	v_cmp_ge_i32_e32 vcc, s46, v47
	s_and_saveexec_b64 s[24:25], vcc
	s_xor_b64 s[24:25], exec, s[24:25]
	s_cbranch_execz .LBB25_111
; %bb.107:                              ;   in Loop: Header=BB25_7 Depth=1
	ds_read_b32 v3, v19 offset:4096
	v_and_b32_e32 v27, s31, v27
	v_and_b32_e32 v26, s30, v26
	v_or_b32_e32 v29, s3, v29
	v_or_b32_e32 v28, s2, v28
	s_waitcnt lgkmcnt(0)
	v_cmp_ne_u32_e32 vcc, 0, v3
	s_cbranch_vccnz .LBB25_111
; %bb.108:                              ;   in Loop: Header=BB25_7 Depth=1
	s_and_saveexec_b64 s[26:27], s[0:1]
; %bb.109:                              ;   in Loop: Header=BB25_7 Depth=1
	v_mov_b32_e32 v3, s46
	ds_write_b32 v19, v3 offset:4100
; %bb.110:                              ;   in Loop: Header=BB25_7 Depth=1
	s_or_b64 exec, exec, s[26:27]
	s_waitcnt lgkmcnt(0)
	s_barrier
.LBB25_111:                             ;   in Loop: Header=BB25_7 Depth=1
	s_or_saveexec_b64 s[24:25], s[24:25]
	s_mov_b64 s[26:27], 0
	v_mov_b32_e32 v10, 8
	s_xor_b64 exec, exec, s[24:25]
; %bb.112:                              ;   in Loop: Header=BB25_7 Depth=1
	s_mov_b64 s[26:27], exec
	v_subrev_u32_e32 v47, s46, v47
	v_mov_b32_e32 v10, 0
; %bb.113:                              ;   in Loop: Header=BB25_7 Depth=1
	s_or_b64 exec, exec, s[24:25]
	s_and_b64 s[24:25], s[26:27], exec
	v_mov_b32_e32 v11, v47
.LBB25_114:                             ;   in Loop: Header=BB25_7 Depth=1
	s_or_b64 exec, exec, s[22:23]
	s_mov_b64 s[22:23], -1
	s_mov_b64 s[34:35], -1
                                        ; implicit-def: $sgpr26_sgpr27
                                        ; implicit-def: $sgpr28_sgpr29
	s_and_saveexec_b64 s[36:37], s[24:25]
	s_xor_b64 s[24:25], exec, s[36:37]
	s_cbranch_execz .LBB25_231
; %bb.115:                              ;   in Loop: Header=BB25_7 Depth=1
	s_cmp_eq_u32 s33, 1
	s_cselect_b64 s[26:27], -1, 0
	v_cmp_eq_u32_e32 vcc, 1, v11
	s_and_b64 s[36:37], s[26:27], vcc
	s_mov_b64 s[38:39], -1
                                        ; implicit-def: $sgpr28_sgpr29
                                        ; implicit-def: $sgpr26_sgpr27
	s_and_saveexec_b64 s[34:35], s[36:37]
	s_cbranch_execz .LBB25_141
; %bb.116:                              ;   in Loop: Header=BB25_7 Depth=1
	ds_read_b32 v3, v19 offset:4096
	s_waitcnt lgkmcnt(0)
	s_barrier
	v_readfirstlane_b32 s50, v3
	s_and_saveexec_b64 s[26:27], s[4:5]
; %bb.117:                              ;   in Loop: Header=BB25_7 Depth=1
	ds_write_b64 v36, v[50:51]
; %bb.118:                              ;   in Loop: Header=BB25_7 Depth=1
	s_or_b64 exec, exec, s[26:27]
	s_lshl_b64 s[26:27], 1, s17
	v_and_b32_e32 v3, s31, v27
	s_waitcnt vmcnt(0)
	v_and_b32_e32 v4, s30, v26
	v_or_b32_e32 v27, s27, v3
	v_or_b32_e32 v26, s26, v4
	;; [unrolled: 1-line block ×4, first 2 shown]
	s_mov_b64 s[26:27], -1
	s_mov_b64 s[28:29], 0
	s_cmp_gt_i32 s50, 0
	s_mov_b64 s[38:39], 0
	s_mov_b64 s[40:41], -1
	s_waitcnt lgkmcnt(0)
	s_barrier
                                        ; implicit-def: $vgpr6_vgpr7
	s_cbranch_scc1 .LBB25_129
; %bb.119:                              ;   in Loop: Header=BB25_7 Depth=1
	s_mov_b64 s[40:41], 0
                                        ; implicit-def: $vgpr6_vgpr7
	s_mov_b64 s[42:43], exec
	v_readlane_b32 s44, v60, 37
	v_readlane_b32 s45, v60, 38
	s_and_b64 s[44:45], s[42:43], s[44:45]
	s_mov_b64 exec, s[44:45]
	s_cbranch_execz .LBB25_128
; %bb.120:                              ;   in Loop: Header=BB25_7 Depth=1
	v_mov_b32_e32 v8, v16
	v_mov_b32_e32 v12, v0
                                        ; implicit-def: $sgpr44_sgpr45
	s_branch .LBB25_123
.LBB25_121:                             ;   in Loop: Header=BB25_123 Depth=2
	s_or_b64 exec, exec, s[46:47]
	s_waitcnt lgkmcnt(0)
	s_barrier
	ds_read_b128 v[4:7], v19 offset:3072
	s_mov_b64 s[46:47], -1
	s_mov_b64 s[48:49], -1
	s_waitcnt lgkmcnt(0)
	s_barrier
	v_cmp_ne_u64_e32 vcc, 0, v[4:5]
	s_cbranch_vccz .LBB25_126
.LBB25_122:                             ;   in Loop: Header=BB25_123 Depth=2
	s_and_b64 s[46:47], exec, s[46:47]
	s_or_b64 s[38:39], s[46:47], s[38:39]
	s_andn2_b64 s[44:45], s[44:45], exec
	s_and_b64 s[46:47], s[48:49], exec
	s_or_b64 s[44:45], s[44:45], s[46:47]
	s_andn2_b64 exec, exec, s[38:39]
	s_cbranch_execz .LBB25_127
.LBB25_123:                             ;   Parent Loop BB25_7 Depth=1
                                        ; =>  This Inner Loop Header: Depth=2
	v_cmp_gt_i32_e32 vcc, s60, v12
	s_and_saveexec_b64 s[46:47], vcc
	s_cbranch_execz .LBB25_121
; %bb.124:                              ;   in Loop: Header=BB25_123 Depth=2
	v_ashrrev_i32_e32 v9, 31, v8
	v_lshl_add_u64 v[4:5], v[8:9], 3, s[72:73]
	global_load_dwordx2 v[4:5], v[4:5], off
	s_waitcnt vmcnt(0)
	v_xor_b32_e32 v3, 0x80000000, v5
	v_and_b32_e32 v7, v3, v29
	v_and_b32_e32 v6, v4, v28
	v_cmp_eq_u64_e32 vcc, v[6:7], v[26:27]
	s_and_b64 exec, exec, vcc
	s_cbranch_execz .LBB25_121
; %bb.125:                              ;   in Loop: Header=BB25_123 Depth=2
	v_mov_b32_e32 v3, v19
	ds_write_b128 v19, v[2:5] offset:3072
	s_branch .LBB25_121
.LBB25_126:                             ;   in Loop: Header=BB25_123 Depth=2
	v_add_u32_e32 v12, s62, v12
	v_cmp_le_i32_e32 vcc, s83, v12
	v_add_u32_e32 v8, s74, v8
	s_mov_b64 s[48:49], 0
	s_orn2_b64 s[46:47], vcc, exec
	s_branch .LBB25_122
.LBB25_127:                             ;   in Loop: Header=BB25_7 Depth=1
	s_or_b64 exec, exec, s[38:39]
	s_and_b64 s[38:39], s[44:45], exec
.LBB25_128:                             ;   in Loop: Header=BB25_7 Depth=1
	s_or_b64 exec, exec, s[42:43]
.LBB25_129:                             ;   in Loop: Header=BB25_7 Depth=1
	s_and_b64 vcc, exec, s[40:41]
	s_cbranch_vccz .LBB25_140
; %bb.130:                              ;   in Loop: Header=BB25_7 Depth=1
	v_readlane_b32 s26, v60, 19
	s_add_i32 s46, s50, s26
	s_abs_i32 s27, s46
	v_readlane_b32 s28, v60, 36
	s_mul_hi_u32 s28, s27, s28
	s_mul_i32 s28, s28, s62
	s_sub_i32 s27, s27, s28
	s_ashr_i32 s26, s46, 31
	s_sub_i32 s28, s27, s62
	s_cmp_ge_u32 s27, s62
	s_cselect_b32 s27, s28, s27
	s_sub_i32 s28, s27, s62
	s_cmp_ge_u32 s27, s62
	s_cselect_b32 s27, s28, s27
	s_xor_b32 s27, s27, s26
	s_sub_i32 s26, s26, s27
	s_add_i32 s46, s46, s26
	v_cmp_gt_i32_e32 vcc, s46, v0
                                        ; implicit-def: $vgpr6_vgpr7
	s_and_saveexec_b64 s[26:27], vcc
	s_cbranch_execz .LBB25_139
; %bb.131:                              ;   in Loop: Header=BB25_7 Depth=1
	s_mov_b64 s[28:29], 0
	v_mov_b32_e32 v8, v35
	v_mov_b32_e32 v9, v0
                                        ; implicit-def: $sgpr40_sgpr41
	s_branch .LBB25_134
.LBB25_132:                             ;   in Loop: Header=BB25_134 Depth=2
	s_or_b64 exec, exec, s[42:43]
	s_waitcnt lgkmcnt(0)
	s_barrier
	ds_read_b128 v[4:7], v19 offset:3072
	s_mov_b64 s[42:43], -1
	s_mov_b64 s[44:45], -1
	s_waitcnt lgkmcnt(0)
	s_barrier
	v_cmp_eq_u64_e32 vcc, 0, v[4:5]
	s_cbranch_vccnz .LBB25_137
.LBB25_133:                             ;   in Loop: Header=BB25_134 Depth=2
	s_and_b64 s[42:43], exec, s[42:43]
	s_or_b64 s[28:29], s[42:43], s[28:29]
	s_andn2_b64 s[40:41], s[40:41], exec
	s_and_b64 s[42:43], s[44:45], exec
	s_or_b64 s[40:41], s[40:41], s[42:43]
	s_andn2_b64 exec, exec, s[28:29]
	s_cbranch_execz .LBB25_138
.LBB25_134:                             ;   Parent Loop BB25_7 Depth=1
                                        ; =>  This Inner Loop Header: Depth=2
	v_cmp_gt_i32_e32 vcc, s50, v9
	s_and_saveexec_b64 s[42:43], vcc
	s_cbranch_execz .LBB25_132
; %bb.135:                              ;   in Loop: Header=BB25_134 Depth=2
	ds_read_b64 v[4:5], v8
	s_waitcnt lgkmcnt(0)
	v_xor_b32_e32 v3, 0x80000000, v5
	v_and_b32_e32 v7, v3, v29
	v_and_b32_e32 v6, v4, v28
	v_cmp_eq_u64_e32 vcc, v[6:7], v[26:27]
	s_and_b64 exec, exec, vcc
	s_cbranch_execz .LBB25_132
; %bb.136:                              ;   in Loop: Header=BB25_134 Depth=2
	v_mov_b32_e32 v3, v19
	ds_write_b128 v19, v[2:5] offset:3072
	s_branch .LBB25_132
.LBB25_137:                             ;   in Loop: Header=BB25_134 Depth=2
	v_add_u32_e32 v9, s62, v9
	v_cmp_le_i32_e32 vcc, s46, v9
	v_add_u32_e32 v8, s16, v8
	s_mov_b64 s[44:45], 0
	s_orn2_b64 s[42:43], vcc, exec
	s_branch .LBB25_133
.LBB25_138:                             ;   in Loop: Header=BB25_7 Depth=1
	s_or_b64 exec, exec, s[28:29]
	s_andn2_b64 s[28:29], s[38:39], exec
	s_and_b64 s[38:39], s[40:41], exec
	s_or_b64 s[38:39], s[28:29], s[38:39]
.LBB25_139:                             ;   in Loop: Header=BB25_7 Depth=1
	s_or_b64 exec, exec, s[26:27]
	s_mov_b64 s[26:27], 0
	s_mov_b64 s[28:29], -1
.LBB25_140:                             ;   in Loop: Header=BB25_7 Depth=1
	s_orn2_b64 s[38:39], s[38:39], exec
.LBB25_141:                             ;   in Loop: Header=BB25_7 Depth=1
	s_or_b64 exec, exec, s[34:35]
	s_mov_b64 s[40:41], 0
	s_and_saveexec_b64 s[34:35], s[38:39]
	s_cbranch_execz .LBB25_230
; %bb.142:                              ;   in Loop: Header=BB25_7 Depth=1
	s_xor_b64 s[38:39], s[36:37], -1
	s_mov_b64 s[44:45], 0
	s_waitcnt vmcnt(0)
	v_mov_b32_e32 v12, 1
	v_mov_b32_e32 v10, 1
	s_and_saveexec_b64 s[36:37], s[38:39]
	s_cbranch_execz .LBB25_151
; %bb.143:                              ;   in Loop: Header=BB25_7 Depth=1
	v_cmp_ge_i32_e32 vcc, s33, v11
	s_and_saveexec_b64 s[38:39], vcc
	s_xor_b64 s[38:39], exec, s[38:39]
	s_cbranch_execz .LBB25_148
; %bb.144:                              ;   in Loop: Header=BB25_7 Depth=1
	ds_read_b32 v4, v19 offset:4096
	s_lshl_b64 s[40:41], 1, s17
	v_and_b32_e32 v3, s31, v27
	v_and_b32_e32 v5, s30, v26
	v_or_b32_e32 v27, s41, v3
	s_waitcnt lgkmcnt(0)
	v_cmp_ne_u32_e32 vcc, 0, v4
	v_or_b32_e32 v26, s40, v5
	v_or_b32_e32 v29, s3, v29
	;; [unrolled: 1-line block ×3, first 2 shown]
	s_cbranch_vccnz .LBB25_148
; %bb.145:                              ;   in Loop: Header=BB25_7 Depth=1
	s_and_saveexec_b64 s[40:41], s[0:1]
; %bb.146:                              ;   in Loop: Header=BB25_7 Depth=1
	v_mov_b32_e32 v3, s33
	ds_write_b32 v19, v3 offset:4100
; %bb.147:                              ;   in Loop: Header=BB25_7 Depth=1
	s_or_b64 exec, exec, s[40:41]
	s_waitcnt lgkmcnt(0)
	s_barrier
.LBB25_148:                             ;   in Loop: Header=BB25_7 Depth=1
	s_or_saveexec_b64 s[38:39], s[38:39]
	s_mov_b64 s[40:41], 0
	v_mov_b32_e32 v10, 8
	s_xor_b64 exec, exec, s[38:39]
; %bb.149:                              ;   in Loop: Header=BB25_7 Depth=1
	s_mov_b64 s[40:41], exec
	v_subrev_u32_e32 v11, s33, v11
	v_mov_b32_e32 v10, 0
; %bb.150:                              ;   in Loop: Header=BB25_7 Depth=1
	s_or_b64 exec, exec, s[38:39]
	s_and_b64 s[44:45], s[40:41], exec
	v_mov_b32_e32 v12, v11
.LBB25_151:                             ;   in Loop: Header=BB25_7 Depth=1
	s_or_b64 exec, exec, s[36:37]
	s_mov_b64 s[42:43], -1
                                        ; implicit-def: $sgpr38_sgpr39
                                        ; implicit-def: $sgpr40_sgpr41
	s_and_saveexec_b64 s[36:37], s[44:45]
	s_cbranch_execz .LBB25_229
; %bb.152:                              ;   in Loop: Header=BB25_7 Depth=1
	s_cmp_eq_u32 s58, 1
	s_cselect_b64 s[38:39], -1, 0
	v_cmp_eq_u32_e32 vcc, 1, v12
	s_and_b64 s[44:45], s[38:39], vcc
	s_mov_b64 s[46:47], -1
                                        ; implicit-def: $sgpr40_sgpr41
                                        ; implicit-def: $sgpr38_sgpr39
	s_and_saveexec_b64 s[42:43], s[44:45]
	s_cbranch_execz .LBB25_178
; %bb.153:                              ;   in Loop: Header=BB25_7 Depth=1
	ds_read_b32 v3, v19 offset:4096
	s_waitcnt lgkmcnt(0)
	s_barrier
	v_readfirstlane_b32 s33, v3
	s_and_saveexec_b64 s[38:39], s[4:5]
; %bb.154:                              ;   in Loop: Header=BB25_7 Depth=1
	ds_write_b64 v36, v[50:51]
; %bb.155:                              ;   in Loop: Header=BB25_7 Depth=1
	s_or_b64 exec, exec, s[38:39]
	s_lshl_b64 s[38:39], 2, s17
	v_and_b32_e32 v3, s31, v27
	v_and_b32_e32 v4, s30, v26
	v_or_b32_e32 v27, s39, v3
	v_or_b32_e32 v26, s38, v4
	;; [unrolled: 1-line block ×4, first 2 shown]
	s_mov_b64 s[38:39], -1
	s_mov_b64 s[40:41], 0
	s_cmp_gt_i32 s33, 0
	s_mov_b64 s[46:47], 0
	s_mov_b64 s[48:49], -1
	s_waitcnt lgkmcnt(0)
	s_barrier
                                        ; implicit-def: $vgpr6_vgpr7
	s_cbranch_scc1 .LBB25_166
; %bb.156:                              ;   in Loop: Header=BB25_7 Depth=1
	s_mov_b64 s[48:49], 0
                                        ; implicit-def: $vgpr6_vgpr7
	s_mov_b64 s[50:51], exec
	v_readlane_b32 s52, v60, 37
	v_readlane_b32 s53, v60, 38
	s_and_b64 s[52:53], s[50:51], s[52:53]
	s_mov_b64 exec, s[52:53]
	s_cbranch_execz .LBB25_165
; %bb.157:                              ;   in Loop: Header=BB25_7 Depth=1
	v_mov_b32_e32 v8, v16
	v_mov_b32_e32 v11, v0
                                        ; implicit-def: $sgpr52_sgpr53
	s_branch .LBB25_160
.LBB25_158:                             ;   in Loop: Header=BB25_160 Depth=2
	s_or_b64 exec, exec, s[54:55]
	s_waitcnt lgkmcnt(0)
	s_barrier
	ds_read_b128 v[4:7], v19 offset:3072
	s_mov_b64 s[54:55], -1
	s_mov_b64 s[56:57], -1
	s_waitcnt lgkmcnt(0)
	s_barrier
	v_cmp_ne_u64_e32 vcc, 0, v[4:5]
	s_cbranch_vccz .LBB25_163
.LBB25_159:                             ;   in Loop: Header=BB25_160 Depth=2
	s_and_b64 s[54:55], exec, s[54:55]
	s_or_b64 s[46:47], s[54:55], s[46:47]
	s_andn2_b64 s[52:53], s[52:53], exec
	s_and_b64 s[54:55], s[56:57], exec
	s_or_b64 s[52:53], s[52:53], s[54:55]
	s_andn2_b64 exec, exec, s[46:47]
	s_cbranch_execz .LBB25_164
.LBB25_160:                             ;   Parent Loop BB25_7 Depth=1
                                        ; =>  This Inner Loop Header: Depth=2
	v_cmp_gt_i32_e32 vcc, s60, v11
	s_and_saveexec_b64 s[54:55], vcc
	s_cbranch_execz .LBB25_158
; %bb.161:                              ;   in Loop: Header=BB25_160 Depth=2
	v_ashrrev_i32_e32 v9, 31, v8
	v_lshl_add_u64 v[4:5], v[8:9], 3, s[72:73]
	global_load_dwordx2 v[4:5], v[4:5], off
	s_waitcnt vmcnt(0)
	v_xor_b32_e32 v3, 0x80000000, v5
	v_and_b32_e32 v7, v3, v29
	v_and_b32_e32 v6, v4, v28
	v_cmp_eq_u64_e32 vcc, v[6:7], v[26:27]
	s_and_b64 exec, exec, vcc
	s_cbranch_execz .LBB25_158
; %bb.162:                              ;   in Loop: Header=BB25_160 Depth=2
	v_mov_b32_e32 v3, v19
	ds_write_b128 v19, v[2:5] offset:3072
	s_branch .LBB25_158
.LBB25_163:                             ;   in Loop: Header=BB25_160 Depth=2
	v_add_u32_e32 v11, s62, v11
	v_cmp_le_i32_e32 vcc, s83, v11
	v_add_u32_e32 v8, s74, v8
	s_mov_b64 s[56:57], 0
	s_orn2_b64 s[54:55], vcc, exec
	s_branch .LBB25_159
.LBB25_164:                             ;   in Loop: Header=BB25_7 Depth=1
	s_or_b64 exec, exec, s[46:47]
	s_and_b64 s[46:47], s[52:53], exec
.LBB25_165:                             ;   in Loop: Header=BB25_7 Depth=1
	s_or_b64 exec, exec, s[50:51]
.LBB25_166:                             ;   in Loop: Header=BB25_7 Depth=1
	s_and_b64 vcc, exec, s[48:49]
	s_cbranch_vccz .LBB25_177
; %bb.167:                              ;   in Loop: Header=BB25_7 Depth=1
	v_readlane_b32 s38, v60, 19
	s_add_i32 s54, s33, s38
	s_abs_i32 s39, s54
	v_readlane_b32 s40, v60, 36
	s_mul_hi_u32 s40, s39, s40
	s_mul_i32 s40, s40, s62
	s_sub_i32 s39, s39, s40
	s_ashr_i32 s38, s54, 31
	s_sub_i32 s40, s39, s62
	s_cmp_ge_u32 s39, s62
	s_cselect_b32 s39, s40, s39
	s_sub_i32 s40, s39, s62
	s_cmp_ge_u32 s39, s62
	s_cselect_b32 s39, s40, s39
	s_xor_b32 s39, s39, s38
	s_sub_i32 s38, s38, s39
	s_add_i32 s54, s54, s38
	v_cmp_gt_i32_e32 vcc, s54, v0
                                        ; implicit-def: $vgpr6_vgpr7
	s_and_saveexec_b64 s[38:39], vcc
	s_cbranch_execz .LBB25_176
; %bb.168:                              ;   in Loop: Header=BB25_7 Depth=1
	s_mov_b64 s[40:41], 0
	v_mov_b32_e32 v8, v35
	v_mov_b32_e32 v9, v0
                                        ; implicit-def: $sgpr48_sgpr49
	s_branch .LBB25_171
.LBB25_169:                             ;   in Loop: Header=BB25_171 Depth=2
	s_or_b64 exec, exec, s[50:51]
	s_waitcnt lgkmcnt(0)
	s_barrier
	ds_read_b128 v[4:7], v19 offset:3072
	s_mov_b64 s[50:51], -1
	s_mov_b64 s[52:53], -1
	s_waitcnt lgkmcnt(0)
	s_barrier
	v_cmp_eq_u64_e32 vcc, 0, v[4:5]
	s_cbranch_vccnz .LBB25_174
.LBB25_170:                             ;   in Loop: Header=BB25_171 Depth=2
	s_and_b64 s[50:51], exec, s[50:51]
	s_or_b64 s[40:41], s[50:51], s[40:41]
	s_andn2_b64 s[48:49], s[48:49], exec
	s_and_b64 s[50:51], s[52:53], exec
	s_or_b64 s[48:49], s[48:49], s[50:51]
	s_andn2_b64 exec, exec, s[40:41]
	s_cbranch_execz .LBB25_175
.LBB25_171:                             ;   Parent Loop BB25_7 Depth=1
                                        ; =>  This Inner Loop Header: Depth=2
	v_cmp_gt_i32_e32 vcc, s33, v9
	s_and_saveexec_b64 s[50:51], vcc
	s_cbranch_execz .LBB25_169
; %bb.172:                              ;   in Loop: Header=BB25_171 Depth=2
	ds_read_b64 v[4:5], v8
	s_waitcnt lgkmcnt(0)
	v_xor_b32_e32 v3, 0x80000000, v5
	v_and_b32_e32 v7, v3, v29
	v_and_b32_e32 v6, v4, v28
	v_cmp_eq_u64_e32 vcc, v[6:7], v[26:27]
	s_and_b64 exec, exec, vcc
	s_cbranch_execz .LBB25_169
; %bb.173:                              ;   in Loop: Header=BB25_171 Depth=2
	v_mov_b32_e32 v3, v19
	ds_write_b128 v19, v[2:5] offset:3072
	s_branch .LBB25_169
.LBB25_174:                             ;   in Loop: Header=BB25_171 Depth=2
	v_add_u32_e32 v9, s62, v9
	v_cmp_le_i32_e32 vcc, s54, v9
	v_add_u32_e32 v8, s16, v8
	s_mov_b64 s[52:53], 0
	s_orn2_b64 s[50:51], vcc, exec
	s_branch .LBB25_170
.LBB25_175:                             ;   in Loop: Header=BB25_7 Depth=1
	s_or_b64 exec, exec, s[40:41]
	s_andn2_b64 s[40:41], s[46:47], exec
	s_and_b64 s[46:47], s[48:49], exec
	s_or_b64 s[46:47], s[40:41], s[46:47]
.LBB25_176:                             ;   in Loop: Header=BB25_7 Depth=1
	s_or_b64 exec, exec, s[38:39]
	s_mov_b64 s[38:39], 0
	s_mov_b64 s[40:41], -1
.LBB25_177:                             ;   in Loop: Header=BB25_7 Depth=1
	s_orn2_b64 s[46:47], s[46:47], exec
.LBB25_178:                             ;   in Loop: Header=BB25_7 Depth=1
	s_or_b64 exec, exec, s[42:43]
	s_mov_b64 s[48:49], 0
	s_and_saveexec_b64 s[42:43], s[46:47]
	s_cbranch_execz .LBB25_228
; %bb.179:                              ;   in Loop: Header=BB25_7 Depth=1
	s_xor_b64 s[46:47], s[44:45], -1
	s_mov_b64 s[50:51], 0
	v_mov_b32_e32 v11, 1
	v_mov_b32_e32 v10, 1
	s_and_saveexec_b64 s[44:45], s[46:47]
	s_cbranch_execz .LBB25_188
; %bb.180:                              ;   in Loop: Header=BB25_7 Depth=1
	v_cmp_ge_i32_e32 vcc, s58, v12
	s_and_saveexec_b64 s[46:47], vcc
	s_xor_b64 s[46:47], exec, s[46:47]
	s_cbranch_execz .LBB25_185
; %bb.181:                              ;   in Loop: Header=BB25_7 Depth=1
	ds_read_b32 v4, v19 offset:4096
	s_lshl_b64 s[48:49], 2, s17
	v_and_b32_e32 v3, s31, v27
	v_and_b32_e32 v5, s30, v26
	v_or_b32_e32 v27, s49, v3
	s_waitcnt lgkmcnt(0)
	v_cmp_ne_u32_e32 vcc, 0, v4
	v_or_b32_e32 v26, s48, v5
	v_or_b32_e32 v29, s3, v29
	;; [unrolled: 1-line block ×3, first 2 shown]
	s_cbranch_vccnz .LBB25_185
; %bb.182:                              ;   in Loop: Header=BB25_7 Depth=1
	s_and_saveexec_b64 s[30:31], s[0:1]
; %bb.183:                              ;   in Loop: Header=BB25_7 Depth=1
	v_mov_b32_e32 v3, s58
	ds_write_b32 v19, v3 offset:4100
; %bb.184:                              ;   in Loop: Header=BB25_7 Depth=1
	s_or_b64 exec, exec, s[30:31]
	s_waitcnt lgkmcnt(0)
	s_barrier
.LBB25_185:                             ;   in Loop: Header=BB25_7 Depth=1
	s_or_saveexec_b64 s[30:31], s[46:47]
	s_mov_b64 s[46:47], 0
	v_mov_b32_e32 v10, 8
	s_xor_b64 exec, exec, s[30:31]
; %bb.186:                              ;   in Loop: Header=BB25_7 Depth=1
	s_mov_b64 s[46:47], exec
	v_subrev_u32_e32 v12, s58, v12
	v_mov_b32_e32 v10, 0
; %bb.187:                              ;   in Loop: Header=BB25_7 Depth=1
	s_or_b64 exec, exec, s[30:31]
	s_and_b64 s[50:51], s[46:47], exec
	v_mov_b32_e32 v11, v12
.LBB25_188:                             ;   in Loop: Header=BB25_7 Depth=1
	s_or_b64 exec, exec, s[44:45]
	s_mov_b64 s[44:45], -1
                                        ; implicit-def: $sgpr48_sgpr49
                                        ; implicit-def: $sgpr46_sgpr47
	s_and_saveexec_b64 s[30:31], s[50:51]
	s_cbranch_execz .LBB25_227
; %bb.189:                              ;   in Loop: Header=BB25_7 Depth=1
	s_cmp_eq_u32 s88, 1
	s_cselect_b64 s[44:45], -1, 0
	v_cmp_eq_u32_e32 vcc, 1, v11
	s_and_b64 s[44:45], s[44:45], vcc
	s_mov_b64 s[52:53], -1
                                        ; implicit-def: $sgpr48_sgpr49
                                        ; implicit-def: $sgpr46_sgpr47
	s_and_saveexec_b64 s[50:51], s[44:45]
	s_cbranch_execz .LBB25_215
; %bb.190:                              ;   in Loop: Header=BB25_7 Depth=1
	ds_read_b32 v3, v19 offset:4096
	s_waitcnt lgkmcnt(0)
	s_barrier
	v_readfirstlane_b32 s33, v3
	s_and_saveexec_b64 s[46:47], s[4:5]
; %bb.191:                              ;   in Loop: Header=BB25_7 Depth=1
	ds_write_b64 v36, v[50:51]
; %bb.192:                              ;   in Loop: Header=BB25_7 Depth=1
	s_or_b64 exec, exec, s[46:47]
	v_or_b32_e32 v27, s3, v27
	v_or_b32_e32 v26, s2, v26
	;; [unrolled: 1-line block ×4, first 2 shown]
	s_mov_b64 s[46:47], -1
	s_mov_b64 s[48:49], 0
	s_cmp_gt_i32 s33, 0
	s_mov_b64 s[52:53], 0
	s_mov_b64 s[54:55], -1
	s_waitcnt lgkmcnt(0)
	s_barrier
                                        ; implicit-def: $vgpr6_vgpr7
	s_cbranch_scc1 .LBB25_203
; %bb.193:                              ;   in Loop: Header=BB25_7 Depth=1
	s_mov_b64 s[54:55], 0
                                        ; implicit-def: $vgpr6_vgpr7
	s_mov_b64 s[56:57], exec
	v_readlane_b32 s58, v60, 37
	v_readlane_b32 s59, v60, 38
	s_and_b64 s[58:59], s[56:57], s[58:59]
	s_mov_b64 exec, s[58:59]
	s_cbranch_execz .LBB25_202
; %bb.194:                              ;   in Loop: Header=BB25_7 Depth=1
	v_mov_b32_e32 v8, v16
	v_mov_b32_e32 v12, v0
                                        ; implicit-def: $sgpr58_sgpr59
	s_branch .LBB25_197
.LBB25_195:                             ;   in Loop: Header=BB25_197 Depth=2
	s_or_b64 exec, exec, s[70:71]
	s_waitcnt lgkmcnt(0)
	s_barrier
	ds_read_b128 v[4:7], v19 offset:3072
	s_mov_b64 s[70:71], -1
	s_mov_b64 s[86:87], -1
	s_waitcnt lgkmcnt(0)
	s_barrier
	v_cmp_ne_u64_e32 vcc, 0, v[4:5]
	s_cbranch_vccz .LBB25_200
.LBB25_196:                             ;   in Loop: Header=BB25_197 Depth=2
	s_and_b64 s[70:71], exec, s[70:71]
	s_or_b64 s[52:53], s[70:71], s[52:53]
	s_andn2_b64 s[58:59], s[58:59], exec
	s_and_b64 s[70:71], s[86:87], exec
	s_or_b64 s[58:59], s[58:59], s[70:71]
	s_andn2_b64 exec, exec, s[52:53]
	s_cbranch_execz .LBB25_201
.LBB25_197:                             ;   Parent Loop BB25_7 Depth=1
                                        ; =>  This Inner Loop Header: Depth=2
	v_cmp_gt_i32_e32 vcc, s60, v12
	s_and_saveexec_b64 s[70:71], vcc
	s_cbranch_execz .LBB25_195
; %bb.198:                              ;   in Loop: Header=BB25_197 Depth=2
	v_ashrrev_i32_e32 v9, 31, v8
	v_lshl_add_u64 v[4:5], v[8:9], 3, s[72:73]
	global_load_dwordx2 v[4:5], v[4:5], off
	s_waitcnt vmcnt(0)
	v_xor_b32_e32 v3, 0x80000000, v5
	v_and_b32_e32 v7, v3, v29
	v_and_b32_e32 v6, v4, v28
	v_cmp_eq_u64_e32 vcc, v[6:7], v[26:27]
	s_and_b64 exec, exec, vcc
	s_cbranch_execz .LBB25_195
; %bb.199:                              ;   in Loop: Header=BB25_197 Depth=2
	v_mov_b32_e32 v3, v19
	ds_write_b128 v19, v[2:5] offset:3072
	s_branch .LBB25_195
.LBB25_200:                             ;   in Loop: Header=BB25_197 Depth=2
	v_add_u32_e32 v12, s62, v12
	v_cmp_le_i32_e32 vcc, s83, v12
	v_add_u32_e32 v8, s74, v8
	s_mov_b64 s[86:87], 0
	s_orn2_b64 s[70:71], vcc, exec
	s_branch .LBB25_196
.LBB25_201:                             ;   in Loop: Header=BB25_7 Depth=1
	s_or_b64 exec, exec, s[52:53]
	s_and_b64 s[52:53], s[58:59], exec
.LBB25_202:                             ;   in Loop: Header=BB25_7 Depth=1
	s_or_b64 exec, exec, s[56:57]
.LBB25_203:                             ;   in Loop: Header=BB25_7 Depth=1
	s_and_b64 vcc, exec, s[54:55]
	s_cbranch_vccz .LBB25_214
; %bb.204:                              ;   in Loop: Header=BB25_7 Depth=1
	v_readlane_b32 s46, v60, 19
	s_add_i32 s70, s33, s46
	s_abs_i32 s47, s70
	v_readlane_b32 s48, v60, 36
	s_mul_hi_u32 s48, s47, s48
	s_mul_i32 s48, s48, s62
	s_sub_i32 s47, s47, s48
	s_ashr_i32 s46, s70, 31
	s_sub_i32 s48, s47, s62
	s_cmp_ge_u32 s47, s62
	s_cselect_b32 s47, s48, s47
	s_sub_i32 s48, s47, s62
	s_cmp_ge_u32 s47, s62
	s_cselect_b32 s47, s48, s47
	s_xor_b32 s47, s47, s46
	s_sub_i32 s46, s46, s47
	s_add_i32 s70, s70, s46
	v_cmp_gt_i32_e32 vcc, s70, v0
                                        ; implicit-def: $vgpr6_vgpr7
	s_and_saveexec_b64 s[46:47], vcc
	s_cbranch_execz .LBB25_213
; %bb.205:                              ;   in Loop: Header=BB25_7 Depth=1
	s_mov_b64 s[48:49], 0
	v_mov_b32_e32 v8, v35
	v_mov_b32_e32 v9, v0
                                        ; implicit-def: $sgpr54_sgpr55
	s_branch .LBB25_208
.LBB25_206:                             ;   in Loop: Header=BB25_208 Depth=2
	s_or_b64 exec, exec, s[56:57]
	s_waitcnt lgkmcnt(0)
	s_barrier
	ds_read_b128 v[4:7], v19 offset:3072
	s_mov_b64 s[56:57], -1
	s_mov_b64 s[58:59], -1
	s_waitcnt lgkmcnt(0)
	s_barrier
	v_cmp_eq_u64_e32 vcc, 0, v[4:5]
	s_cbranch_vccnz .LBB25_211
.LBB25_207:                             ;   in Loop: Header=BB25_208 Depth=2
	s_and_b64 s[56:57], exec, s[56:57]
	s_or_b64 s[48:49], s[56:57], s[48:49]
	s_andn2_b64 s[54:55], s[54:55], exec
	s_and_b64 s[56:57], s[58:59], exec
	s_or_b64 s[54:55], s[54:55], s[56:57]
	s_andn2_b64 exec, exec, s[48:49]
	s_cbranch_execz .LBB25_212
.LBB25_208:                             ;   Parent Loop BB25_7 Depth=1
                                        ; =>  This Inner Loop Header: Depth=2
	v_cmp_gt_i32_e32 vcc, s33, v9
	s_and_saveexec_b64 s[56:57], vcc
	s_cbranch_execz .LBB25_206
; %bb.209:                              ;   in Loop: Header=BB25_208 Depth=2
	ds_read_b64 v[4:5], v8
	s_waitcnt lgkmcnt(0)
	v_xor_b32_e32 v3, 0x80000000, v5
	v_and_b32_e32 v7, v3, v29
	v_and_b32_e32 v6, v4, v28
	v_cmp_eq_u64_e32 vcc, v[6:7], v[26:27]
	s_and_b64 exec, exec, vcc
	s_cbranch_execz .LBB25_206
; %bb.210:                              ;   in Loop: Header=BB25_208 Depth=2
	v_mov_b32_e32 v3, v19
	ds_write_b128 v19, v[2:5] offset:3072
	s_branch .LBB25_206
.LBB25_211:                             ;   in Loop: Header=BB25_208 Depth=2
	v_add_u32_e32 v9, s62, v9
	v_cmp_le_i32_e32 vcc, s70, v9
	v_add_u32_e32 v8, s16, v8
	s_mov_b64 s[58:59], 0
	s_orn2_b64 s[56:57], vcc, exec
	s_branch .LBB25_207
.LBB25_212:                             ;   in Loop: Header=BB25_7 Depth=1
	s_or_b64 exec, exec, s[48:49]
	s_andn2_b64 s[48:49], s[52:53], exec
	s_and_b64 s[52:53], s[54:55], exec
	s_or_b64 s[52:53], s[48:49], s[52:53]
.LBB25_213:                             ;   in Loop: Header=BB25_7 Depth=1
	s_or_b64 exec, exec, s[46:47]
	s_mov_b64 s[46:47], 0
	s_mov_b64 s[48:49], -1
.LBB25_214:                             ;   in Loop: Header=BB25_7 Depth=1
	s_orn2_b64 s[52:53], s[52:53], exec
.LBB25_215:                             ;   in Loop: Header=BB25_7 Depth=1
	s_or_b64 exec, exec, s[50:51]
	s_mov_b64 s[54:55], 0
	s_and_saveexec_b64 s[50:51], s[52:53]
	s_cbranch_execz .LBB25_226
; %bb.216:                              ;   in Loop: Header=BB25_7 Depth=1
	s_xor_b64 s[52:53], s[44:45], -1
	v_mov_b32_e32 v10, 1
	v_mov_b32_e32 v3, 1
	s_and_saveexec_b64 s[44:45], s[52:53]
	s_cbranch_execz .LBB25_225
; %bb.217:                              ;   in Loop: Header=BB25_7 Depth=1
	v_cmp_ge_i32_e32 vcc, s88, v11
	s_and_saveexec_b64 s[52:53], vcc
	s_xor_b64 s[52:53], exec, s[52:53]
	s_cbranch_execz .LBB25_222
; %bb.218:                              ;   in Loop: Header=BB25_7 Depth=1
	ds_read_b32 v3, v19 offset:4096
	v_or_b32_e32 v27, s3, v27
	v_or_b32_e32 v26, s2, v26
	;; [unrolled: 1-line block ×4, first 2 shown]
	s_waitcnt lgkmcnt(0)
	v_cmp_ne_u32_e32 vcc, 0, v3
	s_cbranch_vccnz .LBB25_222
; %bb.219:                              ;   in Loop: Header=BB25_7 Depth=1
	s_and_saveexec_b64 s[2:3], s[0:1]
; %bb.220:                              ;   in Loop: Header=BB25_7 Depth=1
	v_mov_b32_e32 v3, s88
	ds_write_b32 v19, v3 offset:4100
; %bb.221:                              ;   in Loop: Header=BB25_7 Depth=1
	s_or_b64 exec, exec, s[2:3]
	s_waitcnt lgkmcnt(0)
	s_barrier
.LBB25_222:                             ;   in Loop: Header=BB25_7 Depth=1
	s_andn2_saveexec_b64 s[2:3], s[52:53]
; %bb.223:                              ;   in Loop: Header=BB25_7 Depth=1
	v_subrev_u32_e32 v11, s88, v11
; %bb.224:                              ;   in Loop: Header=BB25_7 Depth=1
	s_or_b64 exec, exec, s[2:3]
	v_mov_b32_e32 v10, 8
	v_mov_b32_e32 v3, v11
.LBB25_225:                             ;   in Loop: Header=BB25_7 Depth=1
	s_or_b64 exec, exec, s[44:45]
	s_mov_b64 s[54:55], exec
	v_mov_b32_e32 v11, v3
.LBB25_226:                             ;   in Loop: Header=BB25_7 Depth=1
	s_or_b64 exec, exec, s[50:51]
	s_orn2_b64 s[44:45], s[54:55], exec
.LBB25_227:                             ;   in Loop: Header=BB25_7 Depth=1
	s_or_b64 exec, exec, s[30:31]
	s_andn2_b64 s[2:3], s[40:41], exec
	s_and_b64 s[30:31], s[48:49], exec
	s_or_b64 s[40:41], s[2:3], s[30:31]
	s_andn2_b64 s[2:3], s[38:39], exec
	s_and_b64 s[30:31], s[46:47], exec
	s_or_b64 s[38:39], s[2:3], s[30:31]
	s_and_b64 s[48:49], s[44:45], exec
	v_mov_b32_e32 v12, v11
.LBB25_228:                             ;   in Loop: Header=BB25_7 Depth=1
	s_or_b64 exec, exec, s[42:43]
	s_orn2_b64 s[42:43], s[48:49], exec
.LBB25_229:                             ;   in Loop: Header=BB25_7 Depth=1
	s_or_b64 exec, exec, s[36:37]
	s_andn2_b64 s[2:3], s[28:29], exec
	s_and_b64 s[28:29], s[40:41], exec
	s_or_b64 s[28:29], s[2:3], s[28:29]
	s_andn2_b64 s[2:3], s[26:27], exec
	s_and_b64 s[26:27], s[38:39], exec
	s_or_b64 s[26:27], s[2:3], s[26:27]
	s_and_b64 s[40:41], s[42:43], exec
	v_mov_b32_e32 v11, v12
.LBB25_230:                             ;   in Loop: Header=BB25_7 Depth=1
	s_or_b64 exec, exec, s[34:35]
	s_orn2_b64 s[34:35], s[40:41], exec
.LBB25_231:                             ;   in Loop: Header=BB25_7 Depth=1
	s_or_b64 exec, exec, s[24:25]
	s_mov_b64 s[24:25], 0
                                        ; implicit-def: $sgpr36
                                        ; implicit-def: $sgpr37
	s_and_saveexec_b64 s[2:3], s[34:35]
	s_xor_b64 s[2:3], exec, s[2:3]
	s_cbranch_execz .LBB25_5
; %bb.232:                              ;   in Loop: Header=BB25_7 Depth=1
	v_and_b32_e32 v3, 7, v10
	v_cmp_eq_u32_e32 vcc, 0, v3
	s_mov_b64 s[22:23], -1
	s_mov_b64 s[24:25], -1
                                        ; implicit-def: $sgpr36
                                        ; implicit-def: $sgpr37
	s_and_saveexec_b64 s[30:31], vcc
	s_cbranch_execz .LBB25_4
; %bb.233:                              ;   in Loop: Header=BB25_7 Depth=1
	s_xor_b32 s37, s61, 1
	s_add_i32 s36, s17, -2
	s_cmp_eq_u32 s17, 0
	s_cselect_b64 s[22:23], -1, 0
	s_xor_b64 s[24:25], exec, -1
	s_orn2_b64 s[22:23], s[22:23], exec
	s_branch .LBB25_4
.LBB25_234:
	s_or_b64 exec, exec, s[92:93]
	s_xor_b64 s[8:9], s[98:99], -1
	s_xor_b64 s[2:3], s[94:95], -1
	;; [unrolled: 1-line block ×3, first 2 shown]
	s_mov_b64 s[4:5], 0
	s_and_saveexec_b64 s[10:11], s[2:3]
	s_xor_b64 s[2:3], exec, s[10:11]
	s_cbranch_execnz .LBB25_239
; %bb.235:
	s_andn2_saveexec_b64 s[0:1], s[2:3]
	s_cbranch_execnz .LBB25_259
.LBB25_236:
	s_or_b64 exec, exec, s[0:1]
	s_and_saveexec_b64 s[0:1], s[4:5]
.LBB25_237:
	; divergent unreachable
.LBB25_238:
	s_endpgm
.LBB25_239:
	s_and_saveexec_b64 s[4:5], s[8:9]
	s_xor_b64 s[4:5], exec, s[4:5]
	s_cbranch_execz .LBB25_257
; %bb.240:
	s_and_saveexec_b64 s[8:9], s[6:7]
	s_xor_b64 s[6:7], exec, s[8:9]
; %bb.241:
	v_xor_b32_e32 v27, 0x80000000, v27
	v_mov_b64_e32 v[6:7], v[26:27]
; %bb.242:
	s_or_b64 exec, exec, s[6:7]
	s_and_saveexec_b64 s[6:7], s[0:1]
	v_readlane_b32 s20, v60, 18
	v_readlane_b32 s21, v60, 17
	;; [unrolled: 1-line block ×3, first 2 shown]
; %bb.243:
	v_mov_b32_e32 v1, 0
	v_mov_b32_e32 v2, s60
	ds_write_b32 v1, v2 offset:4108
; %bb.244:
	s_or_b64 exec, exec, s[6:7]
	v_mov_b32_e32 v1, 0
	s_waitcnt lgkmcnt(0)
	s_barrier
	ds_read_b32 v1, v1 offset:4108
	s_waitcnt lgkmcnt(0)
	v_min_i32_e32 v2, s60, v1
	v_cmp_lt_i32_e32 vcc, v0, v2
	s_and_saveexec_b64 s[6:7], vcc
	s_cbranch_execz .LBB25_254
; %bb.245:
	s_mov_b64 s[8:9], 0
                                        ; implicit-def: $sgpr10_sgpr11
                                        ; implicit-def: $sgpr14_sgpr15
                                        ; implicit-def: $sgpr12_sgpr13
	s_branch .LBB25_247
.LBB25_246:                             ;   in Loop: Header=BB25_247 Depth=1
	s_or_b64 exec, exec, s[16:17]
	s_and_b64 s[16:17], exec, s[14:15]
	s_or_b64 s[8:9], s[16:17], s[8:9]
	s_andn2_b64 s[10:11], s[10:11], exec
	s_and_b64 s[16:17], s[12:13], exec
	s_or_b64 s[10:11], s[10:11], s[16:17]
	s_andn2_b64 exec, exec, s[8:9]
	s_cbranch_execz .LBB25_249
.LBB25_247:                             ; =>This Inner Loop Header: Depth=1
	v_ashrrev_i32_e32 v17, 31, v16
	s_waitcnt vmcnt(0)
	v_lshl_add_u64 v[4:5], v[16:17], 3, s[72:73]
	global_load_dwordx2 v[4:5], v[4:5], off
	v_mov_b32_e32 v1, v0
	s_or_b64 s[12:13], s[12:13], exec
	s_or_b64 s[14:15], s[14:15], exec
                                        ; implicit-def: $vgpr0
	s_waitcnt vmcnt(0)
	v_cmp_ne_u64_e32 vcc, v[4:5], v[6:7]
	s_and_saveexec_b64 s[16:17], vcc
	s_cbranch_execz .LBB25_246
; %bb.248:                              ;   in Loop: Header=BB25_247 Depth=1
	v_add_u32_e32 v0, s62, v1
	v_cmp_ge_i32_e32 vcc, v0, v2
	s_andn2_b64 s[14:15], s[14:15], exec
	s_and_b64 s[18:19], vcc, exec
	v_add_u32_e32 v16, s74, v16
	s_andn2_b64 s[12:13], s[12:13], exec
	s_or_b64 s[14:15], s[14:15], s[18:19]
	s_branch .LBB25_246
.LBB25_249:
	s_or_b64 exec, exec, s[8:9]
	s_and_saveexec_b64 s[8:9], s[10:11]
	s_xor_b64 s[8:9], exec, s[8:9]
	s_cbranch_execz .LBB25_254
; %bb.250:
	s_mov_b64 s[8:9], exec
	s_brev_b32 s10, -2
.LBB25_251:                             ; =>This Inner Loop Header: Depth=1
	s_ff1_i32_b64 s11, s[8:9]
	v_readlane_b32 s14, v1, s11
	s_lshl_b64 s[12:13], 1, s11
	s_min_i32 s10, s10, s14
	s_andn2_b64 s[8:9], s[8:9], s[12:13]
	s_cmp_lg_u64 s[8:9], 0
	s_cbranch_scc1 .LBB25_251
; %bb.252:
	v_mbcnt_lo_u32_b32 v0, exec_lo, 0
	v_mbcnt_hi_u32_b32 v0, exec_hi, v0
	v_cmp_eq_u32_e32 vcc, 0, v0
	s_and_saveexec_b64 s[8:9], vcc
	s_xor_b64 s[8:9], exec, s[8:9]
; %bb.253:
	v_mov_b32_e32 v0, 0
	v_mov_b32_e32 v1, s10
	ds_min_i32 v0, v1 offset:4108
.LBB25_254:
	s_or_b64 exec, exec, s[6:7]
	s_waitcnt lgkmcnt(0)
	s_barrier
	s_and_saveexec_b64 s[6:7], s[0:1]
	s_cbranch_execz .LBB25_256
; %bb.255:
	v_readlane_b32 s11, v60, 8
	v_readlane_b32 s12, v60, 9
	s_mul_i32 s1, s12, s11
	v_readlane_b32 s10, v60, 16
	v_readlane_b32 s0, v60, 13
	s_sub_i32 s1, s21, s1
	s_xor_b32 s0, s10, s0
	s_add_i32 s8, s12, 1
	s_sub_i32 s9, s1, s11
	s_cmp_ge_u32 s1, s11
	s_cselect_b32 s8, s8, s12
	s_cselect_b32 s1, s9, s1
	s_add_i32 s9, s8, 1
	s_cmp_ge_u32 s1, s11
	s_cselect_b32 s1, s9, s8
	s_xor_b32 s1, s1, s0
	s_sub_i32 s0, s1, s0
	s_mul_i32 s1, s0, s22
	v_readlane_b32 s8, v60, 6
	s_sub_i32 s1, s20, s1
	v_readlane_b32 s9, v60, 7
	v_readlane_b32 s11, v60, 10
	;; [unrolled: 1-line block ×3, first 2 shown]
	s_mul_i32 s1, s1, s9
	s_mul_i32 s0, s0, s8
	;; [unrolled: 1-line block ×3, first 2 shown]
	s_add_i32 s0, s0, s1
	v_readlane_b32 s1, v60, 15
	s_sub_i32 s8, s21, s8
	s_xor_b32 s1, s10, s1
	s_add_i32 s9, s12, 1
	s_sub_i32 s10, s8, s11
	s_cmp_ge_u32 s8, s11
	s_cselect_b32 s9, s9, s12
	s_cselect_b32 s8, s10, s8
	s_add_i32 s10, s9, 1
	s_cmp_ge_u32 s8, s11
	s_cselect_b32 s8, s10, s9
	s_xor_b32 s8, s8, s1
	s_sub_i32 s1, s8, s1
	v_readlane_b32 s8, v60, 14
	s_mul_i32 s8, s1, s8
	v_readlane_b32 s10, v60, 2
	s_sub_i32 s8, s20, s8
	v_readlane_b32 s11, v60, 3
	s_mul_i32 s8, s8, s11
	s_mul_i32 s1, s1, s10
	s_add_i32 s8, s1, s8
	s_ashr_i32 s1, s0, 31
	v_mov_b32_e32 v2, 0
	s_lshl_b64 s[0:1], s[0:1], 3
	v_readlane_b32 s10, v60, 0
	ds_read_b32 v0, v2 offset:4108
	v_readlane_b32 s11, v60, 1
	s_add_u32 s0, s10, s0
	s_addc_u32 s1, s11, s1
	s_ashr_i32 s9, s8, 31
	s_lshl_b64 s[8:9], s[8:9], 3
	v_readlane_b32 s10, v60, 4
	v_readlane_b32 s11, v60, 5
	s_add_u32 s8, s10, s8
	s_addc_u32 s9, s11, s9
	s_waitcnt lgkmcnt(0)
	v_ashrrev_i32_e32 v1, 31, v0
	global_store_dwordx2 v2, v[0:1], s[8:9]
	global_store_dwordx2 v2, v[6:7], s[0:1]
.LBB25_256:
	s_or_b64 exec, exec, s[6:7]
.LBB25_257:
	s_or_saveexec_b64 s[0:1], s[4:5]
	s_mov_b64 s[4:5], 0
	s_xor_b64 exec, exec, s[0:1]
	s_cbranch_execnz .LBB25_260
.LBB25_258:
	s_or_b64 exec, exec, s[0:1]
	s_and_b64 s[4:5], s[4:5], exec
	s_andn2_saveexec_b64 s[0:1], s[2:3]
	s_cbranch_execz .LBB25_236
.LBB25_259:
	s_or_b64 s[4:5], s[4:5], exec
	s_trap 2
	s_or_b64 exec, exec, s[0:1]
	s_and_saveexec_b64 s[0:1], s[4:5]
	s_cbranch_execnz .LBB25_237
	s_branch .LBB25_238
.LBB25_260:
	s_mov_b64 s[4:5], exec
	s_trap 2
	s_branch .LBB25_258
	.section	.rodata,"a",@progbits
	.p2align	6, 0x0
	.amdhsa_kernel _ZN2at6native12_GLOBAL__N_114gatherKthValueIliLi2EEEvNS_4cuda6detail10TensorInfoIKT_T0_EES8_S8_S8_S8_NS5_IS6_S8_EENS5_IlS8_EE
		.amdhsa_group_segment_fixed_size 4112
		.amdhsa_private_segment_fixed_size 0
		.amdhsa_kernarg_size 920
		.amdhsa_user_sgpr_count 2
		.amdhsa_user_sgpr_dispatch_ptr 0
		.amdhsa_user_sgpr_queue_ptr 0
		.amdhsa_user_sgpr_kernarg_segment_ptr 1
		.amdhsa_user_sgpr_dispatch_id 0
		.amdhsa_user_sgpr_kernarg_preload_length 0
		.amdhsa_user_sgpr_kernarg_preload_offset 0
		.amdhsa_user_sgpr_private_segment_size 0
		.amdhsa_uses_dynamic_stack 0
		.amdhsa_enable_private_segment 0
		.amdhsa_system_sgpr_workgroup_id_x 1
		.amdhsa_system_sgpr_workgroup_id_y 1
		.amdhsa_system_sgpr_workgroup_id_z 1
		.amdhsa_system_sgpr_workgroup_info 0
		.amdhsa_system_vgpr_workitem_id 0
		.amdhsa_next_free_vgpr 61
		.amdhsa_next_free_sgpr 100
		.amdhsa_accum_offset 64
		.amdhsa_reserve_vcc 1
		.amdhsa_float_round_mode_32 0
		.amdhsa_float_round_mode_16_64 0
		.amdhsa_float_denorm_mode_32 3
		.amdhsa_float_denorm_mode_16_64 3
		.amdhsa_dx10_clamp 1
		.amdhsa_ieee_mode 1
		.amdhsa_fp16_overflow 0
		.amdhsa_tg_split 0
		.amdhsa_exception_fp_ieee_invalid_op 0
		.amdhsa_exception_fp_denorm_src 0
		.amdhsa_exception_fp_ieee_div_zero 0
		.amdhsa_exception_fp_ieee_overflow 0
		.amdhsa_exception_fp_ieee_underflow 0
		.amdhsa_exception_fp_ieee_inexact 0
		.amdhsa_exception_int_div_zero 0
	.end_amdhsa_kernel
	.section	.text._ZN2at6native12_GLOBAL__N_114gatherKthValueIliLi2EEEvNS_4cuda6detail10TensorInfoIKT_T0_EES8_S8_S8_S8_NS5_IS6_S8_EENS5_IlS8_EE,"axG",@progbits,_ZN2at6native12_GLOBAL__N_114gatherKthValueIliLi2EEEvNS_4cuda6detail10TensorInfoIKT_T0_EES8_S8_S8_S8_NS5_IS6_S8_EENS5_IlS8_EE,comdat
.Lfunc_end25:
	.size	_ZN2at6native12_GLOBAL__N_114gatherKthValueIliLi2EEEvNS_4cuda6detail10TensorInfoIKT_T0_EES8_S8_S8_S8_NS5_IS6_S8_EENS5_IlS8_EE, .Lfunc_end25-_ZN2at6native12_GLOBAL__N_114gatherKthValueIliLi2EEEvNS_4cuda6detail10TensorInfoIKT_T0_EES8_S8_S8_S8_NS5_IS6_S8_EENS5_IlS8_EE
                                        ; -- End function
	.set _ZN2at6native12_GLOBAL__N_114gatherKthValueIliLi2EEEvNS_4cuda6detail10TensorInfoIKT_T0_EES8_S8_S8_S8_NS5_IS6_S8_EENS5_IlS8_EE.num_vgpr, 61
	.set _ZN2at6native12_GLOBAL__N_114gatherKthValueIliLi2EEEvNS_4cuda6detail10TensorInfoIKT_T0_EES8_S8_S8_S8_NS5_IS6_S8_EENS5_IlS8_EE.num_agpr, 0
	.set _ZN2at6native12_GLOBAL__N_114gatherKthValueIliLi2EEEvNS_4cuda6detail10TensorInfoIKT_T0_EES8_S8_S8_S8_NS5_IS6_S8_EENS5_IlS8_EE.numbered_sgpr, 100
	.set _ZN2at6native12_GLOBAL__N_114gatherKthValueIliLi2EEEvNS_4cuda6detail10TensorInfoIKT_T0_EES8_S8_S8_S8_NS5_IS6_S8_EENS5_IlS8_EE.num_named_barrier, 0
	.set _ZN2at6native12_GLOBAL__N_114gatherKthValueIliLi2EEEvNS_4cuda6detail10TensorInfoIKT_T0_EES8_S8_S8_S8_NS5_IS6_S8_EENS5_IlS8_EE.private_seg_size, 0
	.set _ZN2at6native12_GLOBAL__N_114gatherKthValueIliLi2EEEvNS_4cuda6detail10TensorInfoIKT_T0_EES8_S8_S8_S8_NS5_IS6_S8_EENS5_IlS8_EE.uses_vcc, 1
	.set _ZN2at6native12_GLOBAL__N_114gatherKthValueIliLi2EEEvNS_4cuda6detail10TensorInfoIKT_T0_EES8_S8_S8_S8_NS5_IS6_S8_EENS5_IlS8_EE.uses_flat_scratch, 0
	.set _ZN2at6native12_GLOBAL__N_114gatherKthValueIliLi2EEEvNS_4cuda6detail10TensorInfoIKT_T0_EES8_S8_S8_S8_NS5_IS6_S8_EENS5_IlS8_EE.has_dyn_sized_stack, 0
	.set _ZN2at6native12_GLOBAL__N_114gatherKthValueIliLi2EEEvNS_4cuda6detail10TensorInfoIKT_T0_EES8_S8_S8_S8_NS5_IS6_S8_EENS5_IlS8_EE.has_recursion, 0
	.set _ZN2at6native12_GLOBAL__N_114gatherKthValueIliLi2EEEvNS_4cuda6detail10TensorInfoIKT_T0_EES8_S8_S8_S8_NS5_IS6_S8_EENS5_IlS8_EE.has_indirect_call, 0
	.section	.AMDGPU.csdata,"",@progbits
; Kernel info:
; codeLenInByte = 9880
; TotalNumSgprs: 106
; NumVgprs: 61
; NumAgprs: 0
; TotalNumVgprs: 61
; ScratchSize: 0
; MemoryBound: 0
; FloatMode: 240
; IeeeMode: 1
; LDSByteSize: 4112 bytes/workgroup (compile time only)
; SGPRBlocks: 13
; VGPRBlocks: 7
; NumSGPRsForWavesPerEU: 106
; NumVGPRsForWavesPerEU: 61
; AccumOffset: 64
; Occupancy: 7
; WaveLimiterHint : 1
; COMPUTE_PGM_RSRC2:SCRATCH_EN: 0
; COMPUTE_PGM_RSRC2:USER_SGPR: 2
; COMPUTE_PGM_RSRC2:TRAP_HANDLER: 0
; COMPUTE_PGM_RSRC2:TGID_X_EN: 1
; COMPUTE_PGM_RSRC2:TGID_Y_EN: 1
; COMPUTE_PGM_RSRC2:TGID_Z_EN: 1
; COMPUTE_PGM_RSRC2:TIDIG_COMP_CNT: 0
; COMPUTE_PGM_RSRC3_GFX90A:ACCUM_OFFSET: 15
; COMPUTE_PGM_RSRC3_GFX90A:TG_SPLIT: 0
	.section	.text._ZN2at6native12_GLOBAL__N_114gatherKthValueIliLi3EEEvNS_4cuda6detail10TensorInfoIKT_T0_EES8_S8_S8_S8_NS5_IS6_S8_EENS5_IlS8_EE,"axG",@progbits,_ZN2at6native12_GLOBAL__N_114gatherKthValueIliLi3EEEvNS_4cuda6detail10TensorInfoIKT_T0_EES8_S8_S8_S8_NS5_IS6_S8_EENS5_IlS8_EE,comdat
	.globl	_ZN2at6native12_GLOBAL__N_114gatherKthValueIliLi3EEEvNS_4cuda6detail10TensorInfoIKT_T0_EES8_S8_S8_S8_NS5_IS6_S8_EENS5_IlS8_EE ; -- Begin function _ZN2at6native12_GLOBAL__N_114gatherKthValueIliLi3EEEvNS_4cuda6detail10TensorInfoIKT_T0_EES8_S8_S8_S8_NS5_IS6_S8_EENS5_IlS8_EE
	.p2align	8
	.type	_ZN2at6native12_GLOBAL__N_114gatherKthValueIliLi3EEEvNS_4cuda6detail10TensorInfoIKT_T0_EES8_S8_S8_S8_NS5_IS6_S8_EENS5_IlS8_EE,@function
_ZN2at6native12_GLOBAL__N_114gatherKthValueIliLi3EEEvNS_4cuda6detail10TensorInfoIKT_T0_EES8_S8_S8_S8_NS5_IS6_S8_EENS5_IlS8_EE: ; @_ZN2at6native12_GLOBAL__N_114gatherKthValueIliLi3EEEvNS_4cuda6detail10TensorInfoIKT_T0_EES8_S8_S8_S8_NS5_IS6_S8_EENS5_IlS8_EE
; %bb.0:
	s_load_dwordx2 s[12:13], s[0:1], 0x298
	s_load_dwordx4 s[68:71], s[0:1], 0xd8
	s_add_u32 s10, s0, 0x298
	s_addc_u32 s11, s1, 0
	s_waitcnt lgkmcnt(0)
	s_mul_i32 s4, s13, s4
	s_add_i32 s3, s4, s3
	s_mul_i32 s3, s3, s12
	s_add_i32 s24, s3, s2
	s_cmp_ge_i32 s24, s70
	s_cbranch_scc1 .LBB26_238
; %bb.1:
	s_load_dwordx2 s[8:9], s[0:1], 0xc
	s_load_dwordx2 s[26:27], s[0:1], 0xf4
	s_abs_i32 s5, s24
	s_ashr_i32 s4, s24, 31
	s_load_dwordx4 s[28:31], s[0:1], 0x154
	s_waitcnt lgkmcnt(0)
	s_abs_i32 s3, s9
	v_cvt_f32_u32_e32 v1, s3
	s_sub_i32 s7, 0, s3
	s_ashr_i32 s6, s9, 31
	s_xor_b32 s6, s4, s6
	v_rcp_iflag_f32_e32 v1, v1
                                        ; implicit-def: $vgpr60 : SGPR spill to VGPR lane
                                        ; kill: killed $sgpr0 killed $sgpr1
	v_writelane_b32 v60, s28, 0
	v_mul_f32_e32 v1, 0x4f7ffffe, v1
	v_cvt_u32_f32_e32 v1, v1
	v_writelane_b32 v60, s29, 1
	v_writelane_b32 v60, s30, 2
	;; [unrolled: 1-line block ×3, first 2 shown]
	v_readfirstlane_b32 s13, v1
	s_mul_i32 s7, s7, s13
	s_mul_hi_u32 s7, s13, s7
	s_add_i32 s13, s13, s7
	s_mul_hi_u32 s7, s5, s13
	s_mul_i32 s13, s7, s3
	s_sub_i32 s13, s5, s13
	s_add_i32 s14, s7, 1
	s_sub_i32 s15, s13, s3
	s_cmp_ge_u32 s13, s3
	s_cselect_b32 s7, s14, s7
	s_cselect_b32 s13, s15, s13
	s_add_i32 s14, s7, 1
	s_cmp_ge_u32 s13, s3
	s_cselect_b32 s7, s14, s7
	s_abs_i32 s3, s8
	v_cvt_f32_u32_e32 v1, s3
	s_abs_i32 s15, s27
	v_cvt_f32_u32_e32 v2, s15
	s_xor_b32 s7, s7, s6
	v_rcp_iflag_f32_e32 v1, v1
	s_sub_i32 s16, 0, s3
	v_rcp_iflag_f32_e32 v2, v2
	s_sub_i32 s18, s7, s6
	v_mul_f32_e32 v1, 0x4f7ffffe, v1
	v_cvt_u32_f32_e32 v1, v1
	v_mul_f32_e32 v2, 0x4f7ffffe, v2
	v_cvt_u32_f32_e32 v2, v2
	s_ashr_i32 s14, s27, 31
	v_readfirstlane_b32 s6, v1
	s_mul_i32 s16, s16, s6
	s_mul_hi_u32 s7, s6, s16
	s_add_i32 s16, s6, s7
	s_sub_i32 s6, 0, s15
	v_readfirstlane_b32 s7, v2
	s_mul_i32 s6, s6, s7
	s_mul_hi_u32 s6, s7, s6
	s_add_i32 s7, s7, s6
	s_mul_hi_u32 s6, s5, s7
	s_mul_i32 s7, s6, s15
	s_sub_i32 s7, s5, s7
	s_ashr_i32 s13, s8, 31
	s_xor_b32 s17, s4, s14
	s_ashr_i32 s19, s18, 31
	s_abs_i32 s20, s18
	s_add_i32 s14, s6, 1
	s_sub_i32 s21, s7, s15
	s_cmp_ge_u32 s7, s15
	s_cselect_b32 s6, s14, s6
	s_cselect_b32 s7, s21, s7
	s_add_i32 s14, s6, 1
	s_cmp_ge_u32 s7, s15
	s_cselect_b32 s6, s14, s6
	s_load_dwordx2 s[14:15], s[0:1], 0x0
	s_load_dwordx4 s[28:31], s[0:1], 0x22c
	s_abs_i32 s7, s26
	v_cvt_f32_u32_e32 v1, s7
	s_xor_b32 s6, s6, s17
	s_sub_i32 s25, s6, s17
	s_waitcnt lgkmcnt(0)
	v_writelane_b32 v60, s28, 4
	v_rcp_iflag_f32_e32 v1, v1
	s_nop 0
	v_writelane_b32 v60, s29, 5
	v_writelane_b32 v60, s30, 6
	;; [unrolled: 1-line block ×3, first 2 shown]
	s_load_dwordx2 s[28:29], s[0:1], 0x1cc
	s_load_dwordx2 s[22:23], s[0:1], 0x1c0
	v_mul_f32_e32 v1, 0x4f7ffffe, v1
	v_cvt_u32_f32_e32 v1, v1
	s_waitcnt lgkmcnt(0)
	s_abs_i32 s6, s29
	v_cvt_f32_u32_e32 v2, s6
	v_readfirstlane_b32 s17, v1
	v_writelane_b32 v60, s22, 8
	v_rcp_iflag_f32_e32 v1, v2
	s_nop 0
	v_writelane_b32 v60, s23, 9
	v_writelane_b32 v60, s7, 10
	s_sub_i32 s7, 0, s7
	v_mul_f32_e32 v1, 0x4f7ffffe, v1
	v_cvt_u32_f32_e32 v1, v1
	s_mul_i32 s7, s7, s17
	s_mul_hi_u32 s7, s17, s7
	s_add_i32 s17, s17, s7
	s_ashr_i32 s7, s29, 31
	s_xor_b32 s21, s4, s7
	s_sub_i32 s4, 0, s6
	v_readfirstlane_b32 s7, v1
	s_mul_i32 s4, s4, s7
	s_mul_hi_u32 s4, s7, s4
	s_add_i32 s7, s7, s4
	s_mul_hi_u32 s4, s5, s7
	s_mul_i32 s7, s4, s6
	s_sub_i32 s5, s5, s7
	s_abs_i32 s23, s25
	s_add_i32 s7, s4, 1
	s_sub_i32 s22, s5, s6
	s_cmp_ge_u32 s5, s6
	s_cselect_b32 s4, s7, s4
	s_cselect_b32 s5, s22, s5
	s_add_i32 s7, s4, 1
	s_cmp_ge_u32 s5, s6
	s_cselect_b32 s22, s7, s4
	s_abs_i32 s30, s28
	v_cvt_f32_u32_e32 v1, s30
	s_load_dwordx2 s[4:5], s[0:1], 0xe8
	v_rcp_iflag_f32_e32 v1, v1
	s_waitcnt lgkmcnt(0)
	v_writelane_b32 v60, s4, 11
	v_mul_f32_e32 v1, 0x4f7ffffe, v1
	v_cvt_u32_f32_e32 v1, v1
	v_writelane_b32 v60, s5, 12
	s_load_dwordx4 s[4:7], s[0:1], 0x6c
	v_writelane_b32 v60, s23, 13
	s_mul_hi_u32 s0, s23, s17
	v_writelane_b32 v60, s0, 14
	s_xor_b32 s0, s22, s21
	s_sub_i32 s21, s0, s21
	s_sub_i32 s0, 0, s30
	v_readfirstlane_b32 s1, v1
	s_mul_i32 s0, s0, s1
	s_mul_hi_u32 s0, s1, s0
	s_waitcnt lgkmcnt(0)
	s_mul_hi_u32 s7, s20, s16
	s_abs_i32 s16, s21
	v_writelane_b32 v60, s30, 15
	s_add_i32 s1, s1, s0
	v_writelane_b32 v60, s16, 16
	s_mul_hi_u32 s0, s16, s1
	v_writelane_b32 v60, s0, 17
	v_cmp_eq_u32_e64 s[0:1], 0, v0
	s_and_saveexec_b64 s[16:17], s[0:1]
; %bb.2:
	v_mov_b32_e32 v2, 0
	v_mov_b32_e32 v3, s68
	;; [unrolled: 1-line block ×3, first 2 shown]
	ds_write_b96 v2, v[2:4] offset:4096
; %bb.3:
	s_or_b64 exec, exec, s[16:17]
	v_writelane_b32 v60, s25, 18
	s_ashr_i32 s16, s25, 31
	v_writelane_b32 v60, s16, 19
	v_writelane_b32 v60, s26, 20
	s_ashr_i32 s16, s26, 31
	s_mul_i32 s9, s18, s9
	v_writelane_b32 v60, s27, 21
	v_writelane_b32 v60, s16, 22
	;; [unrolled: 1-line block ×3, first 2 shown]
	s_ashr_i32 s16, s21, 31
	v_writelane_b32 v60, s16, 24
	s_sub_i32 s9, s24, s9
	v_writelane_b32 v60, s28, 25
	s_mul_i32 s9, s9, s6
	s_xor_b32 s6, s19, s13
	s_mul_i32 s13, s7, s3
	v_writelane_b32 v60, s29, 26
	s_ashr_i32 s16, s28, 31
	s_sub_i32 s13, s20, s13
	v_writelane_b32 v60, s16, 27
	s_add_i32 s16, s7, 1
	s_sub_i32 s17, s13, s3
	s_cmp_ge_u32 s13, s3
	s_cselect_b32 s7, s16, s7
	s_cselect_b32 s13, s17, s13
	s_add_i32 s16, s7, 1
	s_cmp_ge_u32 s13, s3
	s_cselect_b32 s3, s16, s7
	s_xor_b32 s3, s3, s6
	s_sub_i32 s3, s3, s6
	s_mul_i32 s6, s3, s8
	s_sub_i32 s6, s18, s6
	s_mul_i32 s5, s6, s5
	s_add_i32 s5, s5, s9
	s_mul_i32 s3, s3, s4
	s_add_i32 s4, s5, s3
	s_waitcnt lgkmcnt(0)
	s_barrier
	s_load_dword s3, s[10:11], 0xc
	s_ashr_i32 s5, s4, 31
	s_lshl_b64 s[4:5], s[4:5], 3
	s_add_u32 s80, s14, s4
	v_mbcnt_lo_u32_b32 v1, -1, 0
	s_addc_u32 s81, s15, s5
	s_waitcnt lgkmcnt(0)
	s_and_b32 s70, s3, 0xffff
	v_mbcnt_hi_u32_b32 v34, -1, v1
	v_cmp_gt_u32_e32 vcc, 64, v0
	v_cmp_gt_i32_e64 s[4:5], 4, v34
	s_add_i32 s6, s70, -1
	s_lshl_b32 s99, s70, 2
	s_and_b64 s[84:85], vcc, s[4:5]
	s_add_i32 s91, s6, s68
	s_cmpk_gt_i32 s68, 0x180
	v_writelane_b32 v60, s24, 28
	s_cselect_b64 s[86:87], -1, 0
	s_cmp_gt_u32 s70, 63
	v_writelane_b32 v60, s6, 29
	v_cmp_gt_i32_e64 s[8:9], s68, v0
	s_cselect_b64 s[88:89], -1, 0
	s_cmp_lt_u32 s2, s12
	v_writelane_b32 v60, s8, 30
	s_cselect_b32 s2, 12, 18
	v_lshlrev_b64 v[2:3], v34, -1
	v_writelane_b32 v60, s9, 31
	s_add_u32 s8, s10, s2
	s_addc_u32 s9, s11, 0
	v_writelane_b32 v60, s8, 32
	v_not_b32_e32 v22, v2
	v_lshrrev_b32_e32 v2, 2, v0
	v_writelane_b32 v60, s9, 33
	s_bfe_u32 s8, s3, 0xa0006
	s_add_i32 s2, s8, -2
	s_lshr_b32 s3, s2, 1
	s_add_i32 s3, s3, 1
	s_cmpk_gt_u32 s70, 0x7f
	v_and_b32_e32 v2, 0xf0, v2
	s_cselect_b64 s[10:11], -1, 0
	v_or_b32_e32 v37, 0xc00, v2
	v_writelane_b32 v60, s10, 34
	v_cvt_f32_u32_e32 v2, s99
	s_and_b32 s9, s8, 0x3fe
	v_writelane_b32 v60, s11, 35
	s_and_b32 s10, s3, 7
	s_cmp_gt_u32 s2, 13
	s_cselect_b64 s[12:13], -1, 0
	v_writelane_b32 v60, s12, 36
	v_rcp_iflag_f32_e32 v2, v2
	s_and_b32 s2, s3, -8
	v_writelane_b32 v60, s13, 37
	v_writelane_b32 v60, s2, 38
	s_cmp_lg_u32 s10, 0
	v_writelane_b32 v60, s10, 39
	s_cselect_b64 s[2:3], -1, 0
	v_writelane_b32 v60, s2, 40
	v_mul_f32_e32 v2, 0x4f7ffffe, v2
	v_cvt_u32_f32_e32 v2, v2
	v_writelane_b32 v60, s3, 41
	v_writelane_b32 v60, s8, 42
	s_cmp_lg_u32 s9, s8
	v_writelane_b32 v60, s9, 43
	s_cselect_b64 s[2:3], -1, 0
	v_writelane_b32 v60, s2, 44
	v_not_b32_e32 v1, v3
	v_cvt_f32_u32_e32 v3, s70
	v_writelane_b32 v60, s3, 45
	s_sub_i32 s2, 0, s99
	v_readfirstlane_b32 s3, v2
	s_mul_i32 s2, s2, s3
	s_mul_hi_u32 s2, s3, s2
	s_add_i32 s8, s3, s2
	s_mul_hi_u32 s2, s68, s8
	s_mul_i32 s2, s2, s99
	s_sub_i32 s2, s68, s2
	s_sub_i32 s3, s2, s99
	s_cmp_ge_u32 s2, s99
	s_cselect_b32 s2, s3, s2
	s_sub_i32 s3, s2, s99
	s_cmp_ge_u32 s2, s99
	s_cselect_b32 s2, s3, s2
	s_sub_i32 s9, s68, s2
	v_rcp_iflag_f32_e32 v5, v3
	v_add_u32_e32 v38, s9, v0
	v_mul_lo_u32 v2, v38, s71
	v_ashrrev_i32_e32 v3, 31, v2
	v_lshl_add_u64 v[24:25], v[2:3], 3, s[80:81]
	v_mul_f32_e32 v2, 0x4f7ffffe, v5
	v_cvt_u32_f32_e32 v2, v2
	s_sub_i32 s17, 0, s70
	s_abs_i32 s16, s91
	s_ashr_i32 s3, s91, 31
	v_readfirstlane_b32 s20, v2
	s_mul_i32 s17, s17, s20
	s_mul_hi_u32 s17, s20, s17
	s_add_i32 s17, s20, s17
	v_writelane_b32 v60, s17, 46
	s_mul_hi_u32 s17, s16, s17
	s_mul_i32 s17, s17, s70
	s_sub_i32 s16, s16, s17
	s_sub_i32 s17, s16, s70
	s_cmp_ge_u32 s16, s70
	s_cselect_b32 s16, s17, s16
	s_sub_i32 s17, s16, s70
	s_cmp_ge_u32 s16, s70
	v_lshlrev_b32_e32 v23, 2, v0
	s_cselect_b32 s16, s17, s16
	s_xor_b32 s16, s16, s3
	v_mul_lo_u32 v2, s71, v23
	s_sub_i32 s3, s3, s16
	v_add_u32_e32 v39, s71, v2
	v_or_b32_e32 v2, 2, v23
	s_add_i32 s91, s91, s3
	v_mul_lo_u32 v40, s71, v2
	v_or_b32_e32 v2, 3, v23
	s_add_i32 s3, s70, s68
	v_mov_b32_e32 v19, 0
	v_cmp_gt_i32_e64 s[16:17], s91, v0
	v_mul_lo_u32 v41, s71, v2
	v_add_u32_e32 v2, s3, v0
	v_lshlrev_b32_e32 v35, 3, v0
	v_mul_lo_u32 v16, s71, v0
	v_mov_b32_e32 v17, v19
	v_lshlrev_b32_e32 v4, 2, v34
	v_writelane_b32 v60, s16, 47
	s_mul_i32 s98, s71, s70
	v_subrev_u32_e32 v2, s2, v2
	s_mov_b32 s2, 0
	v_cmp_eq_u32_e64 s[18:19], 0, v34
	v_cmp_gt_u32_e64 s[4:5], 2, v0
	v_add_u32_e32 v36, 0xc00, v35
	v_cmp_gt_u32_e64 s[6:7], s68, v0
	v_lshl_add_u64 v[20:21], v[16:17], 3, s[80:81]
	v_and_b32_e32 v17, 0x100, v4
	v_cmp_gt_i32_e64 s[10:11], s9, v23
	v_cmp_gt_u32_e64 s[12:13], s68, v38
	v_cmp_gt_i32_e64 s[14:15], s68, v38
	v_writelane_b32 v60, s17, 48
	s_lshl_b32 s92, s98, 2
	v_lshlrev_b32_e32 v42, 2, v16
	v_mul_lo_u32 v43, s71, v2
	v_lshlrev_b32_e32 v44, 5, v0
	s_lshl_b32 s93, s70, 5
	s_lshl_b32 s16, s70, 3
	v_or_b32_e32 v45, 0xc00, v4
	s_mov_b32 s17, 62
	s_mov_b64 s[74:75], 0
	v_mov_b64_e32 v[6:7], 0
	v_mov_b32_e32 v47, s69
	v_mov_b64_e32 v[26:27], 0
	v_mov_b64_e32 v[28:29], 0
	v_mov_b32_e32 v49, s68
	v_mov_b32_e32 v2, 1
	;; [unrolled: 1-line block ×5, first 2 shown]
	s_mov_b32 s3, 1
	s_mov_b32 s69, s2
                                        ; implicit-def: $sgpr78_sgpr79
                                        ; implicit-def: $sgpr62_sgpr63
                                        ; implicit-def: $sgpr60_sgpr61
                                        ; implicit-def: $sgpr66_sgpr67
                                        ; implicit-def: $sgpr82_sgpr83
                                        ; implicit-def: $sgpr64_sgpr65
	s_branch .LBB26_7
.LBB26_4:                               ;   in Loop: Header=BB26_7 Depth=1
	s_or_b64 exec, exec, s[30:31]
	s_and_b64 s[24:25], s[24:25], exec
	s_andn2_b64 s[28:29], s[28:29], exec
	s_andn2_b64 s[26:27], s[26:27], exec
	s_orn2_b64 s[22:23], s[22:23], exec
.LBB26_5:                               ;   in Loop: Header=BB26_7 Depth=1
	s_or_b64 exec, exec, s[2:3]
	s_andn2_b64 s[2:3], s[64:65], exec
	s_and_b64 s[24:25], s[24:25], exec
	s_or_b64 s[64:65], s[2:3], s[24:25]
	s_andn2_b64 s[2:3], s[82:83], exec
	s_and_b64 s[24:25], s[28:29], exec
	s_or_b64 s[82:83], s[2:3], s[24:25]
	s_andn2_b64 s[2:3], s[66:67], exec
	s_and_b64 s[24:25], s[26:27], exec
	s_or_b64 s[66:67], s[2:3], s[24:25]
	s_orn2_b64 s[22:23], s[22:23], exec
.LBB26_6:                               ;   in Loop: Header=BB26_7 Depth=1
	s_or_b64 exec, exec, s[20:21]
	s_and_b64 s[2:3], exec, s[22:23]
	s_or_b64 s[74:75], s[2:3], s[74:75]
	s_andn2_b64 s[2:3], s[60:61], exec
	s_and_b64 s[20:21], s[64:65], exec
	s_or_b64 s[60:61], s[2:3], s[20:21]
	s_andn2_b64 s[2:3], s[62:63], exec
	s_and_b64 s[20:21], s[82:83], exec
	s_or_b64 s[62:63], s[2:3], s[20:21]
	s_andn2_b64 s[2:3], s[78:79], exec
	s_and_b64 s[20:21], s[66:67], exec
	s_or_b64 s[78:79], s[2:3], s[20:21]
	s_mov_b32 s69, s37
	s_mov_b32 s17, s36
	v_mov_b32_e32 v47, v11
	s_andn2_b64 exec, exec, s[74:75]
	s_cbranch_execz .LBB26_234
.LBB26_7:                               ; =>This Loop Header: Depth=1
                                        ;     Child Loop BB26_13 Depth 2
                                        ;     Child Loop BB26_28 Depth 2
	;; [unrolled: 1-line block ×17, first 2 shown]
	s_waitcnt vmcnt(0)
	ds_read_b64 v[4:5], v19 offset:4096
	s_waitcnt lgkmcnt(0)
	v_readfirstlane_b32 s33, v4
	s_cmp_gt_i32 s33, 0
	s_cbranch_scc1 .LBB26_35
; %bb.8:                                ;   in Loop: Header=BB26_7 Depth=1
	s_and_b64 vcc, exec, s[86:87]
	s_cbranch_vccz .LBB26_21
; %bb.9:                                ;   in Loop: Header=BB26_7 Depth=1
	s_movk_i32 s2, 0x181
	v_cmp_gt_i32_e32 vcc, s2, v5
	s_mov_b64 s[20:21], 0
	s_mov_b64 s[2:3], 0
	s_cbranch_vccz .LBB26_22
; %bb.10:                               ;   in Loop: Header=BB26_7 Depth=1
	s_and_saveexec_b64 s[22:23], s[6:7]
	s_cbranch_execz .LBB26_67
; %bb.11:                               ;   in Loop: Header=BB26_7 Depth=1
	v_readlane_b32 s2, v60, 32
	v_readlane_b32 s3, v60, 33
	s_nop 4
	global_load_ushort v3, v19, s[2:3]
	global_load_dwordx2 v[4:5], v[20:21], off
	s_mov_b64 s[24:25], 0
	v_mov_b32_e32 v11, v0
	s_waitcnt vmcnt(1)
	v_add_u32_e32 v8, v0, v3
	v_mul_lo_u32 v10, s71, v3
	v_mul_lo_u32 v18, s71, v8
	s_branch .LBB26_13
.LBB26_12:                              ;   in Loop: Header=BB26_13 Depth=2
	s_or_b64 exec, exec, s[2:3]
	v_cmp_le_i32_e32 vcc, s68, v11
	v_add_u32_e32 v18, v18, v10
	s_or_b64 s[24:25], vcc, s[24:25]
	v_mov_b64_e32 v[4:5], v[8:9]
	s_andn2_b64 exec, exec, s[24:25]
	s_cbranch_execz .LBB26_67
.LBB26_13:                              ;   Parent Loop BB26_7 Depth=1
                                        ; =>  This Inner Loop Header: Depth=2
	v_add_u32_e32 v11, v11, v3
	v_cmp_gt_u32_e32 vcc, s68, v11
	v_mov_b64_e32 v[8:9], 0
	s_and_saveexec_b64 s[2:3], vcc
	s_cbranch_execz .LBB26_15
; %bb.14:                               ;   in Loop: Header=BB26_13 Depth=2
	v_lshl_add_u64 v[8:9], v[18:19], 3, s[80:81]
	global_load_dwordx2 v[8:9], v[8:9], off
.LBB26_15:                              ;   in Loop: Header=BB26_13 Depth=2
	s_or_b64 exec, exec, s[2:3]
	s_waitcnt vmcnt(0) lgkmcnt(0)
	v_xor_b32_e32 v12, 0x80000000, v5
	v_and_b32_e32 v13, v12, v29
	v_and_b32_e32 v12, v4, v28
	v_cmp_eq_u64_e32 vcc, v[12:13], v[26:27]
	s_cmp_lg_u64 vcc, 0
	s_cselect_b64 s[2:3], -1, 0
	s_and_b64 s[2:3], s[18:19], s[2:3]
	v_mov_b32_e32 v12, 0
	s_and_saveexec_b64 s[26:27], s[2:3]
	s_cbranch_execz .LBB26_19
; %bb.16:                               ;   in Loop: Header=BB26_13 Depth=2
	s_mov_b64 s[30:31], exec
	v_mbcnt_lo_u32_b32 v12, s30, 0
	v_mbcnt_hi_u32_b32 v12, s31, v12
	s_bcnt1_i32_b64 s34, vcc
	v_cmp_eq_u32_e64 s[2:3], 0, v12
                                        ; implicit-def: $vgpr13
	s_and_saveexec_b64 s[28:29], s[2:3]
; %bb.17:                               ;   in Loop: Header=BB26_13 Depth=2
	s_bcnt1_i32_b64 s2, s[30:31]
	s_mul_i32 s2, s34, s2
	v_mov_b32_e32 v13, s2
	ds_add_rtn_u32 v13, v19, v13 offset:4104
; %bb.18:                               ;   in Loop: Header=BB26_13 Depth=2
	s_or_b64 exec, exec, s[28:29]
	s_waitcnt lgkmcnt(0)
	v_readfirstlane_b32 s2, v13
	s_nop 1
	v_mov_b32_e32 v13, s2
	v_mad_u32_u24 v12, s34, v12, v13
.LBB26_19:                              ;   in Loop: Header=BB26_13 Depth=2
	s_or_b64 exec, exec, s[26:27]
	ds_bpermute_b32 v12, v17, v12
	s_and_saveexec_b64 s[2:3], vcc
	s_cbranch_execz .LBB26_12
; %bb.20:                               ;   in Loop: Header=BB26_13 Depth=2
	v_and_b32_e32 v14, vcc_lo, v22
	v_and_b32_e32 v13, vcc_hi, v1
	v_bcnt_u32_b32 v14, v14, 0
	v_bcnt_u32_b32 v13, v13, v14
	v_lshlrev_b32_e32 v13, 3, v13
	s_waitcnt lgkmcnt(0)
	v_lshl_add_u32 v12, v12, 3, v13
	ds_write_b64 v12, v[4:5]
	s_branch .LBB26_12
.LBB26_21:                              ;   in Loop: Header=BB26_7 Depth=1
	s_mov_b64 s[20:21], -1
	s_mov_b64 s[2:3], 0
.LBB26_22:                              ;   in Loop: Header=BB26_7 Depth=1
	s_and_b64 vcc, exec, s[20:21]
	s_cbranch_vccz .LBB26_33
.LBB26_23:                              ;   in Loop: Header=BB26_7 Depth=1
	v_mov_b64_e32 v[4:5], 0
	s_and_saveexec_b64 s[2:3], s[6:7]
	s_cbranch_execz .LBB26_25
; %bb.24:                               ;   in Loop: Header=BB26_7 Depth=1
	global_load_dwordx2 v[4:5], v[20:21], off
.LBB26_25:                              ;   in Loop: Header=BB26_7 Depth=1
	s_or_b64 exec, exec, s[2:3]
	s_mov_b64 s[2:3], exec
	v_readlane_b32 s20, v60, 30
	v_readlane_b32 s21, v60, 31
	s_and_b64 s[20:21], s[2:3], s[20:21]
	s_mov_b64 exec, s[20:21]
	s_cbranch_execz .LBB26_30
; %bb.26:                               ;   in Loop: Header=BB26_7 Depth=1
	v_readlane_b32 s20, v60, 32
	v_readlane_b32 s21, v60, 33
	v_mov_b32_e32 v10, v35
	v_mov_b32_e32 v13, v0
	s_nop 2
	global_load_ushort v3, v19, s[20:21]
	s_mov_b64 s[20:21], 0
	s_waitcnt vmcnt(0)
	v_add_u32_e32 v8, v0, v3
	v_lshlrev_b32_e32 v11, 3, v3
	v_mul_lo_u32 v12, s71, v3
	v_mul_lo_u32 v18, s71, v8
	s_branch .LBB26_28
.LBB26_27:                              ;   in Loop: Header=BB26_28 Depth=2
	s_or_b64 exec, exec, s[22:23]
	v_cmp_le_i32_e32 vcc, s68, v13
	ds_write_b64 v10, v[4:5]
	v_add_u32_e32 v10, v10, v11
	v_add_u32_e32 v18, v18, v12
	s_or_b64 s[20:21], vcc, s[20:21]
	s_waitcnt vmcnt(0)
	v_mov_b64_e32 v[4:5], v[8:9]
	s_andn2_b64 exec, exec, s[20:21]
	s_cbranch_execz .LBB26_30
.LBB26_28:                              ;   Parent Loop BB26_7 Depth=1
                                        ; =>  This Inner Loop Header: Depth=2
	v_add_u32_e32 v13, v13, v3
	v_cmp_gt_u32_e32 vcc, s68, v13
	v_mov_b64_e32 v[8:9], 0
	s_and_saveexec_b64 s[22:23], vcc
	s_cbranch_execz .LBB26_27
; %bb.29:                               ;   in Loop: Header=BB26_28 Depth=2
	v_lshl_add_u64 v[8:9], v[18:19], 3, s[80:81]
	global_load_dwordx2 v[8:9], v[8:9], off
	s_branch .LBB26_27
.LBB26_30:                              ;   in Loop: Header=BB26_7 Depth=1
	s_or_b64 exec, exec, s[2:3]
	s_waitcnt lgkmcnt(0)
	s_barrier
	s_and_saveexec_b64 s[2:3], s[0:1]
; %bb.31:                               ;   in Loop: Header=BB26_7 Depth=1
	ds_write_b32 v19, v49 offset:4096
; %bb.32:                               ;   in Loop: Header=BB26_7 Depth=1
	s_or_b64 exec, exec, s[2:3]
	s_mov_b64 s[2:3], -1
	s_waitcnt lgkmcnt(0)
	s_barrier
.LBB26_33:                              ;   in Loop: Header=BB26_7 Depth=1
	s_and_b64 vcc, exec, s[2:3]
	s_cbranch_vccz .LBB26_35
; %bb.34:                               ;   in Loop: Header=BB26_7 Depth=1
	ds_read_b32 v3, v19 offset:4096
	s_waitcnt lgkmcnt(0)
	v_readfirstlane_b32 s33, v3
.LBB26_35:                              ;   in Loop: Header=BB26_7 Depth=1
	s_cmp_lt_i32 s33, 1
	s_mov_b64 s[2:3], -1
                                        ; implicit-def: $vgpr10_vgpr11
	s_cbranch_scc1 .LBB26_45
; %bb.36:                               ;   in Loop: Header=BB26_7 Depth=1
	s_and_b64 vcc, exec, s[2:3]
	s_cbranch_vccnz .LBB26_58
.LBB26_37:                              ;   in Loop: Header=BB26_7 Depth=1
	s_lshl_b32 s22, s69, 6
	s_and_saveexec_b64 s[2:3], s[18:19]
.LBB26_38:                              ;   in Loop: Header=BB26_7 Depth=1
	v_lshl_add_u32 v3, s22, 2, v37
	ds_write_b128 v3, v[8:11]
.LBB26_39:                              ;   in Loop: Header=BB26_7 Depth=1
	s_or_b64 exec, exec, s[2:3]
	s_waitcnt lgkmcnt(0)
	s_barrier
	s_and_saveexec_b64 s[2:3], s[84:85]
	s_cbranch_execz .LBB26_78
; %bb.40:                               ;   in Loop: Header=BB26_7 Depth=1
	v_add_u32_e32 v3, s22, v34
	s_andn2_b64 vcc, exec, s[88:89]
	s_waitcnt vmcnt(0)
	v_mov_b32_e32 v4, 0
	s_cbranch_vccnz .LBB26_77
; %bb.41:                               ;   in Loop: Header=BB26_7 Depth=1
	v_readlane_b32 s20, v60, 34
	v_readlane_b32 s21, v60, 35
	s_andn2_b64 vcc, exec, s[20:21]
	s_cbranch_vccnz .LBB26_70
; %bb.42:                               ;   in Loop: Header=BB26_7 Depth=1
	v_readlane_b32 s20, v60, 36
	v_readlane_b32 s21, v60, 37
	s_andn2_b64 vcc, exec, s[20:21]
	v_lshl_add_u32 v8, v3, 2, v46
	s_cbranch_vccnz .LBB26_71
; %bb.43:                               ;   in Loop: Header=BB26_7 Depth=1
	s_mov_b32 s21, 1
	s_mov_b32 s20, 0
	v_mov_b32_e32 v4, 0
	v_mov_b32_e32 v5, 0
	v_readlane_b32 s23, v60, 38
.LBB26_44:                              ;   Parent Loop BB26_7 Depth=1
                                        ; =>  This Inner Loop Header: Depth=2
	v_lshl_add_u32 v9, s20, 4, v8
	v_lshl_add_u32 v18, s21, 4, v8
	ds_read2_b32 v[10:11], v9 offset1:8
	ds_read2_b32 v[12:13], v18 offset1:8
	ds_read2_b32 v[14:15], v9 offset0:16 offset1:24
	ds_read2_b32 v[30:31], v18 offset0:16 offset1:24
	;; [unrolled: 1-line block ×6, first 2 shown]
	s_waitcnt lgkmcnt(7)
	v_add3_u32 v4, v10, v4, v11
	s_waitcnt lgkmcnt(6)
	v_add3_u32 v5, v12, v5, v13
	;; [unrolled: 2-line block ×3, first 2 shown]
	v_add3_u32 v4, v14, v4, v15
	s_add_i32 s21, s21, 16
	s_add_i32 s20, s20, 16
	s_add_i32 s23, s23, -8
	s_waitcnt lgkmcnt(3)
	v_add3_u32 v4, v32, v4, v33
	s_waitcnt lgkmcnt(2)
	v_add3_u32 v5, v52, v5, v53
	s_cmp_lg_u32 s23, 0
	s_waitcnt lgkmcnt(0)
	v_add3_u32 v5, v56, v5, v57
	v_add3_u32 v4, v54, v4, v55
	s_cbranch_scc1 .LBB26_44
	s_branch .LBB26_72
.LBB26_45:                              ;   in Loop: Header=BB26_7 Depth=1
	v_mov_b32_e32 v18, v19
	v_mov_b64_e32 v[10:11], v[18:19]
	v_mov_b64_e32 v[8:9], v[18:19]
	s_and_saveexec_b64 s[72:73], s[10:11]
	s_cbranch_execnz .LBB26_48
; %bb.46:                               ;   in Loop: Header=BB26_7 Depth=1
	s_or_b64 exec, exec, s[72:73]
	v_mov_b64_e32 v[12:13], 0
	s_and_saveexec_b64 s[2:3], s[12:13]
	s_cbranch_execnz .LBB26_51
.LBB26_47:                              ;   in Loop: Header=BB26_7 Depth=1
	s_or_b64 exec, exec, s[2:3]
	s_and_saveexec_b64 s[20:21], s[14:15]
	s_cbranch_execnz .LBB26_52
	s_branch .LBB26_57
.LBB26_48:                              ;   in Loop: Header=BB26_7 Depth=1
	s_mov_b32 s90, 0
	s_mov_b64 s[76:77], 0
	v_mov_b32_e32 v3, v23
	s_mov_b32 s94, 0
	s_mov_b32 s95, s90
	;; [unrolled: 1-line block ×4, first 2 shown]
.LBB26_49:                              ;   Parent Loop BB26_7 Depth=1
                                        ; =>  This Inner Loop Header: Depth=2
	s_waitcnt vmcnt(0)
	v_add_u32_e32 v4, s90, v42
	v_add_u32_e32 v8, s90, v39
	;; [unrolled: 1-line block ×4, first 2 shown]
	v_ashrrev_i32_e32 v5, 31, v4
	v_ashrrev_i32_e32 v9, 31, v8
	;; [unrolled: 1-line block ×4, first 2 shown]
	v_lshl_add_u64 v[4:5], v[4:5], 3, s[80:81]
	v_lshl_add_u64 v[8:9], v[8:9], 3, s[80:81]
	;; [unrolled: 1-line block ×4, first 2 shown]
	global_load_dwordx2 v[4:5], v[4:5], off
	s_nop 0
	global_load_dwordx2 v[8:9], v[8:9], off
	s_nop 0
	;; [unrolled: 2-line block ×3, first 2 shown]
	global_load_dwordx2 v[12:13], v[12:13], off
	v_mov_b32_e32 v15, v19
	v_mov_b32_e32 v31, v19
	;; [unrolled: 1-line block ×3, first 2 shown]
	v_add_u32_e32 v3, s99, v3
	s_add_i32 s90, s90, s92
	v_cmp_le_i32_e32 vcc, s9, v3
	s_waitcnt vmcnt(3)
	v_xor_b32_e32 v5, 0x80000000, v5
	s_waitcnt vmcnt(2)
	v_xor_b32_e32 v9, 0x80000000, v9
	v_and_b32_e32 v52, v4, v28
	v_and_b32_e32 v53, v5, v29
	v_lshrrev_b64 v[4:5], s17, v[4:5]
	s_waitcnt vmcnt(1)
	v_xor_b32_e32 v11, 0x80000000, v11
	v_and_b32_e32 v54, v8, v28
	v_and_b32_e32 v55, v9, v29
	v_lshrrev_b64 v[8:9], s17, v[8:9]
	v_and_b32_e32 v18, 3, v4
	s_waitcnt vmcnt(0)
	v_xor_b32_e32 v13, 0x80000000, v13
	v_and_b32_e32 v56, v10, v28
	v_and_b32_e32 v57, v11, v29
	v_lshrrev_b64 v[10:11], s17, v[10:11]
	v_cmp_eq_u64_e64 s[2:3], v[52:53], v[26:27]
	v_and_b32_e32 v14, 3, v8
	v_cmp_eq_u64_e64 s[26:27], 0, v[18:19]
	v_and_b32_e32 v58, v12, v28
	v_and_b32_e32 v59, v13, v29
	v_lshrrev_b64 v[12:13], s17, v[12:13]
	v_cmp_eq_u64_e64 s[20:21], v[54:55], v[26:27]
	v_and_b32_e32 v30, 3, v10
	v_cmp_eq_u64_e64 s[28:29], 0, v[14:15]
	s_and_b64 s[26:27], s[2:3], s[26:27]
	v_cmp_eq_u64_e64 s[22:23], v[56:57], v[26:27]
	v_and_b32_e32 v32, 3, v12
	v_cmp_eq_u64_e64 s[30:31], 0, v[30:31]
	v_cndmask_b32_e64 v4, 0, 1, s[26:27]
	s_and_b64 s[26:27], s[20:21], s[28:29]
	v_cmp_eq_u64_e64 s[24:25], v[58:59], v[26:27]
	v_cmp_eq_u64_e64 s[34:35], 0, v[32:33]
	v_cndmask_b32_e64 v5, 0, 1, s[26:27]
	s_and_b64 s[26:27], s[22:23], s[30:31]
	v_cmp_eq_u64_e64 s[36:37], 1, v[18:19]
	v_cndmask_b32_e64 v8, 0, 1, s[26:27]
	s_and_b64 s[26:27], s[24:25], s[34:35]
	v_cmp_eq_u64_e64 s[38:39], 1, v[14:15]
	v_cndmask_b32_e64 v9, 0, 1, s[26:27]
	s_and_b64 s[26:27], s[2:3], s[36:37]
	v_cmp_eq_u64_e64 s[40:41], 1, v[30:31]
	v_cndmask_b32_e64 v10, 0, 1, s[26:27]
	s_and_b64 s[26:27], s[20:21], s[38:39]
	v_cmp_eq_u64_e64 s[42:43], 1, v[32:33]
	v_cndmask_b32_e64 v11, 0, 1, s[26:27]
	s_and_b64 s[26:27], s[22:23], s[40:41]
	v_cmp_eq_u64_e64 s[44:45], 2, v[18:19]
	v_cmp_eq_u64_e64 s[52:53], 3, v[18:19]
	v_cndmask_b32_e64 v12, 0, 1, s[26:27]
	s_and_b64 s[26:27], s[24:25], s[42:43]
	v_cmp_eq_u64_e64 s[46:47], 2, v[14:15]
	v_cmp_eq_u64_e64 s[54:55], 3, v[14:15]
	v_cndmask_b32_e64 v13, 0, 1, s[26:27]
	s_and_b64 s[26:27], s[2:3], s[44:45]
	s_and_b64 s[2:3], s[2:3], s[52:53]
	v_cmp_eq_u64_e64 s[48:49], 2, v[30:31]
	v_cmp_eq_u64_e64 s[56:57], 3, v[30:31]
	v_cndmask_b32_e64 v14, 0, 1, s[26:27]
	s_and_b64 s[26:27], s[20:21], s[46:47]
	v_cndmask_b32_e64 v31, 0, 1, s[2:3]
	s_and_b64 s[2:3], s[20:21], s[54:55]
	v_cmp_eq_u64_e64 s[50:51], 2, v[32:33]
	v_cmp_eq_u64_e64 s[58:59], 3, v[32:33]
	v_cndmask_b32_e64 v15, 0, 1, s[26:27]
	s_and_b64 s[26:27], s[22:23], s[48:49]
	v_cndmask_b32_e64 v32, 0, 1, s[2:3]
	s_and_b64 s[2:3], s[22:23], s[56:57]
	v_cndmask_b32_e64 v18, 0, 1, s[26:27]
	s_and_b64 s[26:27], s[24:25], s[50:51]
	v_cndmask_b32_e64 v33, 0, 1, s[2:3]
	s_and_b64 s[2:3], s[24:25], s[58:59]
	v_cndmask_b32_e64 v30, 0, 1, s[26:27]
	v_cndmask_b32_e64 v48, 0, 1, s[2:3]
	v_cmp_ne_u32_e64 s[2:3], 0, v4
	v_cmp_ne_u32_e64 s[20:21], 0, v5
	;; [unrolled: 1-line block ×11, first 2 shown]
	s_bcnt1_i32_b64 s2, s[2:3]
	s_bcnt1_i32_b64 s3, s[20:21]
	;; [unrolled: 1-line block ×8, first 2 shown]
	v_cmp_ne_u32_e64 s[34:35], 0, v13
	v_cmp_ne_u32_e64 s[40:41], 0, v18
	;; [unrolled: 1-line block ×3, first 2 shown]
	s_bcnt1_i32_b64 s23, s[28:29]
	s_bcnt1_i32_b64 s27, s[38:39]
	s_bcnt1_i32_b64 s31, s[46:47]
	s_add_i32 s2, s94, s2
	s_add_i32 s22, s95, s22
	;; [unrolled: 1-line block ×4, first 2 shown]
	v_cmp_ne_u32_e64 s[42:43], 0, v30
	v_cmp_ne_u32_e64 s[50:51], 0, v48
	s_bcnt1_i32_b64 s25, s[34:35]
	s_bcnt1_i32_b64 s28, s[40:41]
	;; [unrolled: 1-line block ×3, first 2 shown]
	s_add_i32 s22, s22, s23
	s_add_i32 s2, s2, s3
	;; [unrolled: 1-line block ×4, first 2 shown]
	s_bcnt1_i32_b64 s29, s[42:43]
	s_bcnt1_i32_b64 s35, s[50:51]
	s_add_i32 s2, s2, s20
	s_add_i32 s20, s22, s24
	;; [unrolled: 1-line block ×8, first 2 shown]
	s_or_b64 s[76:77], vcc, s[76:77]
	v_mov_b64_e32 v[8:9], s[94:95]
	v_mov_b64_e32 v[10:11], s[96:97]
	s_andn2_b64 exec, exec, s[76:77]
	s_cbranch_execnz .LBB26_49
; %bb.50:                               ;   in Loop: Header=BB26_7 Depth=1
	s_or_b64 exec, exec, s[76:77]
	s_or_b64 exec, exec, s[72:73]
	v_mov_b64_e32 v[12:13], 0
	s_and_saveexec_b64 s[2:3], s[12:13]
	s_cbranch_execz .LBB26_47
.LBB26_51:                              ;   in Loop: Header=BB26_7 Depth=1
	global_load_dwordx2 v[12:13], v[24:25], off
	s_or_b64 exec, exec, s[2:3]
	s_and_saveexec_b64 s[20:21], s[14:15]
	s_cbranch_execz .LBB26_57
.LBB26_52:                              ;   in Loop: Header=BB26_7 Depth=1
	s_mov_b64 s[22:23], 0
	s_waitcnt vmcnt(0)
	v_mov_b32_e32 v4, v43
	v_mov_b32_e32 v3, v38
	s_branch .LBB26_54
.LBB26_53:                              ;   in Loop: Header=BB26_54 Depth=2
	s_or_b64 exec, exec, s[2:3]
	v_xor_b32_e32 v13, 0x80000000, v13
	v_and_b32_e32 v31, v13, v29
	v_and_b32_e32 v30, v12, v28
	v_lshrrev_b64 v[12:13], s17, v[12:13]
	v_and_b32_e32 v18, 3, v12
	v_cmp_eq_u64_e32 vcc, v[30:31], v[26:27]
	v_cmp_eq_u64_e64 s[2:3], 0, v[18:19]
	s_and_b64 s[2:3], vcc, s[2:3]
	v_add_u32_e32 v4, s98, v4
	v_cndmask_b32_e64 v5, 0, 1, s[2:3]
	v_cmp_ne_u32_e64 s[2:3], 0, v5
	s_bcnt1_i32_b64 s24, s[2:3]
	v_cmp_eq_u64_e64 s[2:3], 1, v[18:19]
	s_and_b64 s[2:3], vcc, s[2:3]
	v_add_u32_e32 v8, s24, v8
	v_cndmask_b32_e64 v5, 0, 1, s[2:3]
	v_cmp_ne_u32_e64 s[2:3], 0, v5
	s_bcnt1_i32_b64 s2, s[2:3]
	s_waitcnt vmcnt(0)
	v_mov_b64_e32 v[12:13], v[14:15]
	v_add_u32_e32 v9, s2, v9
	v_cmp_eq_u64_e64 s[2:3], 2, v[18:19]
	s_and_b64 s[2:3], vcc, s[2:3]
	s_nop 0
	v_cndmask_b32_e64 v5, 0, 1, s[2:3]
	v_cmp_ne_u32_e64 s[2:3], 0, v5
	s_bcnt1_i32_b64 s24, s[2:3]
	v_cmp_eq_u64_e64 s[2:3], 3, v[18:19]
	s_and_b64 s[2:3], vcc, s[2:3]
	v_add_u32_e32 v10, s24, v10
	v_cndmask_b32_e64 v5, 0, 1, s[2:3]
	v_cmp_ne_u32_e32 vcc, 0, v5
	s_bcnt1_i32_b64 s2, vcc
	v_cmp_le_i32_e32 vcc, s68, v3
	v_add_u32_e32 v11, s2, v11
	s_or_b64 s[22:23], vcc, s[22:23]
	s_andn2_b64 exec, exec, s[22:23]
	s_cbranch_execz .LBB26_56
.LBB26_54:                              ;   Parent Loop BB26_7 Depth=1
                                        ; =>  This Inner Loop Header: Depth=2
	v_add_u32_e32 v3, s70, v3
	v_cmp_gt_u32_e32 vcc, s68, v3
	v_mov_b64_e32 v[14:15], 0
	s_and_saveexec_b64 s[2:3], vcc
	s_cbranch_execz .LBB26_53
; %bb.55:                               ;   in Loop: Header=BB26_54 Depth=2
	v_ashrrev_i32_e32 v5, 31, v4
	v_lshl_add_u64 v[14:15], v[4:5], 3, s[80:81]
	global_load_dwordx2 v[14:15], v[14:15], off
	s_branch .LBB26_53
.LBB26_56:                              ;   in Loop: Header=BB26_7 Depth=1
	s_or_b64 exec, exec, s[22:23]
.LBB26_57:                              ;   in Loop: Header=BB26_7 Depth=1
	s_or_b64 exec, exec, s[20:21]
	s_branch .LBB26_37
.LBB26_58:                              ;   in Loop: Header=BB26_7 Depth=1
	s_mul_hi_u32 s2, s33, s8
	s_mul_i32 s2, s2, s99
	s_sub_i32 s2, s33, s2
	s_sub_i32 s3, s2, s99
	s_cmp_ge_u32 s2, s99
	s_cselect_b32 s2, s3, s2
	s_sub_i32 s3, s2, s99
	s_cmp_ge_u32 s2, s99
	s_cselect_b32 s2, s3, s2
	s_sub_i32 s90, s33, s2
	v_mov_b32_e32 v18, v19
	v_cmp_gt_u32_e32 vcc, s90, v23
	v_mov_b64_e32 v[10:11], v[18:19]
	v_mov_b64_e32 v[8:9], v[18:19]
	s_and_saveexec_b64 s[72:73], vcc
	s_cbranch_execz .LBB26_62
; %bb.59:                               ;   in Loop: Header=BB26_7 Depth=1
	s_mov_b32 s94, 0
	s_mov_b64 s[76:77], 0
	v_mov_b32_e32 v3, v44
	v_mov_b32_e32 v48, v23
	s_mov_b32 s95, s94
	s_mov_b32 s96, s94
	;; [unrolled: 1-line block ×3, first 2 shown]
.LBB26_60:                              ;   Parent Loop BB26_7 Depth=1
                                        ; =>  This Inner Loop Header: Depth=2
	s_waitcnt vmcnt(0)
	ds_read_b128 v[12:15], v3
	ds_read_b128 v[8:11], v3 offset:16
	v_mov_b32_e32 v5, v19
	v_mov_b32_e32 v31, v19
	v_mov_b32_e32 v33, v19
	s_waitcnt lgkmcnt(1)
	v_xor_b32_e32 v13, 0x80000000, v13
	v_xor_b32_e32 v15, 0x80000000, v15
	v_and_b32_e32 v52, v12, v28
	v_and_b32_e32 v53, v13, v29
	v_lshrrev_b64 v[12:13], s17, v[12:13]
	s_waitcnt lgkmcnt(0)
	v_xor_b32_e32 v9, 0x80000000, v9
	v_and_b32_e32 v54, v14, v28
	v_and_b32_e32 v55, v15, v29
	v_lshrrev_b64 v[14:15], s17, v[14:15]
	v_and_b32_e32 v18, 3, v12
	v_xor_b32_e32 v11, 0x80000000, v11
	v_and_b32_e32 v56, v8, v28
	v_and_b32_e32 v57, v9, v29
	v_lshrrev_b64 v[8:9], s17, v[8:9]
	v_cmp_eq_u64_e64 s[2:3], v[52:53], v[26:27]
	v_and_b32_e32 v4, 3, v14
	v_cmp_eq_u64_e64 s[26:27], 0, v[18:19]
	v_and_b32_e32 v58, v10, v28
	v_and_b32_e32 v59, v11, v29
	v_lshrrev_b64 v[10:11], s17, v[10:11]
	v_cmp_eq_u64_e64 s[20:21], v[54:55], v[26:27]
	v_and_b32_e32 v30, 3, v8
	v_cmp_eq_u64_e64 s[28:29], 0, v[4:5]
	s_and_b64 s[26:27], s[2:3], s[26:27]
	v_cmp_eq_u64_e64 s[22:23], v[56:57], v[26:27]
	v_and_b32_e32 v32, 3, v10
	v_cmp_eq_u64_e64 s[30:31], 0, v[30:31]
	v_cmp_eq_u64_e64 s[38:39], 1, v[4:5]
	v_cmp_eq_u64_e64 s[46:47], 2, v[4:5]
	v_cmp_eq_u64_e64 s[54:55], 3, v[4:5]
	v_cndmask_b32_e64 v4, 0, 1, s[26:27]
	s_and_b64 s[26:27], s[20:21], s[28:29]
	v_cmp_eq_u64_e64 s[24:25], v[58:59], v[26:27]
	v_cmp_eq_u64_e64 s[34:35], 0, v[32:33]
	v_cndmask_b32_e64 v5, 0, 1, s[26:27]
	s_and_b64 s[26:27], s[22:23], s[30:31]
	v_cmp_eq_u64_e64 s[36:37], 1, v[18:19]
	v_cndmask_b32_e64 v8, 0, 1, s[26:27]
	s_and_b64 s[26:27], s[24:25], s[34:35]
	v_cndmask_b32_e64 v9, 0, 1, s[26:27]
	s_and_b64 s[26:27], s[2:3], s[36:37]
	v_cmp_eq_u64_e64 s[40:41], 1, v[30:31]
	v_cndmask_b32_e64 v10, 0, 1, s[26:27]
	s_and_b64 s[26:27], s[20:21], s[38:39]
	v_cmp_eq_u64_e64 s[42:43], 1, v[32:33]
	;; [unrolled: 3-line block ×3, first 2 shown]
	v_cmp_eq_u64_e64 s[52:53], 3, v[18:19]
	v_cndmask_b32_e64 v12, 0, 1, s[26:27]
	s_and_b64 s[26:27], s[24:25], s[42:43]
	v_cndmask_b32_e64 v13, 0, 1, s[26:27]
	s_and_b64 s[26:27], s[2:3], s[44:45]
	s_and_b64 s[2:3], s[2:3], s[52:53]
	v_cmp_eq_u64_e64 s[48:49], 2, v[30:31]
	v_cmp_eq_u64_e64 s[56:57], 3, v[30:31]
	v_cndmask_b32_e64 v14, 0, 1, s[26:27]
	s_and_b64 s[26:27], s[20:21], s[46:47]
	v_cndmask_b32_e64 v31, 0, 1, s[2:3]
	s_and_b64 s[2:3], s[20:21], s[54:55]
	v_cmp_eq_u64_e64 s[50:51], 2, v[32:33]
	v_cmp_eq_u64_e64 s[58:59], 3, v[32:33]
	v_cndmask_b32_e64 v15, 0, 1, s[26:27]
	s_and_b64 s[26:27], s[22:23], s[48:49]
	v_cndmask_b32_e64 v32, 0, 1, s[2:3]
	s_and_b64 s[2:3], s[22:23], s[56:57]
	;; [unrolled: 2-line block ×4, first 2 shown]
	v_cndmask_b32_e64 v30, 0, 1, s[26:27]
	v_cndmask_b32_e64 v52, 0, 1, s[2:3]
	v_cmp_ne_u32_e64 s[2:3], 0, v4
	v_cmp_ne_u32_e64 s[20:21], 0, v5
	;; [unrolled: 1-line block ×11, first 2 shown]
	s_bcnt1_i32_b64 s2, s[2:3]
	s_bcnt1_i32_b64 s3, s[20:21]
	;; [unrolled: 1-line block ×8, first 2 shown]
	v_cmp_ne_u32_e64 s[34:35], 0, v13
	v_cmp_ne_u32_e64 s[40:41], 0, v18
	;; [unrolled: 1-line block ×3, first 2 shown]
	s_bcnt1_i32_b64 s23, s[28:29]
	s_bcnt1_i32_b64 s27, s[38:39]
	;; [unrolled: 1-line block ×3, first 2 shown]
	s_add_i32 s2, s94, s2
	s_add_i32 s22, s95, s22
	;; [unrolled: 1-line block ×4, first 2 shown]
	v_cmp_ne_u32_e64 s[42:43], 0, v30
	v_cmp_ne_u32_e64 s[50:51], 0, v52
	s_bcnt1_i32_b64 s25, s[34:35]
	s_bcnt1_i32_b64 s28, s[40:41]
	;; [unrolled: 1-line block ×3, first 2 shown]
	s_add_i32 s22, s22, s23
	s_add_i32 s2, s2, s3
	s_add_i32 s3, s30, s31
	s_add_i32 s23, s26, s27
	v_add_u32_e32 v48, s99, v48
	s_bcnt1_i32_b64 s29, s[42:43]
	s_bcnt1_i32_b64 s35, s[50:51]
	s_add_i32 s2, s2, s20
	s_add_i32 s20, s22, s24
	;; [unrolled: 1-line block ×4, first 2 shown]
	v_cmp_le_i32_e32 vcc, s90, v48
	s_add_i32 s95, s20, s25
	s_add_i32 s94, s2, s21
	;; [unrolled: 1-line block ×4, first 2 shown]
	v_add_u32_e32 v3, s93, v3
	s_or_b64 s[76:77], vcc, s[76:77]
	v_mov_b64_e32 v[8:9], s[94:95]
	v_mov_b64_e32 v[10:11], s[96:97]
	s_andn2_b64 exec, exec, s[76:77]
	s_cbranch_execnz .LBB26_60
; %bb.61:                               ;   in Loop: Header=BB26_7 Depth=1
	s_or_b64 exec, exec, s[76:77]
.LBB26_62:                              ;   in Loop: Header=BB26_7 Depth=1
	s_or_b64 exec, exec, s[72:73]
	v_add_u32_e32 v3, s90, v0
	v_cmp_gt_i32_e32 vcc, s33, v3
	s_and_saveexec_b64 s[28:29], vcc
	s_cbranch_execz .LBB26_66
; %bb.63:                               ;   in Loop: Header=BB26_7 Depth=1
	s_waitcnt vmcnt(0)
	v_lshlrev_b32_e32 v4, 3, v3
	s_mov_b64 s[30:31], 0
.LBB26_64:                              ;   Parent Loop BB26_7 Depth=1
                                        ; =>  This Inner Loop Header: Depth=2
	ds_read_b64 v[12:13], v4
	v_add_u32_e32 v3, s70, v3
	v_cmp_le_i32_e32 vcc, s33, v3
	v_add_u32_e32 v4, s16, v4
	s_waitcnt lgkmcnt(0)
	v_xor_b32_e32 v13, 0x80000000, v13
	v_and_b32_e32 v14, v12, v28
	v_and_b32_e32 v15, v13, v29
	v_lshrrev_b64 v[12:13], s17, v[12:13]
	v_and_b32_e32 v18, 3, v12
	v_cmp_eq_u64_e64 s[2:3], v[14:15], v[26:27]
	v_cmp_eq_u64_e64 s[20:21], 0, v[18:19]
	;; [unrolled: 1-line block ×3, first 2 shown]
	s_and_b64 s[20:21], s[2:3], s[20:21]
	v_cmp_eq_u64_e64 s[24:25], 2, v[18:19]
	v_cmp_eq_u64_e64 s[26:27], 3, v[18:19]
	v_cndmask_b32_e64 v5, 0, 1, s[20:21]
	s_and_b64 s[20:21], s[2:3], s[22:23]
	v_cndmask_b32_e64 v12, 0, 1, s[20:21]
	s_and_b64 s[20:21], s[2:3], s[24:25]
	s_and_b64 s[2:3], s[2:3], s[26:27]
	v_cndmask_b32_e64 v13, 0, 1, s[20:21]
	v_cndmask_b32_e64 v14, 0, 1, s[2:3]
	v_cmp_ne_u32_e64 s[2:3], 0, v5
	v_cmp_ne_u32_e64 s[20:21], 0, v12
	;; [unrolled: 1-line block ×4, first 2 shown]
	s_bcnt1_i32_b64 s2, s[2:3]
	s_bcnt1_i32_b64 s3, s[20:21]
	;; [unrolled: 1-line block ×4, first 2 shown]
	v_add_u32_e32 v9, s3, v9
	v_add_u32_e32 v8, s2, v8
	;; [unrolled: 1-line block ×3, first 2 shown]
	s_or_b64 s[30:31], vcc, s[30:31]
	v_add_u32_e32 v10, s20, v10
	s_andn2_b64 exec, exec, s[30:31]
	s_cbranch_execnz .LBB26_64
; %bb.65:                               ;   in Loop: Header=BB26_7 Depth=1
	s_or_b64 exec, exec, s[30:31]
.LBB26_66:                              ;   in Loop: Header=BB26_7 Depth=1
	s_or_b64 exec, exec, s[28:29]
	s_lshl_b32 s22, s69, 6
	s_and_saveexec_b64 s[2:3], s[18:19]
	s_cbranch_execnz .LBB26_38
	s_branch .LBB26_39
.LBB26_67:                              ;   in Loop: Header=BB26_7 Depth=1
	s_or_b64 exec, exec, s[22:23]
	s_waitcnt lgkmcnt(0)
	s_barrier
	s_and_saveexec_b64 s[2:3], s[0:1]
	s_cbranch_execz .LBB26_69
; %bb.68:                               ;   in Loop: Header=BB26_7 Depth=1
	ds_read_b32 v3, v19 offset:4104
	s_waitcnt lgkmcnt(0)
	ds_write_b32 v19, v3 offset:4096
.LBB26_69:                              ;   in Loop: Header=BB26_7 Depth=1
	s_or_b64 exec, exec, s[2:3]
	s_waitcnt lgkmcnt(0)
	s_barrier
	s_mov_b64 s[2:3], -1
	s_and_b64 vcc, exec, s[20:21]
	s_cbranch_vccnz .LBB26_23
	s_branch .LBB26_33
.LBB26_70:                              ;   in Loop: Header=BB26_7 Depth=1
	v_mov_b32_e32 v4, 0
	s_mov_b32 s23, 0
	s_cbranch_execnz .LBB26_75
	s_branch .LBB26_77
.LBB26_71:                              ;   in Loop: Header=BB26_7 Depth=1
	v_mov_b32_e32 v18, v19
	s_mov_b32 s20, 0
	v_mov_b64_e32 v[4:5], v[18:19]
	s_mov_b32 s21, 1
.LBB26_72:                              ;   in Loop: Header=BB26_7 Depth=1
	v_readlane_b32 s24, v60, 40
	v_readlane_b32 s25, v60, 41
	s_andn2_b64 vcc, exec, s[24:25]
	v_readlane_b32 s23, v60, 39
	s_cbranch_vccnz .LBB26_74
.LBB26_73:                              ;   Parent Loop BB26_7 Depth=1
                                        ; =>  This Inner Loop Header: Depth=2
	v_lshl_add_u32 v9, s20, 4, v8
	v_lshl_add_u32 v10, s21, 4, v8
	ds_read_b32 v10, v10
	ds_read_b32 v9, v9
	s_add_i32 s21, s21, 2
	s_add_i32 s20, s20, 2
	s_add_i32 s23, s23, -1
	s_cmp_lg_u32 s23, 0
	s_waitcnt lgkmcnt(1)
	v_add_u32_e32 v5, v10, v5
	s_waitcnt lgkmcnt(0)
	v_add_u32_e32 v4, v9, v4
	s_cbranch_scc1 .LBB26_73
.LBB26_74:                              ;   in Loop: Header=BB26_7 Depth=1
	v_readlane_b32 s20, v60, 44
	v_add_u32_e32 v4, v4, v5
	v_readlane_b32 s23, v60, 43
	v_readlane_b32 s21, v60, 45
	s_and_b64 vcc, exec, s[20:21]
	s_cbranch_vccz .LBB26_77
.LBB26_75:                              ;   in Loop: Header=BB26_7 Depth=1
	s_lshl_b32 s20, s69, 8
	s_lshl_b32 s21, s23, 4
	s_add_i32 s20, s20, s21
	v_add_u32_e32 v5, s20, v45
	v_readlane_b32 s20, v60, 42
	s_sub_i32 s20, s20, s23
.LBB26_76:                              ;   Parent Loop BB26_7 Depth=1
                                        ; =>  This Inner Loop Header: Depth=2
	ds_read_b32 v8, v5
	s_add_i32 s20, s20, -1
	v_add_u32_e32 v5, 16, v5
	s_cmp_eq_u32 s20, 0
	s_waitcnt lgkmcnt(0)
	v_add_u32_e32 v4, v8, v4
	s_cbranch_scc0 .LBB26_76
.LBB26_77:                              ;   in Loop: Header=BB26_7 Depth=1
	v_lshlrev_b32_e32 v3, 2, v3
	ds_write_b32 v3, v4 offset:3072
.LBB26_78:                              ;   in Loop: Header=BB26_7 Depth=1
	s_or_b64 exec, exec, s[2:3]
	s_lshl_b32 s2, s22, 2
	v_mov_b32_e32 v3, s2
	s_waitcnt lgkmcnt(0)
	s_barrier
	ds_read_b128 v[8:11], v3 offset:3072
	s_lshl_b64 s[2:3], 3, s17
	s_not_b64 s[30:31], s[2:3]
	v_cmp_eq_u32_e32 vcc, 1, v47
	s_mov_b64 s[22:23], -1
	s_waitcnt lgkmcnt(0)
	v_readfirstlane_b32 s46, v8
	s_cmp_eq_u32 s46, 1
	s_cselect_b64 s[20:21], -1, 0
	v_readfirstlane_b32 s33, v9
	v_readfirstlane_b32 s58, v10
	;; [unrolled: 1-line block ×3, first 2 shown]
	s_and_b64 s[24:25], s[20:21], vcc
	s_mov_b64 s[34:35], -1
                                        ; implicit-def: $sgpr28_sgpr29
                                        ; implicit-def: $sgpr26_sgpr27
	s_and_saveexec_b64 s[20:21], s[24:25]
	s_cbranch_execz .LBB26_104
; %bb.79:                               ;   in Loop: Header=BB26_7 Depth=1
	ds_read_b32 v3, v19 offset:4096
	s_waitcnt lgkmcnt(0)
	s_barrier
	v_readfirstlane_b32 s47, v3
	s_and_saveexec_b64 s[26:27], s[4:5]
; %bb.80:                               ;   in Loop: Header=BB26_7 Depth=1
	ds_write_b64 v36, v[50:51]
; %bb.81:                               ;   in Loop: Header=BB26_7 Depth=1
	s_or_b64 exec, exec, s[26:27]
	v_and_b32_e32 v27, s31, v27
	v_and_b32_e32 v26, s30, v26
	v_or_b32_e32 v29, s3, v29
	v_or_b32_e32 v28, s2, v28
	s_mov_b64 s[26:27], -1
	s_mov_b64 s[28:29], 0
	s_cmp_lt_i32 s47, 1
	s_mov_b64 s[34:35], 0
	s_mov_b64 s[36:37], -1
	s_waitcnt lgkmcnt(0)
	s_barrier
                                        ; implicit-def: $vgpr6_vgpr7
	s_cbranch_scc0 .LBB26_92
; %bb.82:                               ;   in Loop: Header=BB26_7 Depth=1
	s_mov_b64 s[36:37], 0
                                        ; implicit-def: $vgpr6_vgpr7
	s_mov_b64 s[38:39], exec
	v_readlane_b32 s40, v60, 47
	v_readlane_b32 s41, v60, 48
	s_and_b64 s[40:41], s[38:39], s[40:41]
	s_mov_b64 exec, s[40:41]
	s_cbranch_execz .LBB26_91
; %bb.83:                               ;   in Loop: Header=BB26_7 Depth=1
	v_mov_b32_e32 v8, v16
	v_mov_b32_e32 v10, v0
                                        ; implicit-def: $sgpr40_sgpr41
	s_branch .LBB26_86
.LBB26_84:                              ;   in Loop: Header=BB26_86 Depth=2
	s_or_b64 exec, exec, s[42:43]
	s_waitcnt lgkmcnt(0)
	s_barrier
	s_waitcnt vmcnt(0)
	ds_read_b128 v[4:7], v19 offset:3072
	s_mov_b64 s[42:43], -1
	s_mov_b64 s[44:45], -1
	s_waitcnt lgkmcnt(0)
	s_barrier
	v_cmp_ne_u64_e32 vcc, 0, v[4:5]
	s_cbranch_vccz .LBB26_89
.LBB26_85:                              ;   in Loop: Header=BB26_86 Depth=2
	s_and_b64 s[42:43], exec, s[42:43]
	s_or_b64 s[34:35], s[42:43], s[34:35]
	s_andn2_b64 s[40:41], s[40:41], exec
	s_and_b64 s[42:43], s[44:45], exec
	s_or_b64 s[40:41], s[40:41], s[42:43]
	s_andn2_b64 exec, exec, s[34:35]
	s_cbranch_execz .LBB26_90
.LBB26_86:                              ;   Parent Loop BB26_7 Depth=1
                                        ; =>  This Inner Loop Header: Depth=2
	v_cmp_gt_i32_e32 vcc, s68, v10
	s_and_saveexec_b64 s[42:43], vcc
	s_cbranch_execz .LBB26_84
; %bb.87:                               ;   in Loop: Header=BB26_86 Depth=2
	v_ashrrev_i32_e32 v9, 31, v8
	s_waitcnt vmcnt(0)
	v_lshl_add_u64 v[4:5], v[8:9], 3, s[80:81]
	global_load_dwordx2 v[4:5], v[4:5], off
	s_waitcnt vmcnt(0)
	v_xor_b32_e32 v3, 0x80000000, v5
	v_and_b32_e32 v7, v3, v29
	v_and_b32_e32 v6, v4, v28
	v_cmp_eq_u64_e32 vcc, v[6:7], v[26:27]
	s_and_b64 exec, exec, vcc
	s_cbranch_execz .LBB26_84
; %bb.88:                               ;   in Loop: Header=BB26_86 Depth=2
	v_mov_b32_e32 v3, v19
	ds_write_b128 v19, v[2:5] offset:3072
	s_branch .LBB26_84
.LBB26_89:                              ;   in Loop: Header=BB26_86 Depth=2
	v_add_u32_e32 v10, s70, v10
	v_cmp_le_i32_e32 vcc, s91, v10
	v_add_u32_e32 v8, s98, v8
	s_mov_b64 s[44:45], 0
	s_orn2_b64 s[42:43], vcc, exec
	s_branch .LBB26_85
.LBB26_90:                              ;   in Loop: Header=BB26_7 Depth=1
	s_or_b64 exec, exec, s[34:35]
	s_and_b64 s[34:35], s[40:41], exec
.LBB26_91:                              ;   in Loop: Header=BB26_7 Depth=1
	s_or_b64 exec, exec, s[38:39]
.LBB26_92:                              ;   in Loop: Header=BB26_7 Depth=1
	s_and_b64 vcc, exec, s[36:37]
	s_cbranch_vccz .LBB26_103
; %bb.93:                               ;   in Loop: Header=BB26_7 Depth=1
	v_readlane_b32 s26, v60, 29
	s_add_i32 s42, s47, s26
	s_abs_i32 s27, s42
	v_readlane_b32 s28, v60, 46
	s_mul_hi_u32 s28, s27, s28
	s_mul_i32 s28, s28, s70
	s_sub_i32 s27, s27, s28
	s_ashr_i32 s26, s42, 31
	s_sub_i32 s28, s27, s70
	s_cmp_ge_u32 s27, s70
	s_cselect_b32 s27, s28, s27
	s_sub_i32 s28, s27, s70
	s_cmp_ge_u32 s27, s70
	s_cselect_b32 s27, s28, s27
	s_xor_b32 s27, s27, s26
	s_sub_i32 s26, s26, s27
	s_add_i32 s42, s42, s26
	v_cmp_gt_i32_e32 vcc, s42, v0
                                        ; implicit-def: $vgpr6_vgpr7
	s_and_saveexec_b64 s[26:27], vcc
	s_cbranch_execz .LBB26_102
; %bb.94:                               ;   in Loop: Header=BB26_7 Depth=1
	s_mov_b64 s[36:37], 0
	v_mov_b32_e32 v8, v35
	v_mov_b32_e32 v9, v0
                                        ; implicit-def: $sgpr28_sgpr29
	s_branch .LBB26_97
.LBB26_95:                              ;   in Loop: Header=BB26_97 Depth=2
	s_or_b64 exec, exec, s[38:39]
	s_waitcnt lgkmcnt(0)
	s_barrier
	s_waitcnt vmcnt(0)
	ds_read_b128 v[4:7], v19 offset:3072
	s_mov_b64 s[38:39], -1
	s_mov_b64 s[40:41], -1
	s_waitcnt lgkmcnt(0)
	s_barrier
	v_cmp_ne_u64_e32 vcc, 0, v[4:5]
	s_cbranch_vccz .LBB26_100
.LBB26_96:                              ;   in Loop: Header=BB26_97 Depth=2
	s_and_b64 s[38:39], exec, s[38:39]
	s_or_b64 s[36:37], s[38:39], s[36:37]
	s_andn2_b64 s[28:29], s[28:29], exec
	s_and_b64 s[38:39], s[40:41], exec
	s_or_b64 s[28:29], s[28:29], s[38:39]
	s_andn2_b64 exec, exec, s[36:37]
	s_cbranch_execz .LBB26_101
.LBB26_97:                              ;   Parent Loop BB26_7 Depth=1
                                        ; =>  This Inner Loop Header: Depth=2
	v_cmp_gt_i32_e32 vcc, s47, v9
	s_and_saveexec_b64 s[38:39], vcc
	s_cbranch_execz .LBB26_95
; %bb.98:                               ;   in Loop: Header=BB26_97 Depth=2
	s_waitcnt vmcnt(0)
	ds_read_b64 v[4:5], v8
	s_waitcnt lgkmcnt(0)
	v_xor_b32_e32 v3, 0x80000000, v5
	v_and_b32_e32 v7, v3, v29
	v_and_b32_e32 v6, v4, v28
	v_cmp_eq_u64_e32 vcc, v[6:7], v[26:27]
	s_and_b64 exec, exec, vcc
	s_cbranch_execz .LBB26_95
; %bb.99:                               ;   in Loop: Header=BB26_97 Depth=2
	v_mov_b32_e32 v3, v19
	ds_write_b128 v19, v[2:5] offset:3072
	s_branch .LBB26_95
.LBB26_100:                             ;   in Loop: Header=BB26_97 Depth=2
	v_add_u32_e32 v9, s70, v9
	v_cmp_le_i32_e32 vcc, s42, v9
	v_add_u32_e32 v8, s16, v8
	s_mov_b64 s[40:41], 0
	s_orn2_b64 s[38:39], vcc, exec
	s_branch .LBB26_96
.LBB26_101:                             ;   in Loop: Header=BB26_7 Depth=1
	s_or_b64 exec, exec, s[36:37]
	s_andn2_b64 s[34:35], s[34:35], exec
	s_and_b64 s[28:29], s[28:29], exec
	s_or_b64 s[34:35], s[34:35], s[28:29]
.LBB26_102:                             ;   in Loop: Header=BB26_7 Depth=1
	s_or_b64 exec, exec, s[26:27]
	s_mov_b64 s[26:27], 0
	s_mov_b64 s[28:29], -1
.LBB26_103:                             ;   in Loop: Header=BB26_7 Depth=1
	s_orn2_b64 s[34:35], s[34:35], exec
.LBB26_104:                             ;   in Loop: Header=BB26_7 Depth=1
	s_or_b64 exec, exec, s[20:21]
	s_andn2_b64 s[20:21], s[82:83], exec
	s_and_b64 s[28:29], s[28:29], exec
	s_or_b64 s[82:83], s[20:21], s[28:29]
	s_andn2_b64 s[20:21], s[66:67], exec
	s_and_b64 s[26:27], s[26:27], exec
	v_readfirstlane_b32 s36, v0
	v_readfirstlane_b32 s37, v0
	s_andn2_b64 s[64:65], s[64:65], exec
	s_or_b64 s[66:67], s[20:21], s[26:27]
                                        ; implicit-def: $vgpr11
	s_and_saveexec_b64 s[20:21], s[34:35]
	s_cbranch_execz .LBB26_6
; %bb.105:                              ;   in Loop: Header=BB26_7 Depth=1
	s_xor_b64 s[26:27], s[24:25], -1
	s_mov_b64 s[24:25], 0
	v_mov_b32_e32 v11, 1
	v_mov_b32_e32 v10, 1
	s_and_saveexec_b64 s[22:23], s[26:27]
	s_cbranch_execz .LBB26_114
; %bb.106:                              ;   in Loop: Header=BB26_7 Depth=1
	v_cmp_ge_i32_e32 vcc, s46, v47
	s_and_saveexec_b64 s[24:25], vcc
	s_xor_b64 s[24:25], exec, s[24:25]
	s_cbranch_execz .LBB26_111
; %bb.107:                              ;   in Loop: Header=BB26_7 Depth=1
	ds_read_b32 v3, v19 offset:4096
	v_and_b32_e32 v27, s31, v27
	v_and_b32_e32 v26, s30, v26
	v_or_b32_e32 v29, s3, v29
	v_or_b32_e32 v28, s2, v28
	s_waitcnt lgkmcnt(0)
	v_cmp_ne_u32_e32 vcc, 0, v3
	s_cbranch_vccnz .LBB26_111
; %bb.108:                              ;   in Loop: Header=BB26_7 Depth=1
	s_and_saveexec_b64 s[26:27], s[0:1]
; %bb.109:                              ;   in Loop: Header=BB26_7 Depth=1
	v_mov_b32_e32 v3, s46
	ds_write_b32 v19, v3 offset:4100
; %bb.110:                              ;   in Loop: Header=BB26_7 Depth=1
	s_or_b64 exec, exec, s[26:27]
	s_waitcnt lgkmcnt(0)
	s_barrier
.LBB26_111:                             ;   in Loop: Header=BB26_7 Depth=1
	s_or_saveexec_b64 s[24:25], s[24:25]
	s_mov_b64 s[26:27], 0
	v_mov_b32_e32 v10, 8
	s_xor_b64 exec, exec, s[24:25]
; %bb.112:                              ;   in Loop: Header=BB26_7 Depth=1
	s_mov_b64 s[26:27], exec
	v_subrev_u32_e32 v47, s46, v47
	v_mov_b32_e32 v10, 0
; %bb.113:                              ;   in Loop: Header=BB26_7 Depth=1
	s_or_b64 exec, exec, s[24:25]
	s_and_b64 s[24:25], s[26:27], exec
	v_mov_b32_e32 v11, v47
.LBB26_114:                             ;   in Loop: Header=BB26_7 Depth=1
	s_or_b64 exec, exec, s[22:23]
	s_mov_b64 s[22:23], -1
	s_mov_b64 s[34:35], -1
                                        ; implicit-def: $sgpr26_sgpr27
                                        ; implicit-def: $sgpr28_sgpr29
	s_and_saveexec_b64 s[36:37], s[24:25]
	s_xor_b64 s[24:25], exec, s[36:37]
	s_cbranch_execz .LBB26_231
; %bb.115:                              ;   in Loop: Header=BB26_7 Depth=1
	s_cmp_eq_u32 s33, 1
	s_cselect_b64 s[26:27], -1, 0
	v_cmp_eq_u32_e32 vcc, 1, v11
	s_and_b64 s[36:37], s[26:27], vcc
	s_mov_b64 s[38:39], -1
                                        ; implicit-def: $sgpr28_sgpr29
                                        ; implicit-def: $sgpr26_sgpr27
	s_and_saveexec_b64 s[34:35], s[36:37]
	s_cbranch_execz .LBB26_141
; %bb.116:                              ;   in Loop: Header=BB26_7 Depth=1
	ds_read_b32 v3, v19 offset:4096
	s_waitcnt lgkmcnt(0)
	s_barrier
	v_readfirstlane_b32 s50, v3
	s_and_saveexec_b64 s[26:27], s[4:5]
; %bb.117:                              ;   in Loop: Header=BB26_7 Depth=1
	ds_write_b64 v36, v[50:51]
; %bb.118:                              ;   in Loop: Header=BB26_7 Depth=1
	s_or_b64 exec, exec, s[26:27]
	s_lshl_b64 s[26:27], 1, s17
	v_and_b32_e32 v3, s31, v27
	s_waitcnt vmcnt(0)
	v_and_b32_e32 v4, s30, v26
	v_or_b32_e32 v27, s27, v3
	v_or_b32_e32 v26, s26, v4
	;; [unrolled: 1-line block ×4, first 2 shown]
	s_mov_b64 s[26:27], -1
	s_mov_b64 s[28:29], 0
	s_cmp_gt_i32 s50, 0
	s_mov_b64 s[38:39], 0
	s_mov_b64 s[40:41], -1
	s_waitcnt lgkmcnt(0)
	s_barrier
                                        ; implicit-def: $vgpr6_vgpr7
	s_cbranch_scc1 .LBB26_129
; %bb.119:                              ;   in Loop: Header=BB26_7 Depth=1
	s_mov_b64 s[40:41], 0
                                        ; implicit-def: $vgpr6_vgpr7
	s_mov_b64 s[42:43], exec
	v_readlane_b32 s44, v60, 47
	v_readlane_b32 s45, v60, 48
	s_and_b64 s[44:45], s[42:43], s[44:45]
	s_mov_b64 exec, s[44:45]
	s_cbranch_execz .LBB26_128
; %bb.120:                              ;   in Loop: Header=BB26_7 Depth=1
	v_mov_b32_e32 v8, v16
	v_mov_b32_e32 v12, v0
                                        ; implicit-def: $sgpr44_sgpr45
	s_branch .LBB26_123
.LBB26_121:                             ;   in Loop: Header=BB26_123 Depth=2
	s_or_b64 exec, exec, s[46:47]
	s_waitcnt lgkmcnt(0)
	s_barrier
	ds_read_b128 v[4:7], v19 offset:3072
	s_mov_b64 s[46:47], -1
	s_mov_b64 s[48:49], -1
	s_waitcnt lgkmcnt(0)
	s_barrier
	v_cmp_ne_u64_e32 vcc, 0, v[4:5]
	s_cbranch_vccz .LBB26_126
.LBB26_122:                             ;   in Loop: Header=BB26_123 Depth=2
	s_and_b64 s[46:47], exec, s[46:47]
	s_or_b64 s[38:39], s[46:47], s[38:39]
	s_andn2_b64 s[44:45], s[44:45], exec
	s_and_b64 s[46:47], s[48:49], exec
	s_or_b64 s[44:45], s[44:45], s[46:47]
	s_andn2_b64 exec, exec, s[38:39]
	s_cbranch_execz .LBB26_127
.LBB26_123:                             ;   Parent Loop BB26_7 Depth=1
                                        ; =>  This Inner Loop Header: Depth=2
	v_cmp_gt_i32_e32 vcc, s68, v12
	s_and_saveexec_b64 s[46:47], vcc
	s_cbranch_execz .LBB26_121
; %bb.124:                              ;   in Loop: Header=BB26_123 Depth=2
	v_ashrrev_i32_e32 v9, 31, v8
	v_lshl_add_u64 v[4:5], v[8:9], 3, s[80:81]
	global_load_dwordx2 v[4:5], v[4:5], off
	s_waitcnt vmcnt(0)
	v_xor_b32_e32 v3, 0x80000000, v5
	v_and_b32_e32 v7, v3, v29
	v_and_b32_e32 v6, v4, v28
	v_cmp_eq_u64_e32 vcc, v[6:7], v[26:27]
	s_and_b64 exec, exec, vcc
	s_cbranch_execz .LBB26_121
; %bb.125:                              ;   in Loop: Header=BB26_123 Depth=2
	v_mov_b32_e32 v3, v19
	ds_write_b128 v19, v[2:5] offset:3072
	s_branch .LBB26_121
.LBB26_126:                             ;   in Loop: Header=BB26_123 Depth=2
	v_add_u32_e32 v12, s70, v12
	v_cmp_le_i32_e32 vcc, s91, v12
	v_add_u32_e32 v8, s98, v8
	s_mov_b64 s[48:49], 0
	s_orn2_b64 s[46:47], vcc, exec
	s_branch .LBB26_122
.LBB26_127:                             ;   in Loop: Header=BB26_7 Depth=1
	s_or_b64 exec, exec, s[38:39]
	s_and_b64 s[38:39], s[44:45], exec
.LBB26_128:                             ;   in Loop: Header=BB26_7 Depth=1
	s_or_b64 exec, exec, s[42:43]
.LBB26_129:                             ;   in Loop: Header=BB26_7 Depth=1
	s_and_b64 vcc, exec, s[40:41]
	s_cbranch_vccz .LBB26_140
; %bb.130:                              ;   in Loop: Header=BB26_7 Depth=1
	v_readlane_b32 s26, v60, 29
	s_add_i32 s46, s50, s26
	s_abs_i32 s27, s46
	v_readlane_b32 s28, v60, 46
	s_mul_hi_u32 s28, s27, s28
	s_mul_i32 s28, s28, s70
	s_sub_i32 s27, s27, s28
	s_ashr_i32 s26, s46, 31
	s_sub_i32 s28, s27, s70
	s_cmp_ge_u32 s27, s70
	s_cselect_b32 s27, s28, s27
	s_sub_i32 s28, s27, s70
	s_cmp_ge_u32 s27, s70
	s_cselect_b32 s27, s28, s27
	s_xor_b32 s27, s27, s26
	s_sub_i32 s26, s26, s27
	s_add_i32 s46, s46, s26
	v_cmp_gt_i32_e32 vcc, s46, v0
                                        ; implicit-def: $vgpr6_vgpr7
	s_and_saveexec_b64 s[26:27], vcc
	s_cbranch_execz .LBB26_139
; %bb.131:                              ;   in Loop: Header=BB26_7 Depth=1
	s_mov_b64 s[28:29], 0
	v_mov_b32_e32 v8, v35
	v_mov_b32_e32 v9, v0
                                        ; implicit-def: $sgpr40_sgpr41
	s_branch .LBB26_134
.LBB26_132:                             ;   in Loop: Header=BB26_134 Depth=2
	s_or_b64 exec, exec, s[42:43]
	s_waitcnt lgkmcnt(0)
	s_barrier
	ds_read_b128 v[4:7], v19 offset:3072
	s_mov_b64 s[42:43], -1
	s_mov_b64 s[44:45], -1
	s_waitcnt lgkmcnt(0)
	s_barrier
	v_cmp_eq_u64_e32 vcc, 0, v[4:5]
	s_cbranch_vccnz .LBB26_137
.LBB26_133:                             ;   in Loop: Header=BB26_134 Depth=2
	s_and_b64 s[42:43], exec, s[42:43]
	s_or_b64 s[28:29], s[42:43], s[28:29]
	s_andn2_b64 s[40:41], s[40:41], exec
	s_and_b64 s[42:43], s[44:45], exec
	s_or_b64 s[40:41], s[40:41], s[42:43]
	s_andn2_b64 exec, exec, s[28:29]
	s_cbranch_execz .LBB26_138
.LBB26_134:                             ;   Parent Loop BB26_7 Depth=1
                                        ; =>  This Inner Loop Header: Depth=2
	v_cmp_gt_i32_e32 vcc, s50, v9
	s_and_saveexec_b64 s[42:43], vcc
	s_cbranch_execz .LBB26_132
; %bb.135:                              ;   in Loop: Header=BB26_134 Depth=2
	ds_read_b64 v[4:5], v8
	s_waitcnt lgkmcnt(0)
	v_xor_b32_e32 v3, 0x80000000, v5
	v_and_b32_e32 v7, v3, v29
	v_and_b32_e32 v6, v4, v28
	v_cmp_eq_u64_e32 vcc, v[6:7], v[26:27]
	s_and_b64 exec, exec, vcc
	s_cbranch_execz .LBB26_132
; %bb.136:                              ;   in Loop: Header=BB26_134 Depth=2
	v_mov_b32_e32 v3, v19
	ds_write_b128 v19, v[2:5] offset:3072
	s_branch .LBB26_132
.LBB26_137:                             ;   in Loop: Header=BB26_134 Depth=2
	v_add_u32_e32 v9, s70, v9
	v_cmp_le_i32_e32 vcc, s46, v9
	v_add_u32_e32 v8, s16, v8
	s_mov_b64 s[44:45], 0
	s_orn2_b64 s[42:43], vcc, exec
	s_branch .LBB26_133
.LBB26_138:                             ;   in Loop: Header=BB26_7 Depth=1
	s_or_b64 exec, exec, s[28:29]
	s_andn2_b64 s[28:29], s[38:39], exec
	s_and_b64 s[38:39], s[40:41], exec
	s_or_b64 s[38:39], s[28:29], s[38:39]
.LBB26_139:                             ;   in Loop: Header=BB26_7 Depth=1
	s_or_b64 exec, exec, s[26:27]
	s_mov_b64 s[26:27], 0
	s_mov_b64 s[28:29], -1
.LBB26_140:                             ;   in Loop: Header=BB26_7 Depth=1
	s_orn2_b64 s[38:39], s[38:39], exec
.LBB26_141:                             ;   in Loop: Header=BB26_7 Depth=1
	s_or_b64 exec, exec, s[34:35]
	s_mov_b64 s[40:41], 0
	s_and_saveexec_b64 s[34:35], s[38:39]
	s_cbranch_execz .LBB26_230
; %bb.142:                              ;   in Loop: Header=BB26_7 Depth=1
	s_xor_b64 s[38:39], s[36:37], -1
	s_mov_b64 s[44:45], 0
	s_waitcnt vmcnt(0)
	v_mov_b32_e32 v12, 1
	v_mov_b32_e32 v10, 1
	s_and_saveexec_b64 s[36:37], s[38:39]
	s_cbranch_execz .LBB26_151
; %bb.143:                              ;   in Loop: Header=BB26_7 Depth=1
	v_cmp_ge_i32_e32 vcc, s33, v11
	s_and_saveexec_b64 s[38:39], vcc
	s_xor_b64 s[38:39], exec, s[38:39]
	s_cbranch_execz .LBB26_148
; %bb.144:                              ;   in Loop: Header=BB26_7 Depth=1
	ds_read_b32 v4, v19 offset:4096
	s_lshl_b64 s[40:41], 1, s17
	v_and_b32_e32 v3, s31, v27
	v_and_b32_e32 v5, s30, v26
	v_or_b32_e32 v27, s41, v3
	s_waitcnt lgkmcnt(0)
	v_cmp_ne_u32_e32 vcc, 0, v4
	v_or_b32_e32 v26, s40, v5
	v_or_b32_e32 v29, s3, v29
	;; [unrolled: 1-line block ×3, first 2 shown]
	s_cbranch_vccnz .LBB26_148
; %bb.145:                              ;   in Loop: Header=BB26_7 Depth=1
	s_and_saveexec_b64 s[40:41], s[0:1]
; %bb.146:                              ;   in Loop: Header=BB26_7 Depth=1
	v_mov_b32_e32 v3, s33
	ds_write_b32 v19, v3 offset:4100
; %bb.147:                              ;   in Loop: Header=BB26_7 Depth=1
	s_or_b64 exec, exec, s[40:41]
	s_waitcnt lgkmcnt(0)
	s_barrier
.LBB26_148:                             ;   in Loop: Header=BB26_7 Depth=1
	s_or_saveexec_b64 s[38:39], s[38:39]
	s_mov_b64 s[40:41], 0
	v_mov_b32_e32 v10, 8
	s_xor_b64 exec, exec, s[38:39]
; %bb.149:                              ;   in Loop: Header=BB26_7 Depth=1
	s_mov_b64 s[40:41], exec
	v_subrev_u32_e32 v11, s33, v11
	v_mov_b32_e32 v10, 0
; %bb.150:                              ;   in Loop: Header=BB26_7 Depth=1
	s_or_b64 exec, exec, s[38:39]
	s_and_b64 s[44:45], s[40:41], exec
	v_mov_b32_e32 v12, v11
.LBB26_151:                             ;   in Loop: Header=BB26_7 Depth=1
	s_or_b64 exec, exec, s[36:37]
	s_mov_b64 s[42:43], -1
                                        ; implicit-def: $sgpr38_sgpr39
                                        ; implicit-def: $sgpr40_sgpr41
	s_and_saveexec_b64 s[36:37], s[44:45]
	s_cbranch_execz .LBB26_229
; %bb.152:                              ;   in Loop: Header=BB26_7 Depth=1
	s_cmp_eq_u32 s58, 1
	s_cselect_b64 s[38:39], -1, 0
	v_cmp_eq_u32_e32 vcc, 1, v12
	s_and_b64 s[44:45], s[38:39], vcc
	s_mov_b64 s[46:47], -1
                                        ; implicit-def: $sgpr40_sgpr41
                                        ; implicit-def: $sgpr38_sgpr39
	s_and_saveexec_b64 s[42:43], s[44:45]
	s_cbranch_execz .LBB26_178
; %bb.153:                              ;   in Loop: Header=BB26_7 Depth=1
	ds_read_b32 v3, v19 offset:4096
	s_waitcnt lgkmcnt(0)
	s_barrier
	v_readfirstlane_b32 s33, v3
	s_and_saveexec_b64 s[38:39], s[4:5]
; %bb.154:                              ;   in Loop: Header=BB26_7 Depth=1
	ds_write_b64 v36, v[50:51]
; %bb.155:                              ;   in Loop: Header=BB26_7 Depth=1
	s_or_b64 exec, exec, s[38:39]
	s_lshl_b64 s[38:39], 2, s17
	v_and_b32_e32 v3, s31, v27
	v_and_b32_e32 v4, s30, v26
	v_or_b32_e32 v27, s39, v3
	v_or_b32_e32 v26, s38, v4
	;; [unrolled: 1-line block ×4, first 2 shown]
	s_mov_b64 s[38:39], -1
	s_mov_b64 s[40:41], 0
	s_cmp_gt_i32 s33, 0
	s_mov_b64 s[46:47], 0
	s_mov_b64 s[48:49], -1
	s_waitcnt lgkmcnt(0)
	s_barrier
                                        ; implicit-def: $vgpr6_vgpr7
	s_cbranch_scc1 .LBB26_166
; %bb.156:                              ;   in Loop: Header=BB26_7 Depth=1
	s_mov_b64 s[48:49], 0
                                        ; implicit-def: $vgpr6_vgpr7
	s_mov_b64 s[50:51], exec
	v_readlane_b32 s52, v60, 47
	v_readlane_b32 s53, v60, 48
	s_and_b64 s[52:53], s[50:51], s[52:53]
	s_mov_b64 exec, s[52:53]
	s_cbranch_execz .LBB26_165
; %bb.157:                              ;   in Loop: Header=BB26_7 Depth=1
	v_mov_b32_e32 v8, v16
	v_mov_b32_e32 v11, v0
                                        ; implicit-def: $sgpr52_sgpr53
	s_branch .LBB26_160
.LBB26_158:                             ;   in Loop: Header=BB26_160 Depth=2
	s_or_b64 exec, exec, s[54:55]
	s_waitcnt lgkmcnt(0)
	s_barrier
	ds_read_b128 v[4:7], v19 offset:3072
	s_mov_b64 s[54:55], -1
	s_mov_b64 s[56:57], -1
	s_waitcnt lgkmcnt(0)
	s_barrier
	v_cmp_ne_u64_e32 vcc, 0, v[4:5]
	s_cbranch_vccz .LBB26_163
.LBB26_159:                             ;   in Loop: Header=BB26_160 Depth=2
	s_and_b64 s[54:55], exec, s[54:55]
	s_or_b64 s[46:47], s[54:55], s[46:47]
	s_andn2_b64 s[52:53], s[52:53], exec
	s_and_b64 s[54:55], s[56:57], exec
	s_or_b64 s[52:53], s[52:53], s[54:55]
	s_andn2_b64 exec, exec, s[46:47]
	s_cbranch_execz .LBB26_164
.LBB26_160:                             ;   Parent Loop BB26_7 Depth=1
                                        ; =>  This Inner Loop Header: Depth=2
	v_cmp_gt_i32_e32 vcc, s68, v11
	s_and_saveexec_b64 s[54:55], vcc
	s_cbranch_execz .LBB26_158
; %bb.161:                              ;   in Loop: Header=BB26_160 Depth=2
	v_ashrrev_i32_e32 v9, 31, v8
	v_lshl_add_u64 v[4:5], v[8:9], 3, s[80:81]
	global_load_dwordx2 v[4:5], v[4:5], off
	s_waitcnt vmcnt(0)
	v_xor_b32_e32 v3, 0x80000000, v5
	v_and_b32_e32 v7, v3, v29
	v_and_b32_e32 v6, v4, v28
	v_cmp_eq_u64_e32 vcc, v[6:7], v[26:27]
	s_and_b64 exec, exec, vcc
	s_cbranch_execz .LBB26_158
; %bb.162:                              ;   in Loop: Header=BB26_160 Depth=2
	v_mov_b32_e32 v3, v19
	ds_write_b128 v19, v[2:5] offset:3072
	s_branch .LBB26_158
.LBB26_163:                             ;   in Loop: Header=BB26_160 Depth=2
	v_add_u32_e32 v11, s70, v11
	v_cmp_le_i32_e32 vcc, s91, v11
	v_add_u32_e32 v8, s98, v8
	s_mov_b64 s[56:57], 0
	s_orn2_b64 s[54:55], vcc, exec
	s_branch .LBB26_159
.LBB26_164:                             ;   in Loop: Header=BB26_7 Depth=1
	s_or_b64 exec, exec, s[46:47]
	s_and_b64 s[46:47], s[52:53], exec
.LBB26_165:                             ;   in Loop: Header=BB26_7 Depth=1
	s_or_b64 exec, exec, s[50:51]
.LBB26_166:                             ;   in Loop: Header=BB26_7 Depth=1
	s_and_b64 vcc, exec, s[48:49]
	s_cbranch_vccz .LBB26_177
; %bb.167:                              ;   in Loop: Header=BB26_7 Depth=1
	v_readlane_b32 s38, v60, 29
	s_add_i32 s54, s33, s38
	s_abs_i32 s39, s54
	v_readlane_b32 s40, v60, 46
	s_mul_hi_u32 s40, s39, s40
	s_mul_i32 s40, s40, s70
	s_sub_i32 s39, s39, s40
	s_ashr_i32 s38, s54, 31
	s_sub_i32 s40, s39, s70
	s_cmp_ge_u32 s39, s70
	s_cselect_b32 s39, s40, s39
	s_sub_i32 s40, s39, s70
	s_cmp_ge_u32 s39, s70
	s_cselect_b32 s39, s40, s39
	s_xor_b32 s39, s39, s38
	s_sub_i32 s38, s38, s39
	s_add_i32 s54, s54, s38
	v_cmp_gt_i32_e32 vcc, s54, v0
                                        ; implicit-def: $vgpr6_vgpr7
	s_and_saveexec_b64 s[38:39], vcc
	s_cbranch_execz .LBB26_176
; %bb.168:                              ;   in Loop: Header=BB26_7 Depth=1
	s_mov_b64 s[40:41], 0
	v_mov_b32_e32 v8, v35
	v_mov_b32_e32 v9, v0
                                        ; implicit-def: $sgpr48_sgpr49
	s_branch .LBB26_171
.LBB26_169:                             ;   in Loop: Header=BB26_171 Depth=2
	s_or_b64 exec, exec, s[50:51]
	s_waitcnt lgkmcnt(0)
	s_barrier
	ds_read_b128 v[4:7], v19 offset:3072
	s_mov_b64 s[50:51], -1
	s_mov_b64 s[52:53], -1
	s_waitcnt lgkmcnt(0)
	s_barrier
	v_cmp_eq_u64_e32 vcc, 0, v[4:5]
	s_cbranch_vccnz .LBB26_174
.LBB26_170:                             ;   in Loop: Header=BB26_171 Depth=2
	s_and_b64 s[50:51], exec, s[50:51]
	s_or_b64 s[40:41], s[50:51], s[40:41]
	s_andn2_b64 s[48:49], s[48:49], exec
	s_and_b64 s[50:51], s[52:53], exec
	s_or_b64 s[48:49], s[48:49], s[50:51]
	s_andn2_b64 exec, exec, s[40:41]
	s_cbranch_execz .LBB26_175
.LBB26_171:                             ;   Parent Loop BB26_7 Depth=1
                                        ; =>  This Inner Loop Header: Depth=2
	v_cmp_gt_i32_e32 vcc, s33, v9
	s_and_saveexec_b64 s[50:51], vcc
	s_cbranch_execz .LBB26_169
; %bb.172:                              ;   in Loop: Header=BB26_171 Depth=2
	ds_read_b64 v[4:5], v8
	s_waitcnt lgkmcnt(0)
	v_xor_b32_e32 v3, 0x80000000, v5
	v_and_b32_e32 v7, v3, v29
	v_and_b32_e32 v6, v4, v28
	v_cmp_eq_u64_e32 vcc, v[6:7], v[26:27]
	s_and_b64 exec, exec, vcc
	s_cbranch_execz .LBB26_169
; %bb.173:                              ;   in Loop: Header=BB26_171 Depth=2
	v_mov_b32_e32 v3, v19
	ds_write_b128 v19, v[2:5] offset:3072
	s_branch .LBB26_169
.LBB26_174:                             ;   in Loop: Header=BB26_171 Depth=2
	v_add_u32_e32 v9, s70, v9
	v_cmp_le_i32_e32 vcc, s54, v9
	v_add_u32_e32 v8, s16, v8
	s_mov_b64 s[52:53], 0
	s_orn2_b64 s[50:51], vcc, exec
	s_branch .LBB26_170
.LBB26_175:                             ;   in Loop: Header=BB26_7 Depth=1
	s_or_b64 exec, exec, s[40:41]
	s_andn2_b64 s[40:41], s[46:47], exec
	s_and_b64 s[46:47], s[48:49], exec
	s_or_b64 s[46:47], s[40:41], s[46:47]
.LBB26_176:                             ;   in Loop: Header=BB26_7 Depth=1
	s_or_b64 exec, exec, s[38:39]
	s_mov_b64 s[38:39], 0
	s_mov_b64 s[40:41], -1
.LBB26_177:                             ;   in Loop: Header=BB26_7 Depth=1
	s_orn2_b64 s[46:47], s[46:47], exec
.LBB26_178:                             ;   in Loop: Header=BB26_7 Depth=1
	s_or_b64 exec, exec, s[42:43]
	s_mov_b64 s[48:49], 0
	s_and_saveexec_b64 s[42:43], s[46:47]
	s_cbranch_execz .LBB26_228
; %bb.179:                              ;   in Loop: Header=BB26_7 Depth=1
	s_xor_b64 s[46:47], s[44:45], -1
	s_mov_b64 s[50:51], 0
	v_mov_b32_e32 v11, 1
	v_mov_b32_e32 v10, 1
	s_and_saveexec_b64 s[44:45], s[46:47]
	s_cbranch_execz .LBB26_188
; %bb.180:                              ;   in Loop: Header=BB26_7 Depth=1
	v_cmp_ge_i32_e32 vcc, s58, v12
	s_and_saveexec_b64 s[46:47], vcc
	s_xor_b64 s[46:47], exec, s[46:47]
	s_cbranch_execz .LBB26_185
; %bb.181:                              ;   in Loop: Header=BB26_7 Depth=1
	ds_read_b32 v4, v19 offset:4096
	s_lshl_b64 s[48:49], 2, s17
	v_and_b32_e32 v3, s31, v27
	v_and_b32_e32 v5, s30, v26
	v_or_b32_e32 v27, s49, v3
	s_waitcnt lgkmcnt(0)
	v_cmp_ne_u32_e32 vcc, 0, v4
	v_or_b32_e32 v26, s48, v5
	v_or_b32_e32 v29, s3, v29
	;; [unrolled: 1-line block ×3, first 2 shown]
	s_cbranch_vccnz .LBB26_185
; %bb.182:                              ;   in Loop: Header=BB26_7 Depth=1
	s_and_saveexec_b64 s[30:31], s[0:1]
; %bb.183:                              ;   in Loop: Header=BB26_7 Depth=1
	v_mov_b32_e32 v3, s58
	ds_write_b32 v19, v3 offset:4100
; %bb.184:                              ;   in Loop: Header=BB26_7 Depth=1
	s_or_b64 exec, exec, s[30:31]
	s_waitcnt lgkmcnt(0)
	s_barrier
.LBB26_185:                             ;   in Loop: Header=BB26_7 Depth=1
	s_or_saveexec_b64 s[30:31], s[46:47]
	s_mov_b64 s[46:47], 0
	v_mov_b32_e32 v10, 8
	s_xor_b64 exec, exec, s[30:31]
; %bb.186:                              ;   in Loop: Header=BB26_7 Depth=1
	s_mov_b64 s[46:47], exec
	v_subrev_u32_e32 v12, s58, v12
	v_mov_b32_e32 v10, 0
; %bb.187:                              ;   in Loop: Header=BB26_7 Depth=1
	s_or_b64 exec, exec, s[30:31]
	s_and_b64 s[50:51], s[46:47], exec
	v_mov_b32_e32 v11, v12
.LBB26_188:                             ;   in Loop: Header=BB26_7 Depth=1
	s_or_b64 exec, exec, s[44:45]
	s_mov_b64 s[44:45], -1
                                        ; implicit-def: $sgpr48_sgpr49
                                        ; implicit-def: $sgpr46_sgpr47
	s_and_saveexec_b64 s[30:31], s[50:51]
	s_cbranch_execz .LBB26_227
; %bb.189:                              ;   in Loop: Header=BB26_7 Depth=1
	s_cmp_eq_u32 s94, 1
	s_cselect_b64 s[44:45], -1, 0
	v_cmp_eq_u32_e32 vcc, 1, v11
	s_and_b64 s[44:45], s[44:45], vcc
	s_mov_b64 s[52:53], -1
                                        ; implicit-def: $sgpr48_sgpr49
                                        ; implicit-def: $sgpr46_sgpr47
	s_and_saveexec_b64 s[50:51], s[44:45]
	s_cbranch_execz .LBB26_215
; %bb.190:                              ;   in Loop: Header=BB26_7 Depth=1
	ds_read_b32 v3, v19 offset:4096
	s_waitcnt lgkmcnt(0)
	s_barrier
	v_readfirstlane_b32 s33, v3
	s_and_saveexec_b64 s[46:47], s[4:5]
; %bb.191:                              ;   in Loop: Header=BB26_7 Depth=1
	ds_write_b64 v36, v[50:51]
; %bb.192:                              ;   in Loop: Header=BB26_7 Depth=1
	s_or_b64 exec, exec, s[46:47]
	v_or_b32_e32 v27, s3, v27
	v_or_b32_e32 v26, s2, v26
	;; [unrolled: 1-line block ×4, first 2 shown]
	s_mov_b64 s[46:47], -1
	s_mov_b64 s[48:49], 0
	s_cmp_gt_i32 s33, 0
	s_mov_b64 s[52:53], 0
	s_mov_b64 s[54:55], -1
	s_waitcnt lgkmcnt(0)
	s_barrier
                                        ; implicit-def: $vgpr6_vgpr7
	s_cbranch_scc1 .LBB26_203
; %bb.193:                              ;   in Loop: Header=BB26_7 Depth=1
	s_mov_b64 s[54:55], 0
                                        ; implicit-def: $vgpr6_vgpr7
	s_mov_b64 s[56:57], exec
	v_readlane_b32 s58, v60, 47
	v_readlane_b32 s59, v60, 48
	s_and_b64 s[58:59], s[56:57], s[58:59]
	s_mov_b64 exec, s[58:59]
	s_cbranch_execz .LBB26_202
; %bb.194:                              ;   in Loop: Header=BB26_7 Depth=1
	v_mov_b32_e32 v8, v16
	v_mov_b32_e32 v12, v0
                                        ; implicit-def: $sgpr58_sgpr59
	s_branch .LBB26_197
.LBB26_195:                             ;   in Loop: Header=BB26_197 Depth=2
	s_or_b64 exec, exec, s[72:73]
	s_waitcnt lgkmcnt(0)
	s_barrier
	ds_read_b128 v[4:7], v19 offset:3072
	s_mov_b64 s[72:73], -1
	s_mov_b64 s[76:77], -1
	s_waitcnt lgkmcnt(0)
	s_barrier
	v_cmp_ne_u64_e32 vcc, 0, v[4:5]
	s_cbranch_vccz .LBB26_200
.LBB26_196:                             ;   in Loop: Header=BB26_197 Depth=2
	s_and_b64 s[72:73], exec, s[72:73]
	s_or_b64 s[52:53], s[72:73], s[52:53]
	s_andn2_b64 s[58:59], s[58:59], exec
	s_and_b64 s[72:73], s[76:77], exec
	s_or_b64 s[58:59], s[58:59], s[72:73]
	s_andn2_b64 exec, exec, s[52:53]
	s_cbranch_execz .LBB26_201
.LBB26_197:                             ;   Parent Loop BB26_7 Depth=1
                                        ; =>  This Inner Loop Header: Depth=2
	v_cmp_gt_i32_e32 vcc, s68, v12
	s_and_saveexec_b64 s[72:73], vcc
	s_cbranch_execz .LBB26_195
; %bb.198:                              ;   in Loop: Header=BB26_197 Depth=2
	v_ashrrev_i32_e32 v9, 31, v8
	v_lshl_add_u64 v[4:5], v[8:9], 3, s[80:81]
	global_load_dwordx2 v[4:5], v[4:5], off
	s_waitcnt vmcnt(0)
	v_xor_b32_e32 v3, 0x80000000, v5
	v_and_b32_e32 v7, v3, v29
	v_and_b32_e32 v6, v4, v28
	v_cmp_eq_u64_e32 vcc, v[6:7], v[26:27]
	s_and_b64 exec, exec, vcc
	s_cbranch_execz .LBB26_195
; %bb.199:                              ;   in Loop: Header=BB26_197 Depth=2
	v_mov_b32_e32 v3, v19
	ds_write_b128 v19, v[2:5] offset:3072
	s_branch .LBB26_195
.LBB26_200:                             ;   in Loop: Header=BB26_197 Depth=2
	v_add_u32_e32 v12, s70, v12
	v_cmp_le_i32_e32 vcc, s91, v12
	v_add_u32_e32 v8, s98, v8
	s_mov_b64 s[76:77], 0
	s_orn2_b64 s[72:73], vcc, exec
	s_branch .LBB26_196
.LBB26_201:                             ;   in Loop: Header=BB26_7 Depth=1
	s_or_b64 exec, exec, s[52:53]
	s_and_b64 s[52:53], s[58:59], exec
.LBB26_202:                             ;   in Loop: Header=BB26_7 Depth=1
	s_or_b64 exec, exec, s[56:57]
.LBB26_203:                             ;   in Loop: Header=BB26_7 Depth=1
	s_and_b64 vcc, exec, s[54:55]
	s_cbranch_vccz .LBB26_214
; %bb.204:                              ;   in Loop: Header=BB26_7 Depth=1
	v_readlane_b32 s46, v60, 29
	s_add_i32 s72, s33, s46
	s_abs_i32 s47, s72
	v_readlane_b32 s48, v60, 46
	s_mul_hi_u32 s48, s47, s48
	s_mul_i32 s48, s48, s70
	s_sub_i32 s47, s47, s48
	s_ashr_i32 s46, s72, 31
	s_sub_i32 s48, s47, s70
	s_cmp_ge_u32 s47, s70
	s_cselect_b32 s47, s48, s47
	s_sub_i32 s48, s47, s70
	s_cmp_ge_u32 s47, s70
	s_cselect_b32 s47, s48, s47
	s_xor_b32 s47, s47, s46
	s_sub_i32 s46, s46, s47
	s_add_i32 s72, s72, s46
	v_cmp_gt_i32_e32 vcc, s72, v0
                                        ; implicit-def: $vgpr6_vgpr7
	s_and_saveexec_b64 s[46:47], vcc
	s_cbranch_execz .LBB26_213
; %bb.205:                              ;   in Loop: Header=BB26_7 Depth=1
	s_mov_b64 s[48:49], 0
	v_mov_b32_e32 v8, v35
	v_mov_b32_e32 v9, v0
                                        ; implicit-def: $sgpr54_sgpr55
	s_branch .LBB26_208
.LBB26_206:                             ;   in Loop: Header=BB26_208 Depth=2
	s_or_b64 exec, exec, s[56:57]
	s_waitcnt lgkmcnt(0)
	s_barrier
	ds_read_b128 v[4:7], v19 offset:3072
	s_mov_b64 s[56:57], -1
	s_mov_b64 s[58:59], -1
	s_waitcnt lgkmcnt(0)
	s_barrier
	v_cmp_eq_u64_e32 vcc, 0, v[4:5]
	s_cbranch_vccnz .LBB26_211
.LBB26_207:                             ;   in Loop: Header=BB26_208 Depth=2
	s_and_b64 s[56:57], exec, s[56:57]
	s_or_b64 s[48:49], s[56:57], s[48:49]
	s_andn2_b64 s[54:55], s[54:55], exec
	s_and_b64 s[56:57], s[58:59], exec
	s_or_b64 s[54:55], s[54:55], s[56:57]
	s_andn2_b64 exec, exec, s[48:49]
	s_cbranch_execz .LBB26_212
.LBB26_208:                             ;   Parent Loop BB26_7 Depth=1
                                        ; =>  This Inner Loop Header: Depth=2
	v_cmp_gt_i32_e32 vcc, s33, v9
	s_and_saveexec_b64 s[56:57], vcc
	s_cbranch_execz .LBB26_206
; %bb.209:                              ;   in Loop: Header=BB26_208 Depth=2
	ds_read_b64 v[4:5], v8
	s_waitcnt lgkmcnt(0)
	v_xor_b32_e32 v3, 0x80000000, v5
	v_and_b32_e32 v7, v3, v29
	v_and_b32_e32 v6, v4, v28
	v_cmp_eq_u64_e32 vcc, v[6:7], v[26:27]
	s_and_b64 exec, exec, vcc
	s_cbranch_execz .LBB26_206
; %bb.210:                              ;   in Loop: Header=BB26_208 Depth=2
	v_mov_b32_e32 v3, v19
	ds_write_b128 v19, v[2:5] offset:3072
	s_branch .LBB26_206
.LBB26_211:                             ;   in Loop: Header=BB26_208 Depth=2
	v_add_u32_e32 v9, s70, v9
	v_cmp_le_i32_e32 vcc, s72, v9
	v_add_u32_e32 v8, s16, v8
	s_mov_b64 s[58:59], 0
	s_orn2_b64 s[56:57], vcc, exec
	s_branch .LBB26_207
.LBB26_212:                             ;   in Loop: Header=BB26_7 Depth=1
	s_or_b64 exec, exec, s[48:49]
	s_andn2_b64 s[48:49], s[52:53], exec
	s_and_b64 s[52:53], s[54:55], exec
	s_or_b64 s[52:53], s[48:49], s[52:53]
.LBB26_213:                             ;   in Loop: Header=BB26_7 Depth=1
	s_or_b64 exec, exec, s[46:47]
	s_mov_b64 s[46:47], 0
	s_mov_b64 s[48:49], -1
.LBB26_214:                             ;   in Loop: Header=BB26_7 Depth=1
	s_orn2_b64 s[52:53], s[52:53], exec
.LBB26_215:                             ;   in Loop: Header=BB26_7 Depth=1
	s_or_b64 exec, exec, s[50:51]
	s_mov_b64 s[54:55], 0
	s_and_saveexec_b64 s[50:51], s[52:53]
	s_cbranch_execz .LBB26_226
; %bb.216:                              ;   in Loop: Header=BB26_7 Depth=1
	s_xor_b64 s[52:53], s[44:45], -1
	v_mov_b32_e32 v10, 1
	v_mov_b32_e32 v3, 1
	s_and_saveexec_b64 s[44:45], s[52:53]
	s_cbranch_execz .LBB26_225
; %bb.217:                              ;   in Loop: Header=BB26_7 Depth=1
	v_cmp_ge_i32_e32 vcc, s94, v11
	s_and_saveexec_b64 s[52:53], vcc
	s_xor_b64 s[52:53], exec, s[52:53]
	s_cbranch_execz .LBB26_222
; %bb.218:                              ;   in Loop: Header=BB26_7 Depth=1
	ds_read_b32 v3, v19 offset:4096
	v_or_b32_e32 v27, s3, v27
	v_or_b32_e32 v26, s2, v26
	;; [unrolled: 1-line block ×4, first 2 shown]
	s_waitcnt lgkmcnt(0)
	v_cmp_ne_u32_e32 vcc, 0, v3
	s_cbranch_vccnz .LBB26_222
; %bb.219:                              ;   in Loop: Header=BB26_7 Depth=1
	s_and_saveexec_b64 s[2:3], s[0:1]
; %bb.220:                              ;   in Loop: Header=BB26_7 Depth=1
	v_mov_b32_e32 v3, s94
	ds_write_b32 v19, v3 offset:4100
; %bb.221:                              ;   in Loop: Header=BB26_7 Depth=1
	s_or_b64 exec, exec, s[2:3]
	s_waitcnt lgkmcnt(0)
	s_barrier
.LBB26_222:                             ;   in Loop: Header=BB26_7 Depth=1
	s_andn2_saveexec_b64 s[2:3], s[52:53]
; %bb.223:                              ;   in Loop: Header=BB26_7 Depth=1
	v_subrev_u32_e32 v11, s94, v11
; %bb.224:                              ;   in Loop: Header=BB26_7 Depth=1
	s_or_b64 exec, exec, s[2:3]
	v_mov_b32_e32 v10, 8
	v_mov_b32_e32 v3, v11
.LBB26_225:                             ;   in Loop: Header=BB26_7 Depth=1
	s_or_b64 exec, exec, s[44:45]
	s_mov_b64 s[54:55], exec
	v_mov_b32_e32 v11, v3
.LBB26_226:                             ;   in Loop: Header=BB26_7 Depth=1
	s_or_b64 exec, exec, s[50:51]
	s_orn2_b64 s[44:45], s[54:55], exec
.LBB26_227:                             ;   in Loop: Header=BB26_7 Depth=1
	s_or_b64 exec, exec, s[30:31]
	s_andn2_b64 s[2:3], s[40:41], exec
	s_and_b64 s[30:31], s[48:49], exec
	s_or_b64 s[40:41], s[2:3], s[30:31]
	s_andn2_b64 s[2:3], s[38:39], exec
	s_and_b64 s[30:31], s[46:47], exec
	s_or_b64 s[38:39], s[2:3], s[30:31]
	s_and_b64 s[48:49], s[44:45], exec
	v_mov_b32_e32 v12, v11
.LBB26_228:                             ;   in Loop: Header=BB26_7 Depth=1
	s_or_b64 exec, exec, s[42:43]
	s_orn2_b64 s[42:43], s[48:49], exec
.LBB26_229:                             ;   in Loop: Header=BB26_7 Depth=1
	s_or_b64 exec, exec, s[36:37]
	s_andn2_b64 s[2:3], s[28:29], exec
	s_and_b64 s[28:29], s[40:41], exec
	s_or_b64 s[28:29], s[2:3], s[28:29]
	s_andn2_b64 s[2:3], s[26:27], exec
	s_and_b64 s[26:27], s[38:39], exec
	s_or_b64 s[26:27], s[2:3], s[26:27]
	s_and_b64 s[40:41], s[42:43], exec
	v_mov_b32_e32 v11, v12
.LBB26_230:                             ;   in Loop: Header=BB26_7 Depth=1
	s_or_b64 exec, exec, s[34:35]
	s_orn2_b64 s[34:35], s[40:41], exec
.LBB26_231:                             ;   in Loop: Header=BB26_7 Depth=1
	s_or_b64 exec, exec, s[24:25]
	s_mov_b64 s[24:25], 0
                                        ; implicit-def: $sgpr36
                                        ; implicit-def: $sgpr37
	s_and_saveexec_b64 s[2:3], s[34:35]
	s_xor_b64 s[2:3], exec, s[2:3]
	s_cbranch_execz .LBB26_5
; %bb.232:                              ;   in Loop: Header=BB26_7 Depth=1
	v_and_b32_e32 v3, 7, v10
	v_cmp_eq_u32_e32 vcc, 0, v3
	s_mov_b64 s[22:23], -1
	s_mov_b64 s[24:25], -1
                                        ; implicit-def: $sgpr36
                                        ; implicit-def: $sgpr37
	s_and_saveexec_b64 s[30:31], vcc
	s_cbranch_execz .LBB26_4
; %bb.233:                              ;   in Loop: Header=BB26_7 Depth=1
	s_xor_b32 s37, s69, 1
	s_add_i32 s36, s17, -2
	s_cmp_eq_u32 s17, 0
	s_cselect_b64 s[22:23], -1, 0
	s_xor_b64 s[24:25], exec, -1
	s_orn2_b64 s[22:23], s[22:23], exec
	s_branch .LBB26_4
.LBB26_234:
	s_or_b64 exec, exec, s[74:75]
	s_xor_b64 s[8:9], s[62:63], -1
	s_xor_b64 s[2:3], s[78:79], -1
	;; [unrolled: 1-line block ×3, first 2 shown]
	s_mov_b64 s[4:5], 0
	s_and_saveexec_b64 s[10:11], s[2:3]
	s_xor_b64 s[2:3], exec, s[10:11]
	s_cbranch_execnz .LBB26_239
; %bb.235:
	s_andn2_saveexec_b64 s[0:1], s[2:3]
	s_cbranch_execnz .LBB26_259
.LBB26_236:
	s_or_b64 exec, exec, s[0:1]
	s_and_saveexec_b64 s[0:1], s[4:5]
.LBB26_237:
	; divergent unreachable
.LBB26_238:
	s_endpgm
.LBB26_239:
	s_and_saveexec_b64 s[4:5], s[8:9]
	s_xor_b64 s[4:5], exec, s[4:5]
	s_cbranch_execz .LBB26_257
; %bb.240:
	s_and_saveexec_b64 s[8:9], s[6:7]
	s_xor_b64 s[6:7], exec, s[8:9]
; %bb.241:
	v_xor_b32_e32 v27, 0x80000000, v27
	v_mov_b64_e32 v[6:7], v[26:27]
; %bb.242:
	s_or_b64 exec, exec, s[6:7]
	s_and_saveexec_b64 s[6:7], s[0:1]
	v_readlane_b32 s22, v60, 20
	v_readlane_b32 s24, v60, 25
	;; [unrolled: 1-line block ×7, first 2 shown]
; %bb.243:
	v_mov_b32_e32 v1, 0
	v_mov_b32_e32 v2, s68
	ds_write_b32 v1, v2 offset:4108
; %bb.244:
	s_or_b64 exec, exec, s[6:7]
	v_mov_b32_e32 v1, 0
	s_waitcnt lgkmcnt(0)
	s_barrier
	ds_read_b32 v1, v1 offset:4108
	s_waitcnt lgkmcnt(0)
	v_min_i32_e32 v2, s68, v1
	v_cmp_lt_i32_e32 vcc, v0, v2
	s_and_saveexec_b64 s[6:7], vcc
	s_cbranch_execz .LBB26_254
; %bb.245:
	s_mov_b64 s[8:9], 0
                                        ; implicit-def: $sgpr10_sgpr11
                                        ; implicit-def: $sgpr14_sgpr15
                                        ; implicit-def: $sgpr12_sgpr13
	s_branch .LBB26_247
.LBB26_246:                             ;   in Loop: Header=BB26_247 Depth=1
	s_or_b64 exec, exec, s[16:17]
	s_and_b64 s[16:17], exec, s[14:15]
	s_or_b64 s[8:9], s[16:17], s[8:9]
	s_andn2_b64 s[10:11], s[10:11], exec
	s_and_b64 s[16:17], s[12:13], exec
	s_or_b64 s[10:11], s[10:11], s[16:17]
	s_andn2_b64 exec, exec, s[8:9]
	s_cbranch_execz .LBB26_249
.LBB26_247:                             ; =>This Inner Loop Header: Depth=1
	v_ashrrev_i32_e32 v17, 31, v16
	s_waitcnt vmcnt(0)
	v_lshl_add_u64 v[4:5], v[16:17], 3, s[80:81]
	global_load_dwordx2 v[4:5], v[4:5], off
	v_mov_b32_e32 v1, v0
	s_or_b64 s[12:13], s[12:13], exec
	s_or_b64 s[14:15], s[14:15], exec
                                        ; implicit-def: $vgpr0
	s_waitcnt vmcnt(0)
	v_cmp_ne_u64_e32 vcc, v[4:5], v[6:7]
	s_and_saveexec_b64 s[16:17], vcc
	s_cbranch_execz .LBB26_246
; %bb.248:                              ;   in Loop: Header=BB26_247 Depth=1
	v_add_u32_e32 v0, s70, v1
	v_cmp_ge_i32_e32 vcc, v0, v2
	s_andn2_b64 s[14:15], s[14:15], exec
	s_and_b64 s[18:19], vcc, exec
	v_add_u32_e32 v16, s98, v16
	s_andn2_b64 s[12:13], s[12:13], exec
	s_or_b64 s[14:15], s[14:15], s[18:19]
	s_branch .LBB26_246
.LBB26_249:
	s_or_b64 exec, exec, s[8:9]
	s_and_saveexec_b64 s[8:9], s[10:11]
	s_xor_b64 s[8:9], exec, s[8:9]
	s_cbranch_execz .LBB26_254
; %bb.250:
	s_mov_b64 s[8:9], exec
	s_brev_b32 s10, -2
.LBB26_251:                             ; =>This Inner Loop Header: Depth=1
	s_ff1_i32_b64 s11, s[8:9]
	v_readlane_b32 s14, v1, s11
	s_lshl_b64 s[12:13], 1, s11
	s_min_i32 s10, s10, s14
	s_andn2_b64 s[8:9], s[8:9], s[12:13]
	s_cmp_lg_u64 s[8:9], 0
	s_cbranch_scc1 .LBB26_251
; %bb.252:
	v_mbcnt_lo_u32_b32 v0, exec_lo, 0
	v_mbcnt_hi_u32_b32 v0, exec_hi, v0
	v_cmp_eq_u32_e32 vcc, 0, v0
	s_and_saveexec_b64 s[8:9], vcc
	s_xor_b64 s[8:9], exec, s[8:9]
; %bb.253:
	v_mov_b32_e32 v0, 0
	v_mov_b32_e32 v1, s10
	ds_min_i32 v0, v1 offset:4108
.LBB26_254:
	s_or_b64 exec, exec, s[6:7]
	s_waitcnt lgkmcnt(0)
	s_barrier
	s_and_saveexec_b64 s[6:7], s[0:1]
	s_cbranch_execz .LBB26_256
; %bb.255:
	v_readlane_b32 s8, v60, 0
	s_mul_i32 s0, s21, s23
	v_readlane_b32 s10, v60, 2
	s_sub_i32 s0, s20, s0
	v_readlane_b32 s9, v60, 1
	v_readlane_b32 s11, v60, 3
	s_mov_b32 s14, s10
	s_mov_b64 s[12:13], s[8:9]
	s_mul_i32 s0, s0, s14
	v_readlane_b32 s1, v60, 19
	v_readlane_b32 s8, v60, 22
	;; [unrolled: 1-line block ×4, first 2 shown]
	s_xor_b32 s1, s1, s8
	s_mul_i32 s8, s14, s11
	v_readlane_b32 s9, v60, 13
	s_sub_i32 s8, s9, s8
	s_add_i32 s9, s14, 1
	s_sub_i32 s10, s8, s11
	s_cmp_ge_u32 s8, s11
	s_cselect_b32 s9, s9, s14
	s_cselect_b32 s8, s10, s8
	s_add_i32 s10, s9, 1
	s_cmp_ge_u32 s8, s11
	s_cselect_b32 s8, s10, s9
	s_xor_b32 s8, s8, s1
	s_sub_i32 s1, s8, s1
	s_mul_i32 s8, s1, s22
	s_sub_i32 s8, s21, s8
	s_mul_i32 s8, s8, s13
	s_add_i32 s0, s8, s0
	s_mul_i32 s1, s1, s12
	v_readlane_b32 s8, v60, 4
	s_add_i32 s0, s0, s1
	s_mul_i32 s1, s26, s25
	v_readlane_b32 s10, v60, 6
	s_sub_i32 s1, s20, s1
	v_readlane_b32 s9, v60, 5
	s_mov_b32 s14, s10
	s_mov_b64 s[12:13], s[8:9]
	s_mul_i32 s1, s1, s14
	v_readlane_b32 s8, v60, 24
	v_readlane_b32 s9, v60, 27
	;; [unrolled: 1-line block ×4, first 2 shown]
	s_xor_b32 s8, s8, s9
	s_mul_i32 s9, s15, s14
	v_readlane_b32 s10, v60, 16
	v_readlane_b32 s11, v60, 7
	s_sub_i32 s9, s10, s9
	s_add_i32 s10, s15, 1
	s_sub_i32 s11, s9, s14
	s_cmp_ge_u32 s9, s14
	s_cselect_b32 s10, s10, s15
	s_cselect_b32 s9, s11, s9
	s_add_i32 s11, s10, 1
	s_cmp_ge_u32 s9, s14
	s_cselect_b32 s9, s11, s10
	s_xor_b32 s9, s9, s8
	s_sub_i32 s8, s9, s8
	s_mul_i32 s9, s8, s24
	s_sub_i32 s9, s26, s9
	s_mul_i32 s9, s9, s13
	s_add_i32 s1, s9, s1
	s_mul_i32 s8, s8, s12
	s_add_i32 s8, s1, s8
	s_ashr_i32 s1, s0, 31
	v_mov_b32_e32 v2, 0
	s_lshl_b64 s[0:1], s[0:1], 3
	v_readlane_b32 s10, v60, 11
	ds_read_b32 v0, v2 offset:4108
	v_readlane_b32 s11, v60, 12
	s_add_u32 s0, s10, s0
	s_addc_u32 s1, s11, s1
	s_ashr_i32 s9, s8, 31
	s_lshl_b64 s[8:9], s[8:9], 3
	v_readlane_b32 s10, v60, 8
	v_readlane_b32 s11, v60, 9
	s_add_u32 s8, s10, s8
	s_addc_u32 s9, s11, s9
	s_waitcnt lgkmcnt(0)
	v_ashrrev_i32_e32 v1, 31, v0
	global_store_dwordx2 v2, v[0:1], s[8:9]
	global_store_dwordx2 v2, v[6:7], s[0:1]
.LBB26_256:
	s_or_b64 exec, exec, s[6:7]
.LBB26_257:
	s_or_saveexec_b64 s[0:1], s[4:5]
	s_mov_b64 s[4:5], 0
	s_xor_b64 exec, exec, s[0:1]
	s_cbranch_execnz .LBB26_260
.LBB26_258:
	s_or_b64 exec, exec, s[0:1]
	s_and_b64 s[4:5], s[4:5], exec
	s_andn2_saveexec_b64 s[0:1], s[2:3]
	s_cbranch_execz .LBB26_236
.LBB26_259:
	s_or_b64 s[4:5], s[4:5], exec
	s_trap 2
	s_or_b64 exec, exec, s[0:1]
	s_and_saveexec_b64 s[0:1], s[4:5]
	s_cbranch_execnz .LBB26_237
	s_branch .LBB26_238
.LBB26_260:
	s_mov_b64 s[4:5], exec
	s_trap 2
	s_branch .LBB26_258
	.section	.rodata,"a",@progbits
	.p2align	6, 0x0
	.amdhsa_kernel _ZN2at6native12_GLOBAL__N_114gatherKthValueIliLi3EEEvNS_4cuda6detail10TensorInfoIKT_T0_EES8_S8_S8_S8_NS5_IS6_S8_EENS5_IlS8_EE
		.amdhsa_group_segment_fixed_size 4112
		.amdhsa_private_segment_fixed_size 0
		.amdhsa_kernarg_size 920
		.amdhsa_user_sgpr_count 2
		.amdhsa_user_sgpr_dispatch_ptr 0
		.amdhsa_user_sgpr_queue_ptr 0
		.amdhsa_user_sgpr_kernarg_segment_ptr 1
		.amdhsa_user_sgpr_dispatch_id 0
		.amdhsa_user_sgpr_kernarg_preload_length 0
		.amdhsa_user_sgpr_kernarg_preload_offset 0
		.amdhsa_user_sgpr_private_segment_size 0
		.amdhsa_uses_dynamic_stack 0
		.amdhsa_enable_private_segment 0
		.amdhsa_system_sgpr_workgroup_id_x 1
		.amdhsa_system_sgpr_workgroup_id_y 1
		.amdhsa_system_sgpr_workgroup_id_z 1
		.amdhsa_system_sgpr_workgroup_info 0
		.amdhsa_system_vgpr_workitem_id 0
		.amdhsa_next_free_vgpr 61
		.amdhsa_next_free_sgpr 100
		.amdhsa_accum_offset 64
		.amdhsa_reserve_vcc 1
		.amdhsa_float_round_mode_32 0
		.amdhsa_float_round_mode_16_64 0
		.amdhsa_float_denorm_mode_32 3
		.amdhsa_float_denorm_mode_16_64 3
		.amdhsa_dx10_clamp 1
		.amdhsa_ieee_mode 1
		.amdhsa_fp16_overflow 0
		.amdhsa_tg_split 0
		.amdhsa_exception_fp_ieee_invalid_op 0
		.amdhsa_exception_fp_denorm_src 0
		.amdhsa_exception_fp_ieee_div_zero 0
		.amdhsa_exception_fp_ieee_overflow 0
		.amdhsa_exception_fp_ieee_underflow 0
		.amdhsa_exception_fp_ieee_inexact 0
		.amdhsa_exception_int_div_zero 0
	.end_amdhsa_kernel
	.section	.text._ZN2at6native12_GLOBAL__N_114gatherKthValueIliLi3EEEvNS_4cuda6detail10TensorInfoIKT_T0_EES8_S8_S8_S8_NS5_IS6_S8_EENS5_IlS8_EE,"axG",@progbits,_ZN2at6native12_GLOBAL__N_114gatherKthValueIliLi3EEEvNS_4cuda6detail10TensorInfoIKT_T0_EES8_S8_S8_S8_NS5_IS6_S8_EENS5_IlS8_EE,comdat
.Lfunc_end26:
	.size	_ZN2at6native12_GLOBAL__N_114gatherKthValueIliLi3EEEvNS_4cuda6detail10TensorInfoIKT_T0_EES8_S8_S8_S8_NS5_IS6_S8_EENS5_IlS8_EE, .Lfunc_end26-_ZN2at6native12_GLOBAL__N_114gatherKthValueIliLi3EEEvNS_4cuda6detail10TensorInfoIKT_T0_EES8_S8_S8_S8_NS5_IS6_S8_EENS5_IlS8_EE
                                        ; -- End function
	.set _ZN2at6native12_GLOBAL__N_114gatherKthValueIliLi3EEEvNS_4cuda6detail10TensorInfoIKT_T0_EES8_S8_S8_S8_NS5_IS6_S8_EENS5_IlS8_EE.num_vgpr, 61
	.set _ZN2at6native12_GLOBAL__N_114gatherKthValueIliLi3EEEvNS_4cuda6detail10TensorInfoIKT_T0_EES8_S8_S8_S8_NS5_IS6_S8_EENS5_IlS8_EE.num_agpr, 0
	.set _ZN2at6native12_GLOBAL__N_114gatherKthValueIliLi3EEEvNS_4cuda6detail10TensorInfoIKT_T0_EES8_S8_S8_S8_NS5_IS6_S8_EENS5_IlS8_EE.numbered_sgpr, 100
	.set _ZN2at6native12_GLOBAL__N_114gatherKthValueIliLi3EEEvNS_4cuda6detail10TensorInfoIKT_T0_EES8_S8_S8_S8_NS5_IS6_S8_EENS5_IlS8_EE.num_named_barrier, 0
	.set _ZN2at6native12_GLOBAL__N_114gatherKthValueIliLi3EEEvNS_4cuda6detail10TensorInfoIKT_T0_EES8_S8_S8_S8_NS5_IS6_S8_EENS5_IlS8_EE.private_seg_size, 0
	.set _ZN2at6native12_GLOBAL__N_114gatherKthValueIliLi3EEEvNS_4cuda6detail10TensorInfoIKT_T0_EES8_S8_S8_S8_NS5_IS6_S8_EENS5_IlS8_EE.uses_vcc, 1
	.set _ZN2at6native12_GLOBAL__N_114gatherKthValueIliLi3EEEvNS_4cuda6detail10TensorInfoIKT_T0_EES8_S8_S8_S8_NS5_IS6_S8_EENS5_IlS8_EE.uses_flat_scratch, 0
	.set _ZN2at6native12_GLOBAL__N_114gatherKthValueIliLi3EEEvNS_4cuda6detail10TensorInfoIKT_T0_EES8_S8_S8_S8_NS5_IS6_S8_EENS5_IlS8_EE.has_dyn_sized_stack, 0
	.set _ZN2at6native12_GLOBAL__N_114gatherKthValueIliLi3EEEvNS_4cuda6detail10TensorInfoIKT_T0_EES8_S8_S8_S8_NS5_IS6_S8_EENS5_IlS8_EE.has_recursion, 0
	.set _ZN2at6native12_GLOBAL__N_114gatherKthValueIliLi3EEEvNS_4cuda6detail10TensorInfoIKT_T0_EES8_S8_S8_S8_NS5_IS6_S8_EENS5_IlS8_EE.has_indirect_call, 0
	.section	.AMDGPU.csdata,"",@progbits
; Kernel info:
; codeLenInByte = 10416
; TotalNumSgprs: 106
; NumVgprs: 61
; NumAgprs: 0
; TotalNumVgprs: 61
; ScratchSize: 0
; MemoryBound: 0
; FloatMode: 240
; IeeeMode: 1
; LDSByteSize: 4112 bytes/workgroup (compile time only)
; SGPRBlocks: 13
; VGPRBlocks: 7
; NumSGPRsForWavesPerEU: 106
; NumVGPRsForWavesPerEU: 61
; AccumOffset: 64
; Occupancy: 7
; WaveLimiterHint : 1
; COMPUTE_PGM_RSRC2:SCRATCH_EN: 0
; COMPUTE_PGM_RSRC2:USER_SGPR: 2
; COMPUTE_PGM_RSRC2:TRAP_HANDLER: 0
; COMPUTE_PGM_RSRC2:TGID_X_EN: 1
; COMPUTE_PGM_RSRC2:TGID_Y_EN: 1
; COMPUTE_PGM_RSRC2:TGID_Z_EN: 1
; COMPUTE_PGM_RSRC2:TIDIG_COMP_CNT: 0
; COMPUTE_PGM_RSRC3_GFX90A:ACCUM_OFFSET: 15
; COMPUTE_PGM_RSRC3_GFX90A:TG_SPLIT: 0
	.section	.text._ZN2at6native12_GLOBAL__N_114gatherKthValueIliLin1EEEvNS_4cuda6detail10TensorInfoIKT_T0_EES8_S8_S8_S8_NS5_IS6_S8_EENS5_IlS8_EE,"axG",@progbits,_ZN2at6native12_GLOBAL__N_114gatherKthValueIliLin1EEEvNS_4cuda6detail10TensorInfoIKT_T0_EES8_S8_S8_S8_NS5_IS6_S8_EENS5_IlS8_EE,comdat
	.globl	_ZN2at6native12_GLOBAL__N_114gatherKthValueIliLin1EEEvNS_4cuda6detail10TensorInfoIKT_T0_EES8_S8_S8_S8_NS5_IS6_S8_EENS5_IlS8_EE ; -- Begin function _ZN2at6native12_GLOBAL__N_114gatherKthValueIliLin1EEEvNS_4cuda6detail10TensorInfoIKT_T0_EES8_S8_S8_S8_NS5_IS6_S8_EENS5_IlS8_EE
	.p2align	8
	.type	_ZN2at6native12_GLOBAL__N_114gatherKthValueIliLin1EEEvNS_4cuda6detail10TensorInfoIKT_T0_EES8_S8_S8_S8_NS5_IS6_S8_EENS5_IlS8_EE,@function
_ZN2at6native12_GLOBAL__N_114gatherKthValueIliLin1EEEvNS_4cuda6detail10TensorInfoIKT_T0_EES8_S8_S8_S8_NS5_IS6_S8_EENS5_IlS8_EE: ; @_ZN2at6native12_GLOBAL__N_114gatherKthValueIliLin1EEEvNS_4cuda6detail10TensorInfoIKT_T0_EES8_S8_S8_S8_NS5_IS6_S8_EENS5_IlS8_EE
; %bb.0:
	s_load_dwordx2 s[12:13], s[0:1], 0x298
	s_load_dwordx4 s[60:63], s[0:1], 0xd8
	s_add_u32 s10, s0, 0x298
	s_addc_u32 s11, s1, 0
	s_waitcnt lgkmcnt(0)
	s_mul_i32 s4, s13, s4
	s_add_i32 s3, s4, s3
	s_mul_i32 s3, s3, s12
	s_add_i32 s33, s3, s2
	s_cmp_ge_i32 s33, s62
	s_cbranch_scc1 .LBB27_247
; %bb.1:
	s_load_dword s4, s[0:1], 0xd0
	s_mov_b32 s5, 0
	s_mov_b32 s3, s33
	s_waitcnt lgkmcnt(0)
	s_cmp_lt_i32 s4, 2
	s_cbranch_scc1 .LBB27_4
; %bb.2:
	s_add_i32 s8, s4, 1
	s_add_i32 s4, s4, -1
	s_lshl_b64 s[6:7], s[4:5], 2
	s_add_u32 s3, s0, s6
	s_addc_u32 s4, s1, s7
	s_add_u32 s6, s3, 8
	s_addc_u32 s7, s4, 0
	s_mov_b32 s3, s33
.LBB27_3:                               ; =>This Inner Loop Header: Depth=1
	s_load_dword s4, s[6:7], 0x0
	s_load_dword s13, s[6:7], 0x64
	s_mov_b32 s9, s3
	s_abs_i32 s3, s3
	s_waitcnt lgkmcnt(0)
	s_abs_i32 s15, s4
	v_cvt_f32_u32_e32 v1, s15
	s_sub_i32 s16, 0, s15
	s_xor_b32 s14, s9, s4
	s_ashr_i32 s14, s14, 31
	v_rcp_iflag_f32_e32 v1, v1
	s_nop 0
	v_mul_f32_e32 v1, 0x4f7ffffe, v1
	v_cvt_u32_f32_e32 v1, v1
	s_nop 0
	v_readfirstlane_b32 s17, v1
	s_mul_i32 s16, s16, s17
	s_mul_hi_u32 s16, s17, s16
	s_add_i32 s17, s17, s16
	s_mul_hi_u32 s16, s3, s17
	s_mul_i32 s17, s16, s15
	s_sub_i32 s3, s3, s17
	s_add_i32 s18, s16, 1
	s_sub_i32 s17, s3, s15
	s_cmp_ge_u32 s3, s15
	s_cselect_b32 s16, s18, s16
	s_cselect_b32 s3, s17, s3
	s_add_i32 s17, s16, 1
	s_cmp_ge_u32 s3, s15
	s_cselect_b32 s3, s17, s16
	s_xor_b32 s3, s3, s14
	s_sub_i32 s3, s3, s14
	s_mul_i32 s4, s3, s4
	s_sub_i32 s4, s9, s4
	s_mul_i32 s4, s13, s4
	s_add_i32 s8, s8, -1
	s_add_i32 s5, s4, s5
	s_add_u32 s6, s6, -4
	s_addc_u32 s7, s7, -1
	s_cmp_gt_u32 s8, 2
	s_cbranch_scc1 .LBB27_3
.LBB27_4:
	s_load_dword s8, s[0:1], 0x1b8
	s_add_u32 s6, s0, 0xe8
	s_addc_u32 s7, s1, 0
	s_mov_b32 s65, 0
	s_mov_b32 s62, s33
	s_waitcnt lgkmcnt(0)
	s_cmp_lt_i32 s8, 2
	s_cbranch_scc1 .LBB27_7
; %bb.5:
	s_add_i32 s64, s8, -1
	s_add_i32 s4, s8, 1
	s_lshl_b64 s[8:9], s[64:65], 2
	s_add_u32 s8, s6, s8
	s_addc_u32 s9, s7, s9
	s_add_u32 s8, s8, 8
	s_addc_u32 s9, s9, 0
	s_mov_b32 s62, s33
.LBB27_6:                               ; =>This Inner Loop Header: Depth=1
	s_load_dword s13, s[8:9], 0x0
	s_load_dword s15, s[8:9], 0x64
	s_abs_i32 s16, s62
	s_mov_b32 s14, s62
	s_waitcnt lgkmcnt(0)
	s_abs_i32 s18, s13
	v_cvt_f32_u32_e32 v1, s18
	s_sub_i32 s19, 0, s18
	s_xor_b32 s17, s62, s13
	s_ashr_i32 s17, s17, 31
	v_rcp_iflag_f32_e32 v1, v1
	s_nop 0
	v_mul_f32_e32 v1, 0x4f7ffffe, v1
	v_cvt_u32_f32_e32 v1, v1
	s_nop 0
	v_readfirstlane_b32 s20, v1
	s_mul_i32 s19, s19, s20
	s_mul_hi_u32 s19, s20, s19
	s_add_i32 s20, s20, s19
	s_mul_hi_u32 s19, s16, s20
	s_mul_i32 s20, s19, s18
	s_sub_i32 s16, s16, s20
	s_add_i32 s21, s19, 1
	s_sub_i32 s20, s16, s18
	s_cmp_ge_u32 s16, s18
	s_cselect_b32 s19, s21, s19
	s_cselect_b32 s16, s20, s16
	s_add_i32 s20, s19, 1
	s_cmp_ge_u32 s16, s18
	s_cselect_b32 s16, s20, s19
	s_xor_b32 s16, s16, s17
	s_sub_i32 s62, s16, s17
	s_mul_i32 s13, s62, s13
	s_sub_i32 s13, s14, s13
	s_mul_i32 s13, s15, s13
	s_add_i32 s4, s4, -1
	s_add_i32 s65, s13, s65
	s_add_u32 s8, s8, -4
	s_addc_u32 s9, s9, -1
	s_cmp_gt_u32 s4, 2
	s_cbranch_scc1 .LBB27_6
.LBB27_7:
	s_load_dword s4, s[0:1], 0x6c
	s_load_dword s14, s[0:1], 0x290
	s_add_u32 s8, s0, 0x1c0
	s_addc_u32 s9, s1, 0
	s_mov_b32 s67, 0
	s_waitcnt lgkmcnt(0)
	s_cmp_lt_i32 s14, 2
	s_cbranch_scc1 .LBB27_10
; %bb.8:
	s_add_i32 s66, s14, -1
	s_add_i32 s13, s14, 1
	s_lshl_b64 s[14:15], s[66:67], 2
	s_add_u32 s8, s8, s14
	s_addc_u32 s9, s9, s15
	s_add_u32 s8, s8, 8
	s_addc_u32 s9, s9, 0
.LBB27_9:                               ; =>This Inner Loop Header: Depth=1
	s_load_dword s14, s[8:9], 0x0
	s_load_dword s16, s[8:9], 0x64
	s_abs_i32 s17, s33
	s_mov_b32 s15, s33
	s_waitcnt lgkmcnt(0)
	s_abs_i32 s19, s14
	v_cvt_f32_u32_e32 v1, s19
	s_sub_i32 s20, 0, s19
	s_xor_b32 s18, s33, s14
	s_ashr_i32 s18, s18, 31
	v_rcp_iflag_f32_e32 v1, v1
	s_nop 0
	v_mul_f32_e32 v1, 0x4f7ffffe, v1
	v_cvt_u32_f32_e32 v1, v1
	s_nop 0
	v_readfirstlane_b32 s21, v1
	s_mul_i32 s20, s20, s21
	s_mul_hi_u32 s20, s21, s20
	s_add_i32 s21, s21, s20
	s_mul_hi_u32 s20, s17, s21
	s_mul_i32 s21, s20, s19
	s_sub_i32 s17, s17, s21
	s_add_i32 s22, s20, 1
	s_sub_i32 s21, s17, s19
	s_cmp_ge_u32 s17, s19
	s_cselect_b32 s20, s22, s20
	s_cselect_b32 s17, s21, s17
	s_add_i32 s21, s20, 1
	s_cmp_ge_u32 s17, s19
	s_cselect_b32 s17, s21, s20
	s_xor_b32 s17, s17, s18
	s_sub_i32 s33, s17, s18
	s_mul_i32 s14, s33, s14
	s_sub_i32 s14, s15, s14
	s_mul_i32 s14, s16, s14
	s_add_i32 s13, s13, -1
	s_add_i32 s67, s14, s67
	s_add_u32 s8, s8, -4
	s_addc_u32 s9, s9, -1
	s_cmp_gt_u32 s13, 2
	s_cbranch_scc1 .LBB27_9
.LBB27_10:
	s_load_dword s6, s[6:7], 0x6c
                                        ; implicit-def: $vgpr60 : SGPR spill to VGPR lane
	v_cmp_eq_u32_e64 s[14:15], 0, v0
	s_waitcnt lgkmcnt(0)
	v_writelane_b32 v60, s6, 0
	s_load_dwordx2 s[6:7], s[0:1], 0x0
	s_load_dwordx2 s[8:9], s[0:1], 0xe8
	s_waitcnt lgkmcnt(0)
	v_writelane_b32 v60, s8, 1
	s_nop 1
	v_writelane_b32 v60, s9, 2
	s_load_dwordx2 s[8:9], s[0:1], 0x1c0
	s_waitcnt lgkmcnt(0)
	v_writelane_b32 v60, s8, 3
	s_nop 1
	v_writelane_b32 v60, s9, 4
	s_mov_b64 s[8:9], exec
	v_writelane_b32 v60, s14, 5
	s_nop 1
	v_writelane_b32 v60, s15, 6
	s_and_b64 s[14:15], s[8:9], s[14:15]
	s_mov_b64 exec, s[14:15]
; %bb.11:
	v_mov_b32_e32 v2, 0
	v_mov_b32_e32 v3, s60
	;; [unrolled: 1-line block ×3, first 2 shown]
	ds_write_b96 v2, v[2:4] offset:4096
; %bb.12:
	s_or_b64 exec, exec, s[8:9]
	s_load_dword s0, s[0:1], 0x22c
	s_waitcnt lgkmcnt(0)
	s_barrier
	v_mbcnt_lo_u32_b32 v1, -1, 0
	v_writelane_b32 v60, s0, 7
	s_mul_i32 s0, s4, s3
	s_load_dword s3, s[10:11], 0xc
	s_add_i32 s0, s0, s5
	s_ashr_i32 s1, s0, 31
	s_lshl_b64 s[0:1], s[0:1], 3
	s_add_u32 s72, s6, s0
	s_addc_u32 s73, s7, s1
	s_waitcnt lgkmcnt(0)
	s_and_b32 s64, s3, 0xffff
	v_mbcnt_hi_u32_b32 v34, -1, v1
	v_cmp_gt_u32_e32 vcc, 64, v0
	v_cmp_gt_i32_e64 s[4:5], 4, v34
	s_add_i32 s6, s64, -1
	s_lshl_b32 s82, s64, 2
	s_and_b64 s[76:77], vcc, s[4:5]
	s_add_i32 s17, s6, s60
	v_writelane_b32 v60, s6, 8
	s_cmpk_gt_i32 s60, 0x180
	v_cmp_gt_u32_e64 s[6:7], s60, v0
	s_cselect_b64 s[78:79], -1, 0
	s_cmp_gt_u32 s64, 63
	v_writelane_b32 v60, s6, 9
	s_cselect_b64 s[80:81], -1, 0
	s_cmp_lt_u32 s2, s12
	v_writelane_b32 v60, s7, 10
	v_cmp_gt_i32_e64 s[6:7], s60, v0
	s_cselect_b32 s2, 12, 18
	v_lshlrev_b64 v[2:3], v34, -1
	v_writelane_b32 v60, s6, 11
	v_not_b32_e32 v22, v2
	v_lshrrev_b32_e32 v2, 2, v0
	v_writelane_b32 v60, s7, 12
	s_add_u32 s6, s10, s2
	s_addc_u32 s7, s11, 0
	v_writelane_b32 v60, s6, 13
	v_and_b32_e32 v2, 0xf0, v2
	v_or_b32_e32 v37, 0xc00, v2
	v_writelane_b32 v60, s7, 14
	s_bfe_u32 s6, s3, 0xa0006
	s_add_i32 s2, s6, -2
	s_lshr_b32 s3, s2, 1
	s_add_i32 s3, s3, 1
	s_cmpk_gt_u32 s64, 0x7f
	s_cselect_b64 s[8:9], -1, 0
	v_writelane_b32 v60, s8, 15
	v_cvt_f32_u32_e32 v2, s82
	s_and_b32 s7, s6, 0x3fe
	v_writelane_b32 v60, s9, 16
	s_and_b32 s8, s3, 7
	s_cmp_gt_u32 s2, 13
	s_cselect_b64 s[10:11], -1, 0
	v_writelane_b32 v60, s10, 17
	v_rcp_iflag_f32_e32 v2, v2
	s_and_b32 s2, s3, -8
	v_writelane_b32 v60, s11, 18
	v_writelane_b32 v60, s2, 19
	s_cmp_lg_u32 s8, 0
	v_writelane_b32 v60, s8, 20
	s_cselect_b64 s[2:3], -1, 0
	v_writelane_b32 v60, s2, 21
	v_mul_f32_e32 v2, 0x4f7ffffe, v2
	v_cvt_u32_f32_e32 v2, v2
	v_writelane_b32 v60, s3, 22
	v_writelane_b32 v60, s6, 23
	s_cmp_lg_u32 s7, s6
	v_writelane_b32 v60, s7, 24
	s_cselect_b64 s[2:3], -1, 0
	v_writelane_b32 v60, s2, 25
	v_not_b32_e32 v1, v3
	v_cvt_f32_u32_e32 v3, s64
	v_writelane_b32 v60, s3, 26
	s_sub_i32 s2, 0, s82
	v_readfirstlane_b32 s3, v2
	s_mul_i32 s2, s2, s3
	s_mul_hi_u32 s2, s3, s2
	s_add_i32 s84, s3, s2
	s_mul_hi_u32 s2, s60, s84
	s_mul_i32 s2, s2, s82
	s_sub_i32 s2, s60, s2
	s_sub_i32 s3, s2, s82
	s_cmp_ge_u32 s2, s82
	s_cselect_b32 s2, s3, s2
	s_sub_i32 s3, s2, s82
	s_cmp_ge_u32 s2, s82
	s_cselect_b32 s2, s3, s2
	s_sub_i32 s85, s60, s2
	v_rcp_iflag_f32_e32 v5, v3
	v_add_u32_e32 v38, s85, v0
	v_mul_lo_u32 v2, v38, s63
	v_ashrrev_i32_e32 v3, 31, v2
	v_lshl_add_u64 v[24:25], v[2:3], 3, s[72:73]
	v_mul_f32_e32 v2, 0x4f7ffffe, v5
	v_cvt_u32_f32_e32 v2, v2
	s_sub_i32 s7, 0, s64
	s_abs_i32 s6, s17
	s_ashr_i32 s3, s17, 31
	v_readfirstlane_b32 s8, v2
	s_mul_i32 s7, s7, s8
	s_mul_hi_u32 s7, s8, s7
	s_add_i32 s7, s8, s7
	v_writelane_b32 v60, s7, 27
	s_mul_hi_u32 s7, s6, s7
	s_mul_i32 s7, s7, s64
	s_sub_i32 s6, s6, s7
	s_sub_i32 s7, s6, s64
	s_cmp_ge_u32 s6, s64
	s_cselect_b32 s6, s7, s6
	s_sub_i32 s7, s6, s64
	s_cmp_ge_u32 s6, s64
	s_cselect_b32 s6, s7, s6
	v_lshlrev_b32_e32 v23, 2, v0
	s_xor_b32 s6, s6, s3
	s_sub_i32 s3, s3, s6
	v_mul_lo_u32 v2, s63, v23
	s_add_i32 s17, s17, s3
	v_add_u32_e32 v39, s63, v2
	v_or_b32_e32 v2, 2, v23
	v_cmp_gt_i32_e64 s[6:7], s17, v0
	v_mul_lo_u32 v40, s63, v2
	v_or_b32_e32 v2, 3, v23
	s_add_i32 s3, s64, s60
	v_mov_b32_e32 v19, 0
	v_writelane_b32 v60, s6, 28
	v_mul_lo_u32 v41, s63, v2
	v_add_u32_e32 v2, s3, v0
	v_lshlrev_b32_e32 v35, 3, v0
	v_mul_lo_u32 v16, s63, v0
	v_mov_b32_e32 v17, v19
	v_lshlrev_b32_e32 v4, 2, v34
	s_mov_b32 s18, 0
	s_mov_b32 s19, 1
	v_writelane_b32 v60, s7, 29
	s_mul_i32 s66, s63, s64
	v_subrev_u32_e32 v2, s2, v2
	v_cmp_eq_u32_e64 s[0:1], 0, v34
	v_cmp_gt_u32_e64 s[4:5], 2, v0
	v_add_u32_e32 v36, 0xc00, v35
	v_lshl_add_u64 v[20:21], v[16:17], 3, s[72:73]
	v_and_b32_e32 v17, 0x100, v4
	v_cmp_gt_i32_e64 s[10:11], s85, v23
	v_cmp_gt_u32_e64 s[12:13], s60, v38
	v_cmp_gt_i32_e64 s[14:15], s60, v38
	s_lshl_b32 s83, s66, 2
	v_lshlrev_b32_e32 v42, 2, v16
	v_mul_lo_u32 v43, s63, v2
	v_lshlrev_b32_e32 v44, 5, v0
	s_lshl_b32 s16, s64, 5
	s_lshl_b32 s6, s64, 3
	v_or_b32_e32 v45, 0xc00, v4
	s_mov_b32 s7, 62
	s_mov_b64 s[92:93], 0
	v_mov_b64_e32 v[6:7], 0
	v_mov_b32_e32 v47, s61
	v_mov_b64_e32 v[26:27], 0
	v_mov_b64_e32 v[28:29], 0
	v_mov_b32_e32 v49, s60
	v_mov_b32_e32 v2, 1
	;; [unrolled: 1-line block ×5, first 2 shown]
	v_writelane_b32 v60, s18, 30
	s_mov_b32 s61, s18
                                        ; implicit-def: $sgpr94_sgpr95
                                        ; implicit-def: $sgpr98_sgpr99
                                        ; implicit-def: $sgpr96_sgpr97
                                        ; implicit-def: $sgpr70_sgpr71
                                        ; implicit-def: $sgpr86_sgpr87
                                        ; implicit-def: $sgpr68_sgpr69
	s_nop 0
	v_writelane_b32 v60, s19, 31
	s_branch .LBB27_16
.LBB27_13:                              ;   in Loop: Header=BB27_16 Depth=1
	s_or_b64 exec, exec, s[24:25]
	s_and_b64 s[24:25], s[22:23], exec
	s_andn2_b64 s[28:29], s[28:29], exec
	s_andn2_b64 s[26:27], s[26:27], exec
	s_orn2_b64 s[22:23], s[8:9], exec
.LBB27_14:                              ;   in Loop: Header=BB27_16 Depth=1
	s_or_b64 exec, exec, s[2:3]
	s_andn2_b64 s[2:3], s[68:69], exec
	s_and_b64 s[8:9], s[24:25], exec
	s_or_b64 s[68:69], s[2:3], s[8:9]
	s_andn2_b64 s[2:3], s[86:87], exec
	s_and_b64 s[8:9], s[28:29], exec
	s_or_b64 s[86:87], s[2:3], s[8:9]
	s_andn2_b64 s[2:3], s[70:71], exec
	s_and_b64 s[8:9], s[26:27], exec
	s_or_b64 s[70:71], s[2:3], s[8:9]
	s_orn2_b64 s[22:23], s[22:23], exec
.LBB27_15:                              ;   in Loop: Header=BB27_16 Depth=1
	s_or_b64 exec, exec, s[20:21]
	s_and_b64 s[2:3], exec, s[22:23]
	s_or_b64 s[92:93], s[2:3], s[92:93]
	s_andn2_b64 s[2:3], s[96:97], exec
	s_and_b64 s[8:9], s[68:69], exec
	s_or_b64 s[96:97], s[2:3], s[8:9]
	s_andn2_b64 s[2:3], s[98:99], exec
	s_and_b64 s[8:9], s[86:87], exec
	;; [unrolled: 3-line block ×3, first 2 shown]
	s_or_b64 s[94:95], s[2:3], s[8:9]
	s_mov_b32 s61, s35
	s_mov_b32 s7, s34
	v_mov_b32_e32 v47, v11
	s_andn2_b64 exec, exec, s[92:93]
	s_cbranch_execz .LBB27_243
.LBB27_16:                              ; =>This Loop Header: Depth=1
                                        ;     Child Loop BB27_22 Depth 2
                                        ;     Child Loop BB27_37 Depth 2
	;; [unrolled: 1-line block ×17, first 2 shown]
	s_waitcnt vmcnt(0)
	ds_read_b64 v[4:5], v19 offset:4096
	s_waitcnt lgkmcnt(0)
	v_readfirstlane_b32 s18, v4
	s_cmp_gt_i32 s18, 0
	s_cbranch_scc1 .LBB27_44
; %bb.17:                               ;   in Loop: Header=BB27_16 Depth=1
	s_and_b64 vcc, exec, s[78:79]
	s_cbranch_vccz .LBB27_30
; %bb.18:                               ;   in Loop: Header=BB27_16 Depth=1
	s_movk_i32 s2, 0x181
	v_cmp_gt_i32_e32 vcc, s2, v5
	s_mov_b64 s[8:9], 0
	s_mov_b64 s[2:3], 0
	s_cbranch_vccz .LBB27_31
; %bb.19:                               ;   in Loop: Header=BB27_16 Depth=1
	s_mov_b64 s[20:21], exec
	v_readlane_b32 s2, v60, 9
	v_readlane_b32 s3, v60, 10
	s_and_b64 s[2:3], s[20:21], s[2:3]
	s_mov_b64 exec, s[2:3]
	s_cbranch_execz .LBB27_76
; %bb.20:                               ;   in Loop: Header=BB27_16 Depth=1
	v_readlane_b32 s2, v60, 13
	v_readlane_b32 s3, v60, 14
	s_nop 4
	global_load_ushort v3, v19, s[2:3]
	global_load_dwordx2 v[4:5], v[20:21], off
	s_mov_b64 s[22:23], 0
	v_mov_b32_e32 v11, v0
	s_waitcnt vmcnt(1)
	v_add_u32_e32 v8, v0, v3
	v_mul_lo_u32 v10, s63, v3
	v_mul_lo_u32 v18, s63, v8
	s_branch .LBB27_22
.LBB27_21:                              ;   in Loop: Header=BB27_22 Depth=2
	s_or_b64 exec, exec, s[2:3]
	v_cmp_le_i32_e32 vcc, s60, v11
	v_add_u32_e32 v18, v18, v10
	s_or_b64 s[22:23], vcc, s[22:23]
	v_mov_b64_e32 v[4:5], v[8:9]
	s_andn2_b64 exec, exec, s[22:23]
	s_cbranch_execz .LBB27_76
.LBB27_22:                              ;   Parent Loop BB27_16 Depth=1
                                        ; =>  This Inner Loop Header: Depth=2
	v_add_u32_e32 v11, v11, v3
	v_cmp_gt_u32_e32 vcc, s60, v11
	v_mov_b64_e32 v[8:9], 0
	s_and_saveexec_b64 s[2:3], vcc
	s_cbranch_execz .LBB27_24
; %bb.23:                               ;   in Loop: Header=BB27_22 Depth=2
	v_lshl_add_u64 v[8:9], v[18:19], 3, s[72:73]
	global_load_dwordx2 v[8:9], v[8:9], off
.LBB27_24:                              ;   in Loop: Header=BB27_22 Depth=2
	s_or_b64 exec, exec, s[2:3]
	s_waitcnt vmcnt(0) lgkmcnt(0)
	v_xor_b32_e32 v12, 0x80000000, v5
	v_and_b32_e32 v13, v12, v29
	v_and_b32_e32 v12, v4, v28
	v_cmp_eq_u64_e32 vcc, v[12:13], v[26:27]
	s_cmp_lg_u64 vcc, 0
	s_cselect_b64 s[2:3], -1, 0
	s_and_b64 s[2:3], s[0:1], s[2:3]
	v_mov_b32_e32 v12, 0
	s_and_saveexec_b64 s[24:25], s[2:3]
	s_cbranch_execz .LBB27_28
; %bb.25:                               ;   in Loop: Header=BB27_22 Depth=2
	s_mov_b64 s[28:29], exec
	v_mbcnt_lo_u32_b32 v12, s28, 0
	v_mbcnt_hi_u32_b32 v12, s29, v12
	s_bcnt1_i32_b64 s19, vcc
	v_cmp_eq_u32_e64 s[2:3], 0, v12
                                        ; implicit-def: $vgpr13
	s_and_saveexec_b64 s[26:27], s[2:3]
; %bb.26:                               ;   in Loop: Header=BB27_22 Depth=2
	s_bcnt1_i32_b64 s2, s[28:29]
	s_mul_i32 s2, s19, s2
	v_mov_b32_e32 v13, s2
	ds_add_rtn_u32 v13, v19, v13 offset:4104
; %bb.27:                               ;   in Loop: Header=BB27_22 Depth=2
	s_or_b64 exec, exec, s[26:27]
	s_waitcnt lgkmcnt(0)
	v_readfirstlane_b32 s2, v13
	s_nop 1
	v_mov_b32_e32 v13, s2
	v_mad_u32_u24 v12, s19, v12, v13
.LBB27_28:                              ;   in Loop: Header=BB27_22 Depth=2
	s_or_b64 exec, exec, s[24:25]
	ds_bpermute_b32 v12, v17, v12
	s_and_saveexec_b64 s[2:3], vcc
	s_cbranch_execz .LBB27_21
; %bb.29:                               ;   in Loop: Header=BB27_22 Depth=2
	v_and_b32_e32 v14, vcc_lo, v22
	v_and_b32_e32 v13, vcc_hi, v1
	v_bcnt_u32_b32 v14, v14, 0
	v_bcnt_u32_b32 v13, v13, v14
	v_lshlrev_b32_e32 v13, 3, v13
	s_waitcnt lgkmcnt(0)
	v_lshl_add_u32 v12, v12, 3, v13
	ds_write_b64 v12, v[4:5]
	s_branch .LBB27_21
.LBB27_30:                              ;   in Loop: Header=BB27_16 Depth=1
	s_mov_b64 s[8:9], -1
	s_mov_b64 s[2:3], 0
.LBB27_31:                              ;   in Loop: Header=BB27_16 Depth=1
	s_and_b64 vcc, exec, s[8:9]
	s_cbranch_vccz .LBB27_42
.LBB27_32:                              ;   in Loop: Header=BB27_16 Depth=1
	v_mov_b64_e32 v[4:5], 0
	s_mov_b64 s[2:3], exec
	v_readlane_b32 s8, v60, 9
	v_readlane_b32 s9, v60, 10
	s_and_b64 s[8:9], s[2:3], s[8:9]
	s_mov_b64 exec, s[8:9]
	s_cbranch_execz .LBB27_34
; %bb.33:                               ;   in Loop: Header=BB27_16 Depth=1
	global_load_dwordx2 v[4:5], v[20:21], off
.LBB27_34:                              ;   in Loop: Header=BB27_16 Depth=1
	s_or_b64 exec, exec, s[2:3]
	s_mov_b64 s[2:3], exec
	v_readlane_b32 s8, v60, 11
	v_readlane_b32 s9, v60, 12
	s_and_b64 s[8:9], s[2:3], s[8:9]
	s_mov_b64 exec, s[8:9]
	s_cbranch_execz .LBB27_39
; %bb.35:                               ;   in Loop: Header=BB27_16 Depth=1
	v_readlane_b32 s8, v60, 13
	v_readlane_b32 s9, v60, 14
	v_mov_b32_e32 v10, v35
	v_mov_b32_e32 v13, v0
	s_nop 2
	global_load_ushort v3, v19, s[8:9]
	s_mov_b64 s[8:9], 0
	s_waitcnt vmcnt(0)
	v_add_u32_e32 v8, v0, v3
	v_lshlrev_b32_e32 v11, 3, v3
	v_mul_lo_u32 v12, s63, v3
	v_mul_lo_u32 v18, s63, v8
	s_branch .LBB27_37
.LBB27_36:                              ;   in Loop: Header=BB27_37 Depth=2
	s_or_b64 exec, exec, s[20:21]
	v_cmp_le_i32_e32 vcc, s60, v13
	ds_write_b64 v10, v[4:5]
	v_add_u32_e32 v10, v10, v11
	v_add_u32_e32 v18, v18, v12
	s_or_b64 s[8:9], vcc, s[8:9]
	s_waitcnt vmcnt(0)
	v_mov_b64_e32 v[4:5], v[8:9]
	s_andn2_b64 exec, exec, s[8:9]
	s_cbranch_execz .LBB27_39
.LBB27_37:                              ;   Parent Loop BB27_16 Depth=1
                                        ; =>  This Inner Loop Header: Depth=2
	v_add_u32_e32 v13, v13, v3
	v_cmp_gt_u32_e32 vcc, s60, v13
	v_mov_b64_e32 v[8:9], 0
	s_and_saveexec_b64 s[20:21], vcc
	s_cbranch_execz .LBB27_36
; %bb.38:                               ;   in Loop: Header=BB27_37 Depth=2
	v_lshl_add_u64 v[8:9], v[18:19], 3, s[72:73]
	global_load_dwordx2 v[8:9], v[8:9], off
	s_branch .LBB27_36
.LBB27_39:                              ;   in Loop: Header=BB27_16 Depth=1
	s_or_b64 exec, exec, s[2:3]
	s_waitcnt lgkmcnt(0)
	s_barrier
	s_mov_b64 s[2:3], exec
	v_readlane_b32 s8, v60, 5
	v_readlane_b32 s9, v60, 6
	s_and_b64 s[8:9], s[2:3], s[8:9]
	s_mov_b64 exec, s[8:9]
; %bb.40:                               ;   in Loop: Header=BB27_16 Depth=1
	ds_write_b32 v19, v49 offset:4096
; %bb.41:                               ;   in Loop: Header=BB27_16 Depth=1
	s_or_b64 exec, exec, s[2:3]
	s_mov_b64 s[2:3], -1
	s_waitcnt lgkmcnt(0)
	s_barrier
.LBB27_42:                              ;   in Loop: Header=BB27_16 Depth=1
	s_and_b64 vcc, exec, s[2:3]
	s_cbranch_vccz .LBB27_44
; %bb.43:                               ;   in Loop: Header=BB27_16 Depth=1
	ds_read_b32 v3, v19 offset:4096
	s_waitcnt lgkmcnt(0)
	v_readfirstlane_b32 s18, v3
.LBB27_44:                              ;   in Loop: Header=BB27_16 Depth=1
	s_cmp_lt_i32 s18, 1
	s_mov_b64 s[2:3], -1
                                        ; implicit-def: $vgpr10_vgpr11
	s_cbranch_scc1 .LBB27_54
; %bb.45:                               ;   in Loop: Header=BB27_16 Depth=1
	s_and_b64 vcc, exec, s[2:3]
	s_cbranch_vccnz .LBB27_67
.LBB27_46:                              ;   in Loop: Header=BB27_16 Depth=1
	s_lshl_b32 s18, s61, 6
	s_and_saveexec_b64 s[2:3], s[0:1]
.LBB27_47:                              ;   in Loop: Header=BB27_16 Depth=1
	v_lshl_add_u32 v3, s18, 2, v37
	ds_write_b128 v3, v[8:11]
.LBB27_48:                              ;   in Loop: Header=BB27_16 Depth=1
	s_or_b64 exec, exec, s[2:3]
	s_waitcnt lgkmcnt(0)
	s_barrier
	s_and_saveexec_b64 s[2:3], s[76:77]
	s_cbranch_execz .LBB27_87
; %bb.49:                               ;   in Loop: Header=BB27_16 Depth=1
	v_add_u32_e32 v3, s18, v34
	s_andn2_b64 vcc, exec, s[80:81]
	s_waitcnt vmcnt(0)
	v_mov_b32_e32 v4, 0
	s_cbranch_vccnz .LBB27_86
; %bb.50:                               ;   in Loop: Header=BB27_16 Depth=1
	v_readlane_b32 s8, v60, 15
	v_readlane_b32 s9, v60, 16
	s_andn2_b64 vcc, exec, s[8:9]
	s_cbranch_vccnz .LBB27_79
; %bb.51:                               ;   in Loop: Header=BB27_16 Depth=1
	v_readlane_b32 s8, v60, 17
	v_readlane_b32 s9, v60, 18
	s_andn2_b64 vcc, exec, s[8:9]
	v_lshl_add_u32 v8, v3, 2, v46
	s_cbranch_vccnz .LBB27_80
; %bb.52:                               ;   in Loop: Header=BB27_16 Depth=1
	s_mov_b32 s9, 1
	s_mov_b32 s8, 0
	v_mov_b32_e32 v4, 0
	v_mov_b32_e32 v5, 0
	v_readlane_b32 s19, v60, 19
.LBB27_53:                              ;   Parent Loop BB27_16 Depth=1
                                        ; =>  This Inner Loop Header: Depth=2
	v_lshl_add_u32 v9, s8, 4, v8
	v_lshl_add_u32 v18, s9, 4, v8
	ds_read2_b32 v[10:11], v9 offset1:8
	ds_read2_b32 v[12:13], v18 offset1:8
	ds_read2_b32 v[14:15], v9 offset0:16 offset1:24
	ds_read2_b32 v[30:31], v18 offset0:16 offset1:24
	;; [unrolled: 1-line block ×6, first 2 shown]
	s_waitcnt lgkmcnt(7)
	v_add3_u32 v4, v10, v4, v11
	s_waitcnt lgkmcnt(6)
	v_add3_u32 v5, v12, v5, v13
	s_waitcnt lgkmcnt(4)
	v_add3_u32 v5, v30, v5, v31
	v_add3_u32 v4, v14, v4, v15
	s_add_i32 s9, s9, 16
	s_add_i32 s8, s8, 16
	s_add_i32 s19, s19, -8
	s_waitcnt lgkmcnt(3)
	v_add3_u32 v4, v32, v4, v33
	s_waitcnt lgkmcnt(2)
	v_add3_u32 v5, v52, v5, v53
	s_cmp_lg_u32 s19, 0
	s_waitcnt lgkmcnt(0)
	v_add3_u32 v5, v56, v5, v57
	v_add3_u32 v4, v54, v4, v55
	s_cbranch_scc1 .LBB27_53
	s_branch .LBB27_81
.LBB27_54:                              ;   in Loop: Header=BB27_16 Depth=1
	v_mov_b32_e32 v18, v19
	v_mov_b64_e32 v[10:11], v[18:19]
	v_mov_b64_e32 v[8:9], v[18:19]
	s_and_saveexec_b64 s[88:89], s[10:11]
	s_cbranch_execnz .LBB27_57
; %bb.55:                               ;   in Loop: Header=BB27_16 Depth=1
	s_or_b64 exec, exec, s[88:89]
	v_mov_b64_e32 v[12:13], 0
	s_and_saveexec_b64 s[2:3], s[12:13]
	s_cbranch_execnz .LBB27_60
.LBB27_56:                              ;   in Loop: Header=BB27_16 Depth=1
	s_or_b64 exec, exec, s[2:3]
	s_and_saveexec_b64 s[8:9], s[14:15]
	s_cbranch_execnz .LBB27_61
	s_branch .LBB27_66
.LBB27_57:                              ;   in Loop: Header=BB27_16 Depth=1
	s_mov_b32 s19, 0
	s_mov_b64 s[90:91], 0
	v_mov_b32_e32 v3, v23
	s_mov_b32 s74, 0
	s_mov_b32 s75, s19
	;; [unrolled: 1-line block ×4, first 2 shown]
.LBB27_58:                              ;   Parent Loop BB27_16 Depth=1
                                        ; =>  This Inner Loop Header: Depth=2
	s_waitcnt vmcnt(0)
	v_add_u32_e32 v4, s19, v42
	v_add_u32_e32 v8, s19, v39
	;; [unrolled: 1-line block ×4, first 2 shown]
	v_ashrrev_i32_e32 v5, 31, v4
	v_ashrrev_i32_e32 v9, 31, v8
	;; [unrolled: 1-line block ×4, first 2 shown]
	v_lshl_add_u64 v[4:5], v[4:5], 3, s[72:73]
	v_lshl_add_u64 v[8:9], v[8:9], 3, s[72:73]
	;; [unrolled: 1-line block ×4, first 2 shown]
	global_load_dwordx2 v[4:5], v[4:5], off
	s_nop 0
	global_load_dwordx2 v[8:9], v[8:9], off
	s_nop 0
	;; [unrolled: 2-line block ×3, first 2 shown]
	global_load_dwordx2 v[12:13], v[12:13], off
	v_mov_b32_e32 v15, v19
	v_mov_b32_e32 v31, v19
	;; [unrolled: 1-line block ×3, first 2 shown]
	v_add_u32_e32 v3, s82, v3
	s_add_i32 s19, s19, s83
	v_cmp_le_i32_e32 vcc, s85, v3
	s_waitcnt vmcnt(3)
	v_xor_b32_e32 v5, 0x80000000, v5
	s_waitcnt vmcnt(2)
	v_xor_b32_e32 v9, 0x80000000, v9
	v_and_b32_e32 v52, v4, v28
	v_and_b32_e32 v53, v5, v29
	v_lshrrev_b64 v[4:5], s7, v[4:5]
	s_waitcnt vmcnt(1)
	v_xor_b32_e32 v11, 0x80000000, v11
	v_and_b32_e32 v54, v8, v28
	v_and_b32_e32 v55, v9, v29
	v_lshrrev_b64 v[8:9], s7, v[8:9]
	v_and_b32_e32 v18, 3, v4
	s_waitcnt vmcnt(0)
	v_xor_b32_e32 v13, 0x80000000, v13
	v_and_b32_e32 v56, v10, v28
	v_and_b32_e32 v57, v11, v29
	v_lshrrev_b64 v[10:11], s7, v[10:11]
	v_cmp_eq_u64_e64 s[2:3], v[52:53], v[26:27]
	v_and_b32_e32 v14, 3, v8
	v_cmp_eq_u64_e64 s[26:27], 0, v[18:19]
	v_and_b32_e32 v58, v12, v28
	v_and_b32_e32 v59, v13, v29
	v_lshrrev_b64 v[12:13], s7, v[12:13]
	v_cmp_eq_u64_e64 s[20:21], v[54:55], v[26:27]
	v_and_b32_e32 v30, 3, v10
	v_cmp_eq_u64_e64 s[28:29], 0, v[14:15]
	s_and_b64 s[26:27], s[2:3], s[26:27]
	v_cmp_eq_u64_e64 s[22:23], v[56:57], v[26:27]
	v_and_b32_e32 v32, 3, v12
	v_cmp_eq_u64_e64 s[30:31], 0, v[30:31]
	v_cndmask_b32_e64 v4, 0, 1, s[26:27]
	s_and_b64 s[26:27], s[20:21], s[28:29]
	v_cmp_eq_u64_e64 s[24:25], v[58:59], v[26:27]
	v_cmp_eq_u64_e64 s[34:35], 0, v[32:33]
	v_cndmask_b32_e64 v5, 0, 1, s[26:27]
	s_and_b64 s[26:27], s[22:23], s[30:31]
	v_cmp_eq_u64_e64 s[36:37], 1, v[18:19]
	v_cndmask_b32_e64 v8, 0, 1, s[26:27]
	s_and_b64 s[26:27], s[24:25], s[34:35]
	;; [unrolled: 3-line block ×5, first 2 shown]
	v_cmp_eq_u64_e64 s[44:45], 2, v[18:19]
	v_cmp_eq_u64_e64 s[52:53], 3, v[18:19]
	v_cndmask_b32_e64 v12, 0, 1, s[26:27]
	s_and_b64 s[26:27], s[24:25], s[42:43]
	v_cmp_eq_u64_e64 s[46:47], 2, v[14:15]
	v_cmp_eq_u64_e64 s[54:55], 3, v[14:15]
	v_cndmask_b32_e64 v13, 0, 1, s[26:27]
	s_and_b64 s[26:27], s[2:3], s[44:45]
	s_and_b64 s[2:3], s[2:3], s[52:53]
	v_cmp_eq_u64_e64 s[48:49], 2, v[30:31]
	v_cmp_eq_u64_e64 s[56:57], 3, v[30:31]
	v_cndmask_b32_e64 v14, 0, 1, s[26:27]
	s_and_b64 s[26:27], s[20:21], s[46:47]
	v_cndmask_b32_e64 v31, 0, 1, s[2:3]
	s_and_b64 s[2:3], s[20:21], s[54:55]
	v_cmp_eq_u64_e64 s[50:51], 2, v[32:33]
	v_cmp_eq_u64_e64 s[58:59], 3, v[32:33]
	v_cndmask_b32_e64 v15, 0, 1, s[26:27]
	s_and_b64 s[26:27], s[22:23], s[48:49]
	v_cndmask_b32_e64 v32, 0, 1, s[2:3]
	s_and_b64 s[2:3], s[22:23], s[56:57]
	v_cndmask_b32_e64 v18, 0, 1, s[26:27]
	s_and_b64 s[26:27], s[24:25], s[50:51]
	v_cndmask_b32_e64 v33, 0, 1, s[2:3]
	s_and_b64 s[2:3], s[24:25], s[58:59]
	v_cndmask_b32_e64 v30, 0, 1, s[26:27]
	v_cndmask_b32_e64 v48, 0, 1, s[2:3]
	v_cmp_ne_u32_e64 s[2:3], 0, v4
	v_cmp_ne_u32_e64 s[20:21], 0, v5
	;; [unrolled: 1-line block ×11, first 2 shown]
	s_bcnt1_i32_b64 s2, s[2:3]
	s_bcnt1_i32_b64 s3, s[20:21]
	;; [unrolled: 1-line block ×8, first 2 shown]
	v_cmp_ne_u32_e64 s[34:35], 0, v13
	v_cmp_ne_u32_e64 s[40:41], 0, v18
	;; [unrolled: 1-line block ×3, first 2 shown]
	s_bcnt1_i32_b64 s23, s[28:29]
	s_bcnt1_i32_b64 s27, s[38:39]
	;; [unrolled: 1-line block ×3, first 2 shown]
	s_add_i32 s2, s74, s2
	s_add_i32 s22, s75, s22
	;; [unrolled: 1-line block ×4, first 2 shown]
	v_cmp_ne_u32_e64 s[42:43], 0, v30
	v_cmp_ne_u32_e64 s[50:51], 0, v48
	s_bcnt1_i32_b64 s25, s[34:35]
	s_bcnt1_i32_b64 s28, s[40:41]
	;; [unrolled: 1-line block ×3, first 2 shown]
	s_add_i32 s22, s22, s23
	s_add_i32 s2, s2, s3
	;; [unrolled: 1-line block ×4, first 2 shown]
	s_bcnt1_i32_b64 s29, s[42:43]
	s_bcnt1_i32_b64 s35, s[50:51]
	s_add_i32 s2, s2, s20
	s_add_i32 s9, s22, s24
	;; [unrolled: 1-line block ×8, first 2 shown]
	s_or_b64 s[90:91], vcc, s[90:91]
	v_mov_b64_e32 v[8:9], s[74:75]
	v_mov_b64_e32 v[10:11], s[8:9]
	s_andn2_b64 exec, exec, s[90:91]
	s_cbranch_execnz .LBB27_58
; %bb.59:                               ;   in Loop: Header=BB27_16 Depth=1
	s_or_b64 exec, exec, s[90:91]
	s_or_b64 exec, exec, s[88:89]
	v_mov_b64_e32 v[12:13], 0
	s_and_saveexec_b64 s[2:3], s[12:13]
	s_cbranch_execz .LBB27_56
.LBB27_60:                              ;   in Loop: Header=BB27_16 Depth=1
	global_load_dwordx2 v[12:13], v[24:25], off
	s_or_b64 exec, exec, s[2:3]
	s_and_saveexec_b64 s[8:9], s[14:15]
	s_cbranch_execz .LBB27_66
.LBB27_61:                              ;   in Loop: Header=BB27_16 Depth=1
	s_mov_b64 s[20:21], 0
	s_waitcnt vmcnt(0)
	v_mov_b32_e32 v4, v43
	v_mov_b32_e32 v3, v38
	s_branch .LBB27_63
.LBB27_62:                              ;   in Loop: Header=BB27_63 Depth=2
	s_or_b64 exec, exec, s[2:3]
	v_xor_b32_e32 v13, 0x80000000, v13
	v_and_b32_e32 v31, v13, v29
	v_and_b32_e32 v30, v12, v28
	v_lshrrev_b64 v[12:13], s7, v[12:13]
	v_and_b32_e32 v18, 3, v12
	v_cmp_eq_u64_e32 vcc, v[30:31], v[26:27]
	v_cmp_eq_u64_e64 s[2:3], 0, v[18:19]
	s_and_b64 s[2:3], vcc, s[2:3]
	v_add_u32_e32 v4, s66, v4
	v_cndmask_b32_e64 v5, 0, 1, s[2:3]
	v_cmp_ne_u32_e64 s[2:3], 0, v5
	s_bcnt1_i32_b64 s19, s[2:3]
	v_cmp_eq_u64_e64 s[2:3], 1, v[18:19]
	s_and_b64 s[2:3], vcc, s[2:3]
	v_add_u32_e32 v8, s19, v8
	v_cndmask_b32_e64 v5, 0, 1, s[2:3]
	v_cmp_ne_u32_e64 s[2:3], 0, v5
	s_bcnt1_i32_b64 s2, s[2:3]
	s_waitcnt vmcnt(0)
	v_mov_b64_e32 v[12:13], v[14:15]
	v_add_u32_e32 v9, s2, v9
	v_cmp_eq_u64_e64 s[2:3], 2, v[18:19]
	s_and_b64 s[2:3], vcc, s[2:3]
	s_nop 0
	v_cndmask_b32_e64 v5, 0, 1, s[2:3]
	v_cmp_ne_u32_e64 s[2:3], 0, v5
	s_bcnt1_i32_b64 s19, s[2:3]
	v_cmp_eq_u64_e64 s[2:3], 3, v[18:19]
	s_and_b64 s[2:3], vcc, s[2:3]
	v_add_u32_e32 v10, s19, v10
	v_cndmask_b32_e64 v5, 0, 1, s[2:3]
	v_cmp_ne_u32_e32 vcc, 0, v5
	s_bcnt1_i32_b64 s2, vcc
	v_cmp_le_i32_e32 vcc, s60, v3
	v_add_u32_e32 v11, s2, v11
	s_or_b64 s[20:21], vcc, s[20:21]
	s_andn2_b64 exec, exec, s[20:21]
	s_cbranch_execz .LBB27_65
.LBB27_63:                              ;   Parent Loop BB27_16 Depth=1
                                        ; =>  This Inner Loop Header: Depth=2
	v_add_u32_e32 v3, s64, v3
	v_cmp_gt_u32_e32 vcc, s60, v3
	v_mov_b64_e32 v[14:15], 0
	s_and_saveexec_b64 s[2:3], vcc
	s_cbranch_execz .LBB27_62
; %bb.64:                               ;   in Loop: Header=BB27_63 Depth=2
	v_ashrrev_i32_e32 v5, 31, v4
	v_lshl_add_u64 v[14:15], v[4:5], 3, s[72:73]
	global_load_dwordx2 v[14:15], v[14:15], off
	s_branch .LBB27_62
.LBB27_65:                              ;   in Loop: Header=BB27_16 Depth=1
	s_or_b64 exec, exec, s[20:21]
.LBB27_66:                              ;   in Loop: Header=BB27_16 Depth=1
	s_or_b64 exec, exec, s[8:9]
	s_branch .LBB27_46
.LBB27_67:                              ;   in Loop: Header=BB27_16 Depth=1
	s_mul_hi_u32 s2, s18, s84
	s_mul_i32 s2, s2, s82
	s_sub_i32 s2, s18, s2
	s_sub_i32 s3, s2, s82
	s_cmp_ge_u32 s2, s82
	s_cselect_b32 s2, s3, s2
	s_sub_i32 s3, s2, s82
	s_cmp_ge_u32 s2, s82
	s_cselect_b32 s2, s3, s2
	s_sub_i32 s19, s18, s2
	v_mov_b32_e32 v18, v19
	v_cmp_gt_u32_e32 vcc, s19, v23
	v_mov_b64_e32 v[10:11], v[18:19]
	v_mov_b64_e32 v[8:9], v[18:19]
	s_and_saveexec_b64 s[8:9], vcc
	s_cbranch_execz .LBB27_71
; %bb.68:                               ;   in Loop: Header=BB27_16 Depth=1
	s_mov_b32 s88, 0
	s_mov_b64 s[74:75], 0
	v_mov_b32_e32 v3, v44
	v_mov_b32_e32 v48, v23
	s_mov_b32 s89, s88
	s_mov_b32 s90, s88
	;; [unrolled: 1-line block ×3, first 2 shown]
.LBB27_69:                              ;   Parent Loop BB27_16 Depth=1
                                        ; =>  This Inner Loop Header: Depth=2
	s_waitcnt vmcnt(0)
	ds_read_b128 v[12:15], v3
	ds_read_b128 v[8:11], v3 offset:16
	v_mov_b32_e32 v5, v19
	v_mov_b32_e32 v31, v19
	v_mov_b32_e32 v33, v19
	s_waitcnt lgkmcnt(1)
	v_xor_b32_e32 v13, 0x80000000, v13
	v_xor_b32_e32 v15, 0x80000000, v15
	v_and_b32_e32 v52, v12, v28
	v_and_b32_e32 v53, v13, v29
	v_lshrrev_b64 v[12:13], s7, v[12:13]
	s_waitcnt lgkmcnt(0)
	v_xor_b32_e32 v9, 0x80000000, v9
	v_and_b32_e32 v54, v14, v28
	v_and_b32_e32 v55, v15, v29
	v_lshrrev_b64 v[14:15], s7, v[14:15]
	v_and_b32_e32 v18, 3, v12
	v_xor_b32_e32 v11, 0x80000000, v11
	v_and_b32_e32 v56, v8, v28
	v_and_b32_e32 v57, v9, v29
	v_lshrrev_b64 v[8:9], s7, v[8:9]
	v_cmp_eq_u64_e64 s[2:3], v[52:53], v[26:27]
	v_and_b32_e32 v4, 3, v14
	v_cmp_eq_u64_e64 s[26:27], 0, v[18:19]
	v_and_b32_e32 v58, v10, v28
	v_and_b32_e32 v59, v11, v29
	v_lshrrev_b64 v[10:11], s7, v[10:11]
	v_cmp_eq_u64_e64 s[20:21], v[54:55], v[26:27]
	v_and_b32_e32 v30, 3, v8
	v_cmp_eq_u64_e64 s[28:29], 0, v[4:5]
	s_and_b64 s[26:27], s[2:3], s[26:27]
	v_cmp_eq_u64_e64 s[22:23], v[56:57], v[26:27]
	v_and_b32_e32 v32, 3, v10
	v_cmp_eq_u64_e64 s[30:31], 0, v[30:31]
	v_cmp_eq_u64_e64 s[38:39], 1, v[4:5]
	;; [unrolled: 1-line block ×4, first 2 shown]
	v_cndmask_b32_e64 v4, 0, 1, s[26:27]
	s_and_b64 s[26:27], s[20:21], s[28:29]
	v_cmp_eq_u64_e64 s[24:25], v[58:59], v[26:27]
	v_cmp_eq_u64_e64 s[34:35], 0, v[32:33]
	v_cndmask_b32_e64 v5, 0, 1, s[26:27]
	s_and_b64 s[26:27], s[22:23], s[30:31]
	v_cmp_eq_u64_e64 s[36:37], 1, v[18:19]
	v_cndmask_b32_e64 v8, 0, 1, s[26:27]
	s_and_b64 s[26:27], s[24:25], s[34:35]
	v_cndmask_b32_e64 v9, 0, 1, s[26:27]
	s_and_b64 s[26:27], s[2:3], s[36:37]
	v_cmp_eq_u64_e64 s[40:41], 1, v[30:31]
	v_cndmask_b32_e64 v10, 0, 1, s[26:27]
	s_and_b64 s[26:27], s[20:21], s[38:39]
	v_cmp_eq_u64_e64 s[42:43], 1, v[32:33]
	;; [unrolled: 3-line block ×3, first 2 shown]
	v_cmp_eq_u64_e64 s[52:53], 3, v[18:19]
	v_cndmask_b32_e64 v12, 0, 1, s[26:27]
	s_and_b64 s[26:27], s[24:25], s[42:43]
	v_cndmask_b32_e64 v13, 0, 1, s[26:27]
	s_and_b64 s[26:27], s[2:3], s[44:45]
	s_and_b64 s[2:3], s[2:3], s[52:53]
	v_cmp_eq_u64_e64 s[48:49], 2, v[30:31]
	v_cmp_eq_u64_e64 s[56:57], 3, v[30:31]
	v_cndmask_b32_e64 v14, 0, 1, s[26:27]
	s_and_b64 s[26:27], s[20:21], s[46:47]
	v_cndmask_b32_e64 v31, 0, 1, s[2:3]
	s_and_b64 s[2:3], s[20:21], s[54:55]
	v_cmp_eq_u64_e64 s[50:51], 2, v[32:33]
	v_cmp_eq_u64_e64 s[58:59], 3, v[32:33]
	v_cndmask_b32_e64 v15, 0, 1, s[26:27]
	s_and_b64 s[26:27], s[22:23], s[48:49]
	v_cndmask_b32_e64 v32, 0, 1, s[2:3]
	s_and_b64 s[2:3], s[22:23], s[56:57]
	;; [unrolled: 2-line block ×4, first 2 shown]
	v_cndmask_b32_e64 v30, 0, 1, s[26:27]
	v_cndmask_b32_e64 v52, 0, 1, s[2:3]
	v_cmp_ne_u32_e64 s[2:3], 0, v4
	v_cmp_ne_u32_e64 s[20:21], 0, v5
	;; [unrolled: 1-line block ×11, first 2 shown]
	s_bcnt1_i32_b64 s2, s[2:3]
	s_bcnt1_i32_b64 s3, s[20:21]
	;; [unrolled: 1-line block ×8, first 2 shown]
	v_cmp_ne_u32_e64 s[34:35], 0, v13
	v_cmp_ne_u32_e64 s[40:41], 0, v18
	;; [unrolled: 1-line block ×3, first 2 shown]
	s_bcnt1_i32_b64 s23, s[28:29]
	s_bcnt1_i32_b64 s27, s[38:39]
	;; [unrolled: 1-line block ×3, first 2 shown]
	s_add_i32 s2, s88, s2
	s_add_i32 s22, s89, s22
	;; [unrolled: 1-line block ×4, first 2 shown]
	v_cmp_ne_u32_e64 s[42:43], 0, v30
	v_cmp_ne_u32_e64 s[50:51], 0, v52
	s_bcnt1_i32_b64 s25, s[34:35]
	s_bcnt1_i32_b64 s28, s[40:41]
	;; [unrolled: 1-line block ×3, first 2 shown]
	s_add_i32 s22, s22, s23
	s_add_i32 s2, s2, s3
	;; [unrolled: 1-line block ×4, first 2 shown]
	v_add_u32_e32 v48, s82, v48
	s_bcnt1_i32_b64 s29, s[42:43]
	s_bcnt1_i32_b64 s35, s[50:51]
	s_add_i32 s2, s2, s20
	s_add_i32 s20, s22, s24
	;; [unrolled: 1-line block ×4, first 2 shown]
	v_cmp_le_i32_e32 vcc, s19, v48
	s_add_i32 s89, s20, s25
	s_add_i32 s88, s2, s21
	;; [unrolled: 1-line block ×4, first 2 shown]
	v_add_u32_e32 v3, s16, v3
	s_or_b64 s[74:75], vcc, s[74:75]
	v_mov_b64_e32 v[8:9], s[88:89]
	v_mov_b64_e32 v[10:11], s[90:91]
	s_andn2_b64 exec, exec, s[74:75]
	s_cbranch_execnz .LBB27_69
; %bb.70:                               ;   in Loop: Header=BB27_16 Depth=1
	s_or_b64 exec, exec, s[74:75]
.LBB27_71:                              ;   in Loop: Header=BB27_16 Depth=1
	s_or_b64 exec, exec, s[8:9]
	v_add_u32_e32 v3, s19, v0
	v_cmp_gt_i32_e32 vcc, s18, v3
	s_and_saveexec_b64 s[8:9], vcc
	s_cbranch_execz .LBB27_75
; %bb.72:                               ;   in Loop: Header=BB27_16 Depth=1
	s_waitcnt vmcnt(0)
	v_lshlrev_b32_e32 v4, 3, v3
	s_mov_b64 s[28:29], 0
.LBB27_73:                              ;   Parent Loop BB27_16 Depth=1
                                        ; =>  This Inner Loop Header: Depth=2
	ds_read_b64 v[12:13], v4
	v_add_u32_e32 v3, s64, v3
	v_cmp_le_i32_e32 vcc, s18, v3
	v_add_u32_e32 v4, s6, v4
	s_waitcnt lgkmcnt(0)
	v_xor_b32_e32 v13, 0x80000000, v13
	v_and_b32_e32 v14, v12, v28
	v_and_b32_e32 v15, v13, v29
	v_lshrrev_b64 v[12:13], s7, v[12:13]
	v_and_b32_e32 v18, 3, v12
	v_cmp_eq_u64_e64 s[2:3], v[14:15], v[26:27]
	v_cmp_eq_u64_e64 s[20:21], 0, v[18:19]
	;; [unrolled: 1-line block ×3, first 2 shown]
	s_and_b64 s[20:21], s[2:3], s[20:21]
	v_cmp_eq_u64_e64 s[24:25], 2, v[18:19]
	v_cmp_eq_u64_e64 s[26:27], 3, v[18:19]
	v_cndmask_b32_e64 v5, 0, 1, s[20:21]
	s_and_b64 s[20:21], s[2:3], s[22:23]
	v_cndmask_b32_e64 v12, 0, 1, s[20:21]
	s_and_b64 s[20:21], s[2:3], s[24:25]
	s_and_b64 s[2:3], s[2:3], s[26:27]
	v_cndmask_b32_e64 v13, 0, 1, s[20:21]
	v_cndmask_b32_e64 v14, 0, 1, s[2:3]
	v_cmp_ne_u32_e64 s[2:3], 0, v5
	v_cmp_ne_u32_e64 s[20:21], 0, v12
	;; [unrolled: 1-line block ×4, first 2 shown]
	s_bcnt1_i32_b64 s2, s[2:3]
	s_bcnt1_i32_b64 s3, s[20:21]
	;; [unrolled: 1-line block ×4, first 2 shown]
	v_add_u32_e32 v9, s3, v9
	v_add_u32_e32 v8, s2, v8
	;; [unrolled: 1-line block ×3, first 2 shown]
	s_or_b64 s[28:29], vcc, s[28:29]
	v_add_u32_e32 v10, s19, v10
	s_andn2_b64 exec, exec, s[28:29]
	s_cbranch_execnz .LBB27_73
; %bb.74:                               ;   in Loop: Header=BB27_16 Depth=1
	s_or_b64 exec, exec, s[28:29]
.LBB27_75:                              ;   in Loop: Header=BB27_16 Depth=1
	s_or_b64 exec, exec, s[8:9]
	s_lshl_b32 s18, s61, 6
	s_and_saveexec_b64 s[2:3], s[0:1]
	s_cbranch_execnz .LBB27_47
	s_branch .LBB27_48
.LBB27_76:                              ;   in Loop: Header=BB27_16 Depth=1
	s_or_b64 exec, exec, s[20:21]
	s_waitcnt lgkmcnt(0)
	s_barrier
	s_mov_b64 s[2:3], exec
	v_readlane_b32 s20, v60, 5
	v_readlane_b32 s21, v60, 6
	s_and_b64 s[20:21], s[2:3], s[20:21]
	s_mov_b64 exec, s[20:21]
	s_cbranch_execz .LBB27_78
; %bb.77:                               ;   in Loop: Header=BB27_16 Depth=1
	ds_read_b32 v3, v19 offset:4104
	s_waitcnt lgkmcnt(0)
	ds_write_b32 v19, v3 offset:4096
.LBB27_78:                              ;   in Loop: Header=BB27_16 Depth=1
	s_or_b64 exec, exec, s[2:3]
	s_waitcnt lgkmcnt(0)
	s_barrier
	s_mov_b64 s[2:3], -1
	s_and_b64 vcc, exec, s[8:9]
	s_cbranch_vccnz .LBB27_32
	s_branch .LBB27_42
.LBB27_79:                              ;   in Loop: Header=BB27_16 Depth=1
	v_mov_b32_e32 v4, 0
	s_mov_b32 s19, 0
	s_cbranch_execnz .LBB27_84
	s_branch .LBB27_86
.LBB27_80:                              ;   in Loop: Header=BB27_16 Depth=1
	v_mov_b32_e32 v18, v19
	v_readlane_b32 s8, v60, 30
	v_mov_b64_e32 v[4:5], v[18:19]
	v_readlane_b32 s9, v60, 31
.LBB27_81:                              ;   in Loop: Header=BB27_16 Depth=1
	v_readlane_b32 s20, v60, 21
	v_readlane_b32 s21, v60, 22
	s_andn2_b64 vcc, exec, s[20:21]
	v_readlane_b32 s19, v60, 20
	s_cbranch_vccnz .LBB27_83
.LBB27_82:                              ;   Parent Loop BB27_16 Depth=1
                                        ; =>  This Inner Loop Header: Depth=2
	v_lshl_add_u32 v9, s8, 4, v8
	v_lshl_add_u32 v10, s9, 4, v8
	ds_read_b32 v10, v10
	ds_read_b32 v9, v9
	s_add_i32 s9, s9, 2
	s_add_i32 s8, s8, 2
	s_add_i32 s19, s19, -1
	s_cmp_lg_u32 s19, 0
	s_waitcnt lgkmcnt(1)
	v_add_u32_e32 v5, v10, v5
	s_waitcnt lgkmcnt(0)
	v_add_u32_e32 v4, v9, v4
	s_cbranch_scc1 .LBB27_82
.LBB27_83:                              ;   in Loop: Header=BB27_16 Depth=1
	v_readlane_b32 s8, v60, 25
	v_add_u32_e32 v4, v4, v5
	v_readlane_b32 s19, v60, 24
	v_readlane_b32 s9, v60, 26
	s_and_b64 vcc, exec, s[8:9]
	s_cbranch_vccz .LBB27_86
.LBB27_84:                              ;   in Loop: Header=BB27_16 Depth=1
	s_lshl_b32 s8, s61, 8
	s_lshl_b32 s9, s19, 4
	s_add_i32 s8, s8, s9
	v_add_u32_e32 v5, s8, v45
	v_readlane_b32 s8, v60, 23
	s_sub_i32 s8, s8, s19
.LBB27_85:                              ;   Parent Loop BB27_16 Depth=1
                                        ; =>  This Inner Loop Header: Depth=2
	ds_read_b32 v8, v5
	s_add_i32 s8, s8, -1
	v_add_u32_e32 v5, 16, v5
	s_cmp_eq_u32 s8, 0
	s_waitcnt lgkmcnt(0)
	v_add_u32_e32 v4, v8, v4
	s_cbranch_scc0 .LBB27_85
.LBB27_86:                              ;   in Loop: Header=BB27_16 Depth=1
	v_lshlrev_b32_e32 v3, 2, v3
	ds_write_b32 v3, v4 offset:3072
.LBB27_87:                              ;   in Loop: Header=BB27_16 Depth=1
	s_or_b64 exec, exec, s[2:3]
	s_lshl_b32 s2, s18, 2
	v_mov_b32_e32 v3, s2
	s_waitcnt lgkmcnt(0)
	s_barrier
	ds_read_b128 v[8:11], v3 offset:3072
	s_lshl_b64 s[2:3], 3, s7
	s_not_b64 s[30:31], s[2:3]
	v_cmp_eq_u32_e32 vcc, 1, v47
	s_mov_b64 s[22:23], -1
	s_waitcnt lgkmcnt(0)
	v_readfirstlane_b32 s19, v8
	s_cmp_eq_u32 s19, 1
	s_cselect_b64 s[8:9], -1, 0
	v_readfirstlane_b32 s18, v9
	v_readfirstlane_b32 s56, v10
	;; [unrolled: 1-line block ×3, first 2 shown]
	s_and_b64 s[24:25], s[8:9], vcc
	s_mov_b64 s[28:29], -1
                                        ; implicit-def: $sgpr26_sgpr27
                                        ; implicit-def: $sgpr20_sgpr21
	s_and_saveexec_b64 s[8:9], s[24:25]
	s_cbranch_execz .LBB27_113
; %bb.88:                               ;   in Loop: Header=BB27_16 Depth=1
	ds_read_b32 v3, v19 offset:4096
	s_waitcnt lgkmcnt(0)
	s_barrier
	v_readfirstlane_b32 s44, v3
	s_and_saveexec_b64 s[20:21], s[4:5]
; %bb.89:                               ;   in Loop: Header=BB27_16 Depth=1
	ds_write_b64 v36, v[50:51]
; %bb.90:                               ;   in Loop: Header=BB27_16 Depth=1
	s_or_b64 exec, exec, s[20:21]
	v_and_b32_e32 v27, s31, v27
	v_and_b32_e32 v26, s30, v26
	v_or_b32_e32 v29, s3, v29
	v_or_b32_e32 v28, s2, v28
	s_mov_b64 s[20:21], -1
	s_mov_b64 s[26:27], 0
	s_cmp_lt_i32 s44, 1
	s_mov_b64 s[28:29], 0
	s_mov_b64 s[34:35], -1
	s_waitcnt lgkmcnt(0)
	s_barrier
                                        ; implicit-def: $vgpr6_vgpr7
	s_cbranch_scc0 .LBB27_101
; %bb.91:                               ;   in Loop: Header=BB27_16 Depth=1
	s_mov_b64 s[34:35], 0
                                        ; implicit-def: $vgpr6_vgpr7
	s_mov_b64 s[36:37], exec
	v_readlane_b32 s38, v60, 28
	v_readlane_b32 s39, v60, 29
	s_and_b64 s[38:39], s[36:37], s[38:39]
	s_mov_b64 exec, s[38:39]
	s_cbranch_execz .LBB27_100
; %bb.92:                               ;   in Loop: Header=BB27_16 Depth=1
	v_mov_b32_e32 v8, v16
	v_mov_b32_e32 v10, v0
                                        ; implicit-def: $sgpr38_sgpr39
	s_branch .LBB27_95
.LBB27_93:                              ;   in Loop: Header=BB27_95 Depth=2
	s_or_b64 exec, exec, s[40:41]
	s_waitcnt lgkmcnt(0)
	s_barrier
	s_waitcnt vmcnt(0)
	ds_read_b128 v[4:7], v19 offset:3072
	s_mov_b64 s[40:41], -1
	s_mov_b64 s[42:43], -1
	s_waitcnt lgkmcnt(0)
	s_barrier
	v_cmp_ne_u64_e32 vcc, 0, v[4:5]
	s_cbranch_vccz .LBB27_98
.LBB27_94:                              ;   in Loop: Header=BB27_95 Depth=2
	s_and_b64 s[40:41], exec, s[40:41]
	s_or_b64 s[28:29], s[40:41], s[28:29]
	s_andn2_b64 s[38:39], s[38:39], exec
	s_and_b64 s[40:41], s[42:43], exec
	s_or_b64 s[38:39], s[38:39], s[40:41]
	s_andn2_b64 exec, exec, s[28:29]
	s_cbranch_execz .LBB27_99
.LBB27_95:                              ;   Parent Loop BB27_16 Depth=1
                                        ; =>  This Inner Loop Header: Depth=2
	v_cmp_gt_i32_e32 vcc, s60, v10
	s_and_saveexec_b64 s[40:41], vcc
	s_cbranch_execz .LBB27_93
; %bb.96:                               ;   in Loop: Header=BB27_95 Depth=2
	v_ashrrev_i32_e32 v9, 31, v8
	s_waitcnt vmcnt(0)
	v_lshl_add_u64 v[4:5], v[8:9], 3, s[72:73]
	global_load_dwordx2 v[4:5], v[4:5], off
	s_waitcnt vmcnt(0)
	v_xor_b32_e32 v3, 0x80000000, v5
	v_and_b32_e32 v7, v3, v29
	v_and_b32_e32 v6, v4, v28
	v_cmp_eq_u64_e32 vcc, v[6:7], v[26:27]
	s_and_b64 exec, exec, vcc
	s_cbranch_execz .LBB27_93
; %bb.97:                               ;   in Loop: Header=BB27_95 Depth=2
	v_mov_b32_e32 v3, v19
	ds_write_b128 v19, v[2:5] offset:3072
	s_branch .LBB27_93
.LBB27_98:                              ;   in Loop: Header=BB27_95 Depth=2
	v_add_u32_e32 v10, s64, v10
	v_cmp_le_i32_e32 vcc, s17, v10
	v_add_u32_e32 v8, s66, v8
	s_mov_b64 s[42:43], 0
	s_orn2_b64 s[40:41], vcc, exec
	s_branch .LBB27_94
.LBB27_99:                              ;   in Loop: Header=BB27_16 Depth=1
	s_or_b64 exec, exec, s[28:29]
	s_and_b64 s[28:29], s[38:39], exec
.LBB27_100:                             ;   in Loop: Header=BB27_16 Depth=1
	s_or_b64 exec, exec, s[36:37]
.LBB27_101:                             ;   in Loop: Header=BB27_16 Depth=1
	s_and_b64 vcc, exec, s[34:35]
	s_cbranch_vccz .LBB27_112
; %bb.102:                              ;   in Loop: Header=BB27_16 Depth=1
	v_readlane_b32 s20, v60, 8
	s_add_i32 s40, s44, s20
	s_abs_i32 s21, s40
	v_readlane_b32 s26, v60, 27
	s_mul_hi_u32 s26, s21, s26
	s_mul_i32 s26, s26, s64
	s_sub_i32 s21, s21, s26
	s_ashr_i32 s20, s40, 31
	s_sub_i32 s26, s21, s64
	s_cmp_ge_u32 s21, s64
	s_cselect_b32 s21, s26, s21
	s_sub_i32 s26, s21, s64
	s_cmp_ge_u32 s21, s64
	s_cselect_b32 s21, s26, s21
	s_xor_b32 s21, s21, s20
	s_sub_i32 s20, s20, s21
	s_add_i32 s40, s40, s20
	v_cmp_gt_i32_e32 vcc, s40, v0
                                        ; implicit-def: $vgpr6_vgpr7
	s_and_saveexec_b64 s[20:21], vcc
	s_cbranch_execz .LBB27_111
; %bb.103:                              ;   in Loop: Header=BB27_16 Depth=1
	s_mov_b64 s[34:35], 0
	v_mov_b32_e32 v8, v35
	v_mov_b32_e32 v9, v0
                                        ; implicit-def: $sgpr26_sgpr27
	s_branch .LBB27_106
.LBB27_104:                             ;   in Loop: Header=BB27_106 Depth=2
	s_or_b64 exec, exec, s[36:37]
	s_waitcnt lgkmcnt(0)
	s_barrier
	s_waitcnt vmcnt(0)
	ds_read_b128 v[4:7], v19 offset:3072
	s_mov_b64 s[36:37], -1
	s_mov_b64 s[38:39], -1
	s_waitcnt lgkmcnt(0)
	s_barrier
	v_cmp_ne_u64_e32 vcc, 0, v[4:5]
	s_cbranch_vccz .LBB27_109
.LBB27_105:                             ;   in Loop: Header=BB27_106 Depth=2
	s_and_b64 s[36:37], exec, s[36:37]
	s_or_b64 s[34:35], s[36:37], s[34:35]
	s_andn2_b64 s[26:27], s[26:27], exec
	s_and_b64 s[36:37], s[38:39], exec
	s_or_b64 s[26:27], s[26:27], s[36:37]
	s_andn2_b64 exec, exec, s[34:35]
	s_cbranch_execz .LBB27_110
.LBB27_106:                             ;   Parent Loop BB27_16 Depth=1
                                        ; =>  This Inner Loop Header: Depth=2
	v_cmp_gt_i32_e32 vcc, s44, v9
	s_and_saveexec_b64 s[36:37], vcc
	s_cbranch_execz .LBB27_104
; %bb.107:                              ;   in Loop: Header=BB27_106 Depth=2
	s_waitcnt vmcnt(0)
	ds_read_b64 v[4:5], v8
	s_waitcnt lgkmcnt(0)
	v_xor_b32_e32 v3, 0x80000000, v5
	v_and_b32_e32 v7, v3, v29
	v_and_b32_e32 v6, v4, v28
	v_cmp_eq_u64_e32 vcc, v[6:7], v[26:27]
	s_and_b64 exec, exec, vcc
	s_cbranch_execz .LBB27_104
; %bb.108:                              ;   in Loop: Header=BB27_106 Depth=2
	v_mov_b32_e32 v3, v19
	ds_write_b128 v19, v[2:5] offset:3072
	s_branch .LBB27_104
.LBB27_109:                             ;   in Loop: Header=BB27_106 Depth=2
	v_add_u32_e32 v9, s64, v9
	v_cmp_le_i32_e32 vcc, s40, v9
	v_add_u32_e32 v8, s6, v8
	s_mov_b64 s[38:39], 0
	s_orn2_b64 s[36:37], vcc, exec
	s_branch .LBB27_105
.LBB27_110:                             ;   in Loop: Header=BB27_16 Depth=1
	s_or_b64 exec, exec, s[34:35]
	s_andn2_b64 s[28:29], s[28:29], exec
	s_and_b64 s[26:27], s[26:27], exec
	s_or_b64 s[28:29], s[28:29], s[26:27]
.LBB27_111:                             ;   in Loop: Header=BB27_16 Depth=1
	s_or_b64 exec, exec, s[20:21]
	s_mov_b64 s[20:21], 0
	s_mov_b64 s[26:27], -1
.LBB27_112:                             ;   in Loop: Header=BB27_16 Depth=1
	s_orn2_b64 s[28:29], s[28:29], exec
.LBB27_113:                             ;   in Loop: Header=BB27_16 Depth=1
	s_or_b64 exec, exec, s[8:9]
	s_andn2_b64 s[8:9], s[86:87], exec
	s_and_b64 s[26:27], s[26:27], exec
	s_or_b64 s[86:87], s[8:9], s[26:27]
	s_andn2_b64 s[8:9], s[70:71], exec
	s_and_b64 s[20:21], s[20:21], exec
	v_readfirstlane_b32 s34, v0
	v_readfirstlane_b32 s35, v0
	s_andn2_b64 s[68:69], s[68:69], exec
	s_or_b64 s[70:71], s[8:9], s[20:21]
                                        ; implicit-def: $vgpr11
	s_and_saveexec_b64 s[20:21], s[28:29]
	s_cbranch_execz .LBB27_15
; %bb.114:                              ;   in Loop: Header=BB27_16 Depth=1
	s_xor_b64 s[22:23], s[24:25], -1
	s_mov_b64 s[24:25], 0
	v_mov_b32_e32 v11, 1
	v_mov_b32_e32 v10, 1
	s_and_saveexec_b64 s[8:9], s[22:23]
	s_cbranch_execz .LBB27_123
; %bb.115:                              ;   in Loop: Header=BB27_16 Depth=1
	v_cmp_ge_i32_e32 vcc, s19, v47
	s_and_saveexec_b64 s[22:23], vcc
	s_xor_b64 s[22:23], exec, s[22:23]
	s_cbranch_execz .LBB27_120
; %bb.116:                              ;   in Loop: Header=BB27_16 Depth=1
	ds_read_b32 v3, v19 offset:4096
	v_and_b32_e32 v27, s31, v27
	v_and_b32_e32 v26, s30, v26
	v_or_b32_e32 v29, s3, v29
	v_or_b32_e32 v28, s2, v28
	s_waitcnt lgkmcnt(0)
	v_cmp_ne_u32_e32 vcc, 0, v3
	s_cbranch_vccnz .LBB27_120
; %bb.117:                              ;   in Loop: Header=BB27_16 Depth=1
	s_mov_b64 s[24:25], exec
	v_readlane_b32 s26, v60, 5
	v_readlane_b32 s27, v60, 6
	s_and_b64 s[26:27], s[24:25], s[26:27]
	s_mov_b64 exec, s[26:27]
; %bb.118:                              ;   in Loop: Header=BB27_16 Depth=1
	v_mov_b32_e32 v3, s19
	ds_write_b32 v19, v3 offset:4100
; %bb.119:                              ;   in Loop: Header=BB27_16 Depth=1
	s_or_b64 exec, exec, s[24:25]
	s_waitcnt lgkmcnt(0)
	s_barrier
.LBB27_120:                             ;   in Loop: Header=BB27_16 Depth=1
	s_or_saveexec_b64 s[22:23], s[22:23]
	s_mov_b64 s[24:25], 0
	v_mov_b32_e32 v10, 8
	s_xor_b64 exec, exec, s[22:23]
; %bb.121:                              ;   in Loop: Header=BB27_16 Depth=1
	s_mov_b64 s[24:25], exec
	v_subrev_u32_e32 v47, s19, v47
	v_mov_b32_e32 v10, 0
; %bb.122:                              ;   in Loop: Header=BB27_16 Depth=1
	s_or_b64 exec, exec, s[22:23]
	s_and_b64 s[24:25], s[24:25], exec
	v_mov_b32_e32 v11, v47
.LBB27_123:                             ;   in Loop: Header=BB27_16 Depth=1
	s_or_b64 exec, exec, s[8:9]
	s_mov_b64 s[22:23], -1
	s_mov_b64 s[8:9], -1
                                        ; implicit-def: $sgpr26_sgpr27
                                        ; implicit-def: $sgpr28_sgpr29
	s_and_saveexec_b64 s[34:35], s[24:25]
	s_xor_b64 s[24:25], exec, s[34:35]
	s_cbranch_execz .LBB27_240
; %bb.124:                              ;   in Loop: Header=BB27_16 Depth=1
	s_cmp_eq_u32 s18, 1
	s_cselect_b64 s[8:9], -1, 0
	v_cmp_eq_u32_e32 vcc, 1, v11
	s_and_b64 s[8:9], s[8:9], vcc
	s_mov_b64 s[36:37], -1
                                        ; implicit-def: $sgpr28_sgpr29
                                        ; implicit-def: $sgpr26_sgpr27
	s_and_saveexec_b64 s[34:35], s[8:9]
	s_cbranch_execz .LBB27_150
; %bb.125:                              ;   in Loop: Header=BB27_16 Depth=1
	ds_read_b32 v3, v19 offset:4096
	s_waitcnt lgkmcnt(0)
	s_barrier
	v_readfirstlane_b32 s19, v3
	s_and_saveexec_b64 s[26:27], s[4:5]
; %bb.126:                              ;   in Loop: Header=BB27_16 Depth=1
	ds_write_b64 v36, v[50:51]
; %bb.127:                              ;   in Loop: Header=BB27_16 Depth=1
	s_or_b64 exec, exec, s[26:27]
	s_lshl_b64 s[26:27], 1, s7
	v_and_b32_e32 v3, s31, v27
	s_waitcnt vmcnt(0)
	v_and_b32_e32 v4, s30, v26
	v_or_b32_e32 v27, s27, v3
	v_or_b32_e32 v26, s26, v4
	;; [unrolled: 1-line block ×4, first 2 shown]
	s_mov_b64 s[26:27], -1
	s_mov_b64 s[28:29], 0
	s_cmp_gt_i32 s19, 0
	s_mov_b64 s[36:37], 0
	s_mov_b64 s[38:39], -1
	s_waitcnt lgkmcnt(0)
	s_barrier
                                        ; implicit-def: $vgpr6_vgpr7
	s_cbranch_scc1 .LBB27_138
; %bb.128:                              ;   in Loop: Header=BB27_16 Depth=1
	s_mov_b64 s[38:39], 0
                                        ; implicit-def: $vgpr6_vgpr7
	s_mov_b64 s[40:41], exec
	v_readlane_b32 s42, v60, 28
	v_readlane_b32 s43, v60, 29
	s_and_b64 s[42:43], s[40:41], s[42:43]
	s_mov_b64 exec, s[42:43]
	s_cbranch_execz .LBB27_137
; %bb.129:                              ;   in Loop: Header=BB27_16 Depth=1
	v_mov_b32_e32 v8, v16
	v_mov_b32_e32 v12, v0
                                        ; implicit-def: $sgpr42_sgpr43
	s_branch .LBB27_132
.LBB27_130:                             ;   in Loop: Header=BB27_132 Depth=2
	s_or_b64 exec, exec, s[44:45]
	s_waitcnt lgkmcnt(0)
	s_barrier
	ds_read_b128 v[4:7], v19 offset:3072
	s_mov_b64 s[44:45], -1
	s_mov_b64 s[46:47], -1
	s_waitcnt lgkmcnt(0)
	s_barrier
	v_cmp_ne_u64_e32 vcc, 0, v[4:5]
	s_cbranch_vccz .LBB27_135
.LBB27_131:                             ;   in Loop: Header=BB27_132 Depth=2
	s_and_b64 s[44:45], exec, s[44:45]
	s_or_b64 s[36:37], s[44:45], s[36:37]
	s_andn2_b64 s[42:43], s[42:43], exec
	s_and_b64 s[44:45], s[46:47], exec
	s_or_b64 s[42:43], s[42:43], s[44:45]
	s_andn2_b64 exec, exec, s[36:37]
	s_cbranch_execz .LBB27_136
.LBB27_132:                             ;   Parent Loop BB27_16 Depth=1
                                        ; =>  This Inner Loop Header: Depth=2
	v_cmp_gt_i32_e32 vcc, s60, v12
	s_and_saveexec_b64 s[44:45], vcc
	s_cbranch_execz .LBB27_130
; %bb.133:                              ;   in Loop: Header=BB27_132 Depth=2
	v_ashrrev_i32_e32 v9, 31, v8
	v_lshl_add_u64 v[4:5], v[8:9], 3, s[72:73]
	global_load_dwordx2 v[4:5], v[4:5], off
	s_waitcnt vmcnt(0)
	v_xor_b32_e32 v3, 0x80000000, v5
	v_and_b32_e32 v7, v3, v29
	v_and_b32_e32 v6, v4, v28
	v_cmp_eq_u64_e32 vcc, v[6:7], v[26:27]
	s_and_b64 exec, exec, vcc
	s_cbranch_execz .LBB27_130
; %bb.134:                              ;   in Loop: Header=BB27_132 Depth=2
	v_mov_b32_e32 v3, v19
	ds_write_b128 v19, v[2:5] offset:3072
	s_branch .LBB27_130
.LBB27_135:                             ;   in Loop: Header=BB27_132 Depth=2
	v_add_u32_e32 v12, s64, v12
	v_cmp_le_i32_e32 vcc, s17, v12
	v_add_u32_e32 v8, s66, v8
	s_mov_b64 s[46:47], 0
	s_orn2_b64 s[44:45], vcc, exec
	s_branch .LBB27_131
.LBB27_136:                             ;   in Loop: Header=BB27_16 Depth=1
	s_or_b64 exec, exec, s[36:37]
	s_and_b64 s[36:37], s[42:43], exec
.LBB27_137:                             ;   in Loop: Header=BB27_16 Depth=1
	s_or_b64 exec, exec, s[40:41]
.LBB27_138:                             ;   in Loop: Header=BB27_16 Depth=1
	s_and_b64 vcc, exec, s[38:39]
	s_cbranch_vccz .LBB27_149
; %bb.139:                              ;   in Loop: Header=BB27_16 Depth=1
	v_readlane_b32 s26, v60, 8
	s_add_i32 s44, s19, s26
	s_abs_i32 s27, s44
	v_readlane_b32 s28, v60, 27
	s_mul_hi_u32 s28, s27, s28
	s_mul_i32 s28, s28, s64
	s_sub_i32 s27, s27, s28
	s_ashr_i32 s26, s44, 31
	s_sub_i32 s28, s27, s64
	s_cmp_ge_u32 s27, s64
	s_cselect_b32 s27, s28, s27
	s_sub_i32 s28, s27, s64
	s_cmp_ge_u32 s27, s64
	s_cselect_b32 s27, s28, s27
	s_xor_b32 s27, s27, s26
	s_sub_i32 s26, s26, s27
	s_add_i32 s44, s44, s26
	v_cmp_gt_i32_e32 vcc, s44, v0
                                        ; implicit-def: $vgpr6_vgpr7
	s_and_saveexec_b64 s[26:27], vcc
	s_cbranch_execz .LBB27_148
; %bb.140:                              ;   in Loop: Header=BB27_16 Depth=1
	s_mov_b64 s[28:29], 0
	v_mov_b32_e32 v8, v35
	v_mov_b32_e32 v9, v0
                                        ; implicit-def: $sgpr38_sgpr39
	s_branch .LBB27_143
.LBB27_141:                             ;   in Loop: Header=BB27_143 Depth=2
	s_or_b64 exec, exec, s[40:41]
	s_waitcnt lgkmcnt(0)
	s_barrier
	ds_read_b128 v[4:7], v19 offset:3072
	s_mov_b64 s[40:41], -1
	s_mov_b64 s[42:43], -1
	s_waitcnt lgkmcnt(0)
	s_barrier
	v_cmp_eq_u64_e32 vcc, 0, v[4:5]
	s_cbranch_vccnz .LBB27_146
.LBB27_142:                             ;   in Loop: Header=BB27_143 Depth=2
	s_and_b64 s[40:41], exec, s[40:41]
	s_or_b64 s[28:29], s[40:41], s[28:29]
	s_andn2_b64 s[38:39], s[38:39], exec
	s_and_b64 s[40:41], s[42:43], exec
	s_or_b64 s[38:39], s[38:39], s[40:41]
	s_andn2_b64 exec, exec, s[28:29]
	s_cbranch_execz .LBB27_147
.LBB27_143:                             ;   Parent Loop BB27_16 Depth=1
                                        ; =>  This Inner Loop Header: Depth=2
	v_cmp_gt_i32_e32 vcc, s19, v9
	s_and_saveexec_b64 s[40:41], vcc
	s_cbranch_execz .LBB27_141
; %bb.144:                              ;   in Loop: Header=BB27_143 Depth=2
	ds_read_b64 v[4:5], v8
	s_waitcnt lgkmcnt(0)
	v_xor_b32_e32 v3, 0x80000000, v5
	v_and_b32_e32 v7, v3, v29
	v_and_b32_e32 v6, v4, v28
	v_cmp_eq_u64_e32 vcc, v[6:7], v[26:27]
	s_and_b64 exec, exec, vcc
	s_cbranch_execz .LBB27_141
; %bb.145:                              ;   in Loop: Header=BB27_143 Depth=2
	v_mov_b32_e32 v3, v19
	ds_write_b128 v19, v[2:5] offset:3072
	s_branch .LBB27_141
.LBB27_146:                             ;   in Loop: Header=BB27_143 Depth=2
	v_add_u32_e32 v9, s64, v9
	v_cmp_le_i32_e32 vcc, s44, v9
	v_add_u32_e32 v8, s6, v8
	s_mov_b64 s[42:43], 0
	s_orn2_b64 s[40:41], vcc, exec
	s_branch .LBB27_142
.LBB27_147:                             ;   in Loop: Header=BB27_16 Depth=1
	s_or_b64 exec, exec, s[28:29]
	s_andn2_b64 s[28:29], s[36:37], exec
	s_and_b64 s[36:37], s[38:39], exec
	s_or_b64 s[36:37], s[28:29], s[36:37]
.LBB27_148:                             ;   in Loop: Header=BB27_16 Depth=1
	s_or_b64 exec, exec, s[26:27]
	s_mov_b64 s[26:27], 0
	s_mov_b64 s[28:29], -1
.LBB27_149:                             ;   in Loop: Header=BB27_16 Depth=1
	s_orn2_b64 s[36:37], s[36:37], exec
.LBB27_150:                             ;   in Loop: Header=BB27_16 Depth=1
	s_or_b64 exec, exec, s[34:35]
	s_mov_b64 s[38:39], 0
	s_and_saveexec_b64 s[34:35], s[36:37]
	s_cbranch_execz .LBB27_239
; %bb.151:                              ;   in Loop: Header=BB27_16 Depth=1
	s_xor_b64 s[36:37], s[8:9], -1
	s_mov_b64 s[42:43], 0
	s_waitcnt vmcnt(0)
	v_mov_b32_e32 v12, 1
	v_mov_b32_e32 v10, 1
	s_and_saveexec_b64 s[8:9], s[36:37]
	s_cbranch_execz .LBB27_160
; %bb.152:                              ;   in Loop: Header=BB27_16 Depth=1
	v_cmp_ge_i32_e32 vcc, s18, v11
	s_and_saveexec_b64 s[36:37], vcc
	s_xor_b64 s[36:37], exec, s[36:37]
	s_cbranch_execz .LBB27_157
; %bb.153:                              ;   in Loop: Header=BB27_16 Depth=1
	ds_read_b32 v4, v19 offset:4096
	s_lshl_b64 s[38:39], 1, s7
	v_and_b32_e32 v3, s31, v27
	v_and_b32_e32 v5, s30, v26
	v_or_b32_e32 v27, s39, v3
	s_waitcnt lgkmcnt(0)
	v_cmp_ne_u32_e32 vcc, 0, v4
	v_or_b32_e32 v26, s38, v5
	v_or_b32_e32 v29, s3, v29
	;; [unrolled: 1-line block ×3, first 2 shown]
	s_cbranch_vccnz .LBB27_157
; %bb.154:                              ;   in Loop: Header=BB27_16 Depth=1
	s_mov_b64 s[38:39], exec
	v_readlane_b32 s40, v60, 5
	v_readlane_b32 s41, v60, 6
	s_and_b64 s[40:41], s[38:39], s[40:41]
	s_mov_b64 exec, s[40:41]
; %bb.155:                              ;   in Loop: Header=BB27_16 Depth=1
	v_mov_b32_e32 v3, s18
	ds_write_b32 v19, v3 offset:4100
; %bb.156:                              ;   in Loop: Header=BB27_16 Depth=1
	s_or_b64 exec, exec, s[38:39]
	s_waitcnt lgkmcnt(0)
	s_barrier
.LBB27_157:                             ;   in Loop: Header=BB27_16 Depth=1
	s_or_saveexec_b64 s[36:37], s[36:37]
	s_mov_b64 s[38:39], 0
	v_mov_b32_e32 v10, 8
	s_xor_b64 exec, exec, s[36:37]
; %bb.158:                              ;   in Loop: Header=BB27_16 Depth=1
	s_mov_b64 s[38:39], exec
	v_subrev_u32_e32 v11, s18, v11
	v_mov_b32_e32 v10, 0
; %bb.159:                              ;   in Loop: Header=BB27_16 Depth=1
	s_or_b64 exec, exec, s[36:37]
	s_and_b64 s[42:43], s[38:39], exec
	v_mov_b32_e32 v12, v11
.LBB27_160:                             ;   in Loop: Header=BB27_16 Depth=1
	s_or_b64 exec, exec, s[8:9]
	s_mov_b64 s[8:9], -1
                                        ; implicit-def: $sgpr38_sgpr39
                                        ; implicit-def: $sgpr40_sgpr41
	s_and_saveexec_b64 s[36:37], s[42:43]
	s_cbranch_execz .LBB27_238
; %bb.161:                              ;   in Loop: Header=BB27_16 Depth=1
	s_cmp_eq_u32 s56, 1
	s_cselect_b64 s[8:9], -1, 0
	v_cmp_eq_u32_e32 vcc, 1, v12
	s_and_b64 s[8:9], s[8:9], vcc
	s_mov_b64 s[44:45], -1
                                        ; implicit-def: $sgpr40_sgpr41
                                        ; implicit-def: $sgpr38_sgpr39
	s_and_saveexec_b64 s[42:43], s[8:9]
	s_cbranch_execz .LBB27_187
; %bb.162:                              ;   in Loop: Header=BB27_16 Depth=1
	ds_read_b32 v3, v19 offset:4096
	s_waitcnt lgkmcnt(0)
	s_barrier
	v_readfirstlane_b32 s18, v3
	s_and_saveexec_b64 s[38:39], s[4:5]
; %bb.163:                              ;   in Loop: Header=BB27_16 Depth=1
	ds_write_b64 v36, v[50:51]
; %bb.164:                              ;   in Loop: Header=BB27_16 Depth=1
	s_or_b64 exec, exec, s[38:39]
	s_lshl_b64 s[38:39], 2, s7
	v_and_b32_e32 v3, s31, v27
	v_and_b32_e32 v4, s30, v26
	v_or_b32_e32 v27, s39, v3
	v_or_b32_e32 v26, s38, v4
	;; [unrolled: 1-line block ×4, first 2 shown]
	s_mov_b64 s[38:39], -1
	s_mov_b64 s[40:41], 0
	s_cmp_gt_i32 s18, 0
	s_mov_b64 s[44:45], 0
	s_mov_b64 s[46:47], -1
	s_waitcnt lgkmcnt(0)
	s_barrier
                                        ; implicit-def: $vgpr6_vgpr7
	s_cbranch_scc1 .LBB27_175
; %bb.165:                              ;   in Loop: Header=BB27_16 Depth=1
	s_mov_b64 s[46:47], 0
                                        ; implicit-def: $vgpr6_vgpr7
	s_mov_b64 s[48:49], exec
	v_readlane_b32 s50, v60, 28
	v_readlane_b32 s51, v60, 29
	s_and_b64 s[50:51], s[48:49], s[50:51]
	s_mov_b64 exec, s[50:51]
	s_cbranch_execz .LBB27_174
; %bb.166:                              ;   in Loop: Header=BB27_16 Depth=1
	v_mov_b32_e32 v8, v16
	v_mov_b32_e32 v11, v0
                                        ; implicit-def: $sgpr50_sgpr51
	s_branch .LBB27_169
.LBB27_167:                             ;   in Loop: Header=BB27_169 Depth=2
	s_or_b64 exec, exec, s[52:53]
	s_waitcnt lgkmcnt(0)
	s_barrier
	ds_read_b128 v[4:7], v19 offset:3072
	s_mov_b64 s[52:53], -1
	s_mov_b64 s[54:55], -1
	s_waitcnt lgkmcnt(0)
	s_barrier
	v_cmp_ne_u64_e32 vcc, 0, v[4:5]
	s_cbranch_vccz .LBB27_172
.LBB27_168:                             ;   in Loop: Header=BB27_169 Depth=2
	s_and_b64 s[52:53], exec, s[52:53]
	s_or_b64 s[44:45], s[52:53], s[44:45]
	s_andn2_b64 s[50:51], s[50:51], exec
	s_and_b64 s[52:53], s[54:55], exec
	s_or_b64 s[50:51], s[50:51], s[52:53]
	s_andn2_b64 exec, exec, s[44:45]
	s_cbranch_execz .LBB27_173
.LBB27_169:                             ;   Parent Loop BB27_16 Depth=1
                                        ; =>  This Inner Loop Header: Depth=2
	v_cmp_gt_i32_e32 vcc, s60, v11
	s_and_saveexec_b64 s[52:53], vcc
	s_cbranch_execz .LBB27_167
; %bb.170:                              ;   in Loop: Header=BB27_169 Depth=2
	v_ashrrev_i32_e32 v9, 31, v8
	v_lshl_add_u64 v[4:5], v[8:9], 3, s[72:73]
	global_load_dwordx2 v[4:5], v[4:5], off
	s_waitcnt vmcnt(0)
	v_xor_b32_e32 v3, 0x80000000, v5
	v_and_b32_e32 v7, v3, v29
	v_and_b32_e32 v6, v4, v28
	v_cmp_eq_u64_e32 vcc, v[6:7], v[26:27]
	s_and_b64 exec, exec, vcc
	s_cbranch_execz .LBB27_167
; %bb.171:                              ;   in Loop: Header=BB27_169 Depth=2
	v_mov_b32_e32 v3, v19
	ds_write_b128 v19, v[2:5] offset:3072
	s_branch .LBB27_167
.LBB27_172:                             ;   in Loop: Header=BB27_169 Depth=2
	v_add_u32_e32 v11, s64, v11
	v_cmp_le_i32_e32 vcc, s17, v11
	v_add_u32_e32 v8, s66, v8
	s_mov_b64 s[54:55], 0
	s_orn2_b64 s[52:53], vcc, exec
	s_branch .LBB27_168
.LBB27_173:                             ;   in Loop: Header=BB27_16 Depth=1
	s_or_b64 exec, exec, s[44:45]
	s_and_b64 s[44:45], s[50:51], exec
.LBB27_174:                             ;   in Loop: Header=BB27_16 Depth=1
	s_or_b64 exec, exec, s[48:49]
.LBB27_175:                             ;   in Loop: Header=BB27_16 Depth=1
	s_and_b64 vcc, exec, s[46:47]
	s_cbranch_vccz .LBB27_186
; %bb.176:                              ;   in Loop: Header=BB27_16 Depth=1
	v_readlane_b32 s19, v60, 8
	s_add_i32 s19, s18, s19
	s_abs_i32 s39, s19
	v_readlane_b32 s40, v60, 27
	s_mul_hi_u32 s40, s39, s40
	s_mul_i32 s40, s40, s64
	s_sub_i32 s39, s39, s40
	s_ashr_i32 s38, s19, 31
	s_sub_i32 s40, s39, s64
	s_cmp_ge_u32 s39, s64
	s_cselect_b32 s39, s40, s39
	s_sub_i32 s40, s39, s64
	s_cmp_ge_u32 s39, s64
	s_cselect_b32 s39, s40, s39
	s_xor_b32 s39, s39, s38
	s_sub_i32 s38, s38, s39
	s_add_i32 s19, s19, s38
	v_cmp_gt_i32_e32 vcc, s19, v0
                                        ; implicit-def: $vgpr6_vgpr7
	s_and_saveexec_b64 s[38:39], vcc
	s_cbranch_execz .LBB27_185
; %bb.177:                              ;   in Loop: Header=BB27_16 Depth=1
	s_mov_b64 s[40:41], 0
	v_mov_b32_e32 v8, v35
	v_mov_b32_e32 v9, v0
                                        ; implicit-def: $sgpr46_sgpr47
	s_branch .LBB27_180
.LBB27_178:                             ;   in Loop: Header=BB27_180 Depth=2
	s_or_b64 exec, exec, s[48:49]
	s_waitcnt lgkmcnt(0)
	s_barrier
	ds_read_b128 v[4:7], v19 offset:3072
	s_mov_b64 s[48:49], -1
	s_mov_b64 s[50:51], -1
	s_waitcnt lgkmcnt(0)
	s_barrier
	v_cmp_eq_u64_e32 vcc, 0, v[4:5]
	s_cbranch_vccnz .LBB27_183
.LBB27_179:                             ;   in Loop: Header=BB27_180 Depth=2
	s_and_b64 s[48:49], exec, s[48:49]
	s_or_b64 s[40:41], s[48:49], s[40:41]
	s_andn2_b64 s[46:47], s[46:47], exec
	s_and_b64 s[48:49], s[50:51], exec
	s_or_b64 s[46:47], s[46:47], s[48:49]
	s_andn2_b64 exec, exec, s[40:41]
	s_cbranch_execz .LBB27_184
.LBB27_180:                             ;   Parent Loop BB27_16 Depth=1
                                        ; =>  This Inner Loop Header: Depth=2
	v_cmp_gt_i32_e32 vcc, s18, v9
	s_and_saveexec_b64 s[48:49], vcc
	s_cbranch_execz .LBB27_178
; %bb.181:                              ;   in Loop: Header=BB27_180 Depth=2
	ds_read_b64 v[4:5], v8
	s_waitcnt lgkmcnt(0)
	v_xor_b32_e32 v3, 0x80000000, v5
	v_and_b32_e32 v7, v3, v29
	v_and_b32_e32 v6, v4, v28
	v_cmp_eq_u64_e32 vcc, v[6:7], v[26:27]
	s_and_b64 exec, exec, vcc
	s_cbranch_execz .LBB27_178
; %bb.182:                              ;   in Loop: Header=BB27_180 Depth=2
	v_mov_b32_e32 v3, v19
	ds_write_b128 v19, v[2:5] offset:3072
	s_branch .LBB27_178
.LBB27_183:                             ;   in Loop: Header=BB27_180 Depth=2
	v_add_u32_e32 v9, s64, v9
	v_cmp_le_i32_e32 vcc, s19, v9
	v_add_u32_e32 v8, s6, v8
	s_mov_b64 s[50:51], 0
	s_orn2_b64 s[48:49], vcc, exec
	s_branch .LBB27_179
.LBB27_184:                             ;   in Loop: Header=BB27_16 Depth=1
	s_or_b64 exec, exec, s[40:41]
	s_andn2_b64 s[18:19], s[44:45], exec
	s_and_b64 s[40:41], s[46:47], exec
	s_or_b64 s[44:45], s[18:19], s[40:41]
.LBB27_185:                             ;   in Loop: Header=BB27_16 Depth=1
	s_or_b64 exec, exec, s[38:39]
	s_mov_b64 s[38:39], 0
	s_mov_b64 s[40:41], -1
.LBB27_186:                             ;   in Loop: Header=BB27_16 Depth=1
	s_orn2_b64 s[44:45], s[44:45], exec
.LBB27_187:                             ;   in Loop: Header=BB27_16 Depth=1
	s_or_b64 exec, exec, s[42:43]
	s_mov_b64 s[46:47], 0
	s_and_saveexec_b64 s[42:43], s[44:45]
	s_cbranch_execz .LBB27_237
; %bb.188:                              ;   in Loop: Header=BB27_16 Depth=1
	s_xor_b64 s[18:19], s[8:9], -1
	s_mov_b64 s[48:49], 0
	v_mov_b32_e32 v11, 1
	v_mov_b32_e32 v10, 1
	s_and_saveexec_b64 s[8:9], s[18:19]
	s_cbranch_execz .LBB27_197
; %bb.189:                              ;   in Loop: Header=BB27_16 Depth=1
	v_cmp_ge_i32_e32 vcc, s56, v12
	s_and_saveexec_b64 s[18:19], vcc
	s_xor_b64 s[44:45], exec, s[18:19]
	s_cbranch_execz .LBB27_194
; %bb.190:                              ;   in Loop: Header=BB27_16 Depth=1
	ds_read_b32 v4, v19 offset:4096
	s_lshl_b64 s[18:19], 2, s7
	v_and_b32_e32 v3, s31, v27
	v_and_b32_e32 v5, s30, v26
	v_or_b32_e32 v27, s19, v3
	s_waitcnt lgkmcnt(0)
	v_cmp_ne_u32_e32 vcc, 0, v4
	v_or_b32_e32 v26, s18, v5
	v_or_b32_e32 v29, s3, v29
	;; [unrolled: 1-line block ×3, first 2 shown]
	s_cbranch_vccnz .LBB27_194
; %bb.191:                              ;   in Loop: Header=BB27_16 Depth=1
	s_mov_b64 s[30:31], exec
	v_readlane_b32 s18, v60, 5
	v_readlane_b32 s19, v60, 6
	s_and_b64 s[18:19], s[30:31], s[18:19]
	s_mov_b64 exec, s[18:19]
; %bb.192:                              ;   in Loop: Header=BB27_16 Depth=1
	v_mov_b32_e32 v3, s56
	ds_write_b32 v19, v3 offset:4100
; %bb.193:                              ;   in Loop: Header=BB27_16 Depth=1
	s_or_b64 exec, exec, s[30:31]
	s_waitcnt lgkmcnt(0)
	s_barrier
.LBB27_194:                             ;   in Loop: Header=BB27_16 Depth=1
	s_or_saveexec_b64 s[30:31], s[44:45]
	s_mov_b64 s[44:45], 0
	v_mov_b32_e32 v10, 8
	s_xor_b64 exec, exec, s[30:31]
; %bb.195:                              ;   in Loop: Header=BB27_16 Depth=1
	s_mov_b64 s[44:45], exec
	v_subrev_u32_e32 v12, s56, v12
	v_mov_b32_e32 v10, 0
; %bb.196:                              ;   in Loop: Header=BB27_16 Depth=1
	s_or_b64 exec, exec, s[30:31]
	s_and_b64 s[48:49], s[44:45], exec
	v_mov_b32_e32 v11, v12
.LBB27_197:                             ;   in Loop: Header=BB27_16 Depth=1
	s_or_b64 exec, exec, s[8:9]
	s_mov_b64 s[8:9], -1
                                        ; implicit-def: $sgpr46_sgpr47
                                        ; implicit-def: $sgpr44_sgpr45
	s_and_saveexec_b64 s[30:31], s[48:49]
	s_cbranch_execz .LBB27_236
; %bb.198:                              ;   in Loop: Header=BB27_16 Depth=1
	s_cmp_eq_u32 s88, 1
	s_cselect_b64 s[8:9], -1, 0
	v_cmp_eq_u32_e32 vcc, 1, v11
	s_and_b64 s[8:9], s[8:9], vcc
	s_mov_b64 s[50:51], -1
                                        ; implicit-def: $sgpr46_sgpr47
                                        ; implicit-def: $sgpr44_sgpr45
	s_and_saveexec_b64 s[48:49], s[8:9]
	s_cbranch_execz .LBB27_224
; %bb.199:                              ;   in Loop: Header=BB27_16 Depth=1
	ds_read_b32 v3, v19 offset:4096
	s_waitcnt lgkmcnt(0)
	s_barrier
	v_readfirstlane_b32 s18, v3
	s_and_saveexec_b64 s[44:45], s[4:5]
; %bb.200:                              ;   in Loop: Header=BB27_16 Depth=1
	ds_write_b64 v36, v[50:51]
; %bb.201:                              ;   in Loop: Header=BB27_16 Depth=1
	s_or_b64 exec, exec, s[44:45]
	v_or_b32_e32 v27, s3, v27
	v_or_b32_e32 v26, s2, v26
	;; [unrolled: 1-line block ×4, first 2 shown]
	s_mov_b64 s[44:45], -1
	s_mov_b64 s[46:47], 0
	s_cmp_gt_i32 s18, 0
	s_mov_b64 s[50:51], 0
	s_mov_b64 s[52:53], -1
	s_waitcnt lgkmcnt(0)
	s_barrier
                                        ; implicit-def: $vgpr6_vgpr7
	s_cbranch_scc1 .LBB27_212
; %bb.202:                              ;   in Loop: Header=BB27_16 Depth=1
	s_mov_b64 s[52:53], 0
                                        ; implicit-def: $vgpr6_vgpr7
	s_mov_b64 s[54:55], exec
	v_readlane_b32 s56, v60, 28
	v_readlane_b32 s57, v60, 29
	s_and_b64 s[56:57], s[54:55], s[56:57]
	s_mov_b64 exec, s[56:57]
	s_cbranch_execz .LBB27_211
; %bb.203:                              ;   in Loop: Header=BB27_16 Depth=1
	v_mov_b32_e32 v8, v16
	v_mov_b32_e32 v12, v0
                                        ; implicit-def: $sgpr56_sgpr57
	s_branch .LBB27_206
.LBB27_204:                             ;   in Loop: Header=BB27_206 Depth=2
	s_or_b64 exec, exec, s[58:59]
	s_waitcnt lgkmcnt(0)
	s_barrier
	ds_read_b128 v[4:7], v19 offset:3072
	s_mov_b64 s[58:59], -1
	s_mov_b64 s[74:75], -1
	s_waitcnt lgkmcnt(0)
	s_barrier
	v_cmp_ne_u64_e32 vcc, 0, v[4:5]
	s_cbranch_vccz .LBB27_209
.LBB27_205:                             ;   in Loop: Header=BB27_206 Depth=2
	s_and_b64 s[58:59], exec, s[58:59]
	s_or_b64 s[50:51], s[58:59], s[50:51]
	s_andn2_b64 s[56:57], s[56:57], exec
	s_and_b64 s[58:59], s[74:75], exec
	s_or_b64 s[56:57], s[56:57], s[58:59]
	s_andn2_b64 exec, exec, s[50:51]
	s_cbranch_execz .LBB27_210
.LBB27_206:                             ;   Parent Loop BB27_16 Depth=1
                                        ; =>  This Inner Loop Header: Depth=2
	v_cmp_gt_i32_e32 vcc, s60, v12
	s_and_saveexec_b64 s[58:59], vcc
	s_cbranch_execz .LBB27_204
; %bb.207:                              ;   in Loop: Header=BB27_206 Depth=2
	v_ashrrev_i32_e32 v9, 31, v8
	v_lshl_add_u64 v[4:5], v[8:9], 3, s[72:73]
	global_load_dwordx2 v[4:5], v[4:5], off
	s_waitcnt vmcnt(0)
	v_xor_b32_e32 v3, 0x80000000, v5
	v_and_b32_e32 v7, v3, v29
	v_and_b32_e32 v6, v4, v28
	v_cmp_eq_u64_e32 vcc, v[6:7], v[26:27]
	s_and_b64 exec, exec, vcc
	s_cbranch_execz .LBB27_204
; %bb.208:                              ;   in Loop: Header=BB27_206 Depth=2
	v_mov_b32_e32 v3, v19
	ds_write_b128 v19, v[2:5] offset:3072
	s_branch .LBB27_204
.LBB27_209:                             ;   in Loop: Header=BB27_206 Depth=2
	v_add_u32_e32 v12, s64, v12
	v_cmp_le_i32_e32 vcc, s17, v12
	v_add_u32_e32 v8, s66, v8
	s_mov_b64 s[74:75], 0
	s_orn2_b64 s[58:59], vcc, exec
	s_branch .LBB27_205
.LBB27_210:                             ;   in Loop: Header=BB27_16 Depth=1
	s_or_b64 exec, exec, s[50:51]
	s_and_b64 s[50:51], s[56:57], exec
.LBB27_211:                             ;   in Loop: Header=BB27_16 Depth=1
	s_or_b64 exec, exec, s[54:55]
.LBB27_212:                             ;   in Loop: Header=BB27_16 Depth=1
	s_and_b64 vcc, exec, s[52:53]
	s_cbranch_vccz .LBB27_223
; %bb.213:                              ;   in Loop: Header=BB27_16 Depth=1
	v_readlane_b32 s19, v60, 8
	s_add_i32 s19, s18, s19
	s_abs_i32 s45, s19
	v_readlane_b32 s46, v60, 27
	s_mul_hi_u32 s46, s45, s46
	s_mul_i32 s46, s46, s64
	s_sub_i32 s45, s45, s46
	s_ashr_i32 s44, s19, 31
	s_sub_i32 s46, s45, s64
	s_cmp_ge_u32 s45, s64
	s_cselect_b32 s45, s46, s45
	s_sub_i32 s46, s45, s64
	s_cmp_ge_u32 s45, s64
	s_cselect_b32 s45, s46, s45
	s_xor_b32 s45, s45, s44
	s_sub_i32 s44, s44, s45
	s_add_i32 s19, s19, s44
	v_cmp_gt_i32_e32 vcc, s19, v0
                                        ; implicit-def: $vgpr6_vgpr7
	s_and_saveexec_b64 s[44:45], vcc
	s_cbranch_execz .LBB27_222
; %bb.214:                              ;   in Loop: Header=BB27_16 Depth=1
	s_mov_b64 s[46:47], 0
	v_mov_b32_e32 v8, v35
	v_mov_b32_e32 v9, v0
                                        ; implicit-def: $sgpr52_sgpr53
	s_branch .LBB27_217
.LBB27_215:                             ;   in Loop: Header=BB27_217 Depth=2
	s_or_b64 exec, exec, s[54:55]
	s_waitcnt lgkmcnt(0)
	s_barrier
	ds_read_b128 v[4:7], v19 offset:3072
	s_mov_b64 s[54:55], -1
	s_mov_b64 s[56:57], -1
	s_waitcnt lgkmcnt(0)
	s_barrier
	v_cmp_eq_u64_e32 vcc, 0, v[4:5]
	s_cbranch_vccnz .LBB27_220
.LBB27_216:                             ;   in Loop: Header=BB27_217 Depth=2
	s_and_b64 s[54:55], exec, s[54:55]
	s_or_b64 s[46:47], s[54:55], s[46:47]
	s_andn2_b64 s[52:53], s[52:53], exec
	s_and_b64 s[54:55], s[56:57], exec
	s_or_b64 s[52:53], s[52:53], s[54:55]
	s_andn2_b64 exec, exec, s[46:47]
	s_cbranch_execz .LBB27_221
.LBB27_217:                             ;   Parent Loop BB27_16 Depth=1
                                        ; =>  This Inner Loop Header: Depth=2
	v_cmp_gt_i32_e32 vcc, s18, v9
	s_and_saveexec_b64 s[54:55], vcc
	s_cbranch_execz .LBB27_215
; %bb.218:                              ;   in Loop: Header=BB27_217 Depth=2
	ds_read_b64 v[4:5], v8
	s_waitcnt lgkmcnt(0)
	v_xor_b32_e32 v3, 0x80000000, v5
	v_and_b32_e32 v7, v3, v29
	v_and_b32_e32 v6, v4, v28
	v_cmp_eq_u64_e32 vcc, v[6:7], v[26:27]
	s_and_b64 exec, exec, vcc
	s_cbranch_execz .LBB27_215
; %bb.219:                              ;   in Loop: Header=BB27_217 Depth=2
	v_mov_b32_e32 v3, v19
	ds_write_b128 v19, v[2:5] offset:3072
	s_branch .LBB27_215
.LBB27_220:                             ;   in Loop: Header=BB27_217 Depth=2
	v_add_u32_e32 v9, s64, v9
	v_cmp_le_i32_e32 vcc, s19, v9
	v_add_u32_e32 v8, s6, v8
	s_mov_b64 s[56:57], 0
	s_orn2_b64 s[54:55], vcc, exec
	s_branch .LBB27_216
.LBB27_221:                             ;   in Loop: Header=BB27_16 Depth=1
	s_or_b64 exec, exec, s[46:47]
	s_andn2_b64 s[18:19], s[50:51], exec
	s_and_b64 s[46:47], s[52:53], exec
	s_or_b64 s[50:51], s[18:19], s[46:47]
.LBB27_222:                             ;   in Loop: Header=BB27_16 Depth=1
	s_or_b64 exec, exec, s[44:45]
	s_mov_b64 s[44:45], 0
	s_mov_b64 s[46:47], -1
.LBB27_223:                             ;   in Loop: Header=BB27_16 Depth=1
	s_orn2_b64 s[50:51], s[50:51], exec
.LBB27_224:                             ;   in Loop: Header=BB27_16 Depth=1
	s_or_b64 exec, exec, s[48:49]
	s_mov_b64 s[52:53], 0
	s_and_saveexec_b64 s[48:49], s[50:51]
	s_cbranch_execz .LBB27_235
; %bb.225:                              ;   in Loop: Header=BB27_16 Depth=1
	s_xor_b64 s[18:19], s[8:9], -1
	v_mov_b32_e32 v10, 1
	v_mov_b32_e32 v3, 1
	s_and_saveexec_b64 s[8:9], s[18:19]
	s_cbranch_execz .LBB27_234
; %bb.226:                              ;   in Loop: Header=BB27_16 Depth=1
	v_cmp_ge_i32_e32 vcc, s88, v11
	s_and_saveexec_b64 s[18:19], vcc
	s_xor_b64 s[50:51], exec, s[18:19]
	s_cbranch_execz .LBB27_231
; %bb.227:                              ;   in Loop: Header=BB27_16 Depth=1
	ds_read_b32 v3, v19 offset:4096
	v_or_b32_e32 v27, s3, v27
	v_or_b32_e32 v26, s2, v26
	;; [unrolled: 1-line block ×4, first 2 shown]
	s_waitcnt lgkmcnt(0)
	v_cmp_ne_u32_e32 vcc, 0, v3
	s_cbranch_vccnz .LBB27_231
; %bb.228:                              ;   in Loop: Header=BB27_16 Depth=1
	s_mov_b64 s[2:3], exec
	v_readlane_b32 s18, v60, 5
	v_readlane_b32 s19, v60, 6
	s_and_b64 s[18:19], s[2:3], s[18:19]
	s_mov_b64 exec, s[18:19]
; %bb.229:                              ;   in Loop: Header=BB27_16 Depth=1
	v_mov_b32_e32 v3, s88
	ds_write_b32 v19, v3 offset:4100
; %bb.230:                              ;   in Loop: Header=BB27_16 Depth=1
	s_or_b64 exec, exec, s[2:3]
	s_waitcnt lgkmcnt(0)
	s_barrier
.LBB27_231:                             ;   in Loop: Header=BB27_16 Depth=1
	s_andn2_saveexec_b64 s[2:3], s[50:51]
; %bb.232:                              ;   in Loop: Header=BB27_16 Depth=1
	v_subrev_u32_e32 v11, s88, v11
; %bb.233:                              ;   in Loop: Header=BB27_16 Depth=1
	s_or_b64 exec, exec, s[2:3]
	v_mov_b32_e32 v10, 8
	v_mov_b32_e32 v3, v11
.LBB27_234:                             ;   in Loop: Header=BB27_16 Depth=1
	s_or_b64 exec, exec, s[8:9]
	s_mov_b64 s[52:53], exec
	v_mov_b32_e32 v11, v3
.LBB27_235:                             ;   in Loop: Header=BB27_16 Depth=1
	s_or_b64 exec, exec, s[48:49]
	s_orn2_b64 s[8:9], s[52:53], exec
.LBB27_236:                             ;   in Loop: Header=BB27_16 Depth=1
	s_or_b64 exec, exec, s[30:31]
	s_andn2_b64 s[2:3], s[40:41], exec
	s_and_b64 s[18:19], s[46:47], exec
	s_or_b64 s[40:41], s[2:3], s[18:19]
	s_andn2_b64 s[2:3], s[38:39], exec
	s_and_b64 s[18:19], s[44:45], exec
	s_or_b64 s[38:39], s[2:3], s[18:19]
	s_and_b64 s[46:47], s[8:9], exec
	v_mov_b32_e32 v12, v11
.LBB27_237:                             ;   in Loop: Header=BB27_16 Depth=1
	s_or_b64 exec, exec, s[42:43]
	s_orn2_b64 s[8:9], s[46:47], exec
.LBB27_238:                             ;   in Loop: Header=BB27_16 Depth=1
	s_or_b64 exec, exec, s[36:37]
	s_andn2_b64 s[2:3], s[28:29], exec
	s_and_b64 s[18:19], s[40:41], exec
	s_or_b64 s[28:29], s[2:3], s[18:19]
	s_andn2_b64 s[2:3], s[26:27], exec
	s_and_b64 s[18:19], s[38:39], exec
	s_or_b64 s[26:27], s[2:3], s[18:19]
	s_and_b64 s[38:39], s[8:9], exec
	v_mov_b32_e32 v11, v12
.LBB27_239:                             ;   in Loop: Header=BB27_16 Depth=1
	s_or_b64 exec, exec, s[34:35]
	s_orn2_b64 s[8:9], s[38:39], exec
.LBB27_240:                             ;   in Loop: Header=BB27_16 Depth=1
	s_or_b64 exec, exec, s[24:25]
	s_mov_b64 s[24:25], 0
                                        ; implicit-def: $sgpr34
                                        ; implicit-def: $sgpr35
	s_and_saveexec_b64 s[2:3], s[8:9]
	s_xor_b64 s[2:3], exec, s[2:3]
	s_cbranch_execz .LBB27_14
; %bb.241:                              ;   in Loop: Header=BB27_16 Depth=1
	v_and_b32_e32 v3, 7, v10
	v_cmp_eq_u32_e32 vcc, 0, v3
	s_mov_b64 s[8:9], -1
	s_mov_b64 s[22:23], -1
                                        ; implicit-def: $sgpr34
                                        ; implicit-def: $sgpr35
	s_and_saveexec_b64 s[24:25], vcc
	s_cbranch_execz .LBB27_13
; %bb.242:                              ;   in Loop: Header=BB27_16 Depth=1
	s_xor_b32 s35, s61, 1
	s_add_i32 s34, s7, -2
	s_cmp_eq_u32 s7, 0
	s_cselect_b64 s[8:9], -1, 0
	s_xor_b64 s[22:23], exec, -1
	s_orn2_b64 s[8:9], s[8:9], exec
	s_branch .LBB27_13
.LBB27_243:
	s_or_b64 exec, exec, s[92:93]
	s_xor_b64 s[6:7], s[98:99], -1
	s_xor_b64 s[0:1], s[94:95], -1
	;; [unrolled: 1-line block ×3, first 2 shown]
	s_mov_b64 s[2:3], 0
	s_and_saveexec_b64 s[8:9], s[0:1]
	s_xor_b64 s[0:1], exec, s[8:9]
	s_cbranch_execnz .LBB27_248
; %bb.244:
	s_andn2_saveexec_b64 s[0:1], s[0:1]
	s_cbranch_execnz .LBB27_268
.LBB27_245:
	s_or_b64 exec, exec, s[0:1]
	s_and_saveexec_b64 s[0:1], s[2:3]
.LBB27_246:
	; divergent unreachable
.LBB27_247:
	s_endpgm
.LBB27_248:
	s_and_saveexec_b64 s[2:3], s[6:7]
	s_xor_b64 s[2:3], exec, s[2:3]
	s_cbranch_execz .LBB27_266
; %bb.249:
	s_and_saveexec_b64 s[6:7], s[4:5]
	s_xor_b64 s[4:5], exec, s[6:7]
; %bb.250:
	v_xor_b32_e32 v27, 0x80000000, v27
	v_mov_b64_e32 v[6:7], v[26:27]
; %bb.251:
	s_or_b64 exec, exec, s[4:5]
	s_mov_b64 s[4:5], exec
	v_readlane_b32 s6, v60, 5
	v_readlane_b32 s7, v60, 6
	s_and_b64 s[6:7], s[4:5], s[6:7]
	s_mov_b64 exec, s[6:7]
; %bb.252:
	v_mov_b32_e32 v1, 0
	v_mov_b32_e32 v2, s60
	ds_write_b32 v1, v2 offset:4108
; %bb.253:
	s_or_b64 exec, exec, s[4:5]
	v_mov_b32_e32 v1, 0
	s_waitcnt lgkmcnt(0)
	s_barrier
	ds_read_b32 v1, v1 offset:4108
	s_waitcnt lgkmcnt(0)
	v_min_i32_e32 v2, s60, v1
	v_cmp_lt_i32_e32 vcc, v0, v2
	s_and_saveexec_b64 s[4:5], vcc
	s_cbranch_execz .LBB27_263
; %bb.254:
	s_mov_b64 s[6:7], 0
                                        ; implicit-def: $sgpr8_sgpr9
                                        ; implicit-def: $sgpr12_sgpr13
                                        ; implicit-def: $sgpr10_sgpr11
	s_branch .LBB27_256
.LBB27_255:                             ;   in Loop: Header=BB27_256 Depth=1
	s_or_b64 exec, exec, s[14:15]
	s_and_b64 s[14:15], exec, s[12:13]
	s_or_b64 s[6:7], s[14:15], s[6:7]
	s_andn2_b64 s[8:9], s[8:9], exec
	s_and_b64 s[14:15], s[10:11], exec
	s_or_b64 s[8:9], s[8:9], s[14:15]
	s_andn2_b64 exec, exec, s[6:7]
	s_cbranch_execz .LBB27_258
.LBB27_256:                             ; =>This Inner Loop Header: Depth=1
	v_ashrrev_i32_e32 v17, 31, v16
	s_waitcnt vmcnt(0)
	v_lshl_add_u64 v[4:5], v[16:17], 3, s[72:73]
	global_load_dwordx2 v[4:5], v[4:5], off
	v_mov_b32_e32 v1, v0
	s_or_b64 s[10:11], s[10:11], exec
	s_or_b64 s[12:13], s[12:13], exec
                                        ; implicit-def: $vgpr0
	s_waitcnt vmcnt(0)
	v_cmp_ne_u64_e32 vcc, v[4:5], v[6:7]
	s_and_saveexec_b64 s[14:15], vcc
	s_cbranch_execz .LBB27_255
; %bb.257:                              ;   in Loop: Header=BB27_256 Depth=1
	v_add_u32_e32 v0, s64, v1
	v_cmp_ge_i32_e32 vcc, v0, v2
	s_andn2_b64 s[12:13], s[12:13], exec
	s_and_b64 s[16:17], vcc, exec
	v_add_u32_e32 v16, s66, v16
	s_andn2_b64 s[10:11], s[10:11], exec
	s_or_b64 s[12:13], s[12:13], s[16:17]
	s_branch .LBB27_255
.LBB27_258:
	s_or_b64 exec, exec, s[6:7]
	s_and_saveexec_b64 s[6:7], s[8:9]
	s_xor_b64 s[6:7], exec, s[6:7]
	s_cbranch_execz .LBB27_263
; %bb.259:
	s_mov_b64 s[6:7], exec
	s_brev_b32 s8, -2
.LBB27_260:                             ; =>This Inner Loop Header: Depth=1
	s_ff1_i32_b64 s9, s[6:7]
	v_readlane_b32 s12, v1, s9
	s_lshl_b64 s[10:11], 1, s9
	s_min_i32 s8, s8, s12
	s_andn2_b64 s[6:7], s[6:7], s[10:11]
	s_cmp_lg_u64 s[6:7], 0
	s_cbranch_scc1 .LBB27_260
; %bb.261:
	v_mbcnt_lo_u32_b32 v0, exec_lo, 0
	v_mbcnt_hi_u32_b32 v0, exec_hi, v0
	v_cmp_eq_u32_e32 vcc, 0, v0
	s_and_saveexec_b64 s[6:7], vcc
	s_xor_b64 s[6:7], exec, s[6:7]
; %bb.262:
	v_mov_b32_e32 v0, 0
	v_mov_b32_e32 v1, s8
	ds_min_i32 v0, v1 offset:4108
.LBB27_263:
	s_or_b64 exec, exec, s[4:5]
	s_waitcnt lgkmcnt(0)
	s_barrier
	s_mov_b64 s[4:5], exec
	v_readlane_b32 s6, v60, 5
	v_readlane_b32 s7, v60, 6
	s_and_b64 s[6:7], s[4:5], s[6:7]
	s_mov_b64 exec, s[6:7]
	s_cbranch_execz .LBB27_265
; %bb.264:
	v_readlane_b32 s6, v60, 0
	s_mul_i32 s6, s6, s62
	v_readlane_b32 s7, v60, 7
	s_add_i32 s6, s6, s65
	s_mul_i32 s7, s7, s33
	s_add_i32 s8, s7, s67
	s_ashr_i32 s7, s6, 31
	v_mov_b32_e32 v2, 0
	s_lshl_b64 s[6:7], s[6:7], 3
	v_readlane_b32 s10, v60, 1
	ds_read_b32 v0, v2 offset:4108
	v_readlane_b32 s11, v60, 2
	s_add_u32 s6, s10, s6
	s_addc_u32 s7, s11, s7
	s_ashr_i32 s9, s8, 31
	s_lshl_b64 s[8:9], s[8:9], 3
	v_readlane_b32 s10, v60, 3
	v_readlane_b32 s11, v60, 4
	s_add_u32 s8, s10, s8
	s_addc_u32 s9, s11, s9
	s_waitcnt lgkmcnt(0)
	v_ashrrev_i32_e32 v1, 31, v0
	global_store_dwordx2 v2, v[0:1], s[8:9]
	global_store_dwordx2 v2, v[6:7], s[6:7]
.LBB27_265:
	s_or_b64 exec, exec, s[4:5]
.LBB27_266:
	s_or_saveexec_b64 s[2:3], s[2:3]
	s_mov_b64 s[4:5], 0
	s_xor_b64 exec, exec, s[2:3]
	s_cbranch_execnz .LBB27_269
.LBB27_267:
	s_or_b64 exec, exec, s[2:3]
	s_and_b64 s[2:3], s[4:5], exec
	s_andn2_saveexec_b64 s[0:1], s[0:1]
	s_cbranch_execz .LBB27_245
.LBB27_268:
	s_or_b64 s[2:3], s[2:3], exec
	s_trap 2
	s_or_b64 exec, exec, s[0:1]
	s_and_saveexec_b64 s[0:1], s[2:3]
	s_cbranch_execnz .LBB27_246
	s_branch .LBB27_247
.LBB27_269:
	s_mov_b64 s[4:5], exec
	s_trap 2
	s_branch .LBB27_267
	.section	.rodata,"a",@progbits
	.p2align	6, 0x0
	.amdhsa_kernel _ZN2at6native12_GLOBAL__N_114gatherKthValueIliLin1EEEvNS_4cuda6detail10TensorInfoIKT_T0_EES8_S8_S8_S8_NS5_IS6_S8_EENS5_IlS8_EE
		.amdhsa_group_segment_fixed_size 4112
		.amdhsa_private_segment_fixed_size 0
		.amdhsa_kernarg_size 920
		.amdhsa_user_sgpr_count 2
		.amdhsa_user_sgpr_dispatch_ptr 0
		.amdhsa_user_sgpr_queue_ptr 0
		.amdhsa_user_sgpr_kernarg_segment_ptr 1
		.amdhsa_user_sgpr_dispatch_id 0
		.amdhsa_user_sgpr_kernarg_preload_length 0
		.amdhsa_user_sgpr_kernarg_preload_offset 0
		.amdhsa_user_sgpr_private_segment_size 0
		.amdhsa_uses_dynamic_stack 0
		.amdhsa_enable_private_segment 0
		.amdhsa_system_sgpr_workgroup_id_x 1
		.amdhsa_system_sgpr_workgroup_id_y 1
		.amdhsa_system_sgpr_workgroup_id_z 1
		.amdhsa_system_sgpr_workgroup_info 0
		.amdhsa_system_vgpr_workitem_id 0
		.amdhsa_next_free_vgpr 61
		.amdhsa_next_free_sgpr 100
		.amdhsa_accum_offset 64
		.amdhsa_reserve_vcc 1
		.amdhsa_float_round_mode_32 0
		.amdhsa_float_round_mode_16_64 0
		.amdhsa_float_denorm_mode_32 3
		.amdhsa_float_denorm_mode_16_64 3
		.amdhsa_dx10_clamp 1
		.amdhsa_ieee_mode 1
		.amdhsa_fp16_overflow 0
		.amdhsa_tg_split 0
		.amdhsa_exception_fp_ieee_invalid_op 0
		.amdhsa_exception_fp_denorm_src 0
		.amdhsa_exception_fp_ieee_div_zero 0
		.amdhsa_exception_fp_ieee_overflow 0
		.amdhsa_exception_fp_ieee_underflow 0
		.amdhsa_exception_fp_ieee_inexact 0
		.amdhsa_exception_int_div_zero 0
	.end_amdhsa_kernel
	.section	.text._ZN2at6native12_GLOBAL__N_114gatherKthValueIliLin1EEEvNS_4cuda6detail10TensorInfoIKT_T0_EES8_S8_S8_S8_NS5_IS6_S8_EENS5_IlS8_EE,"axG",@progbits,_ZN2at6native12_GLOBAL__N_114gatherKthValueIliLin1EEEvNS_4cuda6detail10TensorInfoIKT_T0_EES8_S8_S8_S8_NS5_IS6_S8_EENS5_IlS8_EE,comdat
.Lfunc_end27:
	.size	_ZN2at6native12_GLOBAL__N_114gatherKthValueIliLin1EEEvNS_4cuda6detail10TensorInfoIKT_T0_EES8_S8_S8_S8_NS5_IS6_S8_EENS5_IlS8_EE, .Lfunc_end27-_ZN2at6native12_GLOBAL__N_114gatherKthValueIliLin1EEEvNS_4cuda6detail10TensorInfoIKT_T0_EES8_S8_S8_S8_NS5_IS6_S8_EENS5_IlS8_EE
                                        ; -- End function
	.set _ZN2at6native12_GLOBAL__N_114gatherKthValueIliLin1EEEvNS_4cuda6detail10TensorInfoIKT_T0_EES8_S8_S8_S8_NS5_IS6_S8_EENS5_IlS8_EE.num_vgpr, 61
	.set _ZN2at6native12_GLOBAL__N_114gatherKthValueIliLin1EEEvNS_4cuda6detail10TensorInfoIKT_T0_EES8_S8_S8_S8_NS5_IS6_S8_EENS5_IlS8_EE.num_agpr, 0
	.set _ZN2at6native12_GLOBAL__N_114gatherKthValueIliLin1EEEvNS_4cuda6detail10TensorInfoIKT_T0_EES8_S8_S8_S8_NS5_IS6_S8_EENS5_IlS8_EE.numbered_sgpr, 100
	.set _ZN2at6native12_GLOBAL__N_114gatherKthValueIliLin1EEEvNS_4cuda6detail10TensorInfoIKT_T0_EES8_S8_S8_S8_NS5_IS6_S8_EENS5_IlS8_EE.num_named_barrier, 0
	.set _ZN2at6native12_GLOBAL__N_114gatherKthValueIliLin1EEEvNS_4cuda6detail10TensorInfoIKT_T0_EES8_S8_S8_S8_NS5_IS6_S8_EENS5_IlS8_EE.private_seg_size, 0
	.set _ZN2at6native12_GLOBAL__N_114gatherKthValueIliLin1EEEvNS_4cuda6detail10TensorInfoIKT_T0_EES8_S8_S8_S8_NS5_IS6_S8_EENS5_IlS8_EE.uses_vcc, 1
	.set _ZN2at6native12_GLOBAL__N_114gatherKthValueIliLin1EEEvNS_4cuda6detail10TensorInfoIKT_T0_EES8_S8_S8_S8_NS5_IS6_S8_EENS5_IlS8_EE.uses_flat_scratch, 0
	.set _ZN2at6native12_GLOBAL__N_114gatherKthValueIliLin1EEEvNS_4cuda6detail10TensorInfoIKT_T0_EES8_S8_S8_S8_NS5_IS6_S8_EENS5_IlS8_EE.has_dyn_sized_stack, 0
	.set _ZN2at6native12_GLOBAL__N_114gatherKthValueIliLin1EEEvNS_4cuda6detail10TensorInfoIKT_T0_EES8_S8_S8_S8_NS5_IS6_S8_EENS5_IlS8_EE.has_recursion, 0
	.set _ZN2at6native12_GLOBAL__N_114gatherKthValueIliLin1EEEvNS_4cuda6detail10TensorInfoIKT_T0_EES8_S8_S8_S8_NS5_IS6_S8_EENS5_IlS8_EE.has_indirect_call, 0
	.section	.AMDGPU.csdata,"",@progbits
; Kernel info:
; codeLenInByte = 10296
; TotalNumSgprs: 106
; NumVgprs: 61
; NumAgprs: 0
; TotalNumVgprs: 61
; ScratchSize: 0
; MemoryBound: 0
; FloatMode: 240
; IeeeMode: 1
; LDSByteSize: 4112 bytes/workgroup (compile time only)
; SGPRBlocks: 13
; VGPRBlocks: 7
; NumSGPRsForWavesPerEU: 106
; NumVGPRsForWavesPerEU: 61
; AccumOffset: 64
; Occupancy: 7
; WaveLimiterHint : 1
; COMPUTE_PGM_RSRC2:SCRATCH_EN: 0
; COMPUTE_PGM_RSRC2:USER_SGPR: 2
; COMPUTE_PGM_RSRC2:TRAP_HANDLER: 0
; COMPUTE_PGM_RSRC2:TGID_X_EN: 1
; COMPUTE_PGM_RSRC2:TGID_Y_EN: 1
; COMPUTE_PGM_RSRC2:TGID_Z_EN: 1
; COMPUTE_PGM_RSRC2:TIDIG_COMP_CNT: 0
; COMPUTE_PGM_RSRC3_GFX90A:ACCUM_OFFSET: 15
; COMPUTE_PGM_RSRC3_GFX90A:TG_SPLIT: 0
	.section	.text._ZN2at6native12_GLOBAL__N_114gatherKthValueIllLi1EEEvNS_4cuda6detail10TensorInfoIKT_T0_EES8_S8_S8_S8_NS5_IS6_S8_EENS5_IlS8_EE,"axG",@progbits,_ZN2at6native12_GLOBAL__N_114gatherKthValueIllLi1EEEvNS_4cuda6detail10TensorInfoIKT_T0_EES8_S8_S8_S8_NS5_IS6_S8_EENS5_IlS8_EE,comdat
	.globl	_ZN2at6native12_GLOBAL__N_114gatherKthValueIllLi1EEEvNS_4cuda6detail10TensorInfoIKT_T0_EES8_S8_S8_S8_NS5_IS6_S8_EENS5_IlS8_EE ; -- Begin function _ZN2at6native12_GLOBAL__N_114gatherKthValueIllLi1EEEvNS_4cuda6detail10TensorInfoIKT_T0_EES8_S8_S8_S8_NS5_IS6_S8_EENS5_IlS8_EE
	.p2align	8
	.type	_ZN2at6native12_GLOBAL__N_114gatherKthValueIllLi1EEEvNS_4cuda6detail10TensorInfoIKT_T0_EES8_S8_S8_S8_NS5_IS6_S8_EENS5_IlS8_EE,@function
_ZN2at6native12_GLOBAL__N_114gatherKthValueIllLi1EEEvNS_4cuda6detail10TensorInfoIKT_T0_EES8_S8_S8_S8_NS5_IS6_S8_EENS5_IlS8_EE: ; @_ZN2at6native12_GLOBAL__N_114gatherKthValueIllLi1EEEvNS_4cuda6detail10TensorInfoIKT_T0_EES8_S8_S8_S8_NS5_IS6_S8_EENS5_IlS8_EE
; %bb.0:
	s_load_dwordx2 s[10:11], s[0:1], 0x500
	s_load_dwordx8 s[56:63], s[0:1], 0x1a0
	s_add_u32 s8, s0, 0x500
	s_addc_u32 s9, s1, 0
	s_mov_b32 s15, 0
	s_waitcnt lgkmcnt(0)
	s_mul_i32 s4, s11, s4
	s_add_i32 s3, s4, s3
	s_mul_i32 s3, s3, s10
	s_add_i32 s14, s3, s2
	v_mov_b64_e32 v[2:3], s[14:15]
	v_cmp_le_i64_e32 vcc, s[60:61], v[2:3]
	s_cbranch_vccnz .LBB28_269
; %bb.1:
	s_load_dwordx2 s[4:5], s[0:1], 0x430
                                        ; implicit-def: $vgpr66 : SGPR spill to VGPR lane
	v_cmp_eq_u32_e64 s[12:13], 0, v0
	s_waitcnt lgkmcnt(0)
	v_writelane_b32 v66, s4, 0
	s_nop 1
	v_writelane_b32 v66, s5, 1
	s_load_dwordx2 s[4:5], s[0:1], 0x360
	s_waitcnt lgkmcnt(0)
	v_writelane_b32 v66, s4, 2
	s_nop 1
	v_writelane_b32 v66, s5, 3
	s_load_dwordx2 s[4:5], s[0:1], 0x290
	;; [unrolled: 5-line block ×4, first 2 shown]
	s_load_dwordx2 s[4:5], s[0:1], 0x0
	s_mov_b64 s[0:1], exec
	v_writelane_b32 v66, s12, 8
	s_nop 1
	v_writelane_b32 v66, s13, 9
	s_and_b64 s[12:13], s[0:1], s[12:13]
	s_mov_b64 exec, s[12:13]
	s_cbranch_execz .LBB28_3
; %bb.2:
	v_mov_b32_e32 v2, 0
	v_mov_b32_e32 v4, s56
	;; [unrolled: 1-line block ×4, first 2 shown]
	ds_write_b32 v2, v2 offset:5136
	ds_write_b128 v2, v[2:5] offset:5120
.LBB28_3:
	s_or_b64 exec, exec, s[0:1]
	s_waitcnt lgkmcnt(0)
	s_mul_i32 s0, s7, s14
	s_mul_hi_u32 s1, s6, s14
	s_add_i32 s1, s1, s0
	s_mov_b32 s0, s14
	v_writelane_b32 v66, s0, 10
	v_mov_b64_e32 v[2:3], 0x180
	v_mbcnt_lo_u32_b32 v1, -1, 0
	v_writelane_b32 v66, s1, 11
	s_mul_i32 s0, s6, s14
	s_lshl_b64 s[0:1], s[0:1], 3
	s_add_u32 s12, s4, s0
	s_addc_u32 s13, s5, s1
	v_cmp_gt_u32_e64 s[0:1], 2, v0
	v_mov_b32_e32 v19, 0
	v_mbcnt_hi_u32_b32 v46, -1, v1
	v_writelane_b32 v66, s0, 12
	v_mov_b32_e32 v1, v19
	s_nop 0
	v_writelane_b32 v66, s1, 13
	v_cmp_gt_i64_e64 s[0:1], s[56:57], v[2:3]
	s_barrier
	s_nop 0
	v_writelane_b32 v66, s0, 14
	v_cmp_gt_u32_e32 vcc, 64, v0
	v_cmp_gt_i32_e64 s[6:7], 4, v46
	v_writelane_b32 v66, s1, 15
	v_cmp_gt_u64_e64 s[0:1], s[56:57], v[0:1]
	s_and_b64 s[74:75], vcc, s[6:7]
	v_lshlrev_b32_e32 v51, 5, v0
	v_writelane_b32 v66, s0, 16
	s_mov_b32 s77, 0
	v_lshlrev_b32_e32 v47, 3, v0
	v_writelane_b32 v66, s1, 17
	v_mad_u64_u32 v[2:3], s[0:1], s62, v0, 0
	v_mov_b32_e32 v4, v3
	v_mad_u64_u32 v[4:5], s[0:1], s63, v0, v[4:5]
	v_writelane_b32 v66, s12, 18
	v_cmp_gt_i64_e64 s[0:1], s[56:57], v[0:1]
	v_mov_b32_e32 v3, v4
	v_writelane_b32 v66, s13, 19
	v_writelane_b32 v66, s0, 20
	v_lshlrev_b32_e32 v4, 2, v46
	v_and_b32_e32 v49, 0x100, v4
	v_writelane_b32 v66, s1, 21
	s_load_dword s0, s[8:9], 0xc
	v_lshlrev_b64 v[4:5], v46, -1
	v_not_b32_e32 v23, v5
	v_not_b32_e32 v22, v4
	v_lshrrev_b32_e32 v4, 1, v0
	s_waitcnt lgkmcnt(0)
	s_and_b32 s70, s0, 0xffff
	s_bfe_u32 s0, s0, 0xa0006
	s_cmp_gt_u32 s70, 63
	s_cselect_b64 s[6:7], -1, 0
	s_add_u32 s3, s70, -1
	s_addc_u32 s1, 0, -1
	v_writelane_b32 v66, s6, 22
	s_add_u32 s85, s3, s56
	s_addc_u32 s83, s1, s57
	v_writelane_b32 v66, s7, 23
	v_writelane_b32 v66, s3, 24
	s_cmp_lt_u32 s2, s10
	v_writelane_b32 v66, s1, 25
	s_cselect_b32 s1, 12, 18
	s_add_u32 s80, s8, s1
	s_addc_u32 s81, s9, 0
	s_add_i32 s1, s0, -1
	s_bfe_u32 s2, s70, 0x30006
	s_and_b32 s1, s1, 0xffff
	s_cmp_gt_u32 s1, 6
	s_cselect_b64 s[6:7], -1, 0
	v_writelane_b32 v66, s6, 26
	s_and_b32 s33, s0, 0x3f8
	s_cmp_lg_u32 s2, 0
	v_writelane_b32 v66, s7, 27
	v_writelane_b32 v66, s2, 28
	s_cselect_b64 s[0:1], -1, 0
	v_writelane_b32 v66, s0, 29
	v_or_b32_e32 v5, 24, v51
	v_and_b32_e32 v4, 0x1e0, v4
	v_writelane_b32 v66, s1, 30
	v_mad_u64_u32 v[24:25], s[0:1], s62, v5, 0
	v_or_b32_e32 v50, 0xc00, v4
	v_mov_b32_e32 v4, v25
	v_mad_u64_u32 v[4:5], s[0:1], s63, v5, v[4:5]
	v_or_b32_e32 v5, 16, v51
	v_mad_u64_u32 v[26:27], s[0:1], s62, v5, 0
	v_mov_b32_e32 v25, v4
	v_mov_b32_e32 v4, v27
	v_mad_u64_u32 v[4:5], s[0:1], s63, v5, v[4:5]
	v_or_b32_e32 v5, 8, v51
	v_mad_u64_u32 v[30:31], s[0:1], s62, v5, 0
	v_mov_b32_e32 v27, v4
	v_mov_b32_e32 v4, v31
	v_mad_u64_u32 v[4:5], s[0:1], s63, v5, v[4:5]
	s_mul_i32 s0, s63, s70
	s_mul_hi_u32 s1, s62, s70
	v_writelane_b32 v66, s74, 31
	v_lshl_add_u64 v[16:17], v[2:3], 3, s[12:13]
	v_lshlrev_b64 v[32:33], 5, v[2:3]
	v_mov_b32_e32 v2, 0xc00
	s_add_i32 s1, s1, s0
	s_mul_i32 s0, s62, s70
	v_writelane_b32 v66, s75, 32
	v_cmp_eq_u32_e64 s[4:5], 0, v46
	v_add_u32_e32 v48, 0xc00, v47
	v_lshlrev_b32_e32 v20, 2, v0
	v_mov_b32_e32 v21, v19
	s_mov_b32 s71, s77
	s_lshl_b64 s[90:91], s[62:63], 3
	s_lshl_b64 s[92:93], s[62:63], 5
	v_mov_b32_e32 v31, v4
	v_lshl_add_u64 v[34:35], s[56:57], 0, v[0:1]
	v_lshl_or_b32 v52, v46, 3, v2
	s_lshl_b64 s[72:73], s[0:1], 3
	s_lshl_b32 s78, s70, 3
	s_mov_b32 s79, 62
	s_mov_b64 s[94:95], 0
	v_mov_b64_e32 v[6:7], 0
	v_mov_b64_e32 v[38:39], s[58:59]
	;; [unrolled: 1-line block ×5, first 2 shown]
	v_mov_b32_e32 v2, 1
	v_mov_b32_e32 v56, v19
	;; [unrolled: 1-line block ×3, first 2 shown]
	s_mov_b32 s84, 0
	v_writelane_b32 v66, s80, 33
                                        ; implicit-def: $sgpr58_sgpr59
                                        ; implicit-def: $sgpr98_sgpr99
                                        ; implicit-def: $sgpr96_sgpr97
                                        ; implicit-def: $sgpr60_sgpr61
                                        ; implicit-def: $sgpr66_sgpr67
                                        ; implicit-def: $sgpr54_sgpr55
	s_nop 1
	v_writelane_b32 v66, s81, 34
	s_branch .LBB28_7
.LBB28_4:                               ;   in Loop: Header=BB28_7 Depth=1
	s_or_b64 exec, exec, s[10:11]
	s_and_b64 s[6:7], s[6:7], exec
	s_andn2_b64 s[26:27], s[26:27], exec
	s_andn2_b64 s[2:3], s[2:3], exec
	s_orn2_b64 s[18:19], s[8:9], exec
.LBB28_5:                               ;   in Loop: Header=BB28_7 Depth=1
	s_or_b64 exec, exec, s[0:1]
	s_andn2_b64 s[0:1], s[54:55], exec
	s_and_b64 s[6:7], s[6:7], exec
	s_or_b64 s[54:55], s[0:1], s[6:7]
	s_andn2_b64 s[0:1], s[66:67], exec
	s_and_b64 s[6:7], s[26:27], exec
	s_or_b64 s[66:67], s[0:1], s[6:7]
	;; [unrolled: 3-line block ×3, first 2 shown]
	s_orn2_b64 s[2:3], s[18:19], exec
.LBB28_6:                               ;   in Loop: Header=BB28_7 Depth=1
	s_or_b64 exec, exec, s[16:17]
	s_and_b64 s[0:1], exec, s[2:3]
	s_or_b64 s[94:95], s[0:1], s[94:95]
	s_andn2_b64 s[0:1], s[96:97], exec
	s_and_b64 s[2:3], s[54:55], exec
	s_or_b64 s[96:97], s[0:1], s[2:3]
	s_andn2_b64 s[0:1], s[98:99], exec
	s_and_b64 s[2:3], s[66:67], exec
	;; [unrolled: 3-line block ×3, first 2 shown]
	s_or_b64 s[58:59], s[0:1], s[2:3]
	v_mov_b64_e32 v[38:39], v[12:13]
	s_andn2_b64 exec, exec, s[94:95]
	s_cbranch_execz .LBB28_265
.LBB28_7:                               ; =>This Loop Header: Depth=1
                                        ;     Child Loop BB28_13 Depth 2
                                        ;     Child Loop BB28_26 Depth 2
	;; [unrolled: 1-line block ×16, first 2 shown]
	ds_read_b128 v[8:11], v19 offset:5120
	s_waitcnt lgkmcnt(0)
	v_readfirstlane_b32 s69, v9
	v_readfirstlane_b32 s68, v8
	s_nop 1
	v_cmp_gt_i64_e64 s[0:1], s[68:69], 0
	s_and_b64 vcc, exec, s[0:1]
	s_cbranch_vccnz .LBB28_34
; %bb.8:                                ;   in Loop: Header=BB28_7 Depth=1
	v_readlane_b32 s0, v66, 14
	v_readlane_b32 s1, v66, 15
	s_and_b64 vcc, exec, s[0:1]
	s_cbranch_vccz .LBB28_21
; %bb.9:                                ;   in Loop: Header=BB28_7 Depth=1
	s_mov_b64 s[0:1], 0x181
	v_cmp_gt_i64_e32 vcc, s[0:1], v[10:11]
	s_mov_b64 s[0:1], 0
	s_mov_b64 s[2:3], 0
	s_cbranch_vccz .LBB28_22
; %bb.10:                               ;   in Loop: Header=BB28_7 Depth=1
	s_mov_b64 s[6:7], exec
	v_readlane_b32 s2, v66, 16
	v_readlane_b32 s3, v66, 17
	s_and_b64 s[2:3], s[6:7], s[2:3]
	s_mov_b64 exec, s[2:3]
	s_cbranch_execz .LBB28_68
; %bb.11:                               ;   in Loop: Header=BB28_7 Depth=1
	global_load_ushort v3, v19, s[80:81]
	global_load_dwordx2 v[4:5], v[16:17], off
	v_readlane_b32 s2, v66, 18
	v_readlane_b32 s3, v66, 19
	s_mov_b64 s[8:9], 0
	s_waitcnt vmcnt(1)
	v_and_b32_e32 v18, 0xffff, v3
	v_mov_b64_e32 v[8:9], s[2:3]
	v_readfirstlane_b32 s2, v3
	s_and_b32 s2, 0xffff, s2
	s_mul_i32 s11, s91, s2
	v_add_u32_e32 v3, s2, v0
	s_mul_hi_u32 s12, s90, s2
	s_mul_i32 s10, s90, s2
	v_mad_u64_u32 v[8:9], s[2:3], s90, v3, v[8:9]
	v_mov_b32_e32 v10, v9
	v_mad_u64_u32 v[10:11], s[2:3], s91, v3, v[10:11]
	s_add_i32 s11, s12, s11
	v_mov_b32_e32 v9, v10
	v_mov_b64_e32 v[10:11], v[0:1]
	s_branch .LBB28_13
.LBB28_12:                              ;   in Loop: Header=BB28_13 Depth=2
	s_or_b64 exec, exec, s[2:3]
	v_lshl_add_u64 v[8:9], v[8:9], 0, s[10:11]
	v_mov_b64_e32 v[4:5], v[12:13]
	s_andn2_b64 exec, exec, s[8:9]
	s_cbranch_execz .LBB28_68
.LBB28_13:                              ;   Parent Loop BB28_7 Depth=1
                                        ; =>  This Inner Loop Header: Depth=2
	v_lshl_add_u64 v[10:11], v[10:11], 0, v[18:19]
	v_cmp_gt_i64_e64 s[2:3], s[56:57], v[10:11]
	v_cmp_le_i64_e32 vcc, s[56:57], v[10:11]
	v_mov_b64_e32 v[12:13], 0
	s_and_saveexec_b64 s[12:13], s[2:3]
	s_cbranch_execz .LBB28_15
; %bb.14:                               ;   in Loop: Header=BB28_13 Depth=2
	global_load_dwordx2 v[12:13], v[8:9], off
.LBB28_15:                              ;   in Loop: Header=BB28_13 Depth=2
	s_or_b64 exec, exec, s[12:13]
	s_waitcnt vmcnt(0) lgkmcnt(0)
	v_xor_b32_e32 v3, 0x80000000, v5
	v_and_b32_e32 v15, v3, v37
	v_and_b32_e32 v14, v4, v36
	v_cmp_eq_u64_e64 s[12:13], v[14:15], v[28:29]
	s_cmp_lg_u64 s[12:13], 0
	s_cselect_b64 s[2:3], -1, 0
	s_and_b64 s[2:3], s[4:5], s[2:3]
	v_mov_b32_e32 v3, 0
	s_and_saveexec_b64 s[14:15], s[2:3]
	s_cbranch_execz .LBB28_19
; %bb.16:                               ;   in Loop: Header=BB28_13 Depth=2
	s_mov_b64 s[18:19], exec
	v_mbcnt_lo_u32_b32 v3, s18, 0
	v_mbcnt_hi_u32_b32 v3, s19, v3
	s_bcnt1_i32_b64 s20, s[12:13]
	v_cmp_eq_u32_e64 s[2:3], 0, v3
                                        ; implicit-def: $vgpr14
	s_and_saveexec_b64 s[16:17], s[2:3]
; %bb.17:                               ;   in Loop: Header=BB28_13 Depth=2
	s_bcnt1_i32_b64 s2, s[18:19]
	s_mul_i32 s2, s20, s2
	v_mov_b32_e32 v14, s2
	ds_add_rtn_u32 v14, v19, v14 offset:5136
; %bb.18:                               ;   in Loop: Header=BB28_13 Depth=2
	s_or_b64 exec, exec, s[16:17]
	s_waitcnt lgkmcnt(0)
	v_readfirstlane_b32 s2, v14
	s_nop 1
	v_mov_b32_e32 v14, s2
	v_mad_u32_u24 v3, s20, v3, v14
.LBB28_19:                              ;   in Loop: Header=BB28_13 Depth=2
	s_or_b64 exec, exec, s[14:15]
	ds_bpermute_b32 v3, v49, v3
	s_and_b64 s[2:3], exec, vcc
	s_or_b64 s[8:9], s[2:3], s[8:9]
	s_and_saveexec_b64 s[2:3], s[12:13]
	s_cbranch_execz .LBB28_12
; %bb.20:                               ;   in Loop: Header=BB28_13 Depth=2
	v_and_b32_e32 v15, s12, v22
	v_and_b32_e32 v14, s13, v23
	v_bcnt_u32_b32 v15, v15, 0
	v_bcnt_u32_b32 v14, v14, v15
	v_lshlrev_b32_e32 v14, 3, v14
	s_waitcnt lgkmcnt(0)
	v_lshl_add_u32 v3, v3, 3, v14
	ds_write_b64 v3, v[4:5]
	s_branch .LBB28_12
.LBB28_21:                              ;   in Loop: Header=BB28_7 Depth=1
	s_mov_b64 s[0:1], -1
	s_mov_b64 s[2:3], 0
.LBB28_22:                              ;   in Loop: Header=BB28_7 Depth=1
	s_and_b64 vcc, exec, s[0:1]
	s_cbranch_vccz .LBB28_32
.LBB28_23:                              ;   in Loop: Header=BB28_7 Depth=1
	s_mov_b64 s[0:1], exec
	v_readlane_b32 s2, v66, 20
	v_readlane_b32 s3, v66, 21
	s_and_b64 s[2:3], s[0:1], s[2:3]
	s_mov_b64 exec, s[2:3]
	s_cbranch_execz .LBB28_29
; %bb.24:                               ;   in Loop: Header=BB28_7 Depth=1
	global_load_ushort v3, v19, s[80:81]
	global_load_dwordx2 v[4:5], v[16:17], off
	s_waitcnt vmcnt(1)
	v_add_u32_sdwa v18, v3, v0 dst_sel:DWORD dst_unused:UNUSED_PAD src0_sel:WORD_0 src1_sel:DWORD
	v_readfirstlane_b32 s6, v3
	v_cmp_gt_i64_e32 vcc, s[56:57], v[18:19]
	v_mov_b32_e32 v3, v0
	s_and_saveexec_b64 s[2:3], vcc
	s_cbranch_execz .LBB28_28
; %bb.25:                               ;   in Loop: Header=BB28_7 Depth=1
	s_and_b32 s76, s6, 0xffff
	v_readlane_b32 s6, v66, 18
	v_readlane_b32 s7, v66, 19
	s_mov_b64 s[8:9], 0
	v_mov_b64_e32 v[12:13], v[18:19]
	v_mov_b64_e32 v[8:9], s[6:7]
	v_mad_u64_u32 v[8:9], s[6:7], s90, v18, v[8:9]
	v_mov_b32_e32 v10, v9
	v_mad_u64_u32 v[10:11], s[6:7], s91, v18, v[10:11]
	s_mul_i32 s6, s91, s76
	s_mul_hi_u32 s7, s90, s76
	v_mov_b32_e32 v9, v10
	s_add_i32 s7, s7, s6
	s_mul_i32 s6, s90, s76
	v_mov_b64_e32 v[14:15], v[0:1]
.LBB28_26:                              ;   Parent Loop BB28_7 Depth=1
                                        ; =>  This Inner Loop Header: Depth=2
	global_load_dwordx2 v[10:11], v[8:9], off
	v_mov_b64_e32 v[40:41], v[12:13]
	v_lshl_add_u64 v[12:13], v[40:41], 0, s[76:77]
	v_lshlrev_b32_e32 v3, 3, v14
	v_cmp_le_i64_e32 vcc, s[56:57], v[12:13]
	v_lshl_add_u64 v[8:9], v[8:9], 0, s[6:7]
	s_waitcnt vmcnt(1)
	ds_write_b64 v3, v[4:5]
	v_mov_b64_e32 v[14:15], v[40:41]
	s_or_b64 s[8:9], vcc, s[8:9]
	s_waitcnt vmcnt(0)
	v_mov_b64_e32 v[4:5], v[10:11]
	s_andn2_b64 exec, exec, s[8:9]
	s_cbranch_execnz .LBB28_26
; %bb.27:                               ;   in Loop: Header=BB28_7 Depth=1
	s_or_b64 exec, exec, s[8:9]
	v_subrev_u32_e32 v3, s76, v12
	v_mov_b64_e32 v[4:5], v[10:11]
.LBB28_28:                              ;   in Loop: Header=BB28_7 Depth=1
	s_or_b64 exec, exec, s[2:3]
	v_lshlrev_b32_e32 v3, 3, v3
	s_waitcnt vmcnt(0)
	ds_write_b64 v3, v[4:5]
.LBB28_29:                              ;   in Loop: Header=BB28_7 Depth=1
	s_or_b64 exec, exec, s[0:1]
	s_waitcnt lgkmcnt(0)
	s_barrier
	s_mov_b64 s[0:1], exec
	v_readlane_b32 s2, v66, 8
	v_readlane_b32 s3, v66, 9
	s_and_b64 s[2:3], s[0:1], s[2:3]
	s_mov_b64 exec, s[2:3]
; %bb.30:                               ;   in Loop: Header=BB28_7 Depth=1
	ds_write_b64 v19, v[54:55] offset:5120
; %bb.31:                               ;   in Loop: Header=BB28_7 Depth=1
	s_or_b64 exec, exec, s[0:1]
	s_mov_b64 s[2:3], -1
	s_waitcnt lgkmcnt(0)
	s_barrier
.LBB28_32:                              ;   in Loop: Header=BB28_7 Depth=1
	s_and_b64 vcc, exec, s[2:3]
	s_cbranch_vccz .LBB28_34
; %bb.33:                               ;   in Loop: Header=BB28_7 Depth=1
	ds_read_b64 v[4:5], v19 offset:5120
	s_waitcnt lgkmcnt(0)
	v_readfirstlane_b32 s68, v4
.LBB28_34:                              ;   in Loop: Header=BB28_7 Depth=1
	s_cmp_lt_i32 s68, 1
	s_mov_b64 s[0:1], -1
                                        ; implicit-def: $vgpr14_vgpr15
                                        ; implicit-def: $vgpr10_vgpr11
	s_cbranch_scc1 .LBB28_44
; %bb.35:                               ;   in Loop: Header=BB28_7 Depth=1
	s_and_b64 vcc, exec, s[0:1]
	s_cbranch_vccnz .LBB28_58
.LBB28_36:                              ;   in Loop: Header=BB28_7 Depth=1
	s_lshl_b32 s2, s84, 6
	s_and_saveexec_b64 s[0:1], s[4:5]
	s_cbranch_execz .LBB28_38
.LBB28_37:                              ;   in Loop: Header=BB28_7 Depth=1
	v_lshl_add_u32 v3, s2, 3, v50
	ds_write_b128 v3, v[8:11]
	ds_write_b128 v3, v[12:15] offset:16
.LBB28_38:                              ;   in Loop: Header=BB28_7 Depth=1
	s_or_b64 exec, exec, s[0:1]
	s_waitcnt lgkmcnt(0)
	s_barrier
	s_and_saveexec_b64 s[0:1], s[74:75]
	s_cbranch_execz .LBB28_76
; %bb.39:                               ;   in Loop: Header=BB28_7 Depth=1
	v_readlane_b32 s6, v66, 22
	v_readlane_b32 s7, v66, 23
	s_andn2_b64 vcc, exec, s[6:7]
	v_mov_b64_e32 v[4:5], 0
	s_cbranch_vccnz .LBB28_75
; %bb.40:                               ;   in Loop: Header=BB28_7 Depth=1
	v_readlane_b32 s6, v66, 26
	v_readlane_b32 s7, v66, 27
	s_andn2_b64 vcc, exec, s[6:7]
	s_cbranch_vccnz .LBB28_71
; %bb.41:                               ;   in Loop: Header=BB28_7 Depth=1
	v_lshl_add_u32 v3, s84, 9, v52
	v_mov_b64_e32 v[4:5], 0
	s_mov_b32 s3, 0
.LBB28_42:                              ;   Parent Loop BB28_7 Depth=1
                                        ; =>  This Inner Loop Header: Depth=2
	ds_read2_b64 v[8:11], v3 offset1:4
	ds_read2_b64 v[12:15], v3 offset0:8 offset1:12
	ds_read2_b64 v[40:43], v3 offset0:16 offset1:20
	;; [unrolled: 1-line block ×3, first 2 shown]
	s_add_i32 s3, s3, 8
	s_waitcnt lgkmcnt(3)
	v_lshl_add_u64 v[4:5], v[8:9], 0, v[4:5]
	v_lshl_add_u64 v[4:5], v[10:11], 0, v[4:5]
	s_waitcnt lgkmcnt(2)
	v_lshl_add_u64 v[4:5], v[12:13], 0, v[4:5]
	v_lshl_add_u64 v[4:5], v[14:15], 0, v[4:5]
	;; [unrolled: 3-line block ×3, first 2 shown]
	s_waitcnt lgkmcnt(0)
	v_lshl_add_u64 v[4:5], v[58:59], 0, v[4:5]
	v_add_u32_e32 v3, 0x100, v3
	s_cmp_eq_u32 s33, s3
	v_lshl_add_u64 v[4:5], v[60:61], 0, v[4:5]
	s_cbranch_scc0 .LBB28_42
; %bb.43:                               ;   in Loop: Header=BB28_7 Depth=1
	s_mov_b32 s3, s33
	s_branch .LBB28_72
.LBB28_44:                              ;   in Loop: Header=BB28_7 Depth=1
	global_load_ushort v3, v19, s[80:81]
	s_mov_b32 s0, s77
	s_waitcnt vmcnt(0)
	v_readfirstlane_b32 s1, v3
	s_and_b32 s10, s1, 0xffff
	s_lshl_b32 s76, s10, 2
	s_mov_b32 s1, s57
	s_cmp_lg_u64 s[0:1], 0
	s_cbranch_scc0 .LBB28_67
; %bb.45:                               ;   in Loop: Header=BB28_7 Depth=1
	s_add_u32 s0, s76, 0
	s_addc_u32 s1, 0, 0
	s_xor_b64 s[0:1], s[0:1], 0
	v_cvt_f32_u32_e32 v3, s0
	v_cvt_f32_u32_e32 v4, s1
	s_sub_u32 s6, 0, s0
	s_subb_u32 s7, 0, s1
	v_fmac_f32_e32 v3, 0x4f800000, v4
	v_rcp_f32_e32 v3, v3
	s_nop 0
	v_mul_f32_e32 v3, 0x5f7ffffc, v3
	v_mul_f32_e32 v4, 0x2f800000, v3
	v_trunc_f32_e32 v4, v4
	v_fmac_f32_e32 v3, 0xcf800000, v4
	v_cvt_u32_f32_e32 v4, v4
	v_cvt_u32_f32_e32 v3, v3
	v_readfirstlane_b32 s8, v4
	v_readfirstlane_b32 s2, v3
	s_mul_i32 s3, s6, s8
	s_mul_hi_u32 s11, s6, s2
	s_mul_i32 s9, s7, s2
	s_add_i32 s3, s11, s3
	s_mul_i32 s12, s6, s2
	s_add_i32 s3, s3, s9
	s_mul_i32 s11, s2, s3
	s_mul_hi_u32 s13, s2, s12
	s_mul_hi_u32 s9, s2, s3
	s_add_u32 s11, s13, s11
	s_addc_u32 s9, 0, s9
	s_mul_hi_u32 s14, s8, s12
	s_mul_i32 s12, s8, s12
	s_add_u32 s11, s11, s12
	s_mul_hi_u32 s13, s8, s3
	s_addc_u32 s9, s9, s14
	s_addc_u32 s11, s13, 0
	s_mul_i32 s3, s8, s3
	s_add_u32 s3, s9, s3
	s_addc_u32 s9, 0, s11
	s_add_u32 s11, s2, s3
	s_cselect_b64 s[2:3], -1, 0
	s_cmp_lg_u64 s[2:3], 0
	s_addc_u32 s8, s8, s9
	s_mul_i32 s2, s6, s8
	s_mul_hi_u32 s3, s6, s11
	s_add_i32 s2, s3, s2
	s_mul_i32 s7, s7, s11
	s_add_i32 s2, s2, s7
	s_mul_i32 s6, s6, s11
	s_mul_hi_u32 s7, s8, s6
	s_mul_i32 s9, s8, s6
	s_mul_i32 s13, s11, s2
	s_mul_hi_u32 s6, s11, s6
	s_mul_hi_u32 s12, s11, s2
	s_add_u32 s6, s6, s13
	s_addc_u32 s12, 0, s12
	s_add_u32 s6, s6, s9
	s_mul_hi_u32 s3, s8, s2
	s_addc_u32 s6, s12, s7
	s_addc_u32 s3, s3, 0
	s_mul_i32 s2, s8, s2
	s_add_u32 s2, s6, s2
	s_addc_u32 s6, 0, s3
	s_add_u32 s9, s11, s2
	s_cselect_b64 s[2:3], -1, 0
	s_cmp_lg_u64 s[2:3], 0
	s_addc_u32 s8, s8, s6
	s_ashr_i32 s2, s57, 31
	s_add_u32 s6, s56, s2
	s_mov_b32 s3, s2
	s_addc_u32 s7, s57, s2
	s_xor_b64 s[6:7], s[6:7], s[2:3]
	s_mul_i32 s12, s6, s8
	s_mul_hi_u32 s13, s6, s9
	s_mul_hi_u32 s11, s6, s8
	s_add_u32 s12, s13, s12
	s_addc_u32 s11, 0, s11
	s_mul_hi_u32 s14, s7, s9
	s_mul_i32 s9, s7, s9
	s_add_u32 s9, s12, s9
	s_mul_hi_u32 s13, s7, s8
	s_addc_u32 s9, s11, s14
	s_addc_u32 s11, s13, 0
	s_mul_i32 s8, s7, s8
	s_add_u32 s8, s9, s8
	s_addc_u32 s9, 0, s11
	s_mul_i32 s9, s0, s9
	s_mul_hi_u32 s11, s0, s8
	s_add_i32 s9, s11, s9
	s_mul_i32 s11, s1, s8
	s_add_i32 s11, s9, s11
	s_sub_i32 s12, s7, s11
	s_mul_i32 s8, s0, s8
	s_sub_u32 s6, s6, s8
	s_cselect_b64 s[8:9], -1, 0
	s_cmp_lg_u64 s[8:9], 0
	s_subb_u32 s14, s12, s1
	s_sub_u32 s15, s6, s0
	s_cselect_b64 s[12:13], -1, 0
	s_cmp_lg_u64 s[12:13], 0
	s_subb_u32 s16, s14, 0
	s_cmp_ge_u32 s16, s1
	s_cselect_b32 s17, -1, 0
	s_cmp_ge_u32 s15, s0
	s_cselect_b32 s18, -1, 0
	s_cmp_eq_u32 s16, s1
	s_cselect_b32 s17, s18, s17
	s_cmp_lg_u64 s[12:13], 0
	s_subb_u32 s14, s14, s1
	s_sub_u32 s18, s15, s0
	s_cselect_b64 s[12:13], -1, 0
	s_cmp_lg_u64 s[12:13], 0
	s_subb_u32 s12, s14, 0
	s_cmp_lg_u32 s17, 0
	s_cselect_b32 s13, s18, s15
	s_cselect_b32 s12, s12, s16
	s_cmp_lg_u64 s[8:9], 0
	s_subb_u32 s7, s7, s11
	s_cmp_ge_u32 s7, s1
	s_cselect_b32 s8, -1, 0
	s_cmp_ge_u32 s6, s0
	s_cselect_b32 s0, -1, 0
	s_cmp_eq_u32 s7, s1
	s_cselect_b32 s0, s0, s8
	s_cmp_lg_u32 s0, 0
	s_cselect_b32 s1, s12, s7
	s_cselect_b32 s0, s13, s6
	s_xor_b64 s[0:1], s[0:1], s[2:3]
	s_sub_u32 s86, s0, s2
	s_subb_u32 s87, s1, s2
	s_cbranch_execnz .LBB28_47
.LBB28_46:                              ;   in Loop: Header=BB28_7 Depth=1
	v_cvt_f32_u32_e32 v3, s76
	s_sub_i32 s0, 0, s76
	s_mov_b32 s87, s77
	v_rcp_iflag_f32_e32 v3, v3
	s_nop 0
	v_mul_f32_e32 v3, 0x4f7ffffe, v3
	v_cvt_u32_f32_e32 v3, v3
	s_nop 0
	v_readfirstlane_b32 s1, v3
	s_mul_i32 s0, s0, s1
	s_mul_hi_u32 s0, s1, s0
	s_add_i32 s1, s1, s0
	s_mul_hi_u32 s0, s56, s1
	s_mul_i32 s0, s0, s76
	s_sub_i32 s0, s56, s0
	s_sub_i32 s1, s0, s76
	s_cmp_ge_u32 s0, s76
	s_cselect_b32 s0, s1, s0
	s_sub_i32 s1, s0, s76
	s_cmp_ge_u32 s0, s76
	s_cselect_b32 s86, s1, s0
.LBB28_47:                              ;   in Loop: Header=BB28_7 Depth=1
	s_sub_u32 s88, s56, s86
	s_subb_u32 s89, s57, s87
	s_mov_b32 s11, s77
	v_cmp_gt_i64_e32 vcc, s[88:89], v[20:21]
	v_mov_b64_e32 v[8:9], 0
	v_mov_b64_e32 v[10:11], 0
	;; [unrolled: 1-line block ×4, first 2 shown]
	s_and_saveexec_b64 s[28:29], vcc
	s_cbranch_execz .LBB28_51
; %bb.48:                               ;   in Loop: Header=BB28_7 Depth=1
	s_mul_i32 s0, s93, s10
	s_mul_hi_u32 s1, s92, s10
	v_readlane_b32 s74, v66, 18
	s_add_i32 s69, s1, s0
	s_mov_b64 s[64:65], 0
	v_readlane_b32 s75, v66, 19
	s_mov_b64 s[8:9], 0
	s_mov_b64 s[80:81], 0
	;; [unrolled: 1-line block ×4, first 2 shown]
	v_mov_b64_e32 v[4:5], v[20:21]
.LBB28_49:                              ;   Parent Loop BB28_7 Depth=1
                                        ; =>  This Inner Loop Header: Depth=2
	v_lshl_add_u64 v[8:9], s[74:75], 0, v[32:33]
	v_lshl_add_u64 v[10:11], s[74:75], 0, v[30:31]
	;; [unrolled: 1-line block ×4, first 2 shown]
	global_load_dwordx2 v[8:9], v[8:9], off
	s_nop 0
	global_load_dwordx2 v[10:11], v[10:11], off
	s_nop 0
	;; [unrolled: 2-line block ×3, first 2 shown]
	global_load_dwordx2 v[14:15], v[14:15], off
	v_mov_b32_e32 v41, v19
	v_mov_b32_e32 v43, v19
	;; [unrolled: 1-line block ×3, first 2 shown]
	s_mul_i32 s82, s92, s10
	v_lshl_add_u64 v[4:5], v[4:5], 0, s[76:77]
	v_cmp_le_i64_e32 vcc, s[88:89], v[4:5]
	s_waitcnt vmcnt(3)
	v_xor_b32_e32 v9, 0x80000000, v9
	s_waitcnt vmcnt(2)
	v_xor_b32_e32 v11, 0x80000000, v11
	v_and_b32_e32 v58, v8, v36
	v_and_b32_e32 v59, v9, v37
	v_lshrrev_b64 v[8:9], s79, v[8:9]
	s_waitcnt vmcnt(1)
	v_xor_b32_e32 v13, 0x80000000, v13
	v_and_b32_e32 v60, v10, v36
	v_and_b32_e32 v61, v11, v37
	v_lshrrev_b64 v[10:11], s79, v[10:11]
	v_and_b32_e32 v18, 3, v8
	s_waitcnt vmcnt(0)
	v_xor_b32_e32 v15, 0x80000000, v15
	v_and_b32_e32 v62, v12, v36
	v_and_b32_e32 v63, v13, v37
	v_lshrrev_b64 v[12:13], s79, v[12:13]
	v_cmp_eq_u64_e64 s[2:3], v[58:59], v[28:29]
	v_and_b32_e32 v40, 3, v10
	v_cmp_eq_u64_e64 s[18:19], 0, v[18:19]
	v_and_b32_e32 v64, v14, v36
	v_and_b32_e32 v65, v15, v37
	v_lshrrev_b64 v[14:15], s79, v[14:15]
	v_cmp_eq_u64_e64 s[14:15], v[60:61], v[28:29]
	v_and_b32_e32 v42, 3, v12
	v_cmp_eq_u64_e64 s[20:21], 0, v[40:41]
	s_and_b64 s[18:19], s[2:3], s[18:19]
	v_cmp_eq_u64_e64 s[16:17], v[62:63], v[28:29]
	v_and_b32_e32 v44, 3, v14
	v_cmp_eq_u64_e64 s[22:23], 0, v[42:43]
	v_cndmask_b32_e64 v3, 0, 1, s[18:19]
	s_and_b64 s[18:19], s[14:15], s[20:21]
	v_cmp_eq_u64_e64 s[12:13], v[64:65], v[28:29]
	v_cmp_eq_u64_e64 s[24:25], 0, v[44:45]
	v_cndmask_b32_e64 v8, 0, 1, s[18:19]
	s_and_b64 s[18:19], s[16:17], s[22:23]
	v_cndmask_b32_e64 v9, 0, 1, s[18:19]
	s_and_b64 s[18:19], s[12:13], s[24:25]
	v_cndmask_b32_e64 v10, 0, 1, s[18:19]
	v_cmp_ne_u32_e64 s[18:19], 0, v3
	v_cmp_ne_u32_e64 s[20:21], 0, v8
	v_cmp_ne_u32_e64 s[22:23], 0, v9
	v_cmp_ne_u32_e64 s[24:25], 0, v10
	s_bcnt1_i32_b64 s18, s[18:19]
	s_bcnt1_i32_b64 s19, s[20:21]
	s_bcnt1_i32_b64 s20, s[22:23]
	s_bcnt1_i32_b64 s21, s[24:25]
	s_add_u32 s0, s18, s0
	s_addc_u32 s1, 0, s1
	s_add_u32 s0, s0, s19
	s_addc_u32 s1, s1, 0
	s_add_u32 s0, s0, s20
	s_addc_u32 s1, s1, 0
	v_cmp_eq_u64_e64 s[26:27], 1, v[18:19]
	s_add_u32 s0, s0, s21
	v_cmp_eq_u64_e64 s[30:31], 1, v[40:41]
	s_addc_u32 s1, s1, 0
	s_and_b64 s[18:19], s[2:3], s[26:27]
	v_cmp_eq_u64_e64 s[34:35], 1, v[42:43]
	v_cndmask_b32_e64 v3, 0, 1, s[18:19]
	s_and_b64 s[18:19], s[14:15], s[30:31]
	v_cmp_eq_u64_e64 s[36:37], 1, v[44:45]
	v_cndmask_b32_e64 v10, 0, 1, s[18:19]
	s_and_b64 s[18:19], s[16:17], s[34:35]
	v_cndmask_b32_e64 v11, 0, 1, s[18:19]
	s_and_b64 s[18:19], s[12:13], s[36:37]
	v_cndmask_b32_e64 v12, 0, 1, s[18:19]
	v_cmp_ne_u32_e64 s[18:19], 0, v3
	v_cmp_ne_u32_e64 s[20:21], 0, v10
	v_cmp_ne_u32_e64 s[22:23], 0, v11
	v_cmp_ne_u32_e64 s[24:25], 0, v12
	s_bcnt1_i32_b64 s18, s[18:19]
	s_bcnt1_i32_b64 s19, s[20:21]
	s_bcnt1_i32_b64 s20, s[22:23]
	s_bcnt1_i32_b64 s21, s[24:25]
	s_add_u32 s6, s18, s6
	s_addc_u32 s7, 0, s7
	s_add_u32 s6, s6, s19
	s_addc_u32 s7, s7, 0
	s_add_u32 s6, s6, s20
	s_addc_u32 s7, s7, 0
	v_cmp_eq_u64_e64 s[38:39], 2, v[18:19]
	s_add_u32 s6, s6, s21
	v_cmp_eq_u64_e64 s[40:41], 2, v[40:41]
	s_addc_u32 s7, s7, 0
	s_and_b64 s[18:19], s[2:3], s[38:39]
	v_cmp_eq_u64_e64 s[42:43], 2, v[42:43]
	v_cndmask_b32_e64 v3, 0, 1, s[18:19]
	s_and_b64 s[18:19], s[14:15], s[40:41]
	;; [unrolled: 28-line block ×3, first 2 shown]
	v_cmp_eq_u64_e64 s[52:53], 3, v[44:45]
	v_cndmask_b32_e64 v14, 0, 1, s[2:3]
	s_and_b64 s[2:3], s[16:17], s[50:51]
	v_cndmask_b32_e64 v15, 0, 1, s[2:3]
	s_and_b64 s[2:3], s[12:13], s[52:53]
	v_cndmask_b32_e64 v18, 0, 1, s[2:3]
	v_cmp_ne_u32_e64 s[2:3], 0, v3
	v_cmp_ne_u32_e64 s[12:13], 0, v14
	;; [unrolled: 1-line block ×4, first 2 shown]
	s_bcnt1_i32_b64 s2, s[2:3]
	s_bcnt1_i32_b64 s3, s[12:13]
	;; [unrolled: 1-line block ×4, first 2 shown]
	s_add_u32 s2, s2, s8
	s_addc_u32 s8, 0, s9
	s_add_u32 s2, s2, s3
	s_addc_u32 s3, s8, 0
	s_add_u32 s2, s2, s12
	s_addc_u32 s3, s3, 0
	s_add_u32 s8, s2, s13
	s_addc_u32 s9, s3, 0
	s_add_u32 s74, s74, s82
	s_addc_u32 s75, s75, s69
	v_mov_b64_e32 v[8:9], s[0:1]
	v_mov_b64_e32 v[10:11], s[6:7]
	;; [unrolled: 1-line block ×3, first 2 shown]
	s_or_b64 s[64:65], vcc, s[64:65]
	v_mov_b64_e32 v[14:15], s[8:9]
	s_andn2_b64 exec, exec, s[64:65]
	s_cbranch_execnz .LBB28_49
; %bb.50:                               ;   in Loop: Header=BB28_7 Depth=1
	s_or_b64 exec, exec, s[64:65]
	v_readlane_b32 s74, v66, 31
	v_readlane_b32 s80, v66, 33
	;; [unrolled: 1-line block ×4, first 2 shown]
.LBB28_51:                              ;   in Loop: Header=BB28_7 Depth=1
	s_or_b64 exec, exec, s[28:29]
	v_lshl_add_u64 v[4:5], s[88:89], 0, v[0:1]
	v_cmp_gt_i64_e32 vcc, s[56:57], v[4:5]
	s_and_saveexec_b64 s[0:1], vcc
	s_cbranch_execz .LBB28_57
; %bb.52:                               ;   in Loop: Header=BB28_7 Depth=1
	v_mad_u64_u32 v[40:41], s[2:3], v4, s62, 0
	v_mul_lo_u32 v3, v5, s62
	v_mul_lo_u32 v18, v4, s63
	v_readlane_b32 s2, v66, 18
	v_add3_u32 v41, v41, v18, v3
	v_readlane_b32 s3, v66, 19
	v_mov_b32_e32 v3, s87
	s_mul_i32 s6, s90, s10
	v_lshl_add_u64 v[40:41], v[40:41], 3, s[2:3]
	global_load_dwordx2 v[42:43], v[40:41], off
	v_lshl_add_u64 v[40:41], v[34:35], 0, s[10:11]
	v_subrev_co_u32_e32 v18, vcc, s86, v40
	v_mul_lo_u32 v44, s91, v18
	s_nop 0
	v_subb_co_u32_e32 v3, vcc, v41, v3, vcc
	v_mov_b64_e32 v[40:41], s[2:3]
	v_mad_u64_u32 v[40:41], s[2:3], s90, v18, v[40:41]
	v_mul_lo_u32 v3, s90, v3
	s_mul_i32 s2, s91, s10
	s_mul_hi_u32 s3, s90, s10
	v_add3_u32 v41, v44, v41, v3
	s_add_i32 s7, s3, s2
	s_mov_b64 s[8:9], 0
	s_branch .LBB28_54
.LBB28_53:                              ;   in Loop: Header=BB28_54 Depth=2
	s_or_b64 exec, exec, s[12:13]
	s_waitcnt vmcnt(0)
	v_xor_b32_e32 v43, 0x80000000, v43
	v_and_b32_e32 v59, v43, v37
	v_and_b32_e32 v58, v42, v36
	v_lshrrev_b64 v[42:43], s79, v[42:43]
	s_and_b64 s[2:3], exec, vcc
	v_and_b32_e32 v18, 3, v42
	s_or_b64 s[8:9], s[2:3], s[8:9]
	v_cmp_eq_u64_e32 vcc, v[58:59], v[28:29]
	v_cmp_eq_u64_e64 s[2:3], 0, v[18:19]
	s_and_b64 s[2:3], vcc, s[2:3]
	v_lshl_add_u64 v[40:41], v[40:41], 0, s[6:7]
	v_cndmask_b32_e64 v3, 0, 1, s[2:3]
	v_cmp_ne_u32_e64 s[2:3], 0, v3
	s_bcnt1_i32_b64 s76, s[2:3]
	v_cmp_eq_u64_e64 s[2:3], 1, v[18:19]
	s_and_b64 s[2:3], vcc, s[2:3]
	v_lshl_add_u64 v[8:9], s[76:77], 0, v[8:9]
	v_cndmask_b32_e64 v3, 0, 1, s[2:3]
	v_cmp_ne_u32_e64 s[2:3], 0, v3
	s_bcnt1_i32_b64 s76, s[2:3]
	;; [unrolled: 6-line block ×3, first 2 shown]
	v_cmp_eq_u64_e64 s[2:3], 3, v[18:19]
	s_and_b64 s[2:3], vcc, s[2:3]
	v_lshl_add_u64 v[12:13], s[76:77], 0, v[12:13]
	v_cndmask_b32_e64 v3, 0, 1, s[2:3]
	v_cmp_ne_u32_e32 vcc, 0, v3
	s_bcnt1_i32_b64 s76, vcc
	v_lshl_add_u64 v[14:15], s[76:77], 0, v[14:15]
	v_mov_b64_e32 v[42:43], v[44:45]
	s_andn2_b64 exec, exec, s[8:9]
	s_cbranch_execz .LBB28_56
.LBB28_54:                              ;   Parent Loop BB28_7 Depth=1
                                        ; =>  This Inner Loop Header: Depth=2
	v_lshl_add_u64 v[4:5], v[4:5], 0, s[10:11]
	v_cmp_gt_i64_e64 s[2:3], s[56:57], v[4:5]
	v_cmp_le_i64_e32 vcc, s[56:57], v[4:5]
	v_mov_b64_e32 v[44:45], 0
	s_and_saveexec_b64 s[12:13], s[2:3]
	s_cbranch_execz .LBB28_53
; %bb.55:                               ;   in Loop: Header=BB28_54 Depth=2
	global_load_dwordx2 v[44:45], v[40:41], off
	s_branch .LBB28_53
.LBB28_56:                              ;   in Loop: Header=BB28_7 Depth=1
	s_or_b64 exec, exec, s[8:9]
.LBB28_57:                              ;   in Loop: Header=BB28_7 Depth=1
	s_or_b64 exec, exec, s[0:1]
	s_branch .LBB28_36
.LBB28_58:                              ;   in Loop: Header=BB28_7 Depth=1
	global_load_ushort v3, v19, s[80:81]
	v_mov_b64_e32 v[8:9], 0
	v_mov_b64_e32 v[10:11], 0
	;; [unrolled: 1-line block ×4, first 2 shown]
	s_waitcnt vmcnt(0)
	v_readfirstlane_b32 s0, v3
	s_and_b32 s69, 0xffff, s0
	s_lshl_b32 s76, s69, 2
	v_cvt_f32_u32_e32 v4, s76
	s_sub_i32 s0, 0, s76
	v_rcp_iflag_f32_e32 v4, v4
	s_nop 0
	v_mul_f32_e32 v4, 0x4f7ffffe, v4
	v_cvt_u32_f32_e32 v4, v4
	s_nop 0
	v_readfirstlane_b32 s1, v4
	s_mul_i32 s0, s0, s1
	s_mul_hi_u32 s0, s1, s0
	s_add_i32 s1, s1, s0
	s_mul_hi_u32 s0, s68, s1
	s_mul_i32 s1, s0, s76
	s_sub_i32 s1, s68, s1
	s_add_i32 s2, s0, 1
	s_sub_i32 s3, s1, s76
	s_cmp_ge_u32 s1, s76
	s_cselect_b32 s0, s2, s0
	s_cselect_b32 s1, s3, s1
	s_add_i32 s2, s0, 1
	s_cmp_ge_u32 s1, s76
	s_cselect_b32 s0, s2, s0
	s_mul_hi_u32 s1, s69, s0
	s_mul_i32 s0, s69, s0
	s_lshl_b64 s[6:7], s[0:1], 2
	v_cmp_gt_u64_e32 vcc, s[6:7], v[20:21]
	s_and_saveexec_b64 s[8:9], vcc
	s_cbranch_execz .LBB28_62
; %bb.59:                               ;   in Loop: Header=BB28_7 Depth=1
	s_lshl_b32 s1, s69, 5
	s_mov_b64 s[10:11], 0
	v_mov_b32_e32 v53, v51
	s_mov_b64 s[28:29], 0
	s_mov_b64 s[64:65], 0
	;; [unrolled: 1-line block ×4, first 2 shown]
	v_mov_b64_e32 v[4:5], v[20:21]
.LBB28_60:                              ;   Parent Loop BB28_7 Depth=1
                                        ; =>  This Inner Loop Header: Depth=2
	ds_read_b128 v[12:15], v53
	ds_read_b128 v[8:11], v53 offset:16
	v_mov_b32_e32 v41, v19
	v_mov_b32_e32 v43, v19
	;; [unrolled: 1-line block ×3, first 2 shown]
	s_waitcnt lgkmcnt(1)
	v_xor_b32_e32 v13, 0x80000000, v13
	v_xor_b32_e32 v15, 0x80000000, v15
	v_and_b32_e32 v58, v12, v36
	v_and_b32_e32 v59, v13, v37
	v_lshrrev_b64 v[12:13], s79, v[12:13]
	s_waitcnt lgkmcnt(0)
	v_xor_b32_e32 v9, 0x80000000, v9
	v_and_b32_e32 v60, v14, v36
	v_and_b32_e32 v61, v15, v37
	v_lshrrev_b64 v[14:15], s79, v[14:15]
	v_and_b32_e32 v18, 3, v12
	v_xor_b32_e32 v11, 0x80000000, v11
	v_and_b32_e32 v62, v8, v36
	v_and_b32_e32 v63, v9, v37
	v_lshrrev_b64 v[8:9], s79, v[8:9]
	v_cmp_eq_u64_e64 s[18:19], v[58:59], v[28:29]
	v_and_b32_e32 v40, 3, v14
	v_cmp_eq_u64_e64 s[2:3], 0, v[18:19]
	v_and_b32_e32 v64, v10, v36
	v_and_b32_e32 v65, v11, v37
	v_lshrrev_b64 v[10:11], s79, v[10:11]
	v_cmp_eq_u64_e64 s[16:17], v[60:61], v[28:29]
	v_and_b32_e32 v42, 3, v8
	v_cmp_eq_u64_e64 s[30:31], 0, v[40:41]
	s_and_b64 s[2:3], s[18:19], s[2:3]
	v_cmp_eq_u64_e64 s[14:15], v[62:63], v[28:29]
	v_and_b32_e32 v44, 3, v10
	v_cmp_eq_u64_e64 s[34:35], 0, v[42:43]
	v_cndmask_b32_e64 v8, 0, 1, s[2:3]
	s_and_b64 s[2:3], s[16:17], s[30:31]
	v_cmp_eq_u64_e64 s[12:13], v[64:65], v[28:29]
	v_cmp_eq_u64_e64 s[36:37], 0, v[44:45]
	v_cndmask_b32_e64 v9, 0, 1, s[2:3]
	s_and_b64 s[2:3], s[14:15], s[34:35]
	v_cndmask_b32_e64 v10, 0, 1, s[2:3]
	s_and_b64 s[2:3], s[12:13], s[36:37]
	v_cndmask_b32_e64 v11, 0, 1, s[2:3]
	v_cmp_ne_u32_e64 s[2:3], 0, v8
	v_cmp_ne_u32_e64 s[30:31], 0, v9
	v_cmp_ne_u32_e64 s[34:35], 0, v10
	v_cmp_ne_u32_e64 s[36:37], 0, v11
	s_bcnt1_i32_b64 s2, s[2:3]
	s_bcnt1_i32_b64 s3, s[30:31]
	s_bcnt1_i32_b64 s30, s[34:35]
	s_bcnt1_i32_b64 s31, s[36:37]
	s_add_u32 s2, s2, s80
	s_addc_u32 s34, 0, s81
	s_add_u32 s2, s2, s3
	s_addc_u32 s3, s34, 0
	s_add_u32 s2, s2, s30
	s_addc_u32 s3, s3, 0
	v_cmp_eq_u64_e64 s[38:39], 1, v[18:19]
	s_add_u32 s80, s2, s31
	v_cmp_eq_u64_e64 s[40:41], 1, v[40:41]
	s_addc_u32 s81, s3, 0
	s_and_b64 s[2:3], s[18:19], s[38:39]
	v_cmp_eq_u64_e64 s[42:43], 1, v[42:43]
	v_cndmask_b32_e64 v10, 0, 1, s[2:3]
	s_and_b64 s[2:3], s[16:17], s[40:41]
	v_cmp_eq_u64_e64 s[44:45], 1, v[44:45]
	v_cndmask_b32_e64 v11, 0, 1, s[2:3]
	s_and_b64 s[2:3], s[14:15], s[42:43]
	v_cndmask_b32_e64 v12, 0, 1, s[2:3]
	s_and_b64 s[2:3], s[12:13], s[44:45]
	v_cndmask_b32_e64 v13, 0, 1, s[2:3]
	v_cmp_ne_u32_e64 s[2:3], 0, v10
	v_cmp_ne_u32_e64 s[30:31], 0, v11
	v_cmp_ne_u32_e64 s[34:35], 0, v12
	v_cmp_ne_u32_e64 s[36:37], 0, v13
	s_bcnt1_i32_b64 s2, s[2:3]
	s_bcnt1_i32_b64 s3, s[30:31]
	s_bcnt1_i32_b64 s30, s[34:35]
	s_bcnt1_i32_b64 s31, s[36:37]
	s_add_u32 s2, s2, s74
	s_addc_u32 s34, 0, s75
	s_add_u32 s2, s2, s3
	s_addc_u32 s3, s34, 0
	s_add_u32 s2, s2, s30
	s_addc_u32 s3, s3, 0
	v_cmp_eq_u64_e64 s[46:47], 2, v[18:19]
	s_add_u32 s74, s2, s31
	v_cmp_eq_u64_e64 s[48:49], 2, v[40:41]
	s_addc_u32 s75, s3, 0
	s_and_b64 s[2:3], s[18:19], s[46:47]
	v_cmp_eq_u64_e64 s[50:51], 2, v[42:43]
	v_cndmask_b32_e64 v12, 0, 1, s[2:3]
	s_and_b64 s[2:3], s[16:17], s[48:49]
	;; [unrolled: 28-line block ×3, first 2 shown]
	v_cmp_eq_u64_e64 s[20:21], 3, v[44:45]
	v_cndmask_b32_e64 v15, 0, 1, s[2:3]
	s_and_b64 s[2:3], s[14:15], s[22:23]
	v_cndmask_b32_e64 v18, 0, 1, s[2:3]
	s_and_b64 s[2:3], s[12:13], s[20:21]
	v_cndmask_b32_e64 v40, 0, 1, s[2:3]
	v_cmp_ne_u32_e64 s[2:3], 0, v14
	v_cmp_ne_u32_e64 s[12:13], 0, v15
	;; [unrolled: 1-line block ×4, first 2 shown]
	s_bcnt1_i32_b64 s2, s[2:3]
	s_bcnt1_i32_b64 s3, s[12:13]
	;; [unrolled: 1-line block ×4, first 2 shown]
	s_add_u32 s2, s2, s28
	s_addc_u32 s14, 0, s29
	s_add_u32 s2, s2, s3
	s_addc_u32 s3, s14, 0
	;; [unrolled: 2-line block ×3, first 2 shown]
	v_lshl_add_u64 v[4:5], v[4:5], 0, s[76:77]
	s_add_u32 s28, s2, s13
	v_cmp_le_u64_e32 vcc, s[6:7], v[4:5]
	s_addc_u32 s29, s3, 0
	v_add_u32_e32 v53, s1, v53
	v_mov_b64_e32 v[8:9], s[80:81]
	v_mov_b64_e32 v[10:11], s[74:75]
	;; [unrolled: 1-line block ×3, first 2 shown]
	s_or_b64 s[10:11], vcc, s[10:11]
	v_mov_b64_e32 v[14:15], s[28:29]
	s_andn2_b64 exec, exec, s[10:11]
	s_cbranch_execnz .LBB28_60
; %bb.61:                               ;   in Loop: Header=BB28_7 Depth=1
	s_or_b64 exec, exec, s[10:11]
	v_readlane_b32 s74, v66, 31
	v_readlane_b32 s80, v66, 33
	;; [unrolled: 1-line block ×4, first 2 shown]
.LBB28_62:                              ;   in Loop: Header=BB28_7 Depth=1
	s_or_b64 exec, exec, s[8:9]
	s_and_b32 s8, s68, 0x7fffffff
	s_mov_b32 s9, s77
	v_lshl_add_u64 v[40:41], s[6:7], 0, v[0:1]
	v_and_b32_e32 v4, 0xffff, v3
	v_mov_b32_e32 v5, v19
	v_cmp_gt_u64_e32 vcc, s[8:9], v[40:41]
	s_and_saveexec_b64 s[6:7], vcc
	s_cbranch_execz .LBB28_66
; %bb.63:                               ;   in Loop: Header=BB28_7 Depth=1
	v_lshl_add_u32 v3, s0, 5, v47
	s_lshl_b32 s10, s69, 3
	s_mov_b64 s[0:1], 0
.LBB28_64:                              ;   Parent Loop BB28_7 Depth=1
                                        ; =>  This Inner Loop Header: Depth=2
	ds_read_b64 v[42:43], v3
	v_lshl_add_u64 v[40:41], v[40:41], 0, v[4:5]
	v_cmp_le_u64_e32 vcc, s[8:9], v[40:41]
	v_add_u32_e32 v3, s10, v3
	s_waitcnt lgkmcnt(0)
	v_xor_b32_e32 v43, 0x80000000, v43
	v_and_b32_e32 v44, v42, v36
	v_and_b32_e32 v45, v43, v37
	v_lshrrev_b64 v[42:43], s79, v[42:43]
	v_and_b32_e32 v18, 3, v42
	v_cmp_eq_u64_e64 s[2:3], v[44:45], v[28:29]
	v_cmp_eq_u64_e64 s[12:13], 0, v[18:19]
	;; [unrolled: 1-line block ×3, first 2 shown]
	s_and_b64 s[12:13], s[2:3], s[12:13]
	v_cmp_eq_u64_e64 s[16:17], 2, v[18:19]
	v_cmp_eq_u64_e64 s[18:19], 3, v[18:19]
	v_cndmask_b32_e64 v18, 0, 1, s[12:13]
	s_and_b64 s[12:13], s[2:3], s[14:15]
	v_cndmask_b32_e64 v42, 0, 1, s[12:13]
	s_and_b64 s[12:13], s[2:3], s[16:17]
	s_and_b64 s[2:3], s[2:3], s[18:19]
	v_cndmask_b32_e64 v44, 0, 1, s[2:3]
	v_cmp_ne_u32_e64 s[2:3], 0, v18
	v_cndmask_b32_e64 v43, 0, 1, s[12:13]
	v_cmp_ne_u32_e64 s[12:13], 0, v42
	s_bcnt1_i32_b64 s76, s[2:3]
	v_cmp_ne_u32_e64 s[14:15], 0, v43
	v_lshl_add_u64 v[8:9], s[76:77], 0, v[8:9]
	s_bcnt1_i32_b64 s76, s[12:13]
	v_cmp_ne_u32_e64 s[16:17], 0, v44
	v_lshl_add_u64 v[10:11], s[76:77], 0, v[10:11]
	s_bcnt1_i32_b64 s76, s[14:15]
	v_lshl_add_u64 v[12:13], s[76:77], 0, v[12:13]
	s_bcnt1_i32_b64 s76, s[16:17]
	s_or_b64 s[0:1], vcc, s[0:1]
	v_lshl_add_u64 v[14:15], s[76:77], 0, v[14:15]
	s_andn2_b64 exec, exec, s[0:1]
	s_cbranch_execnz .LBB28_64
; %bb.65:                               ;   in Loop: Header=BB28_7 Depth=1
	s_or_b64 exec, exec, s[0:1]
.LBB28_66:                              ;   in Loop: Header=BB28_7 Depth=1
	s_or_b64 exec, exec, s[6:7]
	s_lshl_b32 s2, s84, 6
	s_and_saveexec_b64 s[0:1], s[4:5]
	s_cbranch_execnz .LBB28_37
	s_branch .LBB28_38
.LBB28_67:                              ;   in Loop: Header=BB28_7 Depth=1
                                        ; implicit-def: $sgpr86_sgpr87
	s_branch .LBB28_46
.LBB28_68:                              ;   in Loop: Header=BB28_7 Depth=1
	s_or_b64 exec, exec, s[6:7]
	s_waitcnt lgkmcnt(0)
	s_barrier
	s_mov_b64 s[2:3], exec
	v_readlane_b32 s6, v66, 8
	v_readlane_b32 s7, v66, 9
	s_and_b64 s[6:7], s[2:3], s[6:7]
	s_mov_b64 exec, s[6:7]
	s_cbranch_execz .LBB28_70
; %bb.69:                               ;   in Loop: Header=BB28_7 Depth=1
	ds_read_b32 v4, v19 offset:5136
	s_waitcnt lgkmcnt(0)
	v_ashrrev_i32_e32 v5, 31, v4
	ds_write_b64 v19, v[4:5] offset:5120
.LBB28_70:                              ;   in Loop: Header=BB28_7 Depth=1
	s_or_b64 exec, exec, s[2:3]
	s_waitcnt lgkmcnt(0)
	s_barrier
	s_mov_b64 s[2:3], -1
	s_and_b64 vcc, exec, s[0:1]
	s_cbranch_vccnz .LBB28_23
	s_branch .LBB28_32
.LBB28_71:                              ;   in Loop: Header=BB28_7 Depth=1
	s_mov_b32 s3, 0
	v_mov_b64_e32 v[4:5], 0
.LBB28_72:                              ;   in Loop: Header=BB28_7 Depth=1
	v_readlane_b32 s6, v66, 29
	v_readlane_b32 s7, v66, 30
	s_andn2_b64 vcc, exec, s[6:7]
	s_cbranch_vccnz .LBB28_75
; %bb.73:                               ;   in Loop: Header=BB28_7 Depth=1
	s_lshl_b32 s6, s84, 9
	s_lshl_b32 s3, s3, 5
	s_add_i32 s6, s6, s3
	v_add_u32_e32 v3, s6, v52
	v_readlane_b32 s3, v66, 28
.LBB28_74:                              ;   Parent Loop BB28_7 Depth=1
                                        ; =>  This Inner Loop Header: Depth=2
	ds_read_b64 v[8:9], v3
	s_add_i32 s3, s3, -1
	v_add_u32_e32 v3, 32, v3
	s_cmp_lg_u32 s3, 0
	s_waitcnt lgkmcnt(0)
	v_lshl_add_u64 v[4:5], v[8:9], 0, v[4:5]
	s_cbranch_scc1 .LBB28_74
.LBB28_75:                              ;   in Loop: Header=BB28_7 Depth=1
	v_add_lshl_u32 v3, s2, v46, 3
	ds_write_b64 v3, v[4:5] offset:3072
.LBB28_76:                              ;   in Loop: Header=BB28_7 Depth=1
	s_or_b64 exec, exec, s[0:1]
	s_lshl_b32 s0, s2, 3
	v_mov_b32_e32 v3, s0
	s_waitcnt lgkmcnt(0)
	s_barrier
	ds_read_b128 v[12:15], v3 offset:3088
	ds_read_b128 v[8:11], v3 offset:3072
	s_lshl_b64 s[14:15], 3, s79
	v_cmp_eq_u64_e64 s[2:3], 1, v[38:39]
	s_not_b64 s[24:25], s[14:15]
	s_waitcnt lgkmcnt(1)
	v_readfirstlane_b32 s22, v12
	s_waitcnt lgkmcnt(0)
	v_cmp_eq_u64_e32 vcc, 1, v[8:9]
	v_readfirstlane_b32 s23, v13
	v_readfirstlane_b32 s12, v14
	;; [unrolled: 1-line block ×3, first 2 shown]
	s_and_b64 s[10:11], vcc, s[2:3]
	s_mov_b64 s[2:3], -1
	s_mov_b64 s[8:9], -1
                                        ; implicit-def: $sgpr6_sgpr7
                                        ; implicit-def: $sgpr0_sgpr1
	s_and_saveexec_b64 s[16:17], s[10:11]
	s_cbranch_execz .LBB28_108
; %bb.77:                               ;   in Loop: Header=BB28_7 Depth=1
	ds_read_b64 v[4:5], v19 offset:5120
	s_waitcnt lgkmcnt(0)
	s_barrier
	v_readfirstlane_b32 s18, v4
	v_readfirstlane_b32 s19, v5
	s_mov_b64 s[0:1], exec
	v_readlane_b32 s6, v66, 12
	v_readlane_b32 s7, v66, 13
	s_and_b64 s[6:7], s[0:1], s[6:7]
	s_mov_b64 exec, s[6:7]
; %bb.78:                               ;   in Loop: Header=BB28_7 Depth=1
	ds_write_b64 v48, v[56:57]
; %bb.79:                               ;   in Loop: Header=BB28_7 Depth=1
	s_or_b64 exec, exec, s[0:1]
	v_cmp_lt_i64_e64 s[8:9], s[18:19], 1
	v_and_b32_e32 v29, s25, v29
	v_and_b32_e32 v28, s24, v28
	v_or_b32_e32 v37, s15, v37
	v_or_b32_e32 v36, s14, v36
	s_mov_b64 s[0:1], -1
	s_mov_b64 s[6:7], 0
	s_and_b64 vcc, exec, s[8:9]
	s_mov_b64 s[8:9], 0
	s_mov_b64 s[20:21], -1
	s_waitcnt lgkmcnt(0)
	s_barrier
                                        ; implicit-def: $vgpr6_vgpr7
	s_cbranch_vccz .LBB28_93
; %bb.80:                               ;   in Loop: Header=BB28_7 Depth=1
	s_mov_b32 s82, s77
	s_cmp_lg_u64 s[82:83], 0
	s_cbranch_scc0 .LBB28_134
; %bb.81:                               ;   in Loop: Header=BB28_7 Depth=1
	s_add_u32 s8, s70, 0
	s_addc_u32 s9, 0, 0
	s_xor_b64 s[8:9], s[8:9], 0
	v_cvt_f32_u32_e32 v3, s8
	v_cvt_f32_u32_e32 v4, s9
	s_sub_u32 s26, 0, s8
	s_subb_u32 s27, 0, s9
	v_fmac_f32_e32 v3, 0x4f800000, v4
	v_rcp_f32_e32 v3, v3
	s_nop 0
	v_mul_f32_e32 v3, 0x5f7ffffc, v3
	v_mul_f32_e32 v4, 0x2f800000, v3
	v_trunc_f32_e32 v4, v4
	v_fmac_f32_e32 v3, 0xcf800000, v4
	v_cvt_u32_f32_e32 v4, v4
	v_cvt_u32_f32_e32 v3, v3
	v_readfirstlane_b32 s28, v4
	v_readfirstlane_b32 s20, v3
	s_mul_i32 s21, s26, s28
	s_mul_hi_u32 s30, s26, s20
	s_mul_i32 s29, s27, s20
	s_add_i32 s21, s30, s21
	s_mul_i32 s31, s26, s20
	s_add_i32 s21, s21, s29
	s_mul_i32 s30, s20, s21
	s_mul_hi_u32 s34, s20, s31
	s_mul_hi_u32 s29, s20, s21
	s_add_u32 s30, s34, s30
	s_addc_u32 s29, 0, s29
	s_mul_hi_u32 s35, s28, s31
	s_mul_i32 s31, s28, s31
	s_add_u32 s30, s30, s31
	s_mul_hi_u32 s34, s28, s21
	s_addc_u32 s29, s29, s35
	s_addc_u32 s30, s34, 0
	s_mul_i32 s21, s28, s21
	s_add_u32 s21, s29, s21
	s_addc_u32 s29, 0, s30
	s_add_u32 s30, s20, s21
	s_cselect_b64 s[20:21], -1, 0
	s_cmp_lg_u64 s[20:21], 0
	s_addc_u32 s28, s28, s29
	s_mul_i32 s20, s26, s28
	s_mul_hi_u32 s21, s26, s30
	s_add_i32 s20, s21, s20
	s_mul_i32 s27, s27, s30
	s_add_i32 s20, s20, s27
	s_mul_i32 s26, s26, s30
	s_mul_hi_u32 s27, s28, s26
	s_mul_i32 s29, s28, s26
	s_mul_i32 s34, s30, s20
	s_mul_hi_u32 s26, s30, s26
	s_mul_hi_u32 s31, s30, s20
	s_add_u32 s26, s26, s34
	s_addc_u32 s31, 0, s31
	s_add_u32 s26, s26, s29
	s_mul_hi_u32 s21, s28, s20
	s_addc_u32 s26, s31, s27
	s_addc_u32 s21, s21, 0
	s_mul_i32 s20, s28, s20
	s_add_u32 s20, s26, s20
	s_addc_u32 s26, 0, s21
	s_add_u32 s29, s30, s20
	s_cselect_b64 s[20:21], -1, 0
	s_cmp_lg_u64 s[20:21], 0
	s_addc_u32 s28, s28, s26
	s_ashr_i32 s20, s83, 31
	s_add_u32 s26, s85, s20
	s_mov_b32 s21, s20
	s_addc_u32 s27, s83, s20
	s_xor_b64 s[26:27], s[26:27], s[20:21]
	s_mul_i32 s31, s26, s28
	s_mul_hi_u32 s34, s26, s29
	s_mul_hi_u32 s30, s26, s28
	s_add_u32 s31, s34, s31
	s_addc_u32 s30, 0, s30
	s_mul_hi_u32 s35, s27, s29
	s_mul_i32 s29, s27, s29
	s_add_u32 s29, s31, s29
	s_mul_hi_u32 s34, s27, s28
	s_addc_u32 s29, s30, s35
	s_addc_u32 s30, s34, 0
	s_mul_i32 s28, s27, s28
	s_add_u32 s28, s29, s28
	s_addc_u32 s29, 0, s30
	s_mul_i32 s29, s8, s29
	s_mul_hi_u32 s30, s8, s28
	s_add_i32 s29, s30, s29
	s_mul_i32 s30, s9, s28
	s_add_i32 s34, s29, s30
	s_sub_i32 s30, s27, s34
	s_mul_i32 s28, s8, s28
	s_sub_u32 s26, s26, s28
	s_cselect_b64 s[28:29], -1, 0
	s_cmp_lg_u64 s[28:29], 0
	s_subb_u32 s35, s30, s9
	s_sub_u32 s36, s26, s8
	s_cselect_b64 s[30:31], -1, 0
	s_cmp_lg_u64 s[30:31], 0
	s_subb_u32 s37, s35, 0
	s_cmp_ge_u32 s37, s9
	s_cselect_b32 s38, -1, 0
	s_cmp_ge_u32 s36, s8
	s_cselect_b32 s39, -1, 0
	s_cmp_eq_u32 s37, s9
	s_cselect_b32 s38, s39, s38
	s_cmp_lg_u64 s[30:31], 0
	s_subb_u32 s35, s35, s9
	s_sub_u32 s39, s36, s8
	s_cselect_b64 s[30:31], -1, 0
	s_cmp_lg_u64 s[30:31], 0
	s_subb_u32 s30, s35, 0
	s_cmp_lg_u32 s38, 0
	s_cselect_b32 s31, s39, s36
	s_cselect_b32 s30, s30, s37
	s_cmp_lg_u64 s[28:29], 0
	s_subb_u32 s27, s27, s34
	s_cmp_ge_u32 s27, s9
	s_cselect_b32 s28, -1, 0
	s_cmp_ge_u32 s26, s8
	s_cselect_b32 s8, -1, 0
	s_cmp_eq_u32 s27, s9
	s_cselect_b32 s8, s8, s28
	s_cmp_lg_u32 s8, 0
	s_cselect_b32 s9, s30, s27
	s_cselect_b32 s8, s31, s26
	s_xor_b64 s[8:9], s[8:9], s[20:21]
	s_sub_u32 s8, s8, s20
	s_subb_u32 s9, s9, s20
	s_cbranch_execnz .LBB28_83
.LBB28_82:                              ;   in Loop: Header=BB28_7 Depth=1
	v_cvt_f32_u32_e32 v3, s70
	s_sub_i32 s8, 0, s70
	v_rcp_iflag_f32_e32 v3, v3
	s_nop 0
	v_mul_f32_e32 v3, 0x4f7ffffe, v3
	v_cvt_u32_f32_e32 v3, v3
	s_nop 0
	v_readfirstlane_b32 s9, v3
	s_mul_i32 s8, s8, s9
	s_mul_hi_u32 s8, s9, s8
	s_add_i32 s9, s9, s8
	s_mul_hi_u32 s8, s85, s9
	s_mul_i32 s8, s8, s70
	s_sub_i32 s8, s85, s8
	s_sub_i32 s9, s8, s70
	s_cmp_ge_u32 s8, s70
	s_cselect_b32 s8, s9, s8
	s_sub_i32 s9, s8, s70
	s_cmp_ge_u32 s8, s70
	s_cselect_b32 s76, s9, s8
	s_mov_b64 s[8:9], s[76:77]
.LBB28_83:                              ;   in Loop: Header=BB28_7 Depth=1
	s_sub_u32 s28, s85, s8
	s_subb_u32 s29, s83, s9
	v_cmp_gt_i64_e32 vcc, s[28:29], v[0:1]
	s_mov_b64 s[20:21], 0
	s_mov_b64 s[8:9], 0
                                        ; implicit-def: $vgpr6_vgpr7
	s_and_saveexec_b64 s[26:27], vcc
	s_cbranch_execz .LBB28_92
; %bb.84:                               ;   in Loop: Header=BB28_7 Depth=1
	v_mov_b64_e32 v[12:13], v[16:17]
	v_mov_b64_e32 v[14:15], v[0:1]
                                        ; implicit-def: $sgpr30_sgpr31
	s_branch .LBB28_87
.LBB28_85:                              ;   in Loop: Header=BB28_87 Depth=2
	s_or_b64 exec, exec, s[34:35]
	s_waitcnt lgkmcnt(0)
	s_barrier
	ds_read_b128 v[4:7], v19 offset:3072
	s_mov_b64 s[34:35], -1
	s_mov_b64 s[36:37], -1
	s_waitcnt lgkmcnt(0)
	s_barrier
	v_cmp_ne_u64_e32 vcc, 0, v[4:5]
	s_cbranch_vccz .LBB28_90
.LBB28_86:                              ;   in Loop: Header=BB28_87 Depth=2
	s_and_b64 s[34:35], exec, s[34:35]
	s_or_b64 s[8:9], s[34:35], s[8:9]
	s_andn2_b64 s[30:31], s[30:31], exec
	s_and_b64 s[34:35], s[36:37], exec
	s_or_b64 s[30:31], s[30:31], s[34:35]
	s_andn2_b64 exec, exec, s[8:9]
	s_cbranch_execz .LBB28_91
.LBB28_87:                              ;   Parent Loop BB28_7 Depth=1
                                        ; =>  This Inner Loop Header: Depth=2
	v_cmp_gt_i64_e32 vcc, s[56:57], v[14:15]
	s_and_saveexec_b64 s[34:35], vcc
	s_cbranch_execz .LBB28_85
; %bb.88:                               ;   in Loop: Header=BB28_87 Depth=2
	global_load_dwordx2 v[4:5], v[12:13], off
	s_waitcnt vmcnt(0)
	v_xor_b32_e32 v3, 0x80000000, v5
	v_and_b32_e32 v7, v3, v37
	v_and_b32_e32 v6, v4, v36
	v_cmp_eq_u64_e32 vcc, v[6:7], v[28:29]
	s_and_b64 exec, exec, vcc
	s_cbranch_execz .LBB28_85
; %bb.89:                               ;   in Loop: Header=BB28_87 Depth=2
	v_mov_b32_e32 v3, v19
	ds_write_b128 v19, v[2:5] offset:3072
	s_branch .LBB28_85
.LBB28_90:                              ;   in Loop: Header=BB28_87 Depth=2
	v_lshl_add_u64 v[14:15], v[14:15], 0, s[70:71]
	v_cmp_le_i64_e32 vcc, s[28:29], v[14:15]
	v_lshl_add_u64 v[12:13], v[12:13], 0, s[72:73]
	s_mov_b64 s[36:37], 0
	s_orn2_b64 s[34:35], vcc, exec
	s_branch .LBB28_86
.LBB28_91:                              ;   in Loop: Header=BB28_7 Depth=1
	s_or_b64 exec, exec, s[8:9]
	s_and_b64 s[8:9], s[30:31], exec
.LBB28_92:                              ;   in Loop: Header=BB28_7 Depth=1
	s_or_b64 exec, exec, s[26:27]
.LBB28_93:                              ;   in Loop: Header=BB28_7 Depth=1
	s_and_b64 vcc, exec, s[20:21]
	s_cbranch_vccz .LBB28_107
; %bb.94:                               ;   in Loop: Header=BB28_7 Depth=1
	v_readlane_b32 s0, v66, 24
	s_add_u32 s26, s18, s0
	v_readlane_b32 s0, v66, 25
	s_addc_u32 s1, s19, s0
	s_mov_b32 s0, s77
	s_cmp_lg_u64 s[0:1], 0
	s_cbranch_scc0 .LBB28_135
; %bb.95:                               ;   in Loop: Header=BB28_7 Depth=1
	s_add_u32 s6, s70, 0
	s_addc_u32 s7, 0, 0
	s_xor_b64 s[6:7], s[6:7], 0
	v_cvt_f32_u32_e32 v3, s6
	v_cvt_f32_u32_e32 v4, s7
	s_sub_u32 s0, 0, s6
	s_subb_u32 s27, 0, s7
	v_fmac_f32_e32 v3, 0x4f800000, v4
	v_rcp_f32_e32 v3, v3
	s_nop 0
	v_mul_f32_e32 v3, 0x5f7ffffc, v3
	v_mul_f32_e32 v4, 0x2f800000, v3
	v_trunc_f32_e32 v4, v4
	v_fmac_f32_e32 v3, 0xcf800000, v4
	v_cvt_u32_f32_e32 v4, v4
	v_cvt_u32_f32_e32 v3, v3
	v_readfirstlane_b32 s28, v4
	v_readfirstlane_b32 s20, v3
	s_mul_i32 s21, s0, s28
	s_mul_hi_u32 s30, s0, s20
	s_mul_i32 s29, s27, s20
	s_add_i32 s21, s30, s21
	s_mul_i32 s31, s0, s20
	s_add_i32 s21, s21, s29
	s_mul_i32 s30, s20, s21
	s_mul_hi_u32 s34, s20, s31
	s_mul_hi_u32 s29, s20, s21
	s_add_u32 s30, s34, s30
	s_addc_u32 s29, 0, s29
	s_mul_hi_u32 s35, s28, s31
	s_mul_i32 s31, s28, s31
	s_add_u32 s30, s30, s31
	s_mul_hi_u32 s34, s28, s21
	s_addc_u32 s29, s29, s35
	s_addc_u32 s30, s34, 0
	s_mul_i32 s21, s28, s21
	s_add_u32 s21, s29, s21
	s_addc_u32 s29, 0, s30
	s_add_u32 s30, s20, s21
	s_cselect_b64 s[20:21], -1, 0
	s_cmp_lg_u64 s[20:21], 0
	s_addc_u32 s28, s28, s29
	s_mul_i32 s20, s0, s28
	s_mul_hi_u32 s21, s0, s30
	s_add_i32 s20, s21, s20
	s_mul_i32 s27, s27, s30
	s_add_i32 s20, s20, s27
	s_mul_i32 s0, s0, s30
	s_mul_hi_u32 s27, s28, s0
	s_mul_i32 s29, s28, s0
	s_mul_i32 s34, s30, s20
	s_mul_hi_u32 s0, s30, s0
	s_mul_hi_u32 s31, s30, s20
	s_add_u32 s0, s0, s34
	s_addc_u32 s31, 0, s31
	s_add_u32 s0, s0, s29
	s_mul_hi_u32 s21, s28, s20
	s_addc_u32 s0, s31, s27
	s_addc_u32 s21, s21, 0
	s_mul_i32 s20, s28, s20
	s_add_u32 s0, s0, s20
	s_addc_u32 s27, 0, s21
	s_add_u32 s0, s30, s0
	s_cselect_b64 s[20:21], -1, 0
	s_cmp_lg_u64 s[20:21], 0
	s_addc_u32 s27, s28, s27
	s_ashr_i32 s20, s1, 31
	s_add_u32 s28, s26, s20
	s_mov_b32 s21, s20
	s_addc_u32 s29, s1, s20
	s_xor_b64 s[28:29], s[28:29], s[20:21]
	s_mul_i32 s31, s28, s27
	s_mul_hi_u32 s34, s28, s0
	s_mul_hi_u32 s30, s28, s27
	s_add_u32 s31, s34, s31
	s_addc_u32 s30, 0, s30
	s_mul_hi_u32 s35, s29, s0
	s_mul_i32 s0, s29, s0
	s_add_u32 s0, s31, s0
	s_mul_hi_u32 s34, s29, s27
	s_addc_u32 s0, s30, s35
	s_addc_u32 s30, s34, 0
	s_mul_i32 s27, s29, s27
	s_add_u32 s0, s0, s27
	s_addc_u32 s27, 0, s30
	s_mul_i32 s27, s6, s27
	s_mul_hi_u32 s30, s6, s0
	s_add_i32 s27, s30, s27
	s_mul_i32 s30, s7, s0
	s_add_i32 s27, s27, s30
	s_sub_i32 s34, s29, s27
	s_mul_i32 s0, s6, s0
	s_sub_u32 s0, s28, s0
	s_cselect_b64 s[30:31], -1, 0
	s_cmp_lg_u64 s[30:31], 0
	s_subb_u32 s28, s34, s7
	s_sub_u32 s36, s0, s6
	s_cselect_b64 s[34:35], -1, 0
	s_cmp_lg_u64 s[34:35], 0
	s_subb_u32 s37, s28, 0
	s_cmp_ge_u32 s37, s7
	s_cselect_b32 s38, -1, 0
	s_cmp_ge_u32 s36, s6
	s_cselect_b32 s39, -1, 0
	s_cmp_eq_u32 s37, s7
	s_cselect_b32 s38, s39, s38
	s_cmp_lg_u64 s[34:35], 0
	s_subb_u32 s28, s28, s7
	s_sub_u32 s39, s36, s6
	s_cselect_b64 s[34:35], -1, 0
	s_cmp_lg_u64 s[34:35], 0
	s_subb_u32 s28, s28, 0
	s_cmp_lg_u32 s38, 0
	s_cselect_b32 s34, s39, s36
	s_cselect_b32 s28, s28, s37
	s_cmp_lg_u64 s[30:31], 0
	s_subb_u32 s27, s29, s27
	s_cmp_ge_u32 s27, s7
	s_cselect_b32 s29, -1, 0
	s_cmp_ge_u32 s0, s6
	s_cselect_b32 s6, -1, 0
	s_cmp_eq_u32 s27, s7
	s_cselect_b32 s6, s6, s29
	s_cmp_lg_u32 s6, 0
	s_cselect_b32 s7, s28, s27
	s_cselect_b32 s6, s34, s0
	s_xor_b64 s[6:7], s[6:7], s[20:21]
	s_sub_u32 s6, s6, s20
	s_subb_u32 s7, s7, s20
	s_cbranch_execnz .LBB28_97
.LBB28_96:                              ;   in Loop: Header=BB28_7 Depth=1
	v_cvt_f32_u32_e32 v3, s70
	s_sub_i32 s0, 0, s70
	v_rcp_iflag_f32_e32 v3, v3
	s_nop 0
	v_mul_f32_e32 v3, 0x4f7ffffe, v3
	v_cvt_u32_f32_e32 v3, v3
	s_nop 0
	v_readfirstlane_b32 s6, v3
	s_mul_i32 s0, s0, s6
	s_mul_hi_u32 s0, s6, s0
	s_add_i32 s6, s6, s0
	s_mul_hi_u32 s0, s26, s6
	s_mul_i32 s0, s0, s70
	s_sub_i32 s0, s26, s0
	s_sub_i32 s6, s0, s70
	s_cmp_ge_u32 s0, s70
	s_cselect_b32 s0, s6, s0
	s_sub_i32 s6, s0, s70
	s_cmp_ge_u32 s0, s70
	s_cselect_b32 s76, s6, s0
	s_mov_b64 s[6:7], s[76:77]
.LBB28_97:                              ;   in Loop: Header=BB28_7 Depth=1
	s_sub_u32 s6, s26, s6
	s_subb_u32 s7, s1, s7
	v_cmp_gt_i64_e32 vcc, s[6:7], v[0:1]
                                        ; implicit-def: $vgpr6_vgpr7
	s_and_saveexec_b64 s[0:1], vcc
	s_cbranch_execz .LBB28_106
; %bb.98:                               ;   in Loop: Header=BB28_7 Depth=1
	s_mov_b64 s[26:27], 0
	v_mov_b32_e32 v14, v47
	v_mov_b64_e32 v[12:13], v[0:1]
                                        ; implicit-def: $sgpr20_sgpr21
	s_branch .LBB28_101
.LBB28_99:                              ;   in Loop: Header=BB28_101 Depth=2
	s_or_b64 exec, exec, s[28:29]
	s_waitcnt lgkmcnt(0)
	s_barrier
	ds_read_b128 v[4:7], v19 offset:3072
	s_mov_b64 s[28:29], -1
	s_mov_b64 s[30:31], -1
	s_waitcnt lgkmcnt(0)
	s_barrier
	v_cmp_ne_u64_e32 vcc, 0, v[4:5]
	s_cbranch_vccz .LBB28_104
.LBB28_100:                             ;   in Loop: Header=BB28_101 Depth=2
	s_and_b64 s[28:29], exec, s[28:29]
	s_or_b64 s[26:27], s[28:29], s[26:27]
	s_andn2_b64 s[20:21], s[20:21], exec
	s_and_b64 s[28:29], s[30:31], exec
	s_or_b64 s[20:21], s[20:21], s[28:29]
	s_andn2_b64 exec, exec, s[26:27]
	s_cbranch_execz .LBB28_105
.LBB28_101:                             ;   Parent Loop BB28_7 Depth=1
                                        ; =>  This Inner Loop Header: Depth=2
	v_cmp_gt_u64_e32 vcc, s[18:19], v[12:13]
	s_and_saveexec_b64 s[28:29], vcc
	s_cbranch_execz .LBB28_99
; %bb.102:                              ;   in Loop: Header=BB28_101 Depth=2
	ds_read_b64 v[4:5], v14
	s_waitcnt lgkmcnt(0)
	v_xor_b32_e32 v3, 0x80000000, v5
	v_and_b32_e32 v7, v3, v37
	v_and_b32_e32 v6, v4, v36
	v_cmp_eq_u64_e32 vcc, v[6:7], v[28:29]
	s_and_b64 exec, exec, vcc
	s_cbranch_execz .LBB28_99
; %bb.103:                              ;   in Loop: Header=BB28_101 Depth=2
	v_mov_b32_e32 v3, v19
	ds_write_b128 v19, v[2:5] offset:3072
	s_branch .LBB28_99
.LBB28_104:                             ;   in Loop: Header=BB28_101 Depth=2
	v_lshl_add_u64 v[12:13], v[12:13], 0, s[70:71]
	v_cmp_le_i64_e32 vcc, s[6:7], v[12:13]
	v_add_u32_e32 v14, s78, v14
	s_mov_b64 s[30:31], 0
	s_orn2_b64 s[28:29], vcc, exec
	s_branch .LBB28_100
.LBB28_105:                             ;   in Loop: Header=BB28_7 Depth=1
	s_or_b64 exec, exec, s[26:27]
	s_andn2_b64 s[6:7], s[8:9], exec
	s_and_b64 s[8:9], s[20:21], exec
	s_or_b64 s[8:9], s[6:7], s[8:9]
.LBB28_106:                             ;   in Loop: Header=BB28_7 Depth=1
	s_or_b64 exec, exec, s[0:1]
	s_mov_b64 s[0:1], 0
	s_mov_b64 s[6:7], -1
.LBB28_107:                             ;   in Loop: Header=BB28_7 Depth=1
	s_orn2_b64 s[8:9], s[8:9], exec
.LBB28_108:                             ;   in Loop: Header=BB28_7 Depth=1
	s_or_b64 exec, exec, s[16:17]
	s_andn2_b64 s[16:17], s[66:67], exec
	s_and_b64 s[6:7], s[6:7], exec
	s_or_b64 s[66:67], s[16:17], s[6:7]
	s_andn2_b64 s[6:7], s[60:61], exec
	s_and_b64 s[0:1], s[0:1], exec
	s_andn2_b64 s[54:55], s[54:55], exec
	s_or_b64 s[60:61], s[6:7], s[0:1]
                                        ; implicit-def: $vgpr12_vgpr13
	s_and_saveexec_b64 s[16:17], s[8:9]
	s_cbranch_execz .LBB28_6
; %bb.109:                              ;   in Loop: Header=BB28_7 Depth=1
	s_xor_b64 s[2:3], s[10:11], -1
	v_mov_b32_e32 v18, 1
	s_mov_b64 s[6:7], 0
	v_mov_b64_e32 v[12:13], 1
	s_and_saveexec_b64 s[0:1], s[2:3]
	s_cbranch_execz .LBB28_118
; %bb.110:                              ;   in Loop: Header=BB28_7 Depth=1
	v_cmp_le_i64_e32 vcc, v[38:39], v[8:9]
	s_and_saveexec_b64 s[2:3], vcc
	s_xor_b64 s[2:3], exec, s[2:3]
	s_cbranch_execz .LBB28_115
; %bb.111:                              ;   in Loop: Header=BB28_7 Depth=1
	ds_read_b64 v[4:5], v19 offset:5120
	v_and_b32_e32 v29, s25, v29
	v_and_b32_e32 v28, s24, v28
	v_or_b32_e32 v37, s15, v37
	v_or_b32_e32 v36, s14, v36
	s_waitcnt lgkmcnt(0)
	v_cmp_ne_u64_e32 vcc, 0, v[4:5]
	s_cbranch_vccnz .LBB28_115
; %bb.112:                              ;   in Loop: Header=BB28_7 Depth=1
	s_mov_b64 s[6:7], exec
	v_readlane_b32 s8, v66, 8
	v_readlane_b32 s9, v66, 9
	s_and_b64 s[8:9], s[6:7], s[8:9]
	s_mov_b64 exec, s[8:9]
; %bb.113:                              ;   in Loop: Header=BB28_7 Depth=1
	ds_write_b64 v19, v[8:9] offset:5128
; %bb.114:                              ;   in Loop: Header=BB28_7 Depth=1
	s_or_b64 exec, exec, s[6:7]
	s_waitcnt lgkmcnt(0)
	s_barrier
.LBB28_115:                             ;   in Loop: Header=BB28_7 Depth=1
	s_or_saveexec_b64 s[2:3], s[2:3]
	s_mov_b64 s[6:7], 0
	v_mov_b32_e32 v18, 8
	s_xor_b64 exec, exec, s[2:3]
; %bb.116:                              ;   in Loop: Header=BB28_7 Depth=1
	v_sub_co_u32_e32 v38, vcc, v38, v8
	s_mov_b64 s[6:7], exec
	s_nop 0
	v_subb_co_u32_e32 v39, vcc, v39, v9, vcc
	v_mov_b32_e32 v18, 0
; %bb.117:                              ;   in Loop: Header=BB28_7 Depth=1
	s_or_b64 exec, exec, s[2:3]
	s_and_b64 s[6:7], s[6:7], exec
	v_mov_b64_e32 v[12:13], v[38:39]
.LBB28_118:                             ;   in Loop: Header=BB28_7 Depth=1
	s_or_b64 exec, exec, s[0:1]
	s_mov_b64 s[18:19], -1
	s_mov_b64 s[0:1], -1
                                        ; implicit-def: $sgpr2_sgpr3
                                        ; implicit-def: $sgpr26_sgpr27
	s_and_saveexec_b64 s[8:9], s[6:7]
	s_xor_b64 s[20:21], exec, s[8:9]
	s_cbranch_execz .LBB28_260
; %bb.119:                              ;   in Loop: Header=BB28_7 Depth=1
	v_cmp_eq_u64_e32 vcc, 1, v[10:11]
	v_cmp_eq_u64_e64 s[2:3], 1, v[12:13]
	s_and_b64 s[10:11], vcc, s[2:3]
                                        ; implicit-def: $sgpr26_sgpr27
                                        ; implicit-def: $sgpr2_sgpr3
	s_and_saveexec_b64 s[30:31], s[10:11]
	s_cbranch_execz .LBB28_153
; %bb.120:                              ;   in Loop: Header=BB28_7 Depth=1
	ds_read_b64 v[4:5], v19 offset:5120
	s_waitcnt lgkmcnt(0)
	s_barrier
	v_readfirstlane_b32 s34, v4
	v_readfirstlane_b32 s35, v5
	s_mov_b64 s[0:1], exec
	v_readlane_b32 s2, v66, 12
	v_readlane_b32 s3, v66, 13
	s_and_b64 s[2:3], s[0:1], s[2:3]
	s_mov_b64 exec, s[2:3]
; %bb.121:                              ;   in Loop: Header=BB28_7 Depth=1
	ds_write_b64 v48, v[56:57]
; %bb.122:                              ;   in Loop: Header=BB28_7 Depth=1
	s_or_b64 exec, exec, s[0:1]
	s_lshl_b64 s[0:1], 1, s79
	v_and_b32_e32 v3, s25, v29
	v_and_b32_e32 v4, s24, v28
	v_or_b32_e32 v29, s1, v3
	v_or_b32_e32 v28, s0, v4
	v_cmp_gt_i64_e64 s[0:1], s[34:35], 0
	v_or_b32_e32 v37, s15, v37
	v_or_b32_e32 v36, s14, v36
	s_mov_b64 s[2:3], -1
	s_mov_b64 s[26:27], 0
	s_and_b64 vcc, exec, s[0:1]
	s_mov_b64 s[0:1], 0
	s_mov_b64 s[6:7], -1
	s_waitcnt lgkmcnt(0)
	s_barrier
                                        ; implicit-def: $vgpr6_vgpr7
	s_cbranch_vccnz .LBB28_138
; %bb.123:                              ;   in Loop: Header=BB28_7 Depth=1
	s_mov_b32 s82, s77
	s_cmp_lg_u64 s[82:83], 0
	s_cbranch_scc0 .LBB28_180
; %bb.124:                              ;   in Loop: Header=BB28_7 Depth=1
	s_add_u32 s0, s70, 0
	s_addc_u32 s1, 0, 0
	s_xor_b64 s[0:1], s[0:1], 0
	v_cvt_f32_u32_e32 v3, s0
	v_cvt_f32_u32_e32 v4, s1
	s_sub_u32 s8, 0, s0
	s_subb_u32 s9, 0, s1
	v_fmac_f32_e32 v3, 0x4f800000, v4
	v_rcp_f32_e32 v3, v3
	s_nop 0
	v_mul_f32_e32 v3, 0x5f7ffffc, v3
	v_mul_f32_e32 v4, 0x2f800000, v3
	v_trunc_f32_e32 v4, v4
	v_fmac_f32_e32 v3, 0xcf800000, v4
	v_cvt_u32_f32_e32 v4, v4
	v_cvt_u32_f32_e32 v3, v3
	v_readfirstlane_b32 s28, v4
	v_readfirstlane_b32 s6, v3
	s_mul_i32 s7, s8, s28
	s_mul_hi_u32 s36, s8, s6
	s_mul_i32 s29, s9, s6
	s_add_i32 s7, s36, s7
	s_mul_i32 s37, s8, s6
	s_add_i32 s7, s7, s29
	s_mul_i32 s36, s6, s7
	s_mul_hi_u32 s38, s6, s37
	s_mul_hi_u32 s29, s6, s7
	s_add_u32 s36, s38, s36
	s_addc_u32 s29, 0, s29
	s_mul_hi_u32 s39, s28, s37
	s_mul_i32 s37, s28, s37
	s_add_u32 s36, s36, s37
	s_mul_hi_u32 s38, s28, s7
	s_addc_u32 s29, s29, s39
	s_addc_u32 s36, s38, 0
	s_mul_i32 s7, s28, s7
	s_add_u32 s7, s29, s7
	s_addc_u32 s29, 0, s36
	s_add_u32 s36, s6, s7
	s_cselect_b64 s[6:7], -1, 0
	s_cmp_lg_u64 s[6:7], 0
	s_addc_u32 s28, s28, s29
	s_mul_i32 s6, s8, s28
	s_mul_hi_u32 s7, s8, s36
	s_add_i32 s6, s7, s6
	s_mul_i32 s9, s9, s36
	s_add_i32 s6, s6, s9
	s_mul_i32 s8, s8, s36
	s_mul_hi_u32 s9, s28, s8
	s_mul_i32 s29, s28, s8
	s_mul_i32 s38, s36, s6
	s_mul_hi_u32 s8, s36, s8
	s_mul_hi_u32 s37, s36, s6
	s_add_u32 s8, s8, s38
	s_addc_u32 s37, 0, s37
	s_add_u32 s8, s8, s29
	s_mul_hi_u32 s7, s28, s6
	s_addc_u32 s8, s37, s9
	s_addc_u32 s7, s7, 0
	s_mul_i32 s6, s28, s6
	s_add_u32 s6, s8, s6
	s_addc_u32 s8, 0, s7
	s_add_u32 s29, s36, s6
	s_cselect_b64 s[6:7], -1, 0
	s_cmp_lg_u64 s[6:7], 0
	s_addc_u32 s28, s28, s8
	s_ashr_i32 s6, s83, 31
	s_add_u32 s8, s85, s6
	s_mov_b32 s7, s6
	s_addc_u32 s9, s83, s6
	s_xor_b64 s[8:9], s[8:9], s[6:7]
	s_mul_i32 s37, s8, s28
	s_mul_hi_u32 s38, s8, s29
	s_mul_hi_u32 s36, s8, s28
	s_add_u32 s37, s38, s37
	s_addc_u32 s36, 0, s36
	s_mul_hi_u32 s39, s9, s29
	s_mul_i32 s29, s9, s29
	s_add_u32 s29, s37, s29
	s_mul_hi_u32 s38, s9, s28
	s_addc_u32 s29, s36, s39
	s_addc_u32 s36, s38, 0
	s_mul_i32 s28, s9, s28
	s_add_u32 s28, s29, s28
	s_addc_u32 s29, 0, s36
	s_mul_i32 s29, s0, s29
	s_mul_hi_u32 s36, s0, s28
	s_add_i32 s29, s36, s29
	s_mul_i32 s36, s1, s28
	s_add_i32 s38, s29, s36
	s_sub_i32 s36, s9, s38
	s_mul_i32 s28, s0, s28
	s_sub_u32 s8, s8, s28
	s_cselect_b64 s[28:29], -1, 0
	s_cmp_lg_u64 s[28:29], 0
	s_subb_u32 s39, s36, s1
	s_sub_u32 s40, s8, s0
	s_cselect_b64 s[36:37], -1, 0
	s_cmp_lg_u64 s[36:37], 0
	s_subb_u32 s41, s39, 0
	s_cmp_ge_u32 s41, s1
	s_cselect_b32 s42, -1, 0
	s_cmp_ge_u32 s40, s0
	s_cselect_b32 s43, -1, 0
	s_cmp_eq_u32 s41, s1
	s_cselect_b32 s42, s43, s42
	s_cmp_lg_u64 s[36:37], 0
	s_subb_u32 s39, s39, s1
	s_sub_u32 s43, s40, s0
	s_cselect_b64 s[36:37], -1, 0
	s_cmp_lg_u64 s[36:37], 0
	s_subb_u32 s36, s39, 0
	s_cmp_lg_u32 s42, 0
	s_cselect_b32 s37, s43, s40
	s_cselect_b32 s36, s36, s41
	s_cmp_lg_u64 s[28:29], 0
	s_subb_u32 s9, s9, s38
	s_cmp_ge_u32 s9, s1
	s_cselect_b32 s28, -1, 0
	s_cmp_ge_u32 s8, s0
	s_cselect_b32 s0, -1, 0
	s_cmp_eq_u32 s9, s1
	s_cselect_b32 s0, s0, s28
	s_cmp_lg_u32 s0, 0
	s_cselect_b32 s1, s36, s9
	s_cselect_b32 s0, s37, s8
	s_xor_b64 s[0:1], s[0:1], s[6:7]
	s_sub_u32 s0, s0, s6
	s_subb_u32 s1, s1, s6
	s_cbranch_execnz .LBB28_126
.LBB28_125:                             ;   in Loop: Header=BB28_7 Depth=1
	v_cvt_f32_u32_e32 v3, s70
	s_sub_i32 s0, 0, s70
	v_rcp_iflag_f32_e32 v3, v3
	s_nop 0
	v_mul_f32_e32 v3, 0x4f7ffffe, v3
	v_cvt_u32_f32_e32 v3, v3
	s_nop 0
	v_readfirstlane_b32 s1, v3
	s_mul_i32 s0, s0, s1
	s_mul_hi_u32 s0, s1, s0
	s_add_i32 s1, s1, s0
	s_mul_hi_u32 s0, s85, s1
	s_mul_i32 s0, s0, s70
	s_sub_i32 s0, s85, s0
	s_sub_i32 s1, s0, s70
	s_cmp_ge_u32 s0, s70
	s_cselect_b32 s0, s1, s0
	s_sub_i32 s1, s0, s70
	s_cmp_ge_u32 s0, s70
	s_cselect_b32 s76, s1, s0
	s_mov_b64 s[0:1], s[76:77]
.LBB28_126:                             ;   in Loop: Header=BB28_7 Depth=1
	s_sub_u32 s28, s85, s0
	s_subb_u32 s29, s83, s1
	v_cmp_gt_i64_e32 vcc, s[28:29], v[0:1]
	s_mov_b64 s[6:7], 0
	s_mov_b64 s[0:1], 0
                                        ; implicit-def: $vgpr6_vgpr7
	s_and_saveexec_b64 s[8:9], vcc
	s_cbranch_execz .LBB28_137
; %bb.127:                              ;   in Loop: Header=BB28_7 Depth=1
	v_mov_b64_e32 v[8:9], v[16:17]
	v_mov_b64_e32 v[14:15], v[0:1]
                                        ; implicit-def: $sgpr36_sgpr37
	s_branch .LBB28_130
.LBB28_128:                             ;   in Loop: Header=BB28_130 Depth=2
	s_or_b64 exec, exec, s[38:39]
	s_waitcnt lgkmcnt(0)
	s_barrier
	ds_read_b128 v[4:7], v19 offset:3072
	s_mov_b64 s[38:39], -1
	s_mov_b64 s[40:41], -1
	s_waitcnt lgkmcnt(0)
	s_barrier
	v_cmp_ne_u64_e32 vcc, 0, v[4:5]
	s_cbranch_vccz .LBB28_133
.LBB28_129:                             ;   in Loop: Header=BB28_130 Depth=2
	s_and_b64 s[38:39], exec, s[38:39]
	s_or_b64 s[0:1], s[38:39], s[0:1]
	s_andn2_b64 s[36:37], s[36:37], exec
	s_and_b64 s[38:39], s[40:41], exec
	s_or_b64 s[36:37], s[36:37], s[38:39]
	s_andn2_b64 exec, exec, s[0:1]
	s_cbranch_execz .LBB28_136
.LBB28_130:                             ;   Parent Loop BB28_7 Depth=1
                                        ; =>  This Inner Loop Header: Depth=2
	v_cmp_gt_i64_e32 vcc, s[56:57], v[14:15]
	s_and_saveexec_b64 s[38:39], vcc
	s_cbranch_execz .LBB28_128
; %bb.131:                              ;   in Loop: Header=BB28_130 Depth=2
	global_load_dwordx2 v[4:5], v[8:9], off
	s_waitcnt vmcnt(0)
	v_xor_b32_e32 v3, 0x80000000, v5
	v_and_b32_e32 v7, v3, v37
	v_and_b32_e32 v6, v4, v36
	v_cmp_eq_u64_e32 vcc, v[6:7], v[28:29]
	s_and_b64 exec, exec, vcc
	s_cbranch_execz .LBB28_128
; %bb.132:                              ;   in Loop: Header=BB28_130 Depth=2
	v_mov_b32_e32 v3, v19
	ds_write_b128 v19, v[2:5] offset:3072
	s_branch .LBB28_128
.LBB28_133:                             ;   in Loop: Header=BB28_130 Depth=2
	v_lshl_add_u64 v[14:15], v[14:15], 0, s[70:71]
	v_cmp_le_i64_e32 vcc, s[28:29], v[14:15]
	v_lshl_add_u64 v[8:9], v[8:9], 0, s[72:73]
	s_mov_b64 s[40:41], 0
	s_orn2_b64 s[38:39], vcc, exec
	s_branch .LBB28_129
.LBB28_134:                             ;   in Loop: Header=BB28_7 Depth=1
                                        ; implicit-def: $sgpr8_sgpr9
	s_andn2_b64 vcc, exec, s[20:21]
	s_cbranch_vccz .LBB28_82
	s_branch .LBB28_83
.LBB28_135:                             ;   in Loop: Header=BB28_7 Depth=1
                                        ; implicit-def: $sgpr6_sgpr7
	s_branch .LBB28_96
.LBB28_136:                             ;   in Loop: Header=BB28_7 Depth=1
	s_or_b64 exec, exec, s[0:1]
	s_and_b64 s[0:1], s[36:37], exec
.LBB28_137:                             ;   in Loop: Header=BB28_7 Depth=1
	s_or_b64 exec, exec, s[8:9]
.LBB28_138:                             ;   in Loop: Header=BB28_7 Depth=1
	s_and_b64 vcc, exec, s[6:7]
	s_cbranch_vccz .LBB28_152
; %bb.139:                              ;   in Loop: Header=BB28_7 Depth=1
	v_readlane_b32 s2, v66, 24
	s_add_u32 s26, s34, s2
	v_readlane_b32 s2, v66, 25
	s_addc_u32 s3, s35, s2
	s_mov_b32 s2, s77
	s_cmp_lg_u64 s[2:3], 0
	s_cbranch_scc0 .LBB28_181
; %bb.140:                              ;   in Loop: Header=BB28_7 Depth=1
	s_add_u32 s6, s70, 0
	s_addc_u32 s7, 0, 0
	s_xor_b64 s[6:7], s[6:7], 0
	v_cvt_f32_u32_e32 v3, s6
	v_cvt_f32_u32_e32 v4, s7
	s_sub_u32 s2, 0, s6
	s_subb_u32 s27, 0, s7
	v_fmac_f32_e32 v3, 0x4f800000, v4
	v_rcp_f32_e32 v3, v3
	s_nop 0
	v_mul_f32_e32 v3, 0x5f7ffffc, v3
	v_mul_f32_e32 v4, 0x2f800000, v3
	v_trunc_f32_e32 v4, v4
	v_fmac_f32_e32 v3, 0xcf800000, v4
	v_cvt_u32_f32_e32 v4, v4
	v_cvt_u32_f32_e32 v3, v3
	v_readfirstlane_b32 s28, v4
	v_readfirstlane_b32 s8, v3
	s_mul_i32 s9, s2, s28
	s_mul_hi_u32 s36, s2, s8
	s_mul_i32 s29, s27, s8
	s_add_i32 s9, s36, s9
	s_mul_i32 s37, s2, s8
	s_add_i32 s9, s9, s29
	s_mul_i32 s36, s8, s9
	s_mul_hi_u32 s38, s8, s37
	s_mul_hi_u32 s29, s8, s9
	s_add_u32 s36, s38, s36
	s_addc_u32 s29, 0, s29
	s_mul_hi_u32 s39, s28, s37
	s_mul_i32 s37, s28, s37
	s_add_u32 s36, s36, s37
	s_mul_hi_u32 s38, s28, s9
	s_addc_u32 s29, s29, s39
	s_addc_u32 s36, s38, 0
	s_mul_i32 s9, s28, s9
	s_add_u32 s9, s29, s9
	s_addc_u32 s29, 0, s36
	s_add_u32 s36, s8, s9
	s_cselect_b64 s[8:9], -1, 0
	s_cmp_lg_u64 s[8:9], 0
	s_addc_u32 s28, s28, s29
	s_mul_i32 s8, s2, s28
	s_mul_hi_u32 s9, s2, s36
	s_add_i32 s8, s9, s8
	s_mul_i32 s27, s27, s36
	s_add_i32 s8, s8, s27
	s_mul_i32 s2, s2, s36
	s_mul_hi_u32 s27, s28, s2
	s_mul_i32 s29, s28, s2
	s_mul_i32 s38, s36, s8
	s_mul_hi_u32 s2, s36, s2
	s_mul_hi_u32 s37, s36, s8
	s_add_u32 s2, s2, s38
	s_addc_u32 s37, 0, s37
	s_add_u32 s2, s2, s29
	s_mul_hi_u32 s9, s28, s8
	s_addc_u32 s2, s37, s27
	s_addc_u32 s9, s9, 0
	s_mul_i32 s8, s28, s8
	s_add_u32 s2, s2, s8
	s_addc_u32 s27, 0, s9
	s_add_u32 s2, s36, s2
	s_cselect_b64 s[8:9], -1, 0
	s_cmp_lg_u64 s[8:9], 0
	s_addc_u32 s27, s28, s27
	s_ashr_i32 s8, s3, 31
	s_add_u32 s28, s26, s8
	s_mov_b32 s9, s8
	s_addc_u32 s29, s3, s8
	s_xor_b64 s[28:29], s[28:29], s[8:9]
	s_mul_i32 s37, s28, s27
	s_mul_hi_u32 s38, s28, s2
	s_mul_hi_u32 s36, s28, s27
	s_add_u32 s37, s38, s37
	s_addc_u32 s36, 0, s36
	s_mul_hi_u32 s39, s29, s2
	s_mul_i32 s2, s29, s2
	s_add_u32 s2, s37, s2
	s_mul_hi_u32 s38, s29, s27
	s_addc_u32 s2, s36, s39
	s_addc_u32 s36, s38, 0
	s_mul_i32 s27, s29, s27
	s_add_u32 s2, s2, s27
	s_addc_u32 s27, 0, s36
	s_mul_i32 s27, s6, s27
	s_mul_hi_u32 s36, s6, s2
	s_add_i32 s27, s36, s27
	s_mul_i32 s36, s7, s2
	s_add_i32 s27, s27, s36
	s_sub_i32 s38, s29, s27
	s_mul_i32 s2, s6, s2
	s_sub_u32 s2, s28, s2
	s_cselect_b64 s[36:37], -1, 0
	s_cmp_lg_u64 s[36:37], 0
	s_subb_u32 s28, s38, s7
	s_sub_u32 s40, s2, s6
	s_cselect_b64 s[38:39], -1, 0
	s_cmp_lg_u64 s[38:39], 0
	s_subb_u32 s41, s28, 0
	s_cmp_ge_u32 s41, s7
	s_cselect_b32 s42, -1, 0
	s_cmp_ge_u32 s40, s6
	s_cselect_b32 s43, -1, 0
	s_cmp_eq_u32 s41, s7
	s_cselect_b32 s42, s43, s42
	s_cmp_lg_u64 s[38:39], 0
	s_subb_u32 s28, s28, s7
	s_sub_u32 s43, s40, s6
	s_cselect_b64 s[38:39], -1, 0
	s_cmp_lg_u64 s[38:39], 0
	s_subb_u32 s28, s28, 0
	s_cmp_lg_u32 s42, 0
	s_cselect_b32 s38, s43, s40
	s_cselect_b32 s28, s28, s41
	s_cmp_lg_u64 s[36:37], 0
	s_subb_u32 s27, s29, s27
	s_cmp_ge_u32 s27, s7
	s_cselect_b32 s29, -1, 0
	s_cmp_ge_u32 s2, s6
	s_cselect_b32 s6, -1, 0
	s_cmp_eq_u32 s27, s7
	s_cselect_b32 s6, s6, s29
	s_cmp_lg_u32 s6, 0
	s_cselect_b32 s7, s28, s27
	s_cselect_b32 s6, s38, s2
	s_xor_b64 s[6:7], s[6:7], s[8:9]
	s_sub_u32 s6, s6, s8
	s_subb_u32 s7, s7, s8
	s_cbranch_execnz .LBB28_142
.LBB28_141:                             ;   in Loop: Header=BB28_7 Depth=1
	v_cvt_f32_u32_e32 v3, s70
	s_sub_i32 s2, 0, s70
	v_rcp_iflag_f32_e32 v3, v3
	s_nop 0
	v_mul_f32_e32 v3, 0x4f7ffffe, v3
	v_cvt_u32_f32_e32 v3, v3
	s_nop 0
	v_readfirstlane_b32 s6, v3
	s_mul_i32 s2, s2, s6
	s_mul_hi_u32 s2, s6, s2
	s_add_i32 s6, s6, s2
	s_mul_hi_u32 s2, s26, s6
	s_mul_i32 s2, s2, s70
	s_sub_i32 s2, s26, s2
	s_sub_i32 s6, s2, s70
	s_cmp_ge_u32 s2, s70
	s_cselect_b32 s2, s6, s2
	s_sub_i32 s6, s2, s70
	s_cmp_ge_u32 s2, s70
	s_cselect_b32 s76, s6, s2
	s_mov_b64 s[6:7], s[76:77]
.LBB28_142:                             ;   in Loop: Header=BB28_7 Depth=1
	s_sub_u32 s6, s26, s6
	s_subb_u32 s7, s3, s7
	v_cmp_gt_i64_e32 vcc, s[6:7], v[0:1]
                                        ; implicit-def: $vgpr6_vgpr7
	s_and_saveexec_b64 s[2:3], vcc
	s_cbranch_execz .LBB28_151
; %bb.143:                              ;   in Loop: Header=BB28_7 Depth=1
	s_mov_b64 s[8:9], 0
	v_mov_b32_e32 v14, v47
	v_mov_b64_e32 v[8:9], v[0:1]
                                        ; implicit-def: $sgpr26_sgpr27
	s_branch .LBB28_146
.LBB28_144:                             ;   in Loop: Header=BB28_146 Depth=2
	s_or_b64 exec, exec, s[28:29]
	s_waitcnt lgkmcnt(0)
	s_barrier
	ds_read_b128 v[4:7], v19 offset:3072
	s_mov_b64 s[28:29], -1
	s_mov_b64 s[36:37], -1
	s_waitcnt lgkmcnt(0)
	s_barrier
	v_cmp_eq_u64_e32 vcc, 0, v[4:5]
	s_cbranch_vccnz .LBB28_149
.LBB28_145:                             ;   in Loop: Header=BB28_146 Depth=2
	s_and_b64 s[28:29], exec, s[28:29]
	s_or_b64 s[8:9], s[28:29], s[8:9]
	s_andn2_b64 s[26:27], s[26:27], exec
	s_and_b64 s[28:29], s[36:37], exec
	s_or_b64 s[26:27], s[26:27], s[28:29]
	s_andn2_b64 exec, exec, s[8:9]
	s_cbranch_execz .LBB28_150
.LBB28_146:                             ;   Parent Loop BB28_7 Depth=1
                                        ; =>  This Inner Loop Header: Depth=2
	v_cmp_gt_u64_e32 vcc, s[34:35], v[8:9]
	s_and_saveexec_b64 s[28:29], vcc
	s_cbranch_execz .LBB28_144
; %bb.147:                              ;   in Loop: Header=BB28_146 Depth=2
	ds_read_b64 v[4:5], v14
	s_waitcnt lgkmcnt(0)
	v_xor_b32_e32 v3, 0x80000000, v5
	v_and_b32_e32 v7, v3, v37
	v_and_b32_e32 v6, v4, v36
	v_cmp_eq_u64_e32 vcc, v[6:7], v[28:29]
	s_and_b64 exec, exec, vcc
	s_cbranch_execz .LBB28_144
; %bb.148:                              ;   in Loop: Header=BB28_146 Depth=2
	v_mov_b32_e32 v3, v19
	ds_write_b128 v19, v[2:5] offset:3072
	s_branch .LBB28_144
.LBB28_149:                             ;   in Loop: Header=BB28_146 Depth=2
	v_lshl_add_u64 v[8:9], v[8:9], 0, s[70:71]
	v_cmp_le_i64_e32 vcc, s[6:7], v[8:9]
	v_add_u32_e32 v14, s78, v14
	s_mov_b64 s[36:37], 0
	s_orn2_b64 s[28:29], vcc, exec
	s_branch .LBB28_145
.LBB28_150:                             ;   in Loop: Header=BB28_7 Depth=1
	s_or_b64 exec, exec, s[8:9]
	s_andn2_b64 s[0:1], s[0:1], exec
	s_and_b64 s[6:7], s[26:27], exec
	s_or_b64 s[0:1], s[0:1], s[6:7]
.LBB28_151:                             ;   in Loop: Header=BB28_7 Depth=1
	s_or_b64 exec, exec, s[2:3]
	s_mov_b64 s[2:3], 0
	s_mov_b64 s[26:27], -1
.LBB28_152:                             ;   in Loop: Header=BB28_7 Depth=1
	s_orn2_b64 s[0:1], s[0:1], exec
.LBB28_153:                             ;   in Loop: Header=BB28_7 Depth=1
	s_or_b64 exec, exec, s[30:31]
	s_mov_b64 s[6:7], 0
	s_and_saveexec_b64 s[30:31], s[0:1]
	s_cbranch_execz .LBB28_259
; %bb.154:                              ;   in Loop: Header=BB28_7 Depth=1
	s_xor_b64 s[8:9], s[10:11], -1
	v_mov_b32_e32 v18, 1
	v_mov_b64_e32 v[8:9], 1
	s_and_saveexec_b64 s[0:1], s[8:9]
	s_cbranch_execz .LBB28_164
; %bb.155:                              ;   in Loop: Header=BB28_7 Depth=1
	v_cmp_le_i64_e32 vcc, v[12:13], v[10:11]
	s_and_saveexec_b64 s[6:7], vcc
	s_xor_b64 s[6:7], exec, s[6:7]
	s_cbranch_execz .LBB28_161
; %bb.156:                              ;   in Loop: Header=BB28_7 Depth=1
	ds_read_b64 v[4:5], v19 offset:5120
	s_lshl_b64 s[8:9], 1, s79
	v_and_b32_e32 v3, s25, v29
	v_and_b32_e32 v8, s24, v28
	v_or_b32_e32 v29, s9, v3
	s_waitcnt lgkmcnt(0)
	v_cmp_ne_u64_e32 vcc, 0, v[4:5]
	v_or_b32_e32 v28, s8, v8
	v_or_b32_e32 v37, s15, v37
	;; [unrolled: 1-line block ×3, first 2 shown]
	s_cbranch_vccnz .LBB28_160
; %bb.157:                              ;   in Loop: Header=BB28_7 Depth=1
	s_mov_b64 s[8:9], exec
	v_readlane_b32 s10, v66, 8
	v_readlane_b32 s11, v66, 9
	s_and_b64 s[10:11], s[8:9], s[10:11]
	s_mov_b64 exec, s[10:11]
; %bb.158:                              ;   in Loop: Header=BB28_7 Depth=1
	ds_write_b64 v19, v[10:11] offset:5128
; %bb.159:                              ;   in Loop: Header=BB28_7 Depth=1
	s_or_b64 exec, exec, s[8:9]
	s_waitcnt lgkmcnt(0)
	s_barrier
.LBB28_160:                             ;   in Loop: Header=BB28_7 Depth=1
                                        ; implicit-def: $vgpr8_vgpr9_vgpr10_vgpr11
.LBB28_161:                             ;   in Loop: Header=BB28_7 Depth=1
	s_or_saveexec_b64 s[6:7], s[6:7]
	s_mov_b64 s[8:9], 0
	v_mov_b32_e32 v18, 8
	s_xor_b64 exec, exec, s[6:7]
; %bb.162:                              ;   in Loop: Header=BB28_7 Depth=1
	v_sub_co_u32_e32 v12, vcc, v12, v10
	s_mov_b64 s[8:9], exec
	s_nop 0
	v_subb_co_u32_e32 v13, vcc, v13, v11, vcc
	v_mov_b32_e32 v18, 0
; %bb.163:                              ;   in Loop: Header=BB28_7 Depth=1
	s_or_b64 exec, exec, s[6:7]
	s_and_b64 s[6:7], s[8:9], exec
	v_mov_b64_e32 v[8:9], v[12:13]
.LBB28_164:                             ;   in Loop: Header=BB28_7 Depth=1
	s_or_b64 exec, exec, s[0:1]
	s_mov_b64 s[0:1], -1
                                        ; implicit-def: $sgpr36_sgpr37
                                        ; implicit-def: $sgpr38_sgpr39
	s_and_saveexec_b64 s[34:35], s[6:7]
	s_cbranch_execz .LBB28_258
; %bb.165:                              ;   in Loop: Header=BB28_7 Depth=1
	s_cmp_eq_u64 s[22:23], 1
	s_cselect_b64 s[0:1], -1, 0
	v_cmp_eq_u64_e32 vcc, 1, v[8:9]
	s_and_b64 s[10:11], s[0:1], vcc
	s_mov_b64 s[0:1], -1
                                        ; implicit-def: $sgpr38_sgpr39
                                        ; implicit-def: $sgpr36_sgpr37
	s_and_saveexec_b64 s[40:41], s[10:11]
	s_cbranch_execz .LBB28_199
; %bb.166:                              ;   in Loop: Header=BB28_7 Depth=1
	ds_read_b64 v[4:5], v19 offset:5120
	s_waitcnt lgkmcnt(0)
	s_barrier
	v_readfirstlane_b32 s42, v4
	v_readfirstlane_b32 s43, v5
	s_mov_b64 s[0:1], exec
	v_readlane_b32 s6, v66, 12
	v_readlane_b32 s7, v66, 13
	s_and_b64 s[6:7], s[0:1], s[6:7]
	s_mov_b64 exec, s[6:7]
; %bb.167:                              ;   in Loop: Header=BB28_7 Depth=1
	ds_write_b64 v48, v[56:57]
; %bb.168:                              ;   in Loop: Header=BB28_7 Depth=1
	s_or_b64 exec, exec, s[0:1]
	s_lshl_b64 s[0:1], 2, s79
	v_and_b32_e32 v3, s25, v29
	v_and_b32_e32 v4, s24, v28
	v_or_b32_e32 v29, s1, v3
	v_or_b32_e32 v28, s0, v4
	v_cmp_gt_i64_e64 s[0:1], s[42:43], 0
	v_or_b32_e32 v37, s15, v37
	v_or_b32_e32 v36, s14, v36
	s_mov_b64 s[36:37], -1
	s_mov_b64 s[38:39], 0
	s_and_b64 vcc, exec, s[0:1]
	s_mov_b64 s[0:1], 0
	s_mov_b64 s[6:7], -1
	s_waitcnt lgkmcnt(0)
	s_barrier
                                        ; implicit-def: $vgpr6_vgpr7
	s_cbranch_vccnz .LBB28_184
; %bb.169:                              ;   in Loop: Header=BB28_7 Depth=1
	s_mov_b32 s82, s77
	s_cmp_lg_u64 s[82:83], 0
	s_cbranch_scc0 .LBB28_225
; %bb.170:                              ;   in Loop: Header=BB28_7 Depth=1
	s_add_u32 s0, s70, 0
	s_addc_u32 s1, 0, 0
	s_xor_b64 s[0:1], s[0:1], 0
	v_cvt_f32_u32_e32 v3, s0
	v_cvt_f32_u32_e32 v4, s1
	s_sub_u32 s8, 0, s0
	s_subb_u32 s9, 0, s1
	v_fmac_f32_e32 v3, 0x4f800000, v4
	v_rcp_f32_e32 v3, v3
	s_nop 0
	v_mul_f32_e32 v3, 0x5f7ffffc, v3
	v_mul_f32_e32 v4, 0x2f800000, v3
	v_trunc_f32_e32 v4, v4
	v_fmac_f32_e32 v3, 0xcf800000, v4
	v_cvt_u32_f32_e32 v4, v4
	v_cvt_u32_f32_e32 v3, v3
	v_readfirstlane_b32 s28, v4
	v_readfirstlane_b32 s6, v3
	s_mul_i32 s7, s8, s28
	s_mul_hi_u32 s44, s8, s6
	s_mul_i32 s29, s9, s6
	s_add_i32 s7, s44, s7
	s_mul_i32 s45, s8, s6
	s_add_i32 s7, s7, s29
	s_mul_i32 s44, s6, s7
	s_mul_hi_u32 s46, s6, s45
	s_mul_hi_u32 s29, s6, s7
	s_add_u32 s44, s46, s44
	s_addc_u32 s29, 0, s29
	s_mul_hi_u32 s47, s28, s45
	s_mul_i32 s45, s28, s45
	s_add_u32 s44, s44, s45
	s_mul_hi_u32 s46, s28, s7
	s_addc_u32 s29, s29, s47
	s_addc_u32 s44, s46, 0
	s_mul_i32 s7, s28, s7
	s_add_u32 s7, s29, s7
	s_addc_u32 s29, 0, s44
	s_add_u32 s44, s6, s7
	s_cselect_b64 s[6:7], -1, 0
	s_cmp_lg_u64 s[6:7], 0
	s_addc_u32 s28, s28, s29
	s_mul_i32 s6, s8, s28
	s_mul_hi_u32 s7, s8, s44
	s_add_i32 s6, s7, s6
	s_mul_i32 s9, s9, s44
	s_add_i32 s6, s6, s9
	s_mul_i32 s8, s8, s44
	s_mul_hi_u32 s9, s28, s8
	s_mul_i32 s29, s28, s8
	s_mul_i32 s46, s44, s6
	s_mul_hi_u32 s8, s44, s8
	s_mul_hi_u32 s45, s44, s6
	s_add_u32 s8, s8, s46
	s_addc_u32 s45, 0, s45
	s_add_u32 s8, s8, s29
	s_mul_hi_u32 s7, s28, s6
	s_addc_u32 s8, s45, s9
	s_addc_u32 s7, s7, 0
	s_mul_i32 s6, s28, s6
	s_add_u32 s6, s8, s6
	s_addc_u32 s8, 0, s7
	s_add_u32 s29, s44, s6
	s_cselect_b64 s[6:7], -1, 0
	s_cmp_lg_u64 s[6:7], 0
	s_addc_u32 s28, s28, s8
	s_ashr_i32 s6, s83, 31
	s_add_u32 s8, s85, s6
	s_mov_b32 s7, s6
	s_addc_u32 s9, s83, s6
	s_xor_b64 s[8:9], s[8:9], s[6:7]
	s_mul_i32 s45, s8, s28
	s_mul_hi_u32 s46, s8, s29
	s_mul_hi_u32 s44, s8, s28
	s_add_u32 s45, s46, s45
	s_addc_u32 s44, 0, s44
	s_mul_hi_u32 s47, s9, s29
	s_mul_i32 s29, s9, s29
	s_add_u32 s29, s45, s29
	s_mul_hi_u32 s46, s9, s28
	s_addc_u32 s29, s44, s47
	s_addc_u32 s44, s46, 0
	s_mul_i32 s28, s9, s28
	s_add_u32 s28, s29, s28
	s_addc_u32 s29, 0, s44
	s_mul_i32 s29, s0, s29
	s_mul_hi_u32 s44, s0, s28
	s_add_i32 s29, s44, s29
	s_mul_i32 s44, s1, s28
	s_add_i32 s46, s29, s44
	s_sub_i32 s44, s9, s46
	s_mul_i32 s28, s0, s28
	s_sub_u32 s8, s8, s28
	s_cselect_b64 s[28:29], -1, 0
	s_cmp_lg_u64 s[28:29], 0
	s_subb_u32 s47, s44, s1
	s_sub_u32 s48, s8, s0
	s_cselect_b64 s[44:45], -1, 0
	s_cmp_lg_u64 s[44:45], 0
	s_subb_u32 s49, s47, 0
	s_cmp_ge_u32 s49, s1
	s_cselect_b32 s50, -1, 0
	s_cmp_ge_u32 s48, s0
	s_cselect_b32 s51, -1, 0
	s_cmp_eq_u32 s49, s1
	s_cselect_b32 s50, s51, s50
	s_cmp_lg_u64 s[44:45], 0
	s_subb_u32 s47, s47, s1
	s_sub_u32 s51, s48, s0
	s_cselect_b64 s[44:45], -1, 0
	s_cmp_lg_u64 s[44:45], 0
	s_subb_u32 s44, s47, 0
	s_cmp_lg_u32 s50, 0
	s_cselect_b32 s45, s51, s48
	s_cselect_b32 s44, s44, s49
	s_cmp_lg_u64 s[28:29], 0
	s_subb_u32 s9, s9, s46
	s_cmp_ge_u32 s9, s1
	s_cselect_b32 s28, -1, 0
	s_cmp_ge_u32 s8, s0
	s_cselect_b32 s0, -1, 0
	s_cmp_eq_u32 s9, s1
	s_cselect_b32 s0, s0, s28
	s_cmp_lg_u32 s0, 0
	s_cselect_b32 s1, s44, s9
	s_cselect_b32 s0, s45, s8
	s_xor_b64 s[0:1], s[0:1], s[6:7]
	s_sub_u32 s0, s0, s6
	s_subb_u32 s1, s1, s6
	s_cbranch_execnz .LBB28_172
.LBB28_171:                             ;   in Loop: Header=BB28_7 Depth=1
	v_cvt_f32_u32_e32 v3, s70
	s_sub_i32 s0, 0, s70
	v_rcp_iflag_f32_e32 v3, v3
	s_nop 0
	v_mul_f32_e32 v3, 0x4f7ffffe, v3
	v_cvt_u32_f32_e32 v3, v3
	s_nop 0
	v_readfirstlane_b32 s1, v3
	s_mul_i32 s0, s0, s1
	s_mul_hi_u32 s0, s1, s0
	s_add_i32 s1, s1, s0
	s_mul_hi_u32 s0, s85, s1
	s_mul_i32 s0, s0, s70
	s_sub_i32 s0, s85, s0
	s_sub_i32 s1, s0, s70
	s_cmp_ge_u32 s0, s70
	s_cselect_b32 s0, s1, s0
	s_sub_i32 s1, s0, s70
	s_cmp_ge_u32 s0, s70
	s_cselect_b32 s76, s1, s0
	s_mov_b64 s[0:1], s[76:77]
.LBB28_172:                             ;   in Loop: Header=BB28_7 Depth=1
	s_sub_u32 s28, s85, s0
	s_subb_u32 s29, s83, s1
	v_cmp_gt_i64_e32 vcc, s[28:29], v[0:1]
	s_mov_b64 s[6:7], 0
	s_mov_b64 s[0:1], 0
                                        ; implicit-def: $vgpr6_vgpr7
	s_and_saveexec_b64 s[8:9], vcc
	s_cbranch_execz .LBB28_183
; %bb.173:                              ;   in Loop: Header=BB28_7 Depth=1
	v_mov_b64_e32 v[10:11], v[16:17]
	v_mov_b64_e32 v[12:13], v[0:1]
                                        ; implicit-def: $sgpr44_sgpr45
	s_branch .LBB28_176
.LBB28_174:                             ;   in Loop: Header=BB28_176 Depth=2
	s_or_b64 exec, exec, s[46:47]
	s_waitcnt lgkmcnt(0)
	s_barrier
	ds_read_b128 v[4:7], v19 offset:3072
	s_mov_b64 s[46:47], -1
	s_mov_b64 s[48:49], -1
	s_waitcnt lgkmcnt(0)
	s_barrier
	v_cmp_ne_u64_e32 vcc, 0, v[4:5]
	s_cbranch_vccz .LBB28_179
.LBB28_175:                             ;   in Loop: Header=BB28_176 Depth=2
	s_and_b64 s[46:47], exec, s[46:47]
	s_or_b64 s[0:1], s[46:47], s[0:1]
	s_andn2_b64 s[44:45], s[44:45], exec
	s_and_b64 s[46:47], s[48:49], exec
	s_or_b64 s[44:45], s[44:45], s[46:47]
	s_andn2_b64 exec, exec, s[0:1]
	s_cbranch_execz .LBB28_182
.LBB28_176:                             ;   Parent Loop BB28_7 Depth=1
                                        ; =>  This Inner Loop Header: Depth=2
	v_cmp_gt_i64_e32 vcc, s[56:57], v[12:13]
	s_and_saveexec_b64 s[46:47], vcc
	s_cbranch_execz .LBB28_174
; %bb.177:                              ;   in Loop: Header=BB28_176 Depth=2
	global_load_dwordx2 v[4:5], v[10:11], off
	s_waitcnt vmcnt(0)
	v_xor_b32_e32 v3, 0x80000000, v5
	v_and_b32_e32 v7, v3, v37
	v_and_b32_e32 v6, v4, v36
	v_cmp_eq_u64_e32 vcc, v[6:7], v[28:29]
	s_and_b64 exec, exec, vcc
	s_cbranch_execz .LBB28_174
; %bb.178:                              ;   in Loop: Header=BB28_176 Depth=2
	v_mov_b32_e32 v3, v19
	ds_write_b128 v19, v[2:5] offset:3072
	s_branch .LBB28_174
.LBB28_179:                             ;   in Loop: Header=BB28_176 Depth=2
	v_lshl_add_u64 v[12:13], v[12:13], 0, s[70:71]
	v_cmp_le_i64_e32 vcc, s[28:29], v[12:13]
	v_lshl_add_u64 v[10:11], v[10:11], 0, s[72:73]
	s_mov_b64 s[48:49], 0
	s_orn2_b64 s[46:47], vcc, exec
	s_branch .LBB28_175
.LBB28_180:                             ;   in Loop: Header=BB28_7 Depth=1
                                        ; implicit-def: $sgpr0_sgpr1
	s_andn2_b64 vcc, exec, s[6:7]
	s_cbranch_vccz .LBB28_125
	s_branch .LBB28_126
.LBB28_181:                             ;   in Loop: Header=BB28_7 Depth=1
                                        ; implicit-def: $sgpr6_sgpr7
	s_branch .LBB28_141
.LBB28_182:                             ;   in Loop: Header=BB28_7 Depth=1
	s_or_b64 exec, exec, s[0:1]
	s_and_b64 s[0:1], s[44:45], exec
.LBB28_183:                             ;   in Loop: Header=BB28_7 Depth=1
	s_or_b64 exec, exec, s[8:9]
.LBB28_184:                             ;   in Loop: Header=BB28_7 Depth=1
	s_and_b64 vcc, exec, s[6:7]
	s_cbranch_vccz .LBB28_198
; %bb.185:                              ;   in Loop: Header=BB28_7 Depth=1
	v_readlane_b32 s6, v66, 24
	s_add_u32 s36, s42, s6
	v_readlane_b32 s6, v66, 25
	s_addc_u32 s7, s43, s6
	s_mov_b32 s6, s77
	s_cmp_lg_u64 s[6:7], 0
	s_cbranch_scc0 .LBB28_226
; %bb.186:                              ;   in Loop: Header=BB28_7 Depth=1
	s_add_u32 s8, s70, 0
	s_addc_u32 s9, 0, 0
	s_xor_b64 s[8:9], s[8:9], 0
	v_cvt_f32_u32_e32 v3, s8
	v_cvt_f32_u32_e32 v4, s9
	s_sub_u32 s6, 0, s8
	s_subb_u32 s37, 0, s9
	v_fmac_f32_e32 v3, 0x4f800000, v4
	v_rcp_f32_e32 v3, v3
	s_nop 0
	v_mul_f32_e32 v3, 0x5f7ffffc, v3
	v_mul_f32_e32 v4, 0x2f800000, v3
	v_trunc_f32_e32 v4, v4
	v_fmac_f32_e32 v3, 0xcf800000, v4
	v_cvt_u32_f32_e32 v4, v4
	v_cvt_u32_f32_e32 v3, v3
	v_readfirstlane_b32 s38, v4
	v_readfirstlane_b32 s28, v3
	s_mul_i32 s29, s6, s38
	s_mul_hi_u32 s44, s6, s28
	s_mul_i32 s39, s37, s28
	s_add_i32 s29, s44, s29
	s_mul_i32 s45, s6, s28
	s_add_i32 s29, s29, s39
	s_mul_i32 s44, s28, s29
	s_mul_hi_u32 s46, s28, s45
	s_mul_hi_u32 s39, s28, s29
	s_add_u32 s44, s46, s44
	s_addc_u32 s39, 0, s39
	s_mul_hi_u32 s47, s38, s45
	s_mul_i32 s45, s38, s45
	s_add_u32 s44, s44, s45
	s_mul_hi_u32 s46, s38, s29
	s_addc_u32 s39, s39, s47
	s_addc_u32 s44, s46, 0
	s_mul_i32 s29, s38, s29
	s_add_u32 s29, s39, s29
	s_addc_u32 s39, 0, s44
	s_add_u32 s44, s28, s29
	s_cselect_b64 s[28:29], -1, 0
	s_cmp_lg_u64 s[28:29], 0
	s_addc_u32 s38, s38, s39
	s_mul_i32 s28, s6, s38
	s_mul_hi_u32 s29, s6, s44
	s_add_i32 s28, s29, s28
	s_mul_i32 s37, s37, s44
	s_add_i32 s28, s28, s37
	s_mul_i32 s6, s6, s44
	s_mul_hi_u32 s37, s38, s6
	s_mul_i32 s39, s38, s6
	s_mul_i32 s46, s44, s28
	s_mul_hi_u32 s6, s44, s6
	s_mul_hi_u32 s45, s44, s28
	s_add_u32 s6, s6, s46
	s_addc_u32 s45, 0, s45
	s_add_u32 s6, s6, s39
	s_mul_hi_u32 s29, s38, s28
	s_addc_u32 s6, s45, s37
	s_addc_u32 s29, s29, 0
	s_mul_i32 s28, s38, s28
	s_add_u32 s6, s6, s28
	s_addc_u32 s37, 0, s29
	s_add_u32 s6, s44, s6
	s_cselect_b64 s[28:29], -1, 0
	s_cmp_lg_u64 s[28:29], 0
	s_addc_u32 s37, s38, s37
	s_ashr_i32 s28, s7, 31
	s_add_u32 s38, s36, s28
	s_mov_b32 s29, s28
	s_addc_u32 s39, s7, s28
	s_xor_b64 s[38:39], s[38:39], s[28:29]
	s_mul_i32 s45, s38, s37
	s_mul_hi_u32 s46, s38, s6
	s_mul_hi_u32 s44, s38, s37
	s_add_u32 s45, s46, s45
	s_addc_u32 s44, 0, s44
	s_mul_hi_u32 s47, s39, s6
	s_mul_i32 s6, s39, s6
	s_add_u32 s6, s45, s6
	s_mul_hi_u32 s46, s39, s37
	s_addc_u32 s6, s44, s47
	s_addc_u32 s44, s46, 0
	s_mul_i32 s37, s39, s37
	s_add_u32 s6, s6, s37
	s_addc_u32 s37, 0, s44
	s_mul_i32 s37, s8, s37
	s_mul_hi_u32 s44, s8, s6
	s_add_i32 s37, s44, s37
	s_mul_i32 s44, s9, s6
	s_add_i32 s37, s37, s44
	s_sub_i32 s46, s39, s37
	s_mul_i32 s6, s8, s6
	s_sub_u32 s6, s38, s6
	s_cselect_b64 s[44:45], -1, 0
	s_cmp_lg_u64 s[44:45], 0
	s_subb_u32 s38, s46, s9
	s_sub_u32 s48, s6, s8
	s_cselect_b64 s[46:47], -1, 0
	s_cmp_lg_u64 s[46:47], 0
	s_subb_u32 s49, s38, 0
	s_cmp_ge_u32 s49, s9
	s_cselect_b32 s50, -1, 0
	s_cmp_ge_u32 s48, s8
	s_cselect_b32 s51, -1, 0
	s_cmp_eq_u32 s49, s9
	s_cselect_b32 s50, s51, s50
	s_cmp_lg_u64 s[46:47], 0
	s_subb_u32 s38, s38, s9
	s_sub_u32 s51, s48, s8
	s_cselect_b64 s[46:47], -1, 0
	s_cmp_lg_u64 s[46:47], 0
	s_subb_u32 s38, s38, 0
	s_cmp_lg_u32 s50, 0
	s_cselect_b32 s46, s51, s48
	s_cselect_b32 s38, s38, s49
	s_cmp_lg_u64 s[44:45], 0
	s_subb_u32 s37, s39, s37
	s_cmp_ge_u32 s37, s9
	s_cselect_b32 s39, -1, 0
	s_cmp_ge_u32 s6, s8
	s_cselect_b32 s8, -1, 0
	s_cmp_eq_u32 s37, s9
	s_cselect_b32 s8, s8, s39
	s_cmp_lg_u32 s8, 0
	s_cselect_b32 s9, s38, s37
	s_cselect_b32 s8, s46, s6
	s_xor_b64 s[8:9], s[8:9], s[28:29]
	s_sub_u32 s8, s8, s28
	s_subb_u32 s9, s9, s28
	s_cbranch_execnz .LBB28_188
.LBB28_187:                             ;   in Loop: Header=BB28_7 Depth=1
	v_cvt_f32_u32_e32 v3, s70
	s_sub_i32 s6, 0, s70
	v_rcp_iflag_f32_e32 v3, v3
	s_nop 0
	v_mul_f32_e32 v3, 0x4f7ffffe, v3
	v_cvt_u32_f32_e32 v3, v3
	s_nop 0
	v_readfirstlane_b32 s8, v3
	s_mul_i32 s6, s6, s8
	s_mul_hi_u32 s6, s8, s6
	s_add_i32 s8, s8, s6
	s_mul_hi_u32 s6, s36, s8
	s_mul_i32 s6, s6, s70
	s_sub_i32 s6, s36, s6
	s_sub_i32 s8, s6, s70
	s_cmp_ge_u32 s6, s70
	s_cselect_b32 s6, s8, s6
	s_sub_i32 s8, s6, s70
	s_cmp_ge_u32 s6, s70
	s_cselect_b32 s76, s8, s6
	s_mov_b64 s[8:9], s[76:77]
.LBB28_188:                             ;   in Loop: Header=BB28_7 Depth=1
	s_sub_u32 s8, s36, s8
	s_subb_u32 s9, s7, s9
	v_cmp_gt_i64_e32 vcc, s[8:9], v[0:1]
                                        ; implicit-def: $vgpr6_vgpr7
	s_and_saveexec_b64 s[6:7], vcc
	s_cbranch_execz .LBB28_197
; %bb.189:                              ;   in Loop: Header=BB28_7 Depth=1
	s_mov_b64 s[28:29], 0
	v_mov_b32_e32 v12, v47
	v_mov_b64_e32 v[10:11], v[0:1]
                                        ; implicit-def: $sgpr36_sgpr37
	s_branch .LBB28_192
.LBB28_190:                             ;   in Loop: Header=BB28_192 Depth=2
	s_or_b64 exec, exec, s[38:39]
	s_waitcnt lgkmcnt(0)
	s_barrier
	ds_read_b128 v[4:7], v19 offset:3072
	s_mov_b64 s[38:39], -1
	s_mov_b64 s[44:45], -1
	s_waitcnt lgkmcnt(0)
	s_barrier
	v_cmp_eq_u64_e32 vcc, 0, v[4:5]
	s_cbranch_vccnz .LBB28_195
.LBB28_191:                             ;   in Loop: Header=BB28_192 Depth=2
	s_and_b64 s[38:39], exec, s[38:39]
	s_or_b64 s[28:29], s[38:39], s[28:29]
	s_andn2_b64 s[36:37], s[36:37], exec
	s_and_b64 s[38:39], s[44:45], exec
	s_or_b64 s[36:37], s[36:37], s[38:39]
	s_andn2_b64 exec, exec, s[28:29]
	s_cbranch_execz .LBB28_196
.LBB28_192:                             ;   Parent Loop BB28_7 Depth=1
                                        ; =>  This Inner Loop Header: Depth=2
	v_cmp_gt_u64_e32 vcc, s[42:43], v[10:11]
	s_and_saveexec_b64 s[38:39], vcc
	s_cbranch_execz .LBB28_190
; %bb.193:                              ;   in Loop: Header=BB28_192 Depth=2
	ds_read_b64 v[4:5], v12
	s_waitcnt lgkmcnt(0)
	v_xor_b32_e32 v3, 0x80000000, v5
	v_and_b32_e32 v7, v3, v37
	v_and_b32_e32 v6, v4, v36
	v_cmp_eq_u64_e32 vcc, v[6:7], v[28:29]
	s_and_b64 exec, exec, vcc
	s_cbranch_execz .LBB28_190
; %bb.194:                              ;   in Loop: Header=BB28_192 Depth=2
	v_mov_b32_e32 v3, v19
	ds_write_b128 v19, v[2:5] offset:3072
	s_branch .LBB28_190
.LBB28_195:                             ;   in Loop: Header=BB28_192 Depth=2
	v_lshl_add_u64 v[10:11], v[10:11], 0, s[70:71]
	v_cmp_le_i64_e32 vcc, s[8:9], v[10:11]
	v_add_u32_e32 v12, s78, v12
	s_mov_b64 s[44:45], 0
	s_orn2_b64 s[38:39], vcc, exec
	s_branch .LBB28_191
.LBB28_196:                             ;   in Loop: Header=BB28_7 Depth=1
	s_or_b64 exec, exec, s[28:29]
	s_andn2_b64 s[0:1], s[0:1], exec
	s_and_b64 s[8:9], s[36:37], exec
	s_or_b64 s[0:1], s[0:1], s[8:9]
.LBB28_197:                             ;   in Loop: Header=BB28_7 Depth=1
	s_or_b64 exec, exec, s[6:7]
	s_mov_b64 s[36:37], 0
	s_mov_b64 s[38:39], -1
.LBB28_198:                             ;   in Loop: Header=BB28_7 Depth=1
	s_orn2_b64 s[0:1], s[0:1], exec
.LBB28_199:                             ;   in Loop: Header=BB28_7 Depth=1
	s_or_b64 exec, exec, s[40:41]
	s_mov_b64 s[6:7], 0
	s_and_saveexec_b64 s[40:41], s[0:1]
	s_cbranch_execz .LBB28_257
; %bb.200:                              ;   in Loop: Header=BB28_7 Depth=1
	s_xor_b64 s[8:9], s[10:11], -1
	v_mov_b32_e32 v18, 1
	v_mov_b64_e32 v[10:11], 1
	s_and_saveexec_b64 s[0:1], s[8:9]
	s_cbranch_execz .LBB28_209
; %bb.201:                              ;   in Loop: Header=BB28_7 Depth=1
	v_cmp_ge_i64_e32 vcc, s[22:23], v[8:9]
	s_and_saveexec_b64 s[6:7], vcc
	s_xor_b64 s[6:7], exec, s[6:7]
	s_cbranch_execz .LBB28_206
; %bb.202:                              ;   in Loop: Header=BB28_7 Depth=1
	ds_read_b64 v[4:5], v19 offset:5120
	s_lshl_b64 s[8:9], 2, s79
	v_and_b32_e32 v3, s25, v29
	v_and_b32_e32 v10, s24, v28
	v_or_b32_e32 v29, s9, v3
	s_waitcnt lgkmcnt(0)
	v_cmp_ne_u64_e32 vcc, 0, v[4:5]
	v_or_b32_e32 v28, s8, v10
	v_or_b32_e32 v37, s15, v37
	;; [unrolled: 1-line block ×3, first 2 shown]
	s_cbranch_vccnz .LBB28_206
; %bb.203:                              ;   in Loop: Header=BB28_7 Depth=1
	s_mov_b64 s[8:9], exec
	v_readlane_b32 s10, v66, 8
	v_readlane_b32 s11, v66, 9
	s_and_b64 s[10:11], s[8:9], s[10:11]
	s_mov_b64 exec, s[10:11]
; %bb.204:                              ;   in Loop: Header=BB28_7 Depth=1
	v_mov_b64_e32 v[4:5], s[22:23]
	ds_write_b64 v19, v[4:5] offset:5128
; %bb.205:                              ;   in Loop: Header=BB28_7 Depth=1
	s_or_b64 exec, exec, s[8:9]
	s_waitcnt lgkmcnt(0)
	s_barrier
.LBB28_206:                             ;   in Loop: Header=BB28_7 Depth=1
	s_or_saveexec_b64 s[6:7], s[6:7]
	s_mov_b64 s[8:9], 0
	v_mov_b32_e32 v18, 8
	s_xor_b64 exec, exec, s[6:7]
; %bb.207:                              ;   in Loop: Header=BB28_7 Depth=1
	v_mov_b32_e32 v3, s23
	v_subrev_co_u32_e32 v8, vcc, s22, v8
	s_mov_b64 s[8:9], exec
	s_nop 0
	v_subb_co_u32_e32 v9, vcc, v9, v3, vcc
	v_mov_b32_e32 v18, 0
; %bb.208:                              ;   in Loop: Header=BB28_7 Depth=1
	s_or_b64 exec, exec, s[6:7]
	s_and_b64 s[6:7], s[8:9], exec
	v_mov_b64_e32 v[10:11], v[8:9]
.LBB28_209:                             ;   in Loop: Header=BB28_7 Depth=1
	s_or_b64 exec, exec, s[0:1]
	s_mov_b64 s[0:1], -1
                                        ; implicit-def: $sgpr44_sgpr45
                                        ; implicit-def: $sgpr28_sgpr29
	s_and_saveexec_b64 s[10:11], s[6:7]
	s_cbranch_execz .LBB28_256
; %bb.210:                              ;   in Loop: Header=BB28_7 Depth=1
	s_cmp_eq_u64 s[12:13], 1
	s_cselect_b64 s[0:1], -1, 0
	v_cmp_eq_u64_e32 vcc, 1, v[10:11]
	s_and_b64 s[22:23], s[0:1], vcc
	s_mov_b64 s[6:7], -1
                                        ; implicit-def: $sgpr44_sgpr45
                                        ; implicit-def: $sgpr28_sgpr29
	s_and_saveexec_b64 s[24:25], s[22:23]
	s_cbranch_execz .LBB28_244
; %bb.211:                              ;   in Loop: Header=BB28_7 Depth=1
	ds_read_b64 v[4:5], v19 offset:5120
	s_waitcnt lgkmcnt(0)
	s_barrier
	v_readfirstlane_b32 s42, v4
	v_readfirstlane_b32 s43, v5
	s_mov_b64 s[0:1], exec
	v_readlane_b32 s6, v66, 12
	v_readlane_b32 s7, v66, 13
	s_and_b64 s[6:7], s[0:1], s[6:7]
	s_mov_b64 exec, s[6:7]
; %bb.212:                              ;   in Loop: Header=BB28_7 Depth=1
	ds_write_b64 v48, v[56:57]
; %bb.213:                              ;   in Loop: Header=BB28_7 Depth=1
	s_or_b64 exec, exec, s[0:1]
	v_cmp_gt_i64_e64 s[0:1], s[42:43], 0
	v_or_b32_e32 v29, s15, v29
	v_or_b32_e32 v28, s14, v28
	;; [unrolled: 1-line block ×4, first 2 shown]
	s_mov_b64 s[28:29], -1
	s_mov_b64 s[44:45], 0
	s_and_b64 vcc, exec, s[0:1]
	s_mov_b64 s[0:1], 0
	s_mov_b64 s[6:7], -1
	s_waitcnt lgkmcnt(0)
	s_barrier
                                        ; implicit-def: $vgpr6_vgpr7
	s_cbranch_vccnz .LBB28_229
; %bb.214:                              ;   in Loop: Header=BB28_7 Depth=1
	s_mov_b32 s82, s77
	s_cmp_lg_u64 s[82:83], 0
	s_cbranch_scc0 .LBB28_263
; %bb.215:                              ;   in Loop: Header=BB28_7 Depth=1
	s_add_u32 s0, s70, 0
	s_addc_u32 s1, 0, 0
	s_xor_b64 s[0:1], s[0:1], 0
	v_cvt_f32_u32_e32 v3, s0
	v_cvt_f32_u32_e32 v4, s1
	s_sub_u32 s8, 0, s0
	s_subb_u32 s9, 0, s1
	v_fmac_f32_e32 v3, 0x4f800000, v4
	v_rcp_f32_e32 v3, v3
	s_nop 0
	v_mul_f32_e32 v3, 0x5f7ffffc, v3
	v_mul_f32_e32 v4, 0x2f800000, v3
	v_trunc_f32_e32 v4, v4
	v_fmac_f32_e32 v3, 0xcf800000, v4
	v_cvt_u32_f32_e32 v4, v4
	v_cvt_u32_f32_e32 v3, v3
	v_readfirstlane_b32 s46, v4
	v_readfirstlane_b32 s6, v3
	s_mul_i32 s7, s8, s46
	s_mul_hi_u32 s48, s8, s6
	s_mul_i32 s47, s9, s6
	s_add_i32 s7, s48, s7
	s_mul_i32 s49, s8, s6
	s_add_i32 s7, s7, s47
	s_mul_i32 s48, s6, s7
	s_mul_hi_u32 s50, s6, s49
	s_mul_hi_u32 s47, s6, s7
	s_add_u32 s48, s50, s48
	s_addc_u32 s47, 0, s47
	s_mul_hi_u32 s51, s46, s49
	s_mul_i32 s49, s46, s49
	s_add_u32 s48, s48, s49
	s_mul_hi_u32 s50, s46, s7
	s_addc_u32 s47, s47, s51
	s_addc_u32 s48, s50, 0
	s_mul_i32 s7, s46, s7
	s_add_u32 s7, s47, s7
	s_addc_u32 s47, 0, s48
	s_add_u32 s48, s6, s7
	s_cselect_b64 s[6:7], -1, 0
	s_cmp_lg_u64 s[6:7], 0
	s_addc_u32 s46, s46, s47
	s_mul_i32 s6, s8, s46
	s_mul_hi_u32 s7, s8, s48
	s_add_i32 s6, s7, s6
	s_mul_i32 s9, s9, s48
	s_add_i32 s6, s6, s9
	s_mul_i32 s8, s8, s48
	s_mul_hi_u32 s9, s46, s8
	s_mul_i32 s47, s46, s8
	s_mul_i32 s50, s48, s6
	s_mul_hi_u32 s8, s48, s8
	s_mul_hi_u32 s49, s48, s6
	s_add_u32 s8, s8, s50
	s_addc_u32 s49, 0, s49
	s_add_u32 s8, s8, s47
	s_mul_hi_u32 s7, s46, s6
	s_addc_u32 s8, s49, s9
	s_addc_u32 s7, s7, 0
	s_mul_i32 s6, s46, s6
	s_add_u32 s6, s8, s6
	s_addc_u32 s8, 0, s7
	s_add_u32 s47, s48, s6
	s_cselect_b64 s[6:7], -1, 0
	s_cmp_lg_u64 s[6:7], 0
	s_addc_u32 s46, s46, s8
	s_ashr_i32 s6, s83, 31
	s_add_u32 s8, s85, s6
	s_mov_b32 s7, s6
	s_addc_u32 s9, s83, s6
	s_xor_b64 s[8:9], s[8:9], s[6:7]
	s_mul_i32 s49, s8, s46
	s_mul_hi_u32 s50, s8, s47
	s_mul_hi_u32 s48, s8, s46
	s_add_u32 s49, s50, s49
	s_addc_u32 s48, 0, s48
	s_mul_hi_u32 s51, s9, s47
	s_mul_i32 s47, s9, s47
	s_add_u32 s47, s49, s47
	s_mul_hi_u32 s50, s9, s46
	s_addc_u32 s47, s48, s51
	s_addc_u32 s48, s50, 0
	s_mul_i32 s46, s9, s46
	s_add_u32 s46, s47, s46
	s_addc_u32 s47, 0, s48
	s_mul_i32 s47, s0, s47
	s_mul_hi_u32 s48, s0, s46
	s_add_i32 s47, s48, s47
	s_mul_i32 s48, s1, s46
	s_add_i32 s50, s47, s48
	s_sub_i32 s48, s9, s50
	s_mul_i32 s46, s0, s46
	s_sub_u32 s8, s8, s46
	s_cselect_b64 s[46:47], -1, 0
	s_cmp_lg_u64 s[46:47], 0
	s_subb_u32 s51, s48, s1
	s_sub_u32 s52, s8, s0
	s_cselect_b64 s[48:49], -1, 0
	s_cmp_lg_u64 s[48:49], 0
	s_subb_u32 s53, s51, 0
	s_cmp_ge_u32 s53, s1
	s_cselect_b32 s64, -1, 0
	s_cmp_ge_u32 s52, s0
	s_cselect_b32 s65, -1, 0
	s_cmp_eq_u32 s53, s1
	s_cselect_b32 s64, s65, s64
	s_cmp_lg_u64 s[48:49], 0
	s_subb_u32 s51, s51, s1
	s_sub_u32 s65, s52, s0
	s_cselect_b64 s[48:49], -1, 0
	s_cmp_lg_u64 s[48:49], 0
	s_subb_u32 s48, s51, 0
	s_cmp_lg_u32 s64, 0
	s_cselect_b32 s49, s65, s52
	s_cselect_b32 s48, s48, s53
	s_cmp_lg_u64 s[46:47], 0
	s_subb_u32 s9, s9, s50
	s_cmp_ge_u32 s9, s1
	s_cselect_b32 s46, -1, 0
	s_cmp_ge_u32 s8, s0
	s_cselect_b32 s0, -1, 0
	s_cmp_eq_u32 s9, s1
	s_cselect_b32 s0, s0, s46
	s_cmp_lg_u32 s0, 0
	s_cselect_b32 s1, s48, s9
	s_cselect_b32 s0, s49, s8
	s_xor_b64 s[0:1], s[0:1], s[6:7]
	s_sub_u32 s0, s0, s6
	s_subb_u32 s1, s1, s6
	s_cbranch_execnz .LBB28_217
.LBB28_216:                             ;   in Loop: Header=BB28_7 Depth=1
	v_cvt_f32_u32_e32 v3, s70
	s_sub_i32 s0, 0, s70
	v_rcp_iflag_f32_e32 v3, v3
	s_nop 0
	v_mul_f32_e32 v3, 0x4f7ffffe, v3
	v_cvt_u32_f32_e32 v3, v3
	s_nop 0
	v_readfirstlane_b32 s1, v3
	s_mul_i32 s0, s0, s1
	s_mul_hi_u32 s0, s1, s0
	s_add_i32 s1, s1, s0
	s_mul_hi_u32 s0, s85, s1
	s_mul_i32 s0, s0, s70
	s_sub_i32 s0, s85, s0
	s_sub_i32 s1, s0, s70
	s_cmp_ge_u32 s0, s70
	s_cselect_b32 s0, s1, s0
	s_sub_i32 s1, s0, s70
	s_cmp_ge_u32 s0, s70
	s_cselect_b32 s76, s1, s0
	s_mov_b64 s[0:1], s[76:77]
.LBB28_217:                             ;   in Loop: Header=BB28_7 Depth=1
	s_sub_u32 s46, s85, s0
	s_subb_u32 s47, s83, s1
	v_cmp_gt_i64_e32 vcc, s[46:47], v[0:1]
	s_mov_b64 s[6:7], 0
	s_mov_b64 s[0:1], 0
                                        ; implicit-def: $vgpr6_vgpr7
	s_and_saveexec_b64 s[8:9], vcc
	s_cbranch_execz .LBB28_228
; %bb.218:                              ;   in Loop: Header=BB28_7 Depth=1
	v_mov_b64_e32 v[8:9], v[16:17]
	v_mov_b64_e32 v[12:13], v[0:1]
                                        ; implicit-def: $sgpr48_sgpr49
	s_branch .LBB28_221
.LBB28_219:                             ;   in Loop: Header=BB28_221 Depth=2
	s_or_b64 exec, exec, s[50:51]
	s_waitcnt lgkmcnt(0)
	s_barrier
	ds_read_b128 v[4:7], v19 offset:3072
	s_mov_b64 s[50:51], -1
	s_mov_b64 s[52:53], -1
	s_waitcnt lgkmcnt(0)
	s_barrier
	v_cmp_ne_u64_e32 vcc, 0, v[4:5]
	s_cbranch_vccz .LBB28_224
.LBB28_220:                             ;   in Loop: Header=BB28_221 Depth=2
	s_and_b64 s[50:51], exec, s[50:51]
	s_or_b64 s[0:1], s[50:51], s[0:1]
	s_andn2_b64 s[48:49], s[48:49], exec
	s_and_b64 s[50:51], s[52:53], exec
	s_or_b64 s[48:49], s[48:49], s[50:51]
	s_andn2_b64 exec, exec, s[0:1]
	s_cbranch_execz .LBB28_227
.LBB28_221:                             ;   Parent Loop BB28_7 Depth=1
                                        ; =>  This Inner Loop Header: Depth=2
	v_cmp_gt_i64_e32 vcc, s[56:57], v[12:13]
	s_and_saveexec_b64 s[50:51], vcc
	s_cbranch_execz .LBB28_219
; %bb.222:                              ;   in Loop: Header=BB28_221 Depth=2
	global_load_dwordx2 v[4:5], v[8:9], off
	s_waitcnt vmcnt(0)
	v_xor_b32_e32 v3, 0x80000000, v5
	v_and_b32_e32 v7, v3, v37
	v_and_b32_e32 v6, v4, v36
	v_cmp_eq_u64_e32 vcc, v[6:7], v[28:29]
	s_and_b64 exec, exec, vcc
	s_cbranch_execz .LBB28_219
; %bb.223:                              ;   in Loop: Header=BB28_221 Depth=2
	v_mov_b32_e32 v3, v19
	ds_write_b128 v19, v[2:5] offset:3072
	s_branch .LBB28_219
.LBB28_224:                             ;   in Loop: Header=BB28_221 Depth=2
	v_lshl_add_u64 v[12:13], v[12:13], 0, s[70:71]
	v_cmp_le_i64_e32 vcc, s[46:47], v[12:13]
	v_lshl_add_u64 v[8:9], v[8:9], 0, s[72:73]
	s_mov_b64 s[52:53], 0
	s_orn2_b64 s[50:51], vcc, exec
	s_branch .LBB28_220
.LBB28_225:                             ;   in Loop: Header=BB28_7 Depth=1
                                        ; implicit-def: $sgpr0_sgpr1
	s_andn2_b64 vcc, exec, s[6:7]
	s_cbranch_vccz .LBB28_171
	s_branch .LBB28_172
.LBB28_226:                             ;   in Loop: Header=BB28_7 Depth=1
                                        ; implicit-def: $sgpr8_sgpr9
	s_branch .LBB28_187
.LBB28_227:                             ;   in Loop: Header=BB28_7 Depth=1
	s_or_b64 exec, exec, s[0:1]
	s_and_b64 s[0:1], s[48:49], exec
.LBB28_228:                             ;   in Loop: Header=BB28_7 Depth=1
	s_or_b64 exec, exec, s[8:9]
.LBB28_229:                             ;   in Loop: Header=BB28_7 Depth=1
	s_and_b64 vcc, exec, s[6:7]
	s_cbranch_vccz .LBB28_243
; %bb.230:                              ;   in Loop: Header=BB28_7 Depth=1
	v_readlane_b32 s6, v66, 24
	s_add_u32 s44, s42, s6
	v_readlane_b32 s6, v66, 25
	s_addc_u32 s7, s43, s6
	s_mov_b32 s6, s77
	s_cmp_lg_u64 s[6:7], 0
	s_cbranch_scc0 .LBB28_264
; %bb.231:                              ;   in Loop: Header=BB28_7 Depth=1
	s_add_u32 s8, s70, 0
	s_addc_u32 s9, 0, 0
	s_xor_b64 s[8:9], s[8:9], 0
	v_cvt_f32_u32_e32 v3, s8
	v_cvt_f32_u32_e32 v4, s9
	s_sub_u32 s6, 0, s8
	s_subb_u32 s45, 0, s9
	v_fmac_f32_e32 v3, 0x4f800000, v4
	v_rcp_f32_e32 v3, v3
	s_nop 0
	v_mul_f32_e32 v3, 0x5f7ffffc, v3
	v_mul_f32_e32 v4, 0x2f800000, v3
	v_trunc_f32_e32 v4, v4
	v_fmac_f32_e32 v3, 0xcf800000, v4
	v_cvt_u32_f32_e32 v4, v4
	v_cvt_u32_f32_e32 v3, v3
	v_readfirstlane_b32 s46, v4
	v_readfirstlane_b32 s28, v3
	s_mul_i32 s29, s6, s46
	s_mul_hi_u32 s48, s6, s28
	s_mul_i32 s47, s45, s28
	s_add_i32 s29, s48, s29
	s_mul_i32 s49, s6, s28
	s_add_i32 s29, s29, s47
	s_mul_i32 s48, s28, s29
	s_mul_hi_u32 s50, s28, s49
	s_mul_hi_u32 s47, s28, s29
	s_add_u32 s48, s50, s48
	s_addc_u32 s47, 0, s47
	s_mul_hi_u32 s51, s46, s49
	s_mul_i32 s49, s46, s49
	s_add_u32 s48, s48, s49
	s_mul_hi_u32 s50, s46, s29
	s_addc_u32 s47, s47, s51
	s_addc_u32 s48, s50, 0
	s_mul_i32 s29, s46, s29
	s_add_u32 s29, s47, s29
	s_addc_u32 s47, 0, s48
	s_add_u32 s48, s28, s29
	s_cselect_b64 s[28:29], -1, 0
	s_cmp_lg_u64 s[28:29], 0
	s_addc_u32 s46, s46, s47
	s_mul_i32 s28, s6, s46
	s_mul_hi_u32 s29, s6, s48
	s_add_i32 s28, s29, s28
	s_mul_i32 s45, s45, s48
	s_add_i32 s28, s28, s45
	s_mul_i32 s6, s6, s48
	s_mul_hi_u32 s45, s46, s6
	s_mul_i32 s47, s46, s6
	s_mul_i32 s50, s48, s28
	s_mul_hi_u32 s6, s48, s6
	s_mul_hi_u32 s49, s48, s28
	s_add_u32 s6, s6, s50
	s_addc_u32 s49, 0, s49
	s_add_u32 s6, s6, s47
	s_mul_hi_u32 s29, s46, s28
	s_addc_u32 s6, s49, s45
	s_addc_u32 s29, s29, 0
	s_mul_i32 s28, s46, s28
	s_add_u32 s6, s6, s28
	s_addc_u32 s45, 0, s29
	s_add_u32 s6, s48, s6
	s_cselect_b64 s[28:29], -1, 0
	s_cmp_lg_u64 s[28:29], 0
	s_addc_u32 s45, s46, s45
	s_ashr_i32 s28, s7, 31
	s_add_u32 s46, s44, s28
	s_mov_b32 s29, s28
	s_addc_u32 s47, s7, s28
	s_xor_b64 s[46:47], s[46:47], s[28:29]
	s_mul_i32 s49, s46, s45
	s_mul_hi_u32 s50, s46, s6
	s_mul_hi_u32 s48, s46, s45
	s_add_u32 s49, s50, s49
	s_addc_u32 s48, 0, s48
	s_mul_hi_u32 s51, s47, s6
	s_mul_i32 s6, s47, s6
	s_add_u32 s6, s49, s6
	s_mul_hi_u32 s50, s47, s45
	s_addc_u32 s6, s48, s51
	s_addc_u32 s48, s50, 0
	s_mul_i32 s45, s47, s45
	s_add_u32 s6, s6, s45
	s_addc_u32 s45, 0, s48
	s_mul_i32 s45, s8, s45
	s_mul_hi_u32 s48, s8, s6
	s_add_i32 s45, s48, s45
	s_mul_i32 s48, s9, s6
	s_add_i32 s45, s45, s48
	s_sub_i32 s50, s47, s45
	s_mul_i32 s6, s8, s6
	s_sub_u32 s6, s46, s6
	s_cselect_b64 s[48:49], -1, 0
	s_cmp_lg_u64 s[48:49], 0
	s_subb_u32 s46, s50, s9
	s_sub_u32 s52, s6, s8
	s_cselect_b64 s[50:51], -1, 0
	s_cmp_lg_u64 s[50:51], 0
	s_subb_u32 s53, s46, 0
	s_cmp_ge_u32 s53, s9
	s_cselect_b32 s64, -1, 0
	s_cmp_ge_u32 s52, s8
	s_cselect_b32 s65, -1, 0
	s_cmp_eq_u32 s53, s9
	s_cselect_b32 s64, s65, s64
	s_cmp_lg_u64 s[50:51], 0
	s_subb_u32 s46, s46, s9
	s_sub_u32 s65, s52, s8
	s_cselect_b64 s[50:51], -1, 0
	s_cmp_lg_u64 s[50:51], 0
	s_subb_u32 s46, s46, 0
	s_cmp_lg_u32 s64, 0
	s_cselect_b32 s50, s65, s52
	s_cselect_b32 s46, s46, s53
	s_cmp_lg_u64 s[48:49], 0
	s_subb_u32 s45, s47, s45
	s_cmp_ge_u32 s45, s9
	s_cselect_b32 s47, -1, 0
	s_cmp_ge_u32 s6, s8
	s_cselect_b32 s8, -1, 0
	s_cmp_eq_u32 s45, s9
	s_cselect_b32 s8, s8, s47
	s_cmp_lg_u32 s8, 0
	s_cselect_b32 s9, s46, s45
	s_cselect_b32 s8, s50, s6
	s_xor_b64 s[8:9], s[8:9], s[28:29]
	s_sub_u32 s8, s8, s28
	s_subb_u32 s9, s9, s28
	s_cbranch_execnz .LBB28_233
.LBB28_232:                             ;   in Loop: Header=BB28_7 Depth=1
	v_cvt_f32_u32_e32 v3, s70
	s_sub_i32 s6, 0, s70
	v_rcp_iflag_f32_e32 v3, v3
	s_nop 0
	v_mul_f32_e32 v3, 0x4f7ffffe, v3
	v_cvt_u32_f32_e32 v3, v3
	s_nop 0
	v_readfirstlane_b32 s8, v3
	s_mul_i32 s6, s6, s8
	s_mul_hi_u32 s6, s8, s6
	s_add_i32 s8, s8, s6
	s_mul_hi_u32 s6, s44, s8
	s_mul_i32 s6, s6, s70
	s_sub_i32 s6, s44, s6
	s_sub_i32 s8, s6, s70
	s_cmp_ge_u32 s6, s70
	s_cselect_b32 s6, s8, s6
	s_sub_i32 s8, s6, s70
	s_cmp_ge_u32 s6, s70
	s_cselect_b32 s76, s8, s6
	s_mov_b64 s[8:9], s[76:77]
.LBB28_233:                             ;   in Loop: Header=BB28_7 Depth=1
	s_sub_u32 s8, s44, s8
	s_subb_u32 s9, s7, s9
	v_cmp_gt_i64_e32 vcc, s[8:9], v[0:1]
                                        ; implicit-def: $vgpr6_vgpr7
	s_and_saveexec_b64 s[6:7], vcc
	s_cbranch_execz .LBB28_242
; %bb.234:                              ;   in Loop: Header=BB28_7 Depth=1
	s_mov_b64 s[28:29], 0
	v_mov_b32_e32 v12, v47
	v_mov_b64_e32 v[8:9], v[0:1]
                                        ; implicit-def: $sgpr44_sgpr45
	s_branch .LBB28_237
.LBB28_235:                             ;   in Loop: Header=BB28_237 Depth=2
	s_or_b64 exec, exec, s[46:47]
	s_waitcnt lgkmcnt(0)
	s_barrier
	ds_read_b128 v[4:7], v19 offset:3072
	s_mov_b64 s[46:47], -1
	s_mov_b64 s[48:49], -1
	s_waitcnt lgkmcnt(0)
	s_barrier
	v_cmp_eq_u64_e32 vcc, 0, v[4:5]
	s_cbranch_vccnz .LBB28_240
.LBB28_236:                             ;   in Loop: Header=BB28_237 Depth=2
	s_and_b64 s[46:47], exec, s[46:47]
	s_or_b64 s[28:29], s[46:47], s[28:29]
	s_andn2_b64 s[44:45], s[44:45], exec
	s_and_b64 s[46:47], s[48:49], exec
	s_or_b64 s[44:45], s[44:45], s[46:47]
	s_andn2_b64 exec, exec, s[28:29]
	s_cbranch_execz .LBB28_241
.LBB28_237:                             ;   Parent Loop BB28_7 Depth=1
                                        ; =>  This Inner Loop Header: Depth=2
	v_cmp_gt_u64_e32 vcc, s[42:43], v[8:9]
	s_and_saveexec_b64 s[46:47], vcc
	s_cbranch_execz .LBB28_235
; %bb.238:                              ;   in Loop: Header=BB28_237 Depth=2
	ds_read_b64 v[4:5], v12
	s_waitcnt lgkmcnt(0)
	v_xor_b32_e32 v3, 0x80000000, v5
	v_and_b32_e32 v7, v3, v37
	v_and_b32_e32 v6, v4, v36
	v_cmp_eq_u64_e32 vcc, v[6:7], v[28:29]
	s_and_b64 exec, exec, vcc
	s_cbranch_execz .LBB28_235
; %bb.239:                              ;   in Loop: Header=BB28_237 Depth=2
	v_mov_b32_e32 v3, v19
	ds_write_b128 v19, v[2:5] offset:3072
	s_branch .LBB28_235
.LBB28_240:                             ;   in Loop: Header=BB28_237 Depth=2
	v_lshl_add_u64 v[8:9], v[8:9], 0, s[70:71]
	v_cmp_le_i64_e32 vcc, s[8:9], v[8:9]
	v_add_u32_e32 v12, s78, v12
	s_mov_b64 s[48:49], 0
	s_orn2_b64 s[46:47], vcc, exec
	s_branch .LBB28_236
.LBB28_241:                             ;   in Loop: Header=BB28_7 Depth=1
	s_or_b64 exec, exec, s[28:29]
	s_andn2_b64 s[0:1], s[0:1], exec
	s_and_b64 s[8:9], s[44:45], exec
	s_or_b64 s[0:1], s[0:1], s[8:9]
.LBB28_242:                             ;   in Loop: Header=BB28_7 Depth=1
	s_or_b64 exec, exec, s[6:7]
	s_mov_b64 s[28:29], 0
	s_mov_b64 s[44:45], -1
.LBB28_243:                             ;   in Loop: Header=BB28_7 Depth=1
	s_orn2_b64 s[6:7], s[0:1], exec
.LBB28_244:                             ;   in Loop: Header=BB28_7 Depth=1
	s_or_b64 exec, exec, s[24:25]
	s_mov_b64 s[8:9], 0
	s_and_saveexec_b64 s[0:1], s[6:7]
	s_cbranch_execz .LBB28_255
; %bb.245:                              ;   in Loop: Header=BB28_7 Depth=1
	s_xor_b64 s[8:9], s[22:23], -1
	v_mov_b64_e32 v[4:5], 1
	v_mov_b32_e32 v18, 1
	s_and_saveexec_b64 s[6:7], s[8:9]
	s_cbranch_execz .LBB28_254
; %bb.246:                              ;   in Loop: Header=BB28_7 Depth=1
	v_cmp_ge_i64_e32 vcc, s[12:13], v[10:11]
	s_and_saveexec_b64 s[8:9], vcc
	s_xor_b64 s[8:9], exec, s[8:9]
	s_cbranch_execz .LBB28_251
; %bb.247:                              ;   in Loop: Header=BB28_7 Depth=1
	ds_read_b64 v[4:5], v19 offset:5120
	v_or_b32_e32 v29, s15, v29
	v_or_b32_e32 v28, s14, v28
	;; [unrolled: 1-line block ×4, first 2 shown]
	s_waitcnt lgkmcnt(0)
	v_cmp_ne_u64_e32 vcc, 0, v[4:5]
	s_cbranch_vccnz .LBB28_251
; %bb.248:                              ;   in Loop: Header=BB28_7 Depth=1
	s_mov_b64 s[14:15], exec
	v_readlane_b32 s22, v66, 8
	v_readlane_b32 s23, v66, 9
	s_and_b64 s[22:23], s[14:15], s[22:23]
	s_mov_b64 exec, s[22:23]
; %bb.249:                              ;   in Loop: Header=BB28_7 Depth=1
	v_mov_b64_e32 v[4:5], s[12:13]
	ds_write_b64 v19, v[4:5] offset:5128
; %bb.250:                              ;   in Loop: Header=BB28_7 Depth=1
	s_or_b64 exec, exec, s[14:15]
	s_waitcnt lgkmcnt(0)
	s_barrier
.LBB28_251:                             ;   in Loop: Header=BB28_7 Depth=1
	s_andn2_saveexec_b64 s[8:9], s[8:9]
; %bb.252:                              ;   in Loop: Header=BB28_7 Depth=1
	v_mov_b32_e32 v3, s13
	v_subrev_co_u32_e32 v10, vcc, s12, v10
	s_nop 1
	v_subb_co_u32_e32 v11, vcc, v11, v3, vcc
; %bb.253:                              ;   in Loop: Header=BB28_7 Depth=1
	s_or_b64 exec, exec, s[8:9]
	v_mov_b32_e32 v18, 8
	v_mov_b64_e32 v[4:5], v[10:11]
.LBB28_254:                             ;   in Loop: Header=BB28_7 Depth=1
	s_or_b64 exec, exec, s[6:7]
	s_mov_b64 s[8:9], exec
	v_mov_b64_e32 v[10:11], v[4:5]
.LBB28_255:                             ;   in Loop: Header=BB28_7 Depth=1
	s_or_b64 exec, exec, s[0:1]
	s_orn2_b64 s[0:1], s[8:9], exec
.LBB28_256:                             ;   in Loop: Header=BB28_7 Depth=1
	s_or_b64 exec, exec, s[10:11]
	s_andn2_b64 s[6:7], s[38:39], exec
	s_and_b64 s[8:9], s[44:45], exec
	s_or_b64 s[38:39], s[6:7], s[8:9]
	s_andn2_b64 s[6:7], s[36:37], exec
	s_and_b64 s[8:9], s[28:29], exec
	s_or_b64 s[36:37], s[6:7], s[8:9]
	s_and_b64 s[6:7], s[0:1], exec
	v_mov_b64_e32 v[8:9], v[10:11]
.LBB28_257:                             ;   in Loop: Header=BB28_7 Depth=1
	s_or_b64 exec, exec, s[40:41]
	s_orn2_b64 s[0:1], s[6:7], exec
.LBB28_258:                             ;   in Loop: Header=BB28_7 Depth=1
	s_or_b64 exec, exec, s[34:35]
	s_andn2_b64 s[6:7], s[26:27], exec
	s_and_b64 s[8:9], s[38:39], exec
	s_or_b64 s[26:27], s[6:7], s[8:9]
	s_andn2_b64 s[2:3], s[2:3], exec
	s_and_b64 s[6:7], s[36:37], exec
	s_or_b64 s[2:3], s[2:3], s[6:7]
	s_and_b64 s[6:7], s[0:1], exec
	v_mov_b64_e32 v[12:13], v[8:9]
.LBB28_259:                             ;   in Loop: Header=BB28_7 Depth=1
	s_or_b64 exec, exec, s[30:31]
	s_orn2_b64 s[0:1], s[6:7], exec
.LBB28_260:                             ;   in Loop: Header=BB28_7 Depth=1
	s_or_b64 exec, exec, s[20:21]
	s_mov_b64 s[6:7], 0
	s_and_saveexec_b64 s[8:9], s[0:1]
	s_xor_b64 s[0:1], exec, s[8:9]
	s_cbranch_execz .LBB28_5
; %bb.261:                              ;   in Loop: Header=BB28_7 Depth=1
	v_and_b32_e32 v3, 7, v18
	v_cmp_eq_u32_e32 vcc, 0, v3
	s_mov_b64 s[8:9], -1
	s_mov_b64 s[6:7], -1
	s_and_saveexec_b64 s[10:11], vcc
	s_cbranch_execz .LBB28_4
; %bb.262:                              ;   in Loop: Header=BB28_7 Depth=1
	s_xor_b32 s84, s84, 1
	s_add_i32 s12, s79, -2
	s_cmp_eq_u32 s79, 0
	s_cselect_b64 s[8:9], -1, 0
	s_xor_b64 s[6:7], exec, -1
	s_orn2_b64 s[8:9], s[8:9], exec
	s_mov_b32 s79, s12
	s_branch .LBB28_4
.LBB28_263:                             ;   in Loop: Header=BB28_7 Depth=1
                                        ; implicit-def: $sgpr0_sgpr1
	s_andn2_b64 vcc, exec, s[6:7]
	s_cbranch_vccz .LBB28_216
	s_branch .LBB28_217
.LBB28_264:                             ;   in Loop: Header=BB28_7 Depth=1
                                        ; implicit-def: $sgpr8_sgpr9
	s_branch .LBB28_232
.LBB28_265:
	s_or_b64 exec, exec, s[94:95]
	s_xor_b64 s[6:7], s[98:99], -1
	s_xor_b64 s[0:1], s[58:59], -1
	;; [unrolled: 1-line block ×3, first 2 shown]
	s_mov_b64 s[2:3], 0
	s_and_saveexec_b64 s[8:9], s[0:1]
	s_xor_b64 s[0:1], exec, s[8:9]
	s_cbranch_execnz .LBB28_270
; %bb.266:
	s_andn2_saveexec_b64 s[0:1], s[0:1]
	s_cbranch_execnz .LBB28_292
.LBB28_267:
	s_or_b64 exec, exec, s[0:1]
	s_and_saveexec_b64 s[0:1], s[2:3]
.LBB28_268:
	; divergent unreachable
.LBB28_269:
	s_endpgm
.LBB28_270:
	s_and_saveexec_b64 s[2:3], s[6:7]
	s_xor_b64 s[2:3], exec, s[2:3]
	s_cbranch_execz .LBB28_290
; %bb.271:
	s_and_saveexec_b64 s[6:7], s[4:5]
	s_xor_b64 s[4:5], exec, s[6:7]
; %bb.272:
	v_xor_b32_e32 v29, 0x80000000, v29
	v_mov_b64_e32 v[6:7], v[28:29]
; %bb.273:
	s_or_b64 exec, exec, s[4:5]
	s_mov_b64 s[4:5], exec
	v_readlane_b32 s6, v66, 8
	v_readlane_b32 s7, v66, 9
	s_and_b64 s[6:7], s[4:5], s[6:7]
	v_readlane_b32 s24, v66, 10
	v_readlane_b32 s25, v66, 11
	s_mov_b64 exec, s[6:7]
; %bb.274:
	v_mov_b32_e32 v2, 0
	v_mov_b32_e32 v3, s56
	ds_write_b32 v2, v3 offset:5140
; %bb.275:
	s_or_b64 exec, exec, s[4:5]
	s_waitcnt lgkmcnt(0)
	s_barrier
	s_mov_b64 s[4:5], exec
	v_readlane_b32 s6, v66, 20
	v_readlane_b32 s7, v66, 21
	s_and_b64 s[6:7], s[4:5], s[6:7]
	s_mov_b64 exec, s[6:7]
	s_cbranch_execz .LBB28_287
; %bb.276:
	v_mov_b32_e32 v2, 0
	ds_read_b32 v4, v2 offset:5140
	s_mov_b64 s[6:7], 0
                                        ; implicit-def: $sgpr8_sgpr9
                                        ; implicit-def: $sgpr10_sgpr11
                                        ; implicit-def: $sgpr12_sgpr13
	s_waitcnt lgkmcnt(0)
	v_ashrrev_i32_e32 v5, 31, v4
	s_branch .LBB28_279
.LBB28_277:                             ;   in Loop: Header=BB28_279 Depth=1
	s_or_b64 exec, exec, s[20:21]
	s_andn2_b64 s[12:13], s[12:13], exec
	s_and_b64 s[18:19], s[18:19], exec
	s_andn2_b64 s[10:11], s[10:11], exec
	s_and_b64 s[16:17], s[16:17], exec
	s_or_b64 s[12:13], s[12:13], s[18:19]
	s_or_b64 s[10:11], s[10:11], s[16:17]
.LBB28_278:                             ;   in Loop: Header=BB28_279 Depth=1
	s_or_b64 exec, exec, s[14:15]
	s_and_b64 s[14:15], exec, s[10:11]
	s_or_b64 s[6:7], s[14:15], s[6:7]
	s_andn2_b64 s[8:9], s[8:9], exec
	s_and_b64 s[14:15], s[12:13], exec
	s_or_b64 s[8:9], s[8:9], s[14:15]
	s_andn2_b64 exec, exec, s[6:7]
	s_cbranch_execz .LBB28_282
.LBB28_279:                             ; =>This Inner Loop Header: Depth=1
	v_mov_b64_e32 v[2:3], v[0:1]
	v_cmp_lt_i64_e32 vcc, v[2:3], v[4:5]
	s_or_b64 s[12:13], s[12:13], exec
	s_or_b64 s[10:11], s[10:11], exec
                                        ; implicit-def: $vgpr0_vgpr1
	s_and_saveexec_b64 s[14:15], vcc
	s_cbranch_execz .LBB28_278
; %bb.280:                              ;   in Loop: Header=BB28_279 Depth=1
	global_load_dwordx2 v[0:1], v[16:17], off
	s_mov_b64 s[16:17], -1
	s_mov_b64 s[18:19], 0
	s_waitcnt vmcnt(0)
	v_cmp_ne_u64_e32 vcc, v[0:1], v[6:7]
                                        ; implicit-def: $vgpr0_vgpr1
	s_and_saveexec_b64 s[20:21], vcc
	s_cbranch_execz .LBB28_277
; %bb.281:                              ;   in Loop: Header=BB28_279 Depth=1
	v_lshl_add_u64 v[0:1], v[2:3], 0, s[70:71]
	v_cmp_le_i64_e32 vcc, s[56:57], v[0:1]
	s_mov_b64 s[18:19], exec
	v_lshl_add_u64 v[16:17], v[16:17], 0, s[72:73]
	s_orn2_b64 s[16:17], vcc, exec
	s_branch .LBB28_277
.LBB28_282:
	s_or_b64 exec, exec, s[6:7]
	s_xor_b64 s[6:7], s[8:9], -1
	s_and_saveexec_b64 s[8:9], s[6:7]
	s_xor_b64 s[8:9], exec, s[8:9]
	s_cbranch_execz .LBB28_287
; %bb.283:
	s_mov_b64 s[6:7], exec
	s_brev_b32 s8, -2
.LBB28_284:                             ; =>This Inner Loop Header: Depth=1
	s_ff1_i32_b64 s9, s[6:7]
	v_readlane_b32 s12, v2, s9
	s_lshl_b64 s[10:11], 1, s9
	s_min_i32 s8, s8, s12
	s_andn2_b64 s[6:7], s[6:7], s[10:11]
	s_cmp_lg_u64 s[6:7], 0
	s_cbranch_scc1 .LBB28_284
; %bb.285:
	v_mbcnt_lo_u32_b32 v0, exec_lo, 0
	v_mbcnt_hi_u32_b32 v0, exec_hi, v0
	v_cmp_eq_u32_e32 vcc, 0, v0
	s_and_saveexec_b64 s[6:7], vcc
	s_xor_b64 s[6:7], exec, s[6:7]
; %bb.286:
	v_mov_b32_e32 v0, 0
	v_mov_b32_e32 v1, s8
	ds_min_i32 v0, v1 offset:5140
.LBB28_287:
	s_or_b64 exec, exec, s[4:5]
	s_waitcnt lgkmcnt(0)
	s_barrier
	s_mov_b64 s[4:5], exec
	v_readlane_b32 s6, v66, 8
	v_readlane_b32 s7, v66, 9
	s_and_b64 s[6:7], s[4:5], s[6:7]
	s_mov_b64 exec, s[6:7]
	s_cbranch_execz .LBB28_289
; %bb.288:
	v_readlane_b32 s8, v66, 4
	v_readlane_b32 s9, v66, 5
	;; [unrolled: 1-line block ×3, first 2 shown]
	s_mul_i32 s6, s9, s24
	s_mul_hi_u32 s7, s8, s24
	v_readlane_b32 s11, v66, 1
	v_mov_b32_e32 v2, 0
	s_add_i32 s7, s7, s6
	s_mul_i32 s6, s8, s24
	s_mul_i32 s8, s11, s24
	s_mul_hi_u32 s9, s10, s24
	ds_read_b32 v0, v2 offset:5140
	s_add_i32 s9, s9, s8
	s_mul_i32 s8, s10, s24
	s_lshl_b64 s[6:7], s[6:7], 3
	v_readlane_b32 s10, v66, 6
	v_readlane_b32 s11, v66, 7
	s_add_u32 s6, s10, s6
	s_addc_u32 s7, s11, s7
	s_lshl_b64 s[8:9], s[8:9], 3
	v_readlane_b32 s10, v66, 2
	v_readlane_b32 s11, v66, 3
	s_add_u32 s8, s10, s8
	s_addc_u32 s9, s11, s9
	s_waitcnt lgkmcnt(0)
	v_ashrrev_i32_e32 v1, 31, v0
	global_store_dwordx2 v2, v[0:1], s[8:9]
	global_store_dwordx2 v2, v[6:7], s[6:7]
.LBB28_289:
	s_or_b64 exec, exec, s[4:5]
.LBB28_290:
	s_or_saveexec_b64 s[2:3], s[2:3]
	s_mov_b64 s[4:5], 0
	s_xor_b64 exec, exec, s[2:3]
	s_cbranch_execnz .LBB28_293
.LBB28_291:
	s_or_b64 exec, exec, s[2:3]
	s_and_b64 s[2:3], s[4:5], exec
	s_andn2_saveexec_b64 s[0:1], s[0:1]
	s_cbranch_execz .LBB28_267
.LBB28_292:
	s_or_b64 s[2:3], s[2:3], exec
	s_trap 2
	s_or_b64 exec, exec, s[0:1]
	s_and_saveexec_b64 s[0:1], s[2:3]
	s_cbranch_execnz .LBB28_268
	s_branch .LBB28_269
.LBB28_293:
	s_mov_b64 s[4:5], exec
	s_trap 2
	s_branch .LBB28_291
	.section	.rodata,"a",@progbits
	.p2align	6, 0x0
	.amdhsa_kernel _ZN2at6native12_GLOBAL__N_114gatherKthValueIllLi1EEEvNS_4cuda6detail10TensorInfoIKT_T0_EES8_S8_S8_S8_NS5_IS6_S8_EENS5_IlS8_EE
		.amdhsa_group_segment_fixed_size 5144
		.amdhsa_private_segment_fixed_size 0
		.amdhsa_kernarg_size 1536
		.amdhsa_user_sgpr_count 2
		.amdhsa_user_sgpr_dispatch_ptr 0
		.amdhsa_user_sgpr_queue_ptr 0
		.amdhsa_user_sgpr_kernarg_segment_ptr 1
		.amdhsa_user_sgpr_dispatch_id 0
		.amdhsa_user_sgpr_kernarg_preload_length 0
		.amdhsa_user_sgpr_kernarg_preload_offset 0
		.amdhsa_user_sgpr_private_segment_size 0
		.amdhsa_uses_dynamic_stack 0
		.amdhsa_enable_private_segment 0
		.amdhsa_system_sgpr_workgroup_id_x 1
		.amdhsa_system_sgpr_workgroup_id_y 1
		.amdhsa_system_sgpr_workgroup_id_z 1
		.amdhsa_system_sgpr_workgroup_info 0
		.amdhsa_system_vgpr_workitem_id 0
		.amdhsa_next_free_vgpr 67
		.amdhsa_next_free_sgpr 100
		.amdhsa_accum_offset 68
		.amdhsa_reserve_vcc 1
		.amdhsa_float_round_mode_32 0
		.amdhsa_float_round_mode_16_64 0
		.amdhsa_float_denorm_mode_32 3
		.amdhsa_float_denorm_mode_16_64 3
		.amdhsa_dx10_clamp 1
		.amdhsa_ieee_mode 1
		.amdhsa_fp16_overflow 0
		.amdhsa_tg_split 0
		.amdhsa_exception_fp_ieee_invalid_op 0
		.amdhsa_exception_fp_denorm_src 0
		.amdhsa_exception_fp_ieee_div_zero 0
		.amdhsa_exception_fp_ieee_overflow 0
		.amdhsa_exception_fp_ieee_underflow 0
		.amdhsa_exception_fp_ieee_inexact 0
		.amdhsa_exception_int_div_zero 0
	.end_amdhsa_kernel
	.section	.text._ZN2at6native12_GLOBAL__N_114gatherKthValueIllLi1EEEvNS_4cuda6detail10TensorInfoIKT_T0_EES8_S8_S8_S8_NS5_IS6_S8_EENS5_IlS8_EE,"axG",@progbits,_ZN2at6native12_GLOBAL__N_114gatherKthValueIllLi1EEEvNS_4cuda6detail10TensorInfoIKT_T0_EES8_S8_S8_S8_NS5_IS6_S8_EENS5_IlS8_EE,comdat
.Lfunc_end28:
	.size	_ZN2at6native12_GLOBAL__N_114gatherKthValueIllLi1EEEvNS_4cuda6detail10TensorInfoIKT_T0_EES8_S8_S8_S8_NS5_IS6_S8_EENS5_IlS8_EE, .Lfunc_end28-_ZN2at6native12_GLOBAL__N_114gatherKthValueIllLi1EEEvNS_4cuda6detail10TensorInfoIKT_T0_EES8_S8_S8_S8_NS5_IS6_S8_EENS5_IlS8_EE
                                        ; -- End function
	.set _ZN2at6native12_GLOBAL__N_114gatherKthValueIllLi1EEEvNS_4cuda6detail10TensorInfoIKT_T0_EES8_S8_S8_S8_NS5_IS6_S8_EENS5_IlS8_EE.num_vgpr, 67
	.set _ZN2at6native12_GLOBAL__N_114gatherKthValueIllLi1EEEvNS_4cuda6detail10TensorInfoIKT_T0_EES8_S8_S8_S8_NS5_IS6_S8_EENS5_IlS8_EE.num_agpr, 0
	.set _ZN2at6native12_GLOBAL__N_114gatherKthValueIllLi1EEEvNS_4cuda6detail10TensorInfoIKT_T0_EES8_S8_S8_S8_NS5_IS6_S8_EENS5_IlS8_EE.numbered_sgpr, 100
	.set _ZN2at6native12_GLOBAL__N_114gatherKthValueIllLi1EEEvNS_4cuda6detail10TensorInfoIKT_T0_EES8_S8_S8_S8_NS5_IS6_S8_EENS5_IlS8_EE.num_named_barrier, 0
	.set _ZN2at6native12_GLOBAL__N_114gatherKthValueIllLi1EEEvNS_4cuda6detail10TensorInfoIKT_T0_EES8_S8_S8_S8_NS5_IS6_S8_EENS5_IlS8_EE.private_seg_size, 0
	.set _ZN2at6native12_GLOBAL__N_114gatherKthValueIllLi1EEEvNS_4cuda6detail10TensorInfoIKT_T0_EES8_S8_S8_S8_NS5_IS6_S8_EENS5_IlS8_EE.uses_vcc, 1
	.set _ZN2at6native12_GLOBAL__N_114gatherKthValueIllLi1EEEvNS_4cuda6detail10TensorInfoIKT_T0_EES8_S8_S8_S8_NS5_IS6_S8_EENS5_IlS8_EE.uses_flat_scratch, 0
	.set _ZN2at6native12_GLOBAL__N_114gatherKthValueIllLi1EEEvNS_4cuda6detail10TensorInfoIKT_T0_EES8_S8_S8_S8_NS5_IS6_S8_EENS5_IlS8_EE.has_dyn_sized_stack, 0
	.set _ZN2at6native12_GLOBAL__N_114gatherKthValueIllLi1EEEvNS_4cuda6detail10TensorInfoIKT_T0_EES8_S8_S8_S8_NS5_IS6_S8_EENS5_IlS8_EE.has_recursion, 0
	.set _ZN2at6native12_GLOBAL__N_114gatherKthValueIllLi1EEEvNS_4cuda6detail10TensorInfoIKT_T0_EES8_S8_S8_S8_NS5_IS6_S8_EENS5_IlS8_EE.has_indirect_call, 0
	.section	.AMDGPU.csdata,"",@progbits
; Kernel info:
; codeLenInByte = 15728
; TotalNumSgprs: 106
; NumVgprs: 67
; NumAgprs: 0
; TotalNumVgprs: 67
; ScratchSize: 0
; MemoryBound: 0
; FloatMode: 240
; IeeeMode: 1
; LDSByteSize: 5144 bytes/workgroup (compile time only)
; SGPRBlocks: 13
; VGPRBlocks: 8
; NumSGPRsForWavesPerEU: 106
; NumVGPRsForWavesPerEU: 67
; AccumOffset: 68
; Occupancy: 7
; WaveLimiterHint : 1
; COMPUTE_PGM_RSRC2:SCRATCH_EN: 0
; COMPUTE_PGM_RSRC2:USER_SGPR: 2
; COMPUTE_PGM_RSRC2:TRAP_HANDLER: 0
; COMPUTE_PGM_RSRC2:TGID_X_EN: 1
; COMPUTE_PGM_RSRC2:TGID_Y_EN: 1
; COMPUTE_PGM_RSRC2:TGID_Z_EN: 1
; COMPUTE_PGM_RSRC2:TIDIG_COMP_CNT: 0
; COMPUTE_PGM_RSRC3_GFX90A:ACCUM_OFFSET: 16
; COMPUTE_PGM_RSRC3_GFX90A:TG_SPLIT: 0
	.section	.text._ZN2at6native12_GLOBAL__N_114gatherKthValueIllLi2EEEvNS_4cuda6detail10TensorInfoIKT_T0_EES8_S8_S8_S8_NS5_IS6_S8_EENS5_IlS8_EE,"axG",@progbits,_ZN2at6native12_GLOBAL__N_114gatherKthValueIllLi2EEEvNS_4cuda6detail10TensorInfoIKT_T0_EES8_S8_S8_S8_NS5_IS6_S8_EENS5_IlS8_EE,comdat
	.globl	_ZN2at6native12_GLOBAL__N_114gatherKthValueIllLi2EEEvNS_4cuda6detail10TensorInfoIKT_T0_EES8_S8_S8_S8_NS5_IS6_S8_EENS5_IlS8_EE ; -- Begin function _ZN2at6native12_GLOBAL__N_114gatherKthValueIllLi2EEEvNS_4cuda6detail10TensorInfoIKT_T0_EES8_S8_S8_S8_NS5_IS6_S8_EENS5_IlS8_EE
	.p2align	8
	.type	_ZN2at6native12_GLOBAL__N_114gatherKthValueIllLi2EEEvNS_4cuda6detail10TensorInfoIKT_T0_EES8_S8_S8_S8_NS5_IS6_S8_EENS5_IlS8_EE,@function
_ZN2at6native12_GLOBAL__N_114gatherKthValueIllLi2EEEvNS_4cuda6detail10TensorInfoIKT_T0_EES8_S8_S8_S8_NS5_IS6_S8_EENS5_IlS8_EE: ; @_ZN2at6native12_GLOBAL__N_114gatherKthValueIllLi2EEEvNS_4cuda6detail10TensorInfoIKT_T0_EES8_S8_S8_S8_NS5_IS6_S8_EENS5_IlS8_EE
; %bb.0:
	s_load_dwordx2 s[14:15], s[0:1], 0x500
	s_load_dwordx8 s[56:63], s[0:1], 0x1a0
	s_add_u32 s10, s0, 0x500
	s_addc_u32 s11, s1, 0
	s_mov_b32 s29, 0
	s_waitcnt lgkmcnt(0)
	s_mul_i32 s4, s15, s4
	s_add_i32 s3, s4, s3
	s_mul_i32 s3, s3, s14
	s_add_i32 s28, s3, s2
	v_mov_b64_e32 v[2:3], s[28:29]
	v_cmp_le_i64_e32 vcc, s[60:61], v[2:3]
	s_cbranch_vccnz .LBB29_278
; %bb.1:
	s_load_dwordx2 s[8:9], s[0:1], 0x10
	s_load_dwordx2 s[24:25], s[0:1], 0x1d0
	s_mov_b32 s4, s29
                                        ; implicit-def: $vgpr68 : SGPR spill to VGPR lane
	s_waitcnt lgkmcnt(0)
	s_mov_b32 s5, s9
	s_cmp_lg_u64 s[4:5], 0
	v_writelane_b32 v68, s24, 0
	s_nop 1
	v_writelane_b32 v68, s25, 1
	s_cbranch_scc0 .LBB29_291
; %bb.2:
	s_ashr_i32 s4, s9, 31
	s_add_u32 s6, s8, s4
	s_mov_b32 s5, s4
	s_addc_u32 s7, s9, s4
	s_xor_b64 s[12:13], s[6:7], s[4:5]
	v_cvt_f32_u32_e32 v1, s12
	v_cvt_f32_u32_e32 v2, s13
	s_sub_u32 s3, 0, s12
	s_subb_u32 s15, 0, s13
	v_fmamk_f32 v1, v2, 0x4f800000, v1
	v_rcp_f32_e32 v1, v1
	s_nop 0
	v_mul_f32_e32 v1, 0x5f7ffffc, v1
	v_mul_f32_e32 v2, 0x2f800000, v1
	v_trunc_f32_e32 v2, v2
	v_fmamk_f32 v1, v2, 0xcf800000, v1
	v_cvt_u32_f32_e32 v2, v2
	v_cvt_u32_f32_e32 v1, v1
	v_readfirstlane_b32 s18, v2
	v_readfirstlane_b32 s16, v1
	s_mul_i32 s17, s3, s18
	s_mul_hi_u32 s20, s3, s16
	s_mul_i32 s19, s15, s16
	s_add_i32 s17, s20, s17
	s_add_i32 s17, s17, s19
	s_mul_i32 s21, s3, s16
	s_mul_i32 s20, s16, s17
	s_mul_hi_u32 s22, s16, s21
	s_mul_hi_u32 s19, s16, s17
	s_add_u32 s20, s22, s20
	s_addc_u32 s19, 0, s19
	s_mul_hi_u32 s23, s18, s21
	s_mul_i32 s21, s18, s21
	s_add_u32 s20, s20, s21
	s_mul_hi_u32 s22, s18, s17
	s_addc_u32 s19, s19, s23
	s_addc_u32 s20, s22, 0
	s_mul_i32 s17, s18, s17
	s_add_u32 s17, s19, s17
	s_addc_u32 s19, 0, s20
	s_add_u32 s20, s16, s17
	s_cselect_b64 s[16:17], -1, 0
	s_cmp_lg_u64 s[16:17], 0
	s_addc_u32 s18, s18, s19
	s_mul_i32 s16, s3, s18
	s_mul_hi_u32 s17, s3, s20
	s_add_i32 s16, s17, s16
	s_mul_i32 s15, s15, s20
	s_add_i32 s16, s16, s15
	s_mul_i32 s3, s3, s20
	s_mul_hi_u32 s17, s18, s3
	s_mul_i32 s19, s18, s3
	s_mul_i32 s22, s20, s16
	s_mul_hi_u32 s3, s20, s3
	s_mul_hi_u32 s21, s20, s16
	s_add_u32 s3, s3, s22
	s_addc_u32 s21, 0, s21
	s_add_u32 s3, s3, s19
	s_mul_hi_u32 s15, s18, s16
	s_addc_u32 s3, s21, s17
	s_addc_u32 s15, s15, 0
	s_mul_i32 s16, s18, s16
	s_add_u32 s3, s3, s16
	s_addc_u32 s15, 0, s15
	s_add_u32 s3, s20, s3
	s_cselect_b64 s[16:17], -1, 0
	s_cmp_lg_u64 s[16:17], 0
	s_addc_u32 s15, s18, s15
	s_add_u32 s16, s28, 0
	s_addc_u32 s17, 0, 0
	s_xor_b64 s[16:17], s[16:17], 0
	s_mul_i32 s19, s16, s15
	s_mul_hi_u32 s20, s16, s3
	s_mul_hi_u32 s18, s16, s15
	s_add_u32 s19, s20, s19
	s_addc_u32 s18, 0, s18
	s_mul_hi_u32 s21, s17, s3
	s_mul_i32 s3, s17, s3
	s_add_u32 s3, s19, s3
	s_mul_hi_u32 s20, s17, s15
	s_addc_u32 s3, s18, s21
	s_addc_u32 s18, s20, 0
	s_mul_i32 s15, s17, s15
	s_add_u32 s3, s3, s15
	s_addc_u32 s15, 0, s18
	s_mul_i32 s18, s12, s15
	s_mul_hi_u32 s19, s12, s3
	s_add_i32 s18, s19, s18
	s_mul_i32 s19, s13, s3
	s_add_i32 s22, s18, s19
	s_sub_i32 s20, s17, s22
	s_mul_i32 s18, s12, s3
	s_sub_u32 s16, s16, s18
	s_cselect_b64 s[18:19], -1, 0
	s_cmp_lg_u64 s[18:19], 0
	s_subb_u32 s23, s20, s13
	s_sub_u32 s24, s16, s12
	s_cselect_b64 s[20:21], -1, 0
	s_cmp_lg_u64 s[20:21], 0
	s_subb_u32 s20, s23, 0
	s_cmp_ge_u32 s20, s13
	s_cselect_b32 s21, -1, 0
	s_cmp_ge_u32 s24, s12
	s_cselect_b32 s23, -1, 0
	s_cmp_eq_u32 s20, s13
	s_cselect_b32 s20, s23, s21
	s_add_u32 s21, s3, 1
	s_addc_u32 s23, s15, 0
	s_add_u32 s24, s3, 2
	s_addc_u32 s25, s15, 0
	s_cmp_lg_u32 s20, 0
	s_cselect_b32 s20, s24, s21
	s_cselect_b32 s21, s25, s23
	s_cmp_lg_u64 s[18:19], 0
	s_subb_u32 s17, s17, s22
	s_cmp_ge_u32 s17, s13
	s_cselect_b32 s18, -1, 0
	s_cmp_ge_u32 s16, s12
	s_cselect_b32 s12, -1, 0
	s_cmp_eq_u32 s17, s13
	s_cselect_b32 s12, s12, s18
	s_load_dwordx2 s[24:25], s[0:1], 0x1d0
	s_cmp_lg_u32 s12, 0
	s_cselect_b32 s13, s21, s15
	s_cselect_b32 s12, s20, s3
	s_xor_b64 s[4:5], 0, s[4:5]
	s_xor_b64 s[12:13], s[12:13], s[4:5]
	s_sub_u32 s12, s12, s4
	s_subb_u32 s13, s13, s5
	s_cbranch_execnz .LBB29_4
.LBB29_3:
	v_cvt_f32_u32_e32 v1, s8
	s_sub_i32 s3, 0, s8
	s_mov_b32 s13, 0
	v_rcp_iflag_f32_e32 v1, v1
	s_nop 0
	v_mul_f32_e32 v1, 0x4f7ffffe, v1
	v_cvt_u32_f32_e32 v1, v1
	s_nop 0
	v_readfirstlane_b32 s4, v1
	s_mul_i32 s3, s3, s4
	s_mul_hi_u32 s3, s4, s3
	s_add_i32 s4, s4, s3
	s_mul_hi_u32 s3, s28, s4
	s_mul_i32 s5, s3, s8
	s_sub_i32 s5, s28, s5
	s_add_i32 s4, s3, 1
	s_sub_i32 s6, s5, s8
	s_cmp_ge_u32 s5, s8
	s_cselect_b32 s3, s4, s3
	s_cselect_b32 s5, s6, s5
	s_add_i32 s4, s3, 1
	s_cmp_ge_u32 s5, s8
	s_cselect_b32 s12, s4, s3
.LBB29_4:
	s_load_dwordx2 s[30:31], s[0:1], 0x370
	s_mov_b32 s4, 0
	s_waitcnt lgkmcnt(0)
	s_mov_b32 s5, s25
	s_cmp_lg_u64 s[4:5], 0
	s_cbranch_scc0 .LBB29_292
; %bb.5:
	s_ashr_i32 s4, s25, 31
	s_add_u32 s6, s24, s4
	s_mov_b32 s5, s4
	s_addc_u32 s7, s25, s4
	s_xor_b64 s[16:17], s[6:7], s[4:5]
	v_cvt_f32_u32_e32 v1, s16
	v_cvt_f32_u32_e32 v2, s17
	s_sub_u32 s3, 0, s16
	s_subb_u32 s15, 0, s17
	v_fmamk_f32 v1, v2, 0x4f800000, v1
	v_rcp_f32_e32 v1, v1
	s_nop 0
	v_mul_f32_e32 v1, 0x5f7ffffc, v1
	v_mul_f32_e32 v2, 0x2f800000, v1
	v_trunc_f32_e32 v2, v2
	v_fmamk_f32 v1, v2, 0xcf800000, v1
	v_cvt_u32_f32_e32 v2, v2
	v_cvt_u32_f32_e32 v1, v1
	v_readfirstlane_b32 s20, v2
	v_readfirstlane_b32 s18, v1
	s_mul_i32 s19, s3, s20
	s_mul_hi_u32 s22, s3, s18
	s_mul_i32 s21, s15, s18
	s_add_i32 s19, s22, s19
	s_add_i32 s19, s19, s21
	s_mul_i32 s23, s3, s18
	s_mul_i32 s22, s18, s19
	s_mul_hi_u32 s24, s18, s23
	s_mul_hi_u32 s21, s18, s19
	s_add_u32 s22, s24, s22
	s_addc_u32 s21, 0, s21
	s_mul_hi_u32 s25, s20, s23
	s_mul_i32 s23, s20, s23
	s_add_u32 s22, s22, s23
	s_mul_hi_u32 s24, s20, s19
	s_addc_u32 s21, s21, s25
	s_addc_u32 s22, s24, 0
	s_mul_i32 s19, s20, s19
	s_add_u32 s19, s21, s19
	s_addc_u32 s21, 0, s22
	s_add_u32 s22, s18, s19
	s_cselect_b64 s[18:19], -1, 0
	s_cmp_lg_u64 s[18:19], 0
	s_addc_u32 s20, s20, s21
	s_mul_i32 s18, s3, s20
	s_mul_hi_u32 s19, s3, s22
	s_add_i32 s18, s19, s18
	s_mul_i32 s15, s15, s22
	s_add_i32 s18, s18, s15
	s_mul_i32 s3, s3, s22
	s_mul_hi_u32 s19, s20, s3
	s_mul_i32 s21, s20, s3
	s_mul_i32 s24, s22, s18
	s_mul_hi_u32 s3, s22, s3
	s_mul_hi_u32 s23, s22, s18
	s_add_u32 s3, s3, s24
	s_addc_u32 s23, 0, s23
	s_add_u32 s3, s3, s21
	s_mul_hi_u32 s15, s20, s18
	s_addc_u32 s3, s23, s19
	s_addc_u32 s15, s15, 0
	s_mul_i32 s18, s20, s18
	s_add_u32 s3, s3, s18
	s_addc_u32 s15, 0, s15
	s_add_u32 s3, s22, s3
	s_cselect_b64 s[18:19], -1, 0
	s_cmp_lg_u64 s[18:19], 0
	s_addc_u32 s15, s20, s15
	s_add_u32 s18, s28, 0
	s_addc_u32 s19, 0, 0
	s_xor_b64 s[18:19], s[18:19], 0
	s_mul_i32 s21, s18, s15
	s_mul_hi_u32 s22, s18, s3
	s_mul_hi_u32 s20, s18, s15
	s_add_u32 s21, s22, s21
	s_addc_u32 s20, 0, s20
	s_mul_hi_u32 s23, s19, s3
	s_mul_i32 s3, s19, s3
	s_add_u32 s3, s21, s3
	s_mul_hi_u32 s22, s19, s15
	s_addc_u32 s3, s20, s23
	s_addc_u32 s20, s22, 0
	s_mul_i32 s15, s19, s15
	s_add_u32 s3, s3, s15
	s_addc_u32 s15, 0, s20
	s_mul_i32 s20, s16, s15
	s_mul_hi_u32 s21, s16, s3
	s_add_i32 s20, s21, s20
	s_mul_i32 s21, s17, s3
	s_add_i32 s24, s20, s21
	s_sub_i32 s22, s19, s24
	s_mul_i32 s20, s16, s3
	s_sub_u32 s18, s18, s20
	s_cselect_b64 s[20:21], -1, 0
	s_cmp_lg_u64 s[20:21], 0
	s_subb_u32 s25, s22, s17
	s_sub_u32 s26, s18, s16
	s_cselect_b64 s[22:23], -1, 0
	s_cmp_lg_u64 s[22:23], 0
	s_subb_u32 s22, s25, 0
	s_cmp_ge_u32 s22, s17
	s_cselect_b32 s23, -1, 0
	s_cmp_ge_u32 s26, s16
	s_cselect_b32 s25, -1, 0
	s_cmp_eq_u32 s22, s17
	s_cselect_b32 s22, s25, s23
	s_add_u32 s23, s3, 1
	s_addc_u32 s25, s15, 0
	s_add_u32 s26, s3, 2
	s_addc_u32 s27, s15, 0
	s_cmp_lg_u32 s22, 0
	s_cselect_b32 s22, s26, s23
	s_cselect_b32 s23, s27, s25
	s_cmp_lg_u64 s[20:21], 0
	s_subb_u32 s19, s19, s24
	s_cmp_ge_u32 s19, s17
	s_cselect_b32 s20, -1, 0
	s_cmp_ge_u32 s18, s16
	s_cselect_b32 s16, -1, 0
	s_cmp_eq_u32 s19, s17
	s_cselect_b32 s16, s16, s20
	s_load_dwordx2 s[24:25], s[0:1], 0x1d0
	s_cmp_lg_u32 s16, 0
	s_cselect_b32 s17, s23, s15
	s_cselect_b32 s16, s22, s3
	s_xor_b64 s[4:5], 0, s[4:5]
	s_xor_b64 s[16:17], s[16:17], s[4:5]
	s_sub_u32 s16, s16, s4
	s_subb_u32 s17, s17, s5
	s_cbranch_execnz .LBB29_7
.LBB29_6:
	s_waitcnt lgkmcnt(0)
	v_cvt_f32_u32_e32 v1, s24
	s_sub_i32 s3, 0, s24
	s_mov_b32 s17, 0
	v_rcp_iflag_f32_e32 v1, v1
	s_nop 0
	v_mul_f32_e32 v1, 0x4f7ffffe, v1
	v_cvt_u32_f32_e32 v1, v1
	s_nop 0
	v_readfirstlane_b32 s4, v1
	s_mul_i32 s3, s3, s4
	s_mul_hi_u32 s3, s4, s3
	s_add_i32 s4, s4, s3
	s_mul_hi_u32 s3, s28, s4
	s_mul_i32 s5, s3, s24
	s_sub_i32 s5, s28, s5
	s_add_i32 s4, s3, 1
	s_sub_i32 s6, s5, s24
	s_cmp_ge_u32 s5, s24
	s_cselect_b32 s3, s4, s3
	s_cselect_b32 s5, s6, s5
	s_add_i32 s4, s3, 1
	s_cmp_ge_u32 s5, s24
	s_cselect_b32 s16, s4, s3
.LBB29_7:
	s_mov_b32 s4, 0
	s_mov_b32 s5, s31
	v_writelane_b32 v68, s16, 2
	s_cmp_lg_u64 s[4:5], 0
	s_nop 0
	v_writelane_b32 v68, s17, 3
	s_cbranch_scc0 .LBB29_293
; %bb.8:
	s_ashr_i32 s6, s31, 31
	s_add_u32 s4, s30, s6
	s_mov_b32 s7, s6
	s_addc_u32 s5, s31, s6
	s_xor_b64 s[16:17], s[4:5], s[6:7]
	v_cvt_f32_u32_e32 v1, s16
	v_cvt_f32_u32_e32 v2, s17
	s_sub_u32 s3, 0, s16
	s_subb_u32 s15, 0, s17
	v_fmamk_f32 v1, v2, 0x4f800000, v1
	v_rcp_f32_e32 v1, v1
	s_nop 0
	v_mul_f32_e32 v1, 0x5f7ffffc, v1
	v_mul_f32_e32 v2, 0x2f800000, v1
	v_trunc_f32_e32 v2, v2
	v_fmamk_f32 v1, v2, 0xcf800000, v1
	v_cvt_u32_f32_e32 v2, v2
	v_cvt_u32_f32_e32 v1, v1
	v_readfirstlane_b32 s20, v2
	v_readfirstlane_b32 s18, v1
	s_mul_i32 s19, s3, s20
	s_mul_hi_u32 s22, s3, s18
	s_mul_i32 s21, s15, s18
	s_add_i32 s19, s22, s19
	s_add_i32 s19, s19, s21
	s_mul_i32 s23, s3, s18
	s_mul_i32 s22, s18, s19
	s_waitcnt lgkmcnt(0)
	s_mul_hi_u32 s24, s18, s23
	s_mul_hi_u32 s21, s18, s19
	s_add_u32 s22, s24, s22
	s_addc_u32 s21, 0, s21
	s_mul_hi_u32 s25, s20, s23
	s_mul_i32 s23, s20, s23
	s_add_u32 s22, s22, s23
	s_mul_hi_u32 s24, s20, s19
	s_addc_u32 s21, s21, s25
	s_addc_u32 s22, s24, 0
	s_mul_i32 s19, s20, s19
	s_add_u32 s19, s21, s19
	s_addc_u32 s21, 0, s22
	s_add_u32 s22, s18, s19
	s_cselect_b64 s[18:19], -1, 0
	s_cmp_lg_u64 s[18:19], 0
	s_addc_u32 s20, s20, s21
	s_mul_i32 s18, s3, s20
	s_mul_hi_u32 s19, s3, s22
	s_add_i32 s18, s19, s18
	s_mul_i32 s15, s15, s22
	s_add_i32 s18, s18, s15
	s_mul_i32 s3, s3, s22
	s_mul_hi_u32 s19, s20, s3
	s_mul_i32 s21, s20, s3
	s_mul_i32 s24, s22, s18
	s_mul_hi_u32 s3, s22, s3
	s_mul_hi_u32 s23, s22, s18
	s_add_u32 s3, s3, s24
	s_addc_u32 s23, 0, s23
	s_add_u32 s3, s3, s21
	s_mul_hi_u32 s15, s20, s18
	s_addc_u32 s3, s23, s19
	s_addc_u32 s15, s15, 0
	s_mul_i32 s18, s20, s18
	s_add_u32 s3, s3, s18
	s_addc_u32 s15, 0, s15
	s_add_u32 s3, s22, s3
	s_cselect_b64 s[18:19], -1, 0
	s_cmp_lg_u64 s[18:19], 0
	s_addc_u32 s15, s20, s15
	s_add_u32 s18, s28, 0
	s_addc_u32 s19, 0, 0
	s_xor_b64 s[18:19], s[18:19], 0
	s_mul_i32 s21, s18, s15
	s_mul_hi_u32 s22, s18, s3
	s_mul_hi_u32 s20, s18, s15
	s_add_u32 s21, s22, s21
	s_addc_u32 s20, 0, s20
	s_mul_hi_u32 s23, s19, s3
	s_mul_i32 s3, s19, s3
	s_add_u32 s3, s21, s3
	s_mul_hi_u32 s22, s19, s15
	s_addc_u32 s3, s20, s23
	s_addc_u32 s20, s22, 0
	s_mul_i32 s15, s19, s15
	s_add_u32 s3, s3, s15
	s_addc_u32 s15, 0, s20
	s_mul_i32 s20, s16, s15
	s_mul_hi_u32 s21, s16, s3
	s_add_i32 s20, s21, s20
	s_mul_i32 s21, s17, s3
	s_add_i32 s24, s20, s21
	s_sub_i32 s22, s19, s24
	s_mul_i32 s20, s16, s3
	s_sub_u32 s18, s18, s20
	s_cselect_b64 s[20:21], -1, 0
	s_cmp_lg_u64 s[20:21], 0
	s_subb_u32 s25, s22, s17
	s_sub_u32 s26, s18, s16
	s_cselect_b64 s[22:23], -1, 0
	s_cmp_lg_u64 s[22:23], 0
	s_subb_u32 s22, s25, 0
	s_cmp_ge_u32 s22, s17
	s_cselect_b32 s23, -1, 0
	s_cmp_ge_u32 s26, s16
	s_cselect_b32 s25, -1, 0
	s_cmp_eq_u32 s22, s17
	s_cselect_b32 s22, s25, s23
	s_add_u32 s23, s3, 1
	s_addc_u32 s25, s15, 0
	s_add_u32 s26, s3, 2
	s_addc_u32 s27, s15, 0
	s_cmp_lg_u32 s22, 0
	s_cselect_b32 s22, s26, s23
	s_cselect_b32 s23, s27, s25
	s_cmp_lg_u64 s[20:21], 0
	s_subb_u32 s19, s19, s24
	s_cmp_ge_u32 s19, s17
	s_cselect_b32 s20, -1, 0
	s_cmp_ge_u32 s18, s16
	s_cselect_b32 s16, -1, 0
	s_cmp_eq_u32 s19, s17
	s_cselect_b32 s16, s16, s20
	s_cmp_lg_u32 s16, 0
	s_cselect_b32 s17, s23, s15
	s_cselect_b32 s16, s22, s3
	s_xor_b64 s[6:7], 0, s[6:7]
	s_xor_b64 s[16:17], s[16:17], s[6:7]
	s_sub_u32 s6, s16, s6
	s_subb_u32 s7, s17, s7
	v_writelane_b32 v68, s6, 4
	s_nop 1
	v_writelane_b32 v68, s7, 5
	s_load_dwordx2 s[16:17], s[0:1], 0x0
	s_cbranch_execnz .LBB29_10
.LBB29_9:
	v_cvt_f32_u32_e32 v1, s30
	s_sub_i32 s3, 0, s30
	s_mov_b32 s7, 0
	v_rcp_iflag_f32_e32 v1, v1
	s_nop 0
	v_mul_f32_e32 v1, 0x4f7ffffe, v1
	v_cvt_u32_f32_e32 v1, v1
	s_nop 0
	v_readfirstlane_b32 s4, v1
	s_mul_i32 s3, s3, s4
	s_mul_hi_u32 s3, s4, s3
	s_add_i32 s4, s4, s3
	s_mul_hi_u32 s3, s28, s4
	s_mul_i32 s5, s3, s30
	s_sub_i32 s5, s28, s5
	s_add_i32 s4, s3, 1
	s_sub_i32 s6, s5, s30
	s_cmp_ge_u32 s5, s30
	s_cselect_b32 s3, s4, s3
	s_cselect_b32 s5, s6, s5
	s_add_i32 s4, s3, 1
	s_cmp_ge_u32 s5, s30
	s_cselect_b32 s6, s4, s3
	v_writelane_b32 v68, s6, 4
	s_nop 1
	v_writelane_b32 v68, s7, 5
.LBB29_10:
	s_load_dwordx2 s[4:5], s[0:1], 0x360
	v_writelane_b32 v68, s30, 6
	s_mov_b32 s85, 0
	v_cmp_eq_u32_e64 s[20:21], 0, v0
	v_writelane_b32 v68, s31, 7
	s_waitcnt lgkmcnt(0)
	v_writelane_b32 v68, s4, 8
	s_nop 1
	v_writelane_b32 v68, s5, 9
	s_load_dwordx2 s[4:5], s[0:1], 0x1c0
	s_waitcnt lgkmcnt(0)
	v_writelane_b32 v68, s4, 10
	s_nop 1
	v_writelane_b32 v68, s5, 11
	s_load_dwordx4 s[4:7], s[0:1], 0xd0
	s_mov_b64 s[18:19], exec
	v_writelane_b32 v68, s20, 12
	s_nop 1
	v_writelane_b32 v68, s21, 13
	s_and_b64 s[20:21], s[18:19], s[20:21]
	s_mov_b64 exec, s[20:21]
	s_cbranch_execz .LBB29_12
; %bb.11:
	v_mov_b32_e32 v2, 0
	v_mov_b32_e32 v4, s56
	;; [unrolled: 1-line block ×4, first 2 shown]
	ds_write_b32 v2, v2 offset:5136
	ds_write_b128 v2, v[2:5] offset:5120
.LBB29_12:
	s_or_b64 exec, exec, s[18:19]
	s_load_dwordx4 s[20:23], s[0:1], 0x430
                                        ; kill: killed $sgpr0 killed $sgpr1
	v_mbcnt_lo_u32_b32 v1, -1, 0
	v_mbcnt_hi_u32_b32 v48, -1, v1
	v_cmp_gt_u32_e32 vcc, 64, v0
	v_mov_b64_e32 v[2:3], 0x180
	s_waitcnt lgkmcnt(0)
	v_writelane_b32 v68, s20, 14
	v_mov_b32_e32 v19, 0
	v_mov_b32_e32 v1, v19
	v_writelane_b32 v68, s21, 15
	v_writelane_b32 v68, s22, 16
	;; [unrolled: 1-line block ×3, first 2 shown]
	s_load_dwordx4 s[20:23], s[0:1], 0x290
	s_mul_i32 s0, s12, s9
	s_mul_hi_u32 s1, s12, s8
	s_add_i32 s0, s1, s0
	s_mul_i32 s1, s13, s8
	s_add_i32 s0, s0, s1
	s_mul_i32 s1, s12, s8
	s_sub_u32 s3, s28, s1
	s_subb_u32 s0, 0, s0
	s_mul_i32 s1, s3, s7
	s_mul_hi_u32 s7, s3, s6
	s_add_i32 s1, s7, s1
	s_mul_i32 s0, s0, s6
	s_waitcnt lgkmcnt(0)
	v_writelane_b32 v68, s20, 18
	s_add_i32 s1, s1, s0
	s_mul_i32 s0, s3, s6
	s_mul_i32 s3, s12, s5
	s_mul_hi_u32 s5, s12, s4
	v_writelane_b32 v68, s21, 19
	s_add_i32 s3, s5, s3
	s_mul_i32 s5, s13, s4
	v_writelane_b32 v68, s22, 20
	s_add_i32 s5, s3, s5
	s_mul_i32 s4, s12, s4
	v_writelane_b32 v68, s23, 21
	s_mov_b32 s8, s28
	s_lshl_b64 s[6:7], s[4:5], 3
	v_writelane_b32 v68, s8, 22
	s_add_u32 s3, s16, s6
	s_addc_u32 s4, s17, s7
	v_writelane_b32 v68, s9, 23
	s_lshl_b64 s[8:9], s[0:1], 3
	s_add_u32 s92, s3, s8
	v_cmp_gt_i32_e64 s[0:1], 4, v48
	s_addc_u32 s93, s4, s9
	s_and_b64 s[80:81], vcc, s[0:1]
	v_cmp_gt_u32_e64 s[0:1], 2, v0
	s_barrier
	s_nop 0
	v_writelane_b32 v68, s0, 24
	v_lshlrev_b32_e32 v6, 2, v48
	s_nop 0
	v_writelane_b32 v68, s1, 25
	v_cmp_gt_i64_e64 s[0:1], s[56:57], v[2:3]
	v_and_b32_e32 v51, 0x100, v6
	v_lshlrev_b64 v[6:7], v48, -1
	v_writelane_b32 v68, s0, 26
	v_lshlrev_b32_e32 v53, 5, v0
	v_not_b32_e32 v25, v7
	v_writelane_b32 v68, s1, 27
	v_cmp_gt_u64_e64 s[0:1], s[56:57], v[0:1]
	v_not_b32_e32 v24, v6
	v_lshrrev_b32_e32 v6, 1, v0
	v_writelane_b32 v68, s0, 28
	v_or_b32_e32 v7, 24, v53
	v_and_b32_e32 v6, 0x1e0, v6
	v_writelane_b32 v68, s1, 29
	v_mad_u64_u32 v[2:3], s[0:1], s62, v0, 0
	v_mov_b32_e32 v4, v3
	v_mad_u64_u32 v[4:5], s[0:1], s63, v0, v[4:5]
	v_cmp_gt_i64_e64 s[0:1], s[56:57], v[0:1]
	v_or_b32_e32 v52, 0xc00, v6
	v_mov_b32_e32 v3, v4
	v_writelane_b32 v68, s0, 30
	v_lshlrev_b32_e32 v49, 3, v0
	v_lshlrev_b64 v[4:5], 3, v[2:3]
	v_writelane_b32 v68, s1, 31
	s_load_dword s0, s[10:11], 0xc
	v_lshlrev_b64 v[34:35], 5, v[2:3]
	v_mov_b32_e32 v2, 0xc00
	v_cmp_eq_u32_e64 s[4:5], 0, v48
	v_add_u32_e32 v50, 0xc00, v49
	s_waitcnt lgkmcnt(0)
	s_and_b32 s82, s0, 0xffff
	s_bfe_u32 s0, s0, 0xa0006
	s_cmp_gt_u32 s82, 63
	s_cselect_b64 s[12:13], -1, 0
	v_writelane_b32 v68, s12, 32
	s_add_u32 s1, s82, -1
	s_addc_u32 s3, 0, -1
	v_writelane_b32 v68, s13, 33
	v_writelane_b32 v68, s1, 34
	s_add_u32 s1, s1, s56
	s_addc_u32 s95, s3, s57
	s_cmp_lt_u32 s2, s14
	v_writelane_b32 v68, s1, 35
	s_cselect_b32 s1, 12, 18
	s_add_u32 s88, s10, s1
	s_addc_u32 s89, s11, 0
	s_add_i32 s1, s0, -1
	s_bfe_u32 s2, s82, 0x30006
	s_and_b32 s1, s1, 0xffff
	s_cmp_gt_u32 s1, 6
	v_writelane_b32 v68, s3, 36
	s_cselect_b64 s[10:11], -1, 0
	v_writelane_b32 v68, s10, 37
	s_and_b32 s33, s0, 0x3f8
	s_cmp_lg_u32 s2, 0
	v_writelane_b32 v68, s11, 38
	v_writelane_b32 v68, s2, 39
	s_cselect_b64 s[0:1], -1, 0
	v_writelane_b32 v68, s0, 40
	v_lshl_add_u64 v[20:21], s[92:93], 0, v[4:5]
	v_lshlrev_b32_e32 v22, 2, v0
	v_writelane_b32 v68, s1, 41
	s_add_u32 s0, s6, s8
	s_addc_u32 s1, s7, s9
	s_add_u32 s2, s16, s0
	s_addc_u32 s3, s17, s1
	s_lshl_b64 s[0:1], s[62:63], 3
	v_writelane_b32 v68, s0, 42
	v_mov_b32_e32 v23, v19
	s_mov_b32 s83, s85
	v_writelane_b32 v68, s1, 43
	v_mad_u64_u32 v[26:27], s[0:1], s62, v7, 0
	v_mov_b32_e32 v6, v27
	v_mad_u64_u32 v[6:7], s[0:1], s63, v7, v[6:7]
	v_or_b32_e32 v7, 16, v53
	v_mad_u64_u32 v[28:29], s[0:1], s62, v7, 0
	v_mov_b32_e32 v27, v6
	v_mov_b32_e32 v6, v29
	v_mad_u64_u32 v[6:7], s[0:1], s63, v7, v[6:7]
	v_or_b32_e32 v7, 8, v53
	v_mad_u64_u32 v[32:33], s[0:1], s62, v7, 0
	v_mov_b32_e32 v29, v6
	v_mov_b32_e32 v6, v33
	v_writelane_b32 v68, s2, 44
	v_mad_u64_u32 v[6:7], s[0:1], s63, v7, v[6:7]
	s_nop 0
	v_writelane_b32 v68, s3, 45
	s_mul_i32 s0, s63, s82
	s_mul_hi_u32 s1, s62, s82
	v_writelane_b32 v68, s80, 46
	s_add_i32 s1, s1, s0
	s_mul_i32 s0, s62, s82
	v_writelane_b32 v68, s81, 47
	s_lshl_b64 s[66:67], s[62:63], 5
	v_mov_b32_e32 v33, v6
	v_lshl_add_u64 v[36:37], s[56:57], 0, v[0:1]
	v_lshl_or_b32 v54, v48, 3, v2
	v_lshl_add_u64 v[16:17], s[2:3], 0, v[4:5]
	s_lshl_b64 s[86:87], s[0:1], 3
	s_lshl_b32 s90, s82, 3
	s_mov_b32 s91, 62
	s_mov_b64 s[68:69], 0
	v_mov_b64_e32 v[6:7], 0
	v_mov_b64_e32 v[40:41], s[58:59]
	;; [unrolled: 1-line block ×5, first 2 shown]
	v_mov_b32_e32 v2, 1
	v_mov_b32_e32 v58, v19
	;; [unrolled: 1-line block ×3, first 2 shown]
	s_mov_b32 s96, 0
	v_writelane_b32 v68, s88, 48
                                        ; implicit-def: $sgpr58_sgpr59
                                        ; implicit-def: $sgpr74_sgpr75
                                        ; implicit-def: $sgpr70_sgpr71
                                        ; implicit-def: $sgpr76_sgpr77
                                        ; implicit-def: $sgpr10_sgpr11
                                        ; implicit-def: $sgpr60_sgpr61
	s_nop 1
	v_writelane_b32 v68, s89, 49
	s_branch .LBB29_16
.LBB29_13:                              ;   in Loop: Header=BB29_16 Depth=1
	s_or_b64 exec, exec, s[12:13]
	s_and_b64 s[8:9], s[8:9], exec
	s_andn2_b64 s[26:27], s[26:27], exec
	s_andn2_b64 s[0:1], s[0:1], exec
	s_orn2_b64 s[18:19], s[6:7], exec
.LBB29_14:                              ;   in Loop: Header=BB29_16 Depth=1
	s_or_b64 exec, exec, s[2:3]
	s_andn2_b64 s[2:3], s[60:61], exec
	s_and_b64 s[6:7], s[8:9], exec
	s_or_b64 s[60:61], s[2:3], s[6:7]
	s_andn2_b64 s[2:3], s[10:11], exec
	s_and_b64 s[6:7], s[26:27], exec
	s_or_b64 s[10:11], s[2:3], s[6:7]
	;; [unrolled: 3-line block ×3, first 2 shown]
	s_orn2_b64 s[0:1], s[18:19], exec
.LBB29_15:                              ;   in Loop: Header=BB29_16 Depth=1
	s_or_b64 exec, exec, s[16:17]
	s_and_b64 s[0:1], exec, s[0:1]
	s_or_b64 s[68:69], s[0:1], s[68:69]
	s_andn2_b64 s[0:1], s[70:71], exec
	s_and_b64 s[2:3], s[60:61], exec
	s_or_b64 s[70:71], s[0:1], s[2:3]
	s_andn2_b64 s[0:1], s[74:75], exec
	s_and_b64 s[2:3], s[10:11], exec
	;; [unrolled: 3-line block ×3, first 2 shown]
	s_or_b64 s[58:59], s[0:1], s[2:3]
	v_mov_b64_e32 v[40:41], v[12:13]
	s_andn2_b64 exec, exec, s[68:69]
	s_cbranch_execz .LBB29_274
.LBB29_16:                              ; =>This Loop Header: Depth=1
                                        ;     Child Loop BB29_22 Depth 2
                                        ;     Child Loop BB29_35 Depth 2
	;; [unrolled: 1-line block ×16, first 2 shown]
	ds_read_b128 v[8:11], v19 offset:5120
	s_waitcnt lgkmcnt(0)
	v_readfirstlane_b32 s73, v9
	v_readfirstlane_b32 s72, v8
	s_nop 1
	v_cmp_gt_i64_e64 s[0:1], s[72:73], 0
	s_and_b64 vcc, exec, s[0:1]
	s_cbranch_vccnz .LBB29_43
; %bb.17:                               ;   in Loop: Header=BB29_16 Depth=1
	v_readlane_b32 s0, v68, 26
	v_readlane_b32 s1, v68, 27
	s_and_b64 vcc, exec, s[0:1]
	s_cbranch_vccz .LBB29_30
; %bb.18:                               ;   in Loop: Header=BB29_16 Depth=1
	s_mov_b64 s[0:1], 0x181
	v_cmp_gt_i64_e32 vcc, s[0:1], v[10:11]
	s_mov_b64 s[6:7], 0
	s_mov_b64 s[0:1], 0
	s_cbranch_vccz .LBB29_31
; %bb.19:                               ;   in Loop: Header=BB29_16 Depth=1
	s_mov_b64 s[8:9], exec
	v_readlane_b32 s0, v68, 28
	v_readlane_b32 s1, v68, 29
	s_and_b64 s[0:1], s[8:9], s[0:1]
	s_mov_b64 exec, s[0:1]
	s_cbranch_execz .LBB29_77
; %bb.20:                               ;   in Loop: Header=BB29_16 Depth=1
	global_load_ushort v3, v19, s[88:89]
	global_load_dwordx2 v[4:5], v[20:21], off
	v_readlane_b32 s0, v68, 44
	v_readlane_b32 s1, v68, 45
	;; [unrolled: 1-line block ×4, first 2 shown]
	v_mov_b64_e32 v[8:9], s[0:1]
	s_mov_b64 s[12:13], 0
	s_waitcnt vmcnt(1)
	v_readfirstlane_b32 s0, v3
	s_and_b32 s0, 0xffff, s0
	v_and_b32_e32 v18, 0xffff, v3
	v_add_u32_e32 v3, s0, v0
	s_mul_i32 s2, s17, s0
	s_mul_hi_u32 s3, s16, s0
	s_mul_i32 s14, s16, s0
	v_mad_u64_u32 v[8:9], s[0:1], s16, v3, v[8:9]
	v_mov_b32_e32 v10, v9
	v_mad_u64_u32 v[10:11], s[0:1], s17, v3, v[10:11]
	s_add_i32 s15, s3, s2
	v_mov_b32_e32 v9, v10
	v_mov_b64_e32 v[10:11], v[0:1]
	s_branch .LBB29_22
.LBB29_21:                              ;   in Loop: Header=BB29_22 Depth=2
	s_or_b64 exec, exec, s[2:3]
	v_lshl_add_u64 v[8:9], v[8:9], 0, s[14:15]
	v_mov_b64_e32 v[4:5], v[12:13]
	s_andn2_b64 exec, exec, s[12:13]
	s_cbranch_execz .LBB29_77
.LBB29_22:                              ;   Parent Loop BB29_16 Depth=1
                                        ; =>  This Inner Loop Header: Depth=2
	v_lshl_add_u64 v[10:11], v[10:11], 0, v[18:19]
	v_cmp_gt_i64_e64 s[0:1], s[56:57], v[10:11]
	v_cmp_le_i64_e32 vcc, s[56:57], v[10:11]
	v_mov_b64_e32 v[12:13], 0
	s_and_saveexec_b64 s[2:3], s[0:1]
	s_cbranch_execz .LBB29_24
; %bb.23:                               ;   in Loop: Header=BB29_22 Depth=2
	global_load_dwordx2 v[12:13], v[8:9], off
.LBB29_24:                              ;   in Loop: Header=BB29_22 Depth=2
	s_or_b64 exec, exec, s[2:3]
	s_waitcnt vmcnt(0) lgkmcnt(0)
	v_xor_b32_e32 v3, 0x80000000, v5
	v_and_b32_e32 v15, v3, v39
	v_and_b32_e32 v14, v4, v38
	v_cmp_eq_u64_e64 s[0:1], v[14:15], v[30:31]
	s_cmp_lg_u64 s[0:1], 0
	s_cselect_b64 s[2:3], -1, 0
	s_and_b64 s[2:3], s[4:5], s[2:3]
	v_mov_b32_e32 v3, 0
	s_and_saveexec_b64 s[16:17], s[2:3]
	s_cbranch_execz .LBB29_28
; %bb.25:                               ;   in Loop: Header=BB29_22 Depth=2
	s_mov_b64 s[20:21], exec
	v_mbcnt_lo_u32_b32 v3, s20, 0
	v_mbcnt_hi_u32_b32 v3, s21, v3
	s_bcnt1_i32_b64 s22, s[0:1]
	v_cmp_eq_u32_e64 s[2:3], 0, v3
                                        ; implicit-def: $vgpr14
	s_and_saveexec_b64 s[18:19], s[2:3]
; %bb.26:                               ;   in Loop: Header=BB29_22 Depth=2
	s_bcnt1_i32_b64 s2, s[20:21]
	s_mul_i32 s2, s22, s2
	v_mov_b32_e32 v14, s2
	ds_add_rtn_u32 v14, v19, v14 offset:5136
; %bb.27:                               ;   in Loop: Header=BB29_22 Depth=2
	s_or_b64 exec, exec, s[18:19]
	s_waitcnt lgkmcnt(0)
	v_readfirstlane_b32 s2, v14
	s_nop 1
	v_mov_b32_e32 v14, s2
	v_mad_u32_u24 v3, s22, v3, v14
.LBB29_28:                              ;   in Loop: Header=BB29_22 Depth=2
	s_or_b64 exec, exec, s[16:17]
	ds_bpermute_b32 v3, v51, v3
	s_and_b64 s[2:3], exec, vcc
	s_or_b64 s[12:13], s[2:3], s[12:13]
	s_and_saveexec_b64 s[2:3], s[0:1]
	s_cbranch_execz .LBB29_21
; %bb.29:                               ;   in Loop: Header=BB29_22 Depth=2
	v_and_b32_e32 v15, s0, v24
	v_and_b32_e32 v14, s1, v25
	v_bcnt_u32_b32 v15, v15, 0
	v_bcnt_u32_b32 v14, v14, v15
	v_lshlrev_b32_e32 v14, 3, v14
	s_waitcnt lgkmcnt(0)
	v_lshl_add_u32 v3, v3, 3, v14
	ds_write_b64 v3, v[4:5]
	s_branch .LBB29_21
.LBB29_30:                              ;   in Loop: Header=BB29_16 Depth=1
	s_mov_b64 s[6:7], -1
	s_mov_b64 s[0:1], 0
.LBB29_31:                              ;   in Loop: Header=BB29_16 Depth=1
	s_and_b64 vcc, exec, s[6:7]
	s_cbranch_vccz .LBB29_41
.LBB29_32:                              ;   in Loop: Header=BB29_16 Depth=1
	s_mov_b64 s[0:1], exec
	v_readlane_b32 s2, v68, 30
	v_readlane_b32 s3, v68, 31
	s_and_b64 s[2:3], s[0:1], s[2:3]
	s_mov_b64 exec, s[2:3]
	s_cbranch_execz .LBB29_38
; %bb.33:                               ;   in Loop: Header=BB29_16 Depth=1
	global_load_ushort v3, v19, s[88:89]
	global_load_dwordx2 v[4:5], v[20:21], off
	s_waitcnt vmcnt(1)
	v_add_u32_sdwa v18, v3, v0 dst_sel:DWORD dst_unused:UNUSED_PAD src0_sel:WORD_0 src1_sel:DWORD
	v_readfirstlane_b32 s6, v3
	v_cmp_gt_i64_e32 vcc, s[56:57], v[18:19]
	v_mov_b32_e32 v3, v0
	s_and_saveexec_b64 s[2:3], vcc
	s_cbranch_execz .LBB29_37
; %bb.34:                               ;   in Loop: Header=BB29_16 Depth=1
	s_and_b32 s84, s6, 0xffff
	v_readlane_b32 s6, v68, 44
	v_readlane_b32 s7, v68, 45
	;; [unrolled: 1-line block ×4, first 2 shown]
	v_mov_b64_e32 v[8:9], s[6:7]
	v_mad_u64_u32 v[8:9], s[6:7], s8, v18, v[8:9]
	v_mov_b32_e32 v10, v9
	v_mad_u64_u32 v[10:11], s[6:7], s9, v18, v[10:11]
	s_mul_i32 s6, s9, s84
	s_mul_hi_u32 s7, s8, s84
	v_mov_b32_e32 v9, v10
	s_add_i32 s7, s7, s6
	s_mul_i32 s6, s8, s84
	s_mov_b64 s[8:9], 0
	v_mov_b64_e32 v[12:13], v[18:19]
	v_mov_b64_e32 v[14:15], v[0:1]
.LBB29_35:                              ;   Parent Loop BB29_16 Depth=1
                                        ; =>  This Inner Loop Header: Depth=2
	global_load_dwordx2 v[10:11], v[8:9], off
	v_mov_b64_e32 v[42:43], v[12:13]
	v_lshl_add_u64 v[12:13], v[42:43], 0, s[84:85]
	v_lshlrev_b32_e32 v3, 3, v14
	v_cmp_le_i64_e32 vcc, s[56:57], v[12:13]
	v_lshl_add_u64 v[8:9], v[8:9], 0, s[6:7]
	s_waitcnt vmcnt(1)
	ds_write_b64 v3, v[4:5]
	v_mov_b64_e32 v[14:15], v[42:43]
	s_or_b64 s[8:9], vcc, s[8:9]
	s_waitcnt vmcnt(0)
	v_mov_b64_e32 v[4:5], v[10:11]
	s_andn2_b64 exec, exec, s[8:9]
	s_cbranch_execnz .LBB29_35
; %bb.36:                               ;   in Loop: Header=BB29_16 Depth=1
	s_or_b64 exec, exec, s[8:9]
	v_subrev_u32_e32 v3, s84, v12
	v_mov_b64_e32 v[4:5], v[10:11]
.LBB29_37:                              ;   in Loop: Header=BB29_16 Depth=1
	s_or_b64 exec, exec, s[2:3]
	v_lshlrev_b32_e32 v3, 3, v3
	s_waitcnt vmcnt(0)
	ds_write_b64 v3, v[4:5]
.LBB29_38:                              ;   in Loop: Header=BB29_16 Depth=1
	s_or_b64 exec, exec, s[0:1]
	s_waitcnt lgkmcnt(0)
	s_barrier
	s_mov_b64 s[0:1], exec
	v_readlane_b32 s2, v68, 12
	v_readlane_b32 s3, v68, 13
	s_and_b64 s[2:3], s[0:1], s[2:3]
	s_mov_b64 exec, s[2:3]
; %bb.39:                               ;   in Loop: Header=BB29_16 Depth=1
	ds_write_b64 v19, v[56:57] offset:5120
; %bb.40:                               ;   in Loop: Header=BB29_16 Depth=1
	s_or_b64 exec, exec, s[0:1]
	s_mov_b64 s[0:1], -1
	s_waitcnt lgkmcnt(0)
	s_barrier
.LBB29_41:                              ;   in Loop: Header=BB29_16 Depth=1
	s_and_b64 vcc, exec, s[0:1]
	s_cbranch_vccz .LBB29_43
; %bb.42:                               ;   in Loop: Header=BB29_16 Depth=1
	ds_read_b64 v[4:5], v19 offset:5120
	s_waitcnt lgkmcnt(0)
	v_readfirstlane_b32 s72, v4
.LBB29_43:                              ;   in Loop: Header=BB29_16 Depth=1
	s_cmp_lt_i32 s72, 1
	s_mov_b64 s[0:1], -1
                                        ; implicit-def: $vgpr14_vgpr15
                                        ; implicit-def: $vgpr10_vgpr11
	s_cbranch_scc1 .LBB29_53
; %bb.44:                               ;   in Loop: Header=BB29_16 Depth=1
	s_and_b64 vcc, exec, s[0:1]
	s_cbranch_vccnz .LBB29_67
.LBB29_45:                              ;   in Loop: Header=BB29_16 Depth=1
	s_lshl_b32 s2, s96, 6
	s_and_saveexec_b64 s[0:1], s[4:5]
	s_cbranch_execz .LBB29_47
.LBB29_46:                              ;   in Loop: Header=BB29_16 Depth=1
	v_lshl_add_u32 v3, s2, 3, v52
	ds_write_b128 v3, v[8:11]
	ds_write_b128 v3, v[12:15] offset:16
.LBB29_47:                              ;   in Loop: Header=BB29_16 Depth=1
	s_or_b64 exec, exec, s[0:1]
	s_waitcnt lgkmcnt(0)
	s_barrier
	s_and_saveexec_b64 s[0:1], s[80:81]
	s_cbranch_execz .LBB29_85
; %bb.48:                               ;   in Loop: Header=BB29_16 Depth=1
	v_readlane_b32 s6, v68, 32
	v_readlane_b32 s7, v68, 33
	s_andn2_b64 vcc, exec, s[6:7]
	v_mov_b64_e32 v[4:5], 0
	s_cbranch_vccnz .LBB29_84
; %bb.49:                               ;   in Loop: Header=BB29_16 Depth=1
	v_readlane_b32 s6, v68, 37
	v_readlane_b32 s7, v68, 38
	s_andn2_b64 vcc, exec, s[6:7]
	s_cbranch_vccnz .LBB29_80
; %bb.50:                               ;   in Loop: Header=BB29_16 Depth=1
	v_lshl_add_u32 v3, s96, 9, v54
	v_mov_b64_e32 v[4:5], 0
	s_mov_b32 s3, 0
.LBB29_51:                              ;   Parent Loop BB29_16 Depth=1
                                        ; =>  This Inner Loop Header: Depth=2
	ds_read2_b64 v[8:11], v3 offset1:4
	ds_read2_b64 v[12:15], v3 offset0:8 offset1:12
	ds_read2_b64 v[42:45], v3 offset0:16 offset1:20
	;; [unrolled: 1-line block ×3, first 2 shown]
	s_add_i32 s3, s3, 8
	s_waitcnt lgkmcnt(3)
	v_lshl_add_u64 v[4:5], v[8:9], 0, v[4:5]
	v_lshl_add_u64 v[4:5], v[10:11], 0, v[4:5]
	s_waitcnt lgkmcnt(2)
	v_lshl_add_u64 v[4:5], v[12:13], 0, v[4:5]
	v_lshl_add_u64 v[4:5], v[14:15], 0, v[4:5]
	;; [unrolled: 3-line block ×3, first 2 shown]
	s_waitcnt lgkmcnt(0)
	v_lshl_add_u64 v[4:5], v[60:61], 0, v[4:5]
	v_add_u32_e32 v3, 0x100, v3
	s_cmp_eq_u32 s33, s3
	v_lshl_add_u64 v[4:5], v[62:63], 0, v[4:5]
	s_cbranch_scc0 .LBB29_51
; %bb.52:                               ;   in Loop: Header=BB29_16 Depth=1
	s_mov_b32 s3, s33
	s_branch .LBB29_81
.LBB29_53:                              ;   in Loop: Header=BB29_16 Depth=1
	global_load_ushort v3, v19, s[88:89]
	s_mov_b32 s0, s85
	s_waitcnt vmcnt(0)
	v_readfirstlane_b32 s1, v3
	s_and_b32 s98, s1, 0xffff
	s_lshl_b32 s84, s98, 2
	s_mov_b32 s1, s57
	s_cmp_lg_u64 s[0:1], 0
	s_cbranch_scc0 .LBB29_76
; %bb.54:                               ;   in Loop: Header=BB29_16 Depth=1
	s_add_u32 s0, s84, 0
	s_addc_u32 s1, 0, 0
	s_xor_b64 s[0:1], s[0:1], 0
	v_cvt_f32_u32_e32 v3, s0
	v_cvt_f32_u32_e32 v4, s1
	s_sub_u32 s6, 0, s0
	s_subb_u32 s7, 0, s1
	v_fmac_f32_e32 v3, 0x4f800000, v4
	v_rcp_f32_e32 v3, v3
	s_nop 0
	v_mul_f32_e32 v3, 0x5f7ffffc, v3
	v_mul_f32_e32 v4, 0x2f800000, v3
	v_trunc_f32_e32 v4, v4
	v_fmac_f32_e32 v3, 0xcf800000, v4
	v_cvt_u32_f32_e32 v4, v4
	v_cvt_u32_f32_e32 v3, v3
	v_readfirstlane_b32 s8, v4
	v_readfirstlane_b32 s2, v3
	s_mul_i32 s3, s6, s8
	s_mul_hi_u32 s12, s6, s2
	s_mul_i32 s9, s7, s2
	s_add_i32 s3, s12, s3
	s_mul_i32 s13, s6, s2
	s_add_i32 s3, s3, s9
	s_mul_i32 s12, s2, s3
	s_mul_hi_u32 s14, s2, s13
	s_mul_hi_u32 s9, s2, s3
	s_add_u32 s12, s14, s12
	s_addc_u32 s9, 0, s9
	s_mul_hi_u32 s15, s8, s13
	s_mul_i32 s13, s8, s13
	s_add_u32 s12, s12, s13
	s_mul_hi_u32 s14, s8, s3
	s_addc_u32 s9, s9, s15
	s_addc_u32 s12, s14, 0
	s_mul_i32 s3, s8, s3
	s_add_u32 s3, s9, s3
	s_addc_u32 s9, 0, s12
	s_add_u32 s12, s2, s3
	s_cselect_b64 s[2:3], -1, 0
	s_cmp_lg_u64 s[2:3], 0
	s_addc_u32 s8, s8, s9
	s_mul_i32 s2, s6, s8
	s_mul_hi_u32 s3, s6, s12
	s_add_i32 s2, s3, s2
	s_mul_i32 s7, s7, s12
	s_add_i32 s2, s2, s7
	s_mul_i32 s6, s6, s12
	s_mul_hi_u32 s7, s8, s6
	s_mul_i32 s9, s8, s6
	s_mul_i32 s14, s12, s2
	s_mul_hi_u32 s6, s12, s6
	s_mul_hi_u32 s13, s12, s2
	s_add_u32 s6, s6, s14
	s_addc_u32 s13, 0, s13
	s_add_u32 s6, s6, s9
	s_mul_hi_u32 s3, s8, s2
	s_addc_u32 s6, s13, s7
	s_addc_u32 s3, s3, 0
	s_mul_i32 s2, s8, s2
	s_add_u32 s2, s6, s2
	s_addc_u32 s6, 0, s3
	s_add_u32 s9, s12, s2
	s_cselect_b64 s[2:3], -1, 0
	s_cmp_lg_u64 s[2:3], 0
	s_addc_u32 s8, s8, s6
	s_ashr_i32 s2, s57, 31
	s_add_u32 s6, s56, s2
	s_mov_b32 s3, s2
	s_addc_u32 s7, s57, s2
	s_xor_b64 s[6:7], s[6:7], s[2:3]
	s_mul_i32 s13, s6, s8
	s_mul_hi_u32 s14, s6, s9
	s_mul_hi_u32 s12, s6, s8
	s_add_u32 s13, s14, s13
	s_addc_u32 s12, 0, s12
	s_mul_hi_u32 s15, s7, s9
	s_mul_i32 s9, s7, s9
	s_add_u32 s9, s13, s9
	s_mul_hi_u32 s14, s7, s8
	s_addc_u32 s9, s12, s15
	s_addc_u32 s12, s14, 0
	s_mul_i32 s8, s7, s8
	s_add_u32 s8, s9, s8
	s_addc_u32 s9, 0, s12
	s_mul_i32 s9, s0, s9
	s_mul_hi_u32 s12, s0, s8
	s_add_i32 s9, s12, s9
	s_mul_i32 s12, s1, s8
	s_add_i32 s14, s9, s12
	s_sub_i32 s12, s7, s14
	s_mul_i32 s8, s0, s8
	s_sub_u32 s6, s6, s8
	s_cselect_b64 s[8:9], -1, 0
	s_cmp_lg_u64 s[8:9], 0
	s_subb_u32 s15, s12, s1
	s_sub_u32 s16, s6, s0
	s_cselect_b64 s[12:13], -1, 0
	s_cmp_lg_u64 s[12:13], 0
	s_subb_u32 s17, s15, 0
	s_cmp_ge_u32 s17, s1
	s_cselect_b32 s18, -1, 0
	s_cmp_ge_u32 s16, s0
	s_cselect_b32 s19, -1, 0
	s_cmp_eq_u32 s17, s1
	s_cselect_b32 s18, s19, s18
	s_cmp_lg_u64 s[12:13], 0
	s_subb_u32 s15, s15, s1
	s_sub_u32 s19, s16, s0
	s_cselect_b64 s[12:13], -1, 0
	s_cmp_lg_u64 s[12:13], 0
	s_subb_u32 s12, s15, 0
	s_cmp_lg_u32 s18, 0
	s_cselect_b32 s13, s19, s16
	s_cselect_b32 s12, s12, s17
	s_cmp_lg_u64 s[8:9], 0
	s_subb_u32 s7, s7, s14
	s_cmp_ge_u32 s7, s1
	s_cselect_b32 s8, -1, 0
	s_cmp_ge_u32 s6, s0
	s_cselect_b32 s0, -1, 0
	s_cmp_eq_u32 s7, s1
	s_cselect_b32 s0, s0, s8
	s_cmp_lg_u32 s0, 0
	s_cselect_b32 s1, s12, s7
	s_cselect_b32 s0, s13, s6
	s_xor_b64 s[0:1], s[0:1], s[2:3]
	s_sub_u32 s78, s0, s2
	s_subb_u32 s79, s1, s2
	s_cbranch_execnz .LBB29_56
.LBB29_55:                              ;   in Loop: Header=BB29_16 Depth=1
	v_cvt_f32_u32_e32 v3, s84
	s_sub_i32 s0, 0, s84
	s_mov_b32 s79, s85
	v_rcp_iflag_f32_e32 v3, v3
	s_nop 0
	v_mul_f32_e32 v3, 0x4f7ffffe, v3
	v_cvt_u32_f32_e32 v3, v3
	s_nop 0
	v_readfirstlane_b32 s1, v3
	s_mul_i32 s0, s0, s1
	s_mul_hi_u32 s0, s1, s0
	s_add_i32 s1, s1, s0
	s_mul_hi_u32 s0, s56, s1
	s_mul_i32 s0, s0, s84
	s_sub_i32 s0, s56, s0
	s_sub_i32 s1, s0, s84
	s_cmp_ge_u32 s0, s84
	s_cselect_b32 s0, s1, s0
	s_sub_i32 s1, s0, s84
	s_cmp_ge_u32 s0, s84
	s_cselect_b32 s78, s1, s0
.LBB29_56:                              ;   in Loop: Header=BB29_16 Depth=1
	s_sub_u32 s28, s56, s78
	s_subb_u32 s29, s57, s79
	s_mov_b32 s99, s85
	v_cmp_gt_i64_e32 vcc, s[28:29], v[22:23]
	v_mov_b64_e32 v[8:9], 0
	v_mov_b64_e32 v[10:11], 0
	;; [unrolled: 1-line block ×4, first 2 shown]
	s_and_saveexec_b64 s[54:55], vcc
	s_cbranch_execz .LBB29_60
; %bb.57:                               ;   in Loop: Header=BB29_16 Depth=1
	s_mul_i32 s0, s67, s98
	s_mul_hi_u32 s1, s66, s98
	s_add_i32 s73, s1, s0
	s_mov_b64 s[12:13], 0
	s_mov_b64 s[64:65], s[92:93]
	;; [unrolled: 1-line block ×7, first 2 shown]
	v_mov_b64_e32 v[4:5], v[22:23]
.LBB29_58:                              ;   Parent Loop BB29_16 Depth=1
                                        ; =>  This Inner Loop Header: Depth=2
	v_lshl_add_u64 v[8:9], s[88:89], 0, v[34:35]
	v_lshl_add_u64 v[10:11], s[88:89], 0, v[32:33]
	;; [unrolled: 1-line block ×4, first 2 shown]
	global_load_dwordx2 v[8:9], v[8:9], off
	s_nop 0
	global_load_dwordx2 v[10:11], v[10:11], off
	s_nop 0
	;; [unrolled: 2-line block ×3, first 2 shown]
	global_load_dwordx2 v[14:15], v[14:15], off
	v_mov_b32_e32 v43, v19
	v_mov_b32_e32 v45, v19
	;; [unrolled: 1-line block ×3, first 2 shown]
	s_mul_i32 s94, s66, s98
	v_lshl_add_u64 v[4:5], v[4:5], 0, s[84:85]
	v_cmp_le_i64_e32 vcc, s[28:29], v[4:5]
	s_waitcnt vmcnt(3)
	v_xor_b32_e32 v9, 0x80000000, v9
	s_waitcnt vmcnt(2)
	v_xor_b32_e32 v11, 0x80000000, v11
	v_and_b32_e32 v60, v8, v38
	v_and_b32_e32 v61, v9, v39
	v_lshrrev_b64 v[8:9], s91, v[8:9]
	s_waitcnt vmcnt(1)
	v_xor_b32_e32 v13, 0x80000000, v13
	v_and_b32_e32 v62, v10, v38
	v_and_b32_e32 v63, v11, v39
	v_lshrrev_b64 v[10:11], s91, v[10:11]
	v_and_b32_e32 v18, 3, v8
	s_waitcnt vmcnt(0)
	v_xor_b32_e32 v15, 0x80000000, v15
	v_and_b32_e32 v64, v12, v38
	v_and_b32_e32 v65, v13, v39
	v_lshrrev_b64 v[12:13], s91, v[12:13]
	v_cmp_eq_u64_e64 s[2:3], v[60:61], v[30:31]
	v_and_b32_e32 v42, 3, v10
	v_cmp_eq_u64_e64 s[18:19], 0, v[18:19]
	v_and_b32_e32 v66, v14, v38
	v_and_b32_e32 v67, v15, v39
	v_lshrrev_b64 v[14:15], s91, v[14:15]
	v_cmp_eq_u64_e64 s[14:15], v[62:63], v[30:31]
	v_and_b32_e32 v44, 3, v12
	v_cmp_eq_u64_e64 s[20:21], 0, v[42:43]
	s_and_b64 s[18:19], s[2:3], s[18:19]
	v_cmp_eq_u64_e64 s[16:17], v[64:65], v[30:31]
	v_and_b32_e32 v46, 3, v14
	v_cmp_eq_u64_e64 s[22:23], 0, v[44:45]
	v_cndmask_b32_e64 v3, 0, 1, s[18:19]
	s_and_b64 s[18:19], s[14:15], s[20:21]
	v_cmp_eq_u64_e64 s[0:1], v[66:67], v[30:31]
	v_cmp_eq_u64_e64 s[24:25], 0, v[46:47]
	v_cndmask_b32_e64 v8, 0, 1, s[18:19]
	s_and_b64 s[18:19], s[16:17], s[22:23]
	v_cndmask_b32_e64 v9, 0, 1, s[18:19]
	s_and_b64 s[18:19], s[0:1], s[24:25]
	v_cndmask_b32_e64 v10, 0, 1, s[18:19]
	v_cmp_ne_u32_e64 s[18:19], 0, v3
	v_cmp_ne_u32_e64 s[20:21], 0, v8
	;; [unrolled: 1-line block ×4, first 2 shown]
	s_bcnt1_i32_b64 s18, s[18:19]
	s_bcnt1_i32_b64 s19, s[20:21]
	;; [unrolled: 1-line block ×4, first 2 shown]
	s_add_u32 s6, s18, s6
	s_addc_u32 s7, 0, s7
	s_add_u32 s6, s6, s19
	s_addc_u32 s7, s7, 0
	;; [unrolled: 2-line block ×3, first 2 shown]
	v_cmp_eq_u64_e64 s[26:27], 1, v[18:19]
	s_add_u32 s6, s6, s21
	v_cmp_eq_u64_e64 s[30:31], 1, v[42:43]
	s_addc_u32 s7, s7, 0
	s_and_b64 s[18:19], s[2:3], s[26:27]
	v_cmp_eq_u64_e64 s[34:35], 1, v[44:45]
	v_cndmask_b32_e64 v3, 0, 1, s[18:19]
	s_and_b64 s[18:19], s[14:15], s[30:31]
	v_cmp_eq_u64_e64 s[36:37], 1, v[46:47]
	v_cndmask_b32_e64 v10, 0, 1, s[18:19]
	s_and_b64 s[18:19], s[16:17], s[34:35]
	v_cndmask_b32_e64 v11, 0, 1, s[18:19]
	s_and_b64 s[18:19], s[0:1], s[36:37]
	v_cndmask_b32_e64 v12, 0, 1, s[18:19]
	v_cmp_ne_u32_e64 s[18:19], 0, v3
	v_cmp_ne_u32_e64 s[20:21], 0, v10
	;; [unrolled: 1-line block ×4, first 2 shown]
	s_bcnt1_i32_b64 s18, s[18:19]
	s_bcnt1_i32_b64 s19, s[20:21]
	;; [unrolled: 1-line block ×4, first 2 shown]
	s_add_u32 s18, s18, s80
	s_addc_u32 s22, 0, s81
	s_add_u32 s18, s18, s19
	s_addc_u32 s19, s22, 0
	;; [unrolled: 2-line block ×3, first 2 shown]
	v_cmp_eq_u64_e64 s[38:39], 2, v[18:19]
	s_add_u32 s80, s18, s21
	v_cmp_eq_u64_e64 s[40:41], 2, v[42:43]
	s_addc_u32 s81, s19, 0
	s_and_b64 s[18:19], s[2:3], s[38:39]
	v_cmp_eq_u64_e64 s[42:43], 2, v[44:45]
	v_cndmask_b32_e64 v3, 0, 1, s[18:19]
	s_and_b64 s[18:19], s[14:15], s[40:41]
	v_cmp_eq_u64_e64 s[44:45], 2, v[46:47]
	v_cndmask_b32_e64 v12, 0, 1, s[18:19]
	s_and_b64 s[18:19], s[16:17], s[42:43]
	v_cndmask_b32_e64 v13, 0, 1, s[18:19]
	s_and_b64 s[18:19], s[0:1], s[44:45]
	v_cndmask_b32_e64 v14, 0, 1, s[18:19]
	v_cmp_ne_u32_e64 s[18:19], 0, v3
	v_cmp_ne_u32_e64 s[20:21], 0, v12
	;; [unrolled: 1-line block ×4, first 2 shown]
	s_bcnt1_i32_b64 s18, s[18:19]
	s_bcnt1_i32_b64 s19, s[20:21]
	;; [unrolled: 1-line block ×4, first 2 shown]
	s_add_u32 s18, s18, s92
	s_addc_u32 s22, 0, s93
	s_add_u32 s18, s18, s19
	s_addc_u32 s19, s22, 0
	;; [unrolled: 2-line block ×3, first 2 shown]
	v_cmp_eq_u64_e64 s[46:47], 3, v[18:19]
	s_add_u32 s92, s18, s21
	v_cmp_eq_u64_e64 s[48:49], 3, v[42:43]
	s_addc_u32 s93, s19, 0
	s_and_b64 s[2:3], s[2:3], s[46:47]
	v_cmp_eq_u64_e64 s[50:51], 3, v[44:45]
	v_cmp_eq_u64_e64 s[52:53], 3, v[46:47]
	v_cndmask_b32_e64 v3, 0, 1, s[2:3]
	s_and_b64 s[2:3], s[14:15], s[48:49]
	v_cndmask_b32_e64 v14, 0, 1, s[2:3]
	s_and_b64 s[2:3], s[16:17], s[50:51]
	s_and_b64 s[0:1], s[0:1], s[52:53]
	v_cndmask_b32_e64 v15, 0, 1, s[2:3]
	v_cndmask_b32_e64 v18, 0, 1, s[0:1]
	v_cmp_ne_u32_e64 s[0:1], 0, v3
	v_cmp_ne_u32_e64 s[2:3], 0, v14
	v_cmp_ne_u32_e64 s[14:15], 0, v15
	v_cmp_ne_u32_e64 s[16:17], 0, v18
	s_bcnt1_i32_b64 s0, s[0:1]
	s_bcnt1_i32_b64 s1, s[2:3]
	;; [unrolled: 1-line block ×4, first 2 shown]
	s_add_u32 s0, s0, s8
	s_addc_u32 s8, 0, s9
	s_add_u32 s0, s0, s1
	s_addc_u32 s1, s8, 0
	;; [unrolled: 2-line block ×5, first 2 shown]
	v_mov_b64_e32 v[8:9], s[6:7]
	v_mov_b64_e32 v[10:11], s[80:81]
	;; [unrolled: 1-line block ×3, first 2 shown]
	s_or_b64 s[12:13], vcc, s[12:13]
	v_mov_b64_e32 v[14:15], s[8:9]
	s_andn2_b64 exec, exec, s[12:13]
	s_cbranch_execnz .LBB29_58
; %bb.59:                               ;   in Loop: Header=BB29_16 Depth=1
	s_or_b64 exec, exec, s[12:13]
	v_readlane_b32 s80, v68, 46
	v_readlane_b32 s88, v68, 48
	s_mov_b64 s[92:93], s[64:65]
	v_readlane_b32 s81, v68, 47
	v_readlane_b32 s89, v68, 49
.LBB29_60:                              ;   in Loop: Header=BB29_16 Depth=1
	s_or_b64 exec, exec, s[54:55]
	v_lshl_add_u64 v[4:5], s[28:29], 0, v[0:1]
	v_cmp_gt_i64_e32 vcc, s[56:57], v[4:5]
	s_and_saveexec_b64 s[2:3], vcc
	s_cbranch_execz .LBB29_66
; %bb.61:                               ;   in Loop: Header=BB29_16 Depth=1
	v_mul_lo_u32 v3, v5, s62
	v_mul_lo_u32 v18, v4, s63
	v_mad_u64_u32 v[42:43], s[0:1], v4, s62, 0
	v_add3_u32 v43, v43, v18, v3
	v_lshl_add_u64 v[42:43], v[42:43], 3, s[92:93]
	global_load_dwordx2 v[44:45], v[42:43], off
	v_lshl_add_u64 v[42:43], v[36:37], 0, s[98:99]
	v_readlane_b32 s0, v68, 44
	v_mov_b32_e32 v3, s79
	v_subrev_co_u32_e32 v18, vcc, s78, v42
	v_readlane_b32 s1, v68, 45
	s_nop 0
	v_subb_co_u32_e32 v3, vcc, v43, v3, vcc
	v_readlane_b32 s6, v68, 42
	v_mov_b64_e32 v[42:43], s[0:1]
	v_readlane_b32 s7, v68, 43
	v_mad_u64_u32 v[42:43], s[0:1], s6, v18, v[42:43]
	v_mul_lo_u32 v3, s6, v3
	v_mul_lo_u32 v46, s7, v18
	s_mul_i32 s0, s7, s98
	s_mul_hi_u32 s1, s6, s98
	v_add3_u32 v43, v46, v43, v3
	s_add_i32 s7, s1, s0
	s_mul_i32 s6, s6, s98
	s_mov_b64 s[8:9], 0
	s_branch .LBB29_63
.LBB29_62:                              ;   in Loop: Header=BB29_63 Depth=2
	s_or_b64 exec, exec, s[12:13]
	s_waitcnt vmcnt(0)
	v_xor_b32_e32 v45, 0x80000000, v45
	v_and_b32_e32 v61, v45, v39
	v_and_b32_e32 v60, v44, v38
	v_lshrrev_b64 v[44:45], s91, v[44:45]
	s_and_b64 s[0:1], exec, vcc
	v_and_b32_e32 v18, 3, v44
	s_or_b64 s[8:9], s[0:1], s[8:9]
	v_cmp_eq_u64_e32 vcc, v[60:61], v[30:31]
	v_cmp_eq_u64_e64 s[0:1], 0, v[18:19]
	s_and_b64 s[0:1], vcc, s[0:1]
	v_lshl_add_u64 v[42:43], v[42:43], 0, s[6:7]
	v_cndmask_b32_e64 v3, 0, 1, s[0:1]
	v_cmp_ne_u32_e64 s[0:1], 0, v3
	s_bcnt1_i32_b64 s84, s[0:1]
	v_cmp_eq_u64_e64 s[0:1], 1, v[18:19]
	s_and_b64 s[0:1], vcc, s[0:1]
	v_lshl_add_u64 v[8:9], s[84:85], 0, v[8:9]
	v_cndmask_b32_e64 v3, 0, 1, s[0:1]
	v_cmp_ne_u32_e64 s[0:1], 0, v3
	s_bcnt1_i32_b64 s84, s[0:1]
	;; [unrolled: 6-line block ×3, first 2 shown]
	v_cmp_eq_u64_e64 s[0:1], 3, v[18:19]
	s_and_b64 s[0:1], vcc, s[0:1]
	v_lshl_add_u64 v[12:13], s[84:85], 0, v[12:13]
	v_cndmask_b32_e64 v3, 0, 1, s[0:1]
	v_cmp_ne_u32_e32 vcc, 0, v3
	s_bcnt1_i32_b64 s84, vcc
	v_lshl_add_u64 v[14:15], s[84:85], 0, v[14:15]
	v_mov_b64_e32 v[44:45], v[46:47]
	s_andn2_b64 exec, exec, s[8:9]
	s_cbranch_execz .LBB29_65
.LBB29_63:                              ;   Parent Loop BB29_16 Depth=1
                                        ; =>  This Inner Loop Header: Depth=2
	v_lshl_add_u64 v[4:5], v[4:5], 0, s[98:99]
	v_cmp_gt_i64_e64 s[0:1], s[56:57], v[4:5]
	v_cmp_le_i64_e32 vcc, s[56:57], v[4:5]
	v_mov_b64_e32 v[46:47], 0
	s_and_saveexec_b64 s[12:13], s[0:1]
	s_cbranch_execz .LBB29_62
; %bb.64:                               ;   in Loop: Header=BB29_63 Depth=2
	global_load_dwordx2 v[46:47], v[42:43], off
	s_branch .LBB29_62
.LBB29_65:                              ;   in Loop: Header=BB29_16 Depth=1
	s_or_b64 exec, exec, s[8:9]
.LBB29_66:                              ;   in Loop: Header=BB29_16 Depth=1
	s_or_b64 exec, exec, s[2:3]
	s_branch .LBB29_45
.LBB29_67:                              ;   in Loop: Header=BB29_16 Depth=1
	global_load_ushort v3, v19, s[88:89]
	v_mov_b64_e32 v[8:9], 0
	v_mov_b64_e32 v[10:11], 0
	;; [unrolled: 1-line block ×4, first 2 shown]
	s_waitcnt vmcnt(0)
	v_readfirstlane_b32 s0, v3
	s_and_b32 s73, 0xffff, s0
	s_lshl_b32 s84, s73, 2
	v_cvt_f32_u32_e32 v4, s84
	s_sub_i32 s0, 0, s84
	v_rcp_iflag_f32_e32 v4, v4
	s_nop 0
	v_mul_f32_e32 v4, 0x4f7ffffe, v4
	v_cvt_u32_f32_e32 v4, v4
	s_nop 0
	v_readfirstlane_b32 s1, v4
	s_mul_i32 s0, s0, s1
	s_mul_hi_u32 s0, s1, s0
	s_add_i32 s1, s1, s0
	s_mul_hi_u32 s0, s72, s1
	s_mul_i32 s1, s0, s84
	s_sub_i32 s1, s72, s1
	s_add_i32 s2, s0, 1
	s_sub_i32 s3, s1, s84
	s_cmp_ge_u32 s1, s84
	s_cselect_b32 s0, s2, s0
	s_cselect_b32 s1, s3, s1
	s_add_i32 s2, s0, 1
	s_cmp_ge_u32 s1, s84
	s_cselect_b32 s0, s2, s0
	s_mul_hi_u32 s7, s73, s0
	s_mul_i32 s6, s73, s0
	s_lshl_b64 s[8:9], s[6:7], 2
	v_cmp_gt_u64_e32 vcc, s[8:9], v[22:23]
	s_and_saveexec_b64 s[12:13], vcc
	s_cbranch_execz .LBB29_71
; %bb.68:                               ;   in Loop: Header=BB29_16 Depth=1
	s_lshl_b32 s7, s73, 5
	s_mov_b64 s[28:29], 0
	v_mov_b32_e32 v55, v53
	s_mov_b64 s[54:55], 0
	s_mov_b64 s[78:79], 0
	;; [unrolled: 1-line block ×4, first 2 shown]
	v_mov_b64_e32 v[4:5], v[22:23]
.LBB29_69:                              ;   Parent Loop BB29_16 Depth=1
                                        ; =>  This Inner Loop Header: Depth=2
	ds_read_b128 v[12:15], v55
	ds_read_b128 v[8:11], v55 offset:16
	v_mov_b32_e32 v43, v19
	v_mov_b32_e32 v45, v19
	;; [unrolled: 1-line block ×3, first 2 shown]
	s_waitcnt lgkmcnt(1)
	v_xor_b32_e32 v13, 0x80000000, v13
	v_xor_b32_e32 v15, 0x80000000, v15
	v_and_b32_e32 v60, v12, v38
	v_and_b32_e32 v61, v13, v39
	v_lshrrev_b64 v[12:13], s91, v[12:13]
	s_waitcnt lgkmcnt(0)
	v_xor_b32_e32 v9, 0x80000000, v9
	v_and_b32_e32 v62, v14, v38
	v_and_b32_e32 v63, v15, v39
	v_lshrrev_b64 v[14:15], s91, v[14:15]
	v_and_b32_e32 v18, 3, v12
	v_xor_b32_e32 v11, 0x80000000, v11
	v_and_b32_e32 v64, v8, v38
	v_and_b32_e32 v65, v9, v39
	v_lshrrev_b64 v[8:9], s91, v[8:9]
	v_cmp_eq_u64_e64 s[18:19], v[60:61], v[30:31]
	v_and_b32_e32 v42, 3, v14
	v_cmp_eq_u64_e64 s[2:3], 0, v[18:19]
	v_and_b32_e32 v66, v10, v38
	v_and_b32_e32 v67, v11, v39
	v_lshrrev_b64 v[10:11], s91, v[10:11]
	v_cmp_eq_u64_e64 s[16:17], v[62:63], v[30:31]
	v_and_b32_e32 v44, 3, v8
	v_cmp_eq_u64_e64 s[30:31], 0, v[42:43]
	s_and_b64 s[2:3], s[18:19], s[2:3]
	v_cmp_eq_u64_e64 s[14:15], v[64:65], v[30:31]
	v_and_b32_e32 v46, 3, v10
	v_cmp_eq_u64_e64 s[34:35], 0, v[44:45]
	v_cndmask_b32_e64 v8, 0, 1, s[2:3]
	s_and_b64 s[2:3], s[16:17], s[30:31]
	v_cmp_eq_u64_e64 s[0:1], v[66:67], v[30:31]
	v_cmp_eq_u64_e64 s[36:37], 0, v[46:47]
	v_cndmask_b32_e64 v9, 0, 1, s[2:3]
	s_and_b64 s[2:3], s[14:15], s[34:35]
	v_cndmask_b32_e64 v10, 0, 1, s[2:3]
	s_and_b64 s[2:3], s[0:1], s[36:37]
	v_cndmask_b32_e64 v11, 0, 1, s[2:3]
	v_cmp_ne_u32_e64 s[2:3], 0, v8
	v_cmp_ne_u32_e64 s[30:31], 0, v9
	;; [unrolled: 1-line block ×4, first 2 shown]
	s_bcnt1_i32_b64 s2, s[2:3]
	s_bcnt1_i32_b64 s3, s[30:31]
	s_bcnt1_i32_b64 s30, s[34:35]
	s_bcnt1_i32_b64 s31, s[36:37]
	s_add_u32 s2, s2, s88
	s_addc_u32 s34, 0, s89
	s_add_u32 s2, s2, s3
	s_addc_u32 s3, s34, 0
	;; [unrolled: 2-line block ×3, first 2 shown]
	v_cmp_eq_u64_e64 s[38:39], 1, v[18:19]
	s_add_u32 s88, s2, s31
	v_cmp_eq_u64_e64 s[40:41], 1, v[42:43]
	s_addc_u32 s89, s3, 0
	s_and_b64 s[2:3], s[18:19], s[38:39]
	v_cmp_eq_u64_e64 s[42:43], 1, v[44:45]
	v_cndmask_b32_e64 v10, 0, 1, s[2:3]
	s_and_b64 s[2:3], s[16:17], s[40:41]
	v_cmp_eq_u64_e64 s[44:45], 1, v[46:47]
	v_cndmask_b32_e64 v11, 0, 1, s[2:3]
	s_and_b64 s[2:3], s[14:15], s[42:43]
	v_cndmask_b32_e64 v12, 0, 1, s[2:3]
	s_and_b64 s[2:3], s[0:1], s[44:45]
	v_cndmask_b32_e64 v13, 0, 1, s[2:3]
	v_cmp_ne_u32_e64 s[2:3], 0, v10
	v_cmp_ne_u32_e64 s[30:31], 0, v11
	;; [unrolled: 1-line block ×4, first 2 shown]
	s_bcnt1_i32_b64 s2, s[2:3]
	s_bcnt1_i32_b64 s3, s[30:31]
	;; [unrolled: 1-line block ×4, first 2 shown]
	s_add_u32 s2, s2, s80
	s_addc_u32 s34, 0, s81
	s_add_u32 s2, s2, s3
	s_addc_u32 s3, s34, 0
	;; [unrolled: 2-line block ×3, first 2 shown]
	v_cmp_eq_u64_e64 s[46:47], 2, v[18:19]
	s_add_u32 s80, s2, s31
	v_cmp_eq_u64_e64 s[48:49], 2, v[42:43]
	s_addc_u32 s81, s3, 0
	s_and_b64 s[2:3], s[18:19], s[46:47]
	v_cmp_eq_u64_e64 s[50:51], 2, v[44:45]
	v_cndmask_b32_e64 v12, 0, 1, s[2:3]
	s_and_b64 s[2:3], s[16:17], s[48:49]
	v_cmp_eq_u64_e64 s[52:53], 2, v[46:47]
	v_cndmask_b32_e64 v13, 0, 1, s[2:3]
	s_and_b64 s[2:3], s[14:15], s[50:51]
	v_cndmask_b32_e64 v14, 0, 1, s[2:3]
	s_and_b64 s[2:3], s[0:1], s[52:53]
	v_cndmask_b32_e64 v15, 0, 1, s[2:3]
	v_cmp_ne_u32_e64 s[2:3], 0, v12
	v_cmp_ne_u32_e64 s[30:31], 0, v13
	v_cmp_ne_u32_e64 s[34:35], 0, v14
	v_cmp_ne_u32_e64 s[36:37], 0, v15
	s_bcnt1_i32_b64 s2, s[2:3]
	s_bcnt1_i32_b64 s3, s[30:31]
	;; [unrolled: 1-line block ×4, first 2 shown]
	s_add_u32 s2, s2, s78
	s_addc_u32 s34, 0, s79
	s_add_u32 s2, s2, s3
	s_addc_u32 s3, s34, 0
	;; [unrolled: 2-line block ×3, first 2 shown]
	v_cmp_eq_u64_e64 s[26:27], 3, v[18:19]
	s_add_u32 s78, s2, s31
	v_cmp_eq_u64_e64 s[24:25], 3, v[42:43]
	s_addc_u32 s79, s3, 0
	s_and_b64 s[2:3], s[18:19], s[26:27]
	v_cmp_eq_u64_e64 s[22:23], 3, v[44:45]
	v_cmp_eq_u64_e64 s[20:21], 3, v[46:47]
	v_cndmask_b32_e64 v14, 0, 1, s[2:3]
	s_and_b64 s[2:3], s[16:17], s[24:25]
	v_cndmask_b32_e64 v15, 0, 1, s[2:3]
	s_and_b64 s[2:3], s[14:15], s[22:23]
	s_and_b64 s[0:1], s[0:1], s[20:21]
	v_cndmask_b32_e64 v18, 0, 1, s[2:3]
	v_cndmask_b32_e64 v42, 0, 1, s[0:1]
	v_cmp_ne_u32_e64 s[0:1], 0, v14
	v_cmp_ne_u32_e64 s[2:3], 0, v15
	;; [unrolled: 1-line block ×4, first 2 shown]
	s_bcnt1_i32_b64 s0, s[0:1]
	s_bcnt1_i32_b64 s1, s[2:3]
	;; [unrolled: 1-line block ×4, first 2 shown]
	s_add_u32 s0, s0, s54
	s_addc_u32 s14, 0, s55
	s_add_u32 s0, s0, s1
	s_addc_u32 s1, s14, 0
	;; [unrolled: 2-line block ×3, first 2 shown]
	v_lshl_add_u64 v[4:5], v[4:5], 0, s[84:85]
	s_add_u32 s54, s0, s3
	v_cmp_le_u64_e32 vcc, s[8:9], v[4:5]
	s_addc_u32 s55, s1, 0
	v_add_u32_e32 v55, s7, v55
	v_mov_b64_e32 v[8:9], s[88:89]
	v_mov_b64_e32 v[10:11], s[80:81]
	;; [unrolled: 1-line block ×3, first 2 shown]
	s_or_b64 s[28:29], vcc, s[28:29]
	v_mov_b64_e32 v[14:15], s[54:55]
	s_andn2_b64 exec, exec, s[28:29]
	s_cbranch_execnz .LBB29_69
; %bb.70:                               ;   in Loop: Header=BB29_16 Depth=1
	s_or_b64 exec, exec, s[28:29]
	v_readlane_b32 s80, v68, 46
	v_readlane_b32 s88, v68, 48
	;; [unrolled: 1-line block ×4, first 2 shown]
.LBB29_71:                              ;   in Loop: Header=BB29_16 Depth=1
	s_or_b64 exec, exec, s[12:13]
	s_and_b32 s12, s72, 0x7fffffff
	s_mov_b32 s13, s85
	v_lshl_add_u64 v[42:43], s[8:9], 0, v[0:1]
	v_and_b32_e32 v4, 0xffff, v3
	v_mov_b32_e32 v5, v19
	v_cmp_gt_u64_e32 vcc, s[12:13], v[42:43]
	s_and_saveexec_b64 s[8:9], vcc
	s_cbranch_execz .LBB29_75
; %bb.72:                               ;   in Loop: Header=BB29_16 Depth=1
	v_lshl_add_u32 v3, s6, 5, v49
	s_lshl_b32 s20, s73, 3
	s_mov_b64 s[6:7], 0
.LBB29_73:                              ;   Parent Loop BB29_16 Depth=1
                                        ; =>  This Inner Loop Header: Depth=2
	ds_read_b64 v[44:45], v3
	v_lshl_add_u64 v[42:43], v[42:43], 0, v[4:5]
	v_cmp_le_u64_e32 vcc, s[12:13], v[42:43]
	v_add_u32_e32 v3, s20, v3
	s_waitcnt lgkmcnt(0)
	v_xor_b32_e32 v45, 0x80000000, v45
	v_and_b32_e32 v46, v44, v38
	v_and_b32_e32 v47, v45, v39
	v_lshrrev_b64 v[44:45], s91, v[44:45]
	v_and_b32_e32 v18, 3, v44
	v_cmp_eq_u64_e64 s[0:1], v[46:47], v[30:31]
	v_cmp_eq_u64_e64 s[2:3], 0, v[18:19]
	;; [unrolled: 1-line block ×3, first 2 shown]
	s_and_b64 s[2:3], s[0:1], s[2:3]
	v_cmp_eq_u64_e64 s[16:17], 2, v[18:19]
	v_cmp_eq_u64_e64 s[18:19], 3, v[18:19]
	v_cndmask_b32_e64 v18, 0, 1, s[2:3]
	s_and_b64 s[2:3], s[0:1], s[14:15]
	v_cndmask_b32_e64 v44, 0, 1, s[2:3]
	s_and_b64 s[2:3], s[0:1], s[16:17]
	s_and_b64 s[0:1], s[0:1], s[18:19]
	v_cndmask_b32_e64 v46, 0, 1, s[0:1]
	v_cmp_ne_u32_e64 s[0:1], 0, v18
	v_cndmask_b32_e64 v45, 0, 1, s[2:3]
	v_cmp_ne_u32_e64 s[2:3], 0, v44
	s_bcnt1_i32_b64 s84, s[0:1]
	v_cmp_ne_u32_e64 s[14:15], 0, v45
	v_lshl_add_u64 v[8:9], s[84:85], 0, v[8:9]
	s_bcnt1_i32_b64 s84, s[2:3]
	v_cmp_ne_u32_e64 s[16:17], 0, v46
	v_lshl_add_u64 v[10:11], s[84:85], 0, v[10:11]
	s_bcnt1_i32_b64 s84, s[14:15]
	v_lshl_add_u64 v[12:13], s[84:85], 0, v[12:13]
	s_bcnt1_i32_b64 s84, s[16:17]
	s_or_b64 s[6:7], vcc, s[6:7]
	v_lshl_add_u64 v[14:15], s[84:85], 0, v[14:15]
	s_andn2_b64 exec, exec, s[6:7]
	s_cbranch_execnz .LBB29_73
; %bb.74:                               ;   in Loop: Header=BB29_16 Depth=1
	s_or_b64 exec, exec, s[6:7]
.LBB29_75:                              ;   in Loop: Header=BB29_16 Depth=1
	s_or_b64 exec, exec, s[8:9]
	s_lshl_b32 s2, s96, 6
	s_and_saveexec_b64 s[0:1], s[4:5]
	s_cbranch_execnz .LBB29_46
	s_branch .LBB29_47
.LBB29_76:                              ;   in Loop: Header=BB29_16 Depth=1
                                        ; implicit-def: $sgpr78_sgpr79
	s_branch .LBB29_55
.LBB29_77:                              ;   in Loop: Header=BB29_16 Depth=1
	s_or_b64 exec, exec, s[8:9]
	s_waitcnt lgkmcnt(0)
	s_barrier
	s_mov_b64 s[0:1], exec
	v_readlane_b32 s2, v68, 12
	v_readlane_b32 s3, v68, 13
	s_and_b64 s[2:3], s[0:1], s[2:3]
	s_mov_b64 exec, s[2:3]
	s_cbranch_execz .LBB29_79
; %bb.78:                               ;   in Loop: Header=BB29_16 Depth=1
	ds_read_b32 v4, v19 offset:5136
	s_waitcnt lgkmcnt(0)
	v_ashrrev_i32_e32 v5, 31, v4
	ds_write_b64 v19, v[4:5] offset:5120
.LBB29_79:                              ;   in Loop: Header=BB29_16 Depth=1
	s_or_b64 exec, exec, s[0:1]
	s_waitcnt lgkmcnt(0)
	s_barrier
	s_mov_b64 s[0:1], -1
	s_and_b64 vcc, exec, s[6:7]
	s_cbranch_vccnz .LBB29_32
	s_branch .LBB29_41
.LBB29_80:                              ;   in Loop: Header=BB29_16 Depth=1
	s_mov_b32 s3, 0
	v_mov_b64_e32 v[4:5], 0
.LBB29_81:                              ;   in Loop: Header=BB29_16 Depth=1
	v_readlane_b32 s6, v68, 40
	v_readlane_b32 s7, v68, 41
	s_andn2_b64 vcc, exec, s[6:7]
	s_cbranch_vccnz .LBB29_84
; %bb.82:                               ;   in Loop: Header=BB29_16 Depth=1
	s_lshl_b32 s6, s96, 9
	s_lshl_b32 s3, s3, 5
	s_add_i32 s6, s6, s3
	v_add_u32_e32 v3, s6, v54
	v_readlane_b32 s3, v68, 39
.LBB29_83:                              ;   Parent Loop BB29_16 Depth=1
                                        ; =>  This Inner Loop Header: Depth=2
	ds_read_b64 v[8:9], v3
	s_add_i32 s3, s3, -1
	v_add_u32_e32 v3, 32, v3
	s_cmp_lg_u32 s3, 0
	s_waitcnt lgkmcnt(0)
	v_lshl_add_u64 v[4:5], v[8:9], 0, v[4:5]
	s_cbranch_scc1 .LBB29_83
.LBB29_84:                              ;   in Loop: Header=BB29_16 Depth=1
	v_add_lshl_u32 v3, s2, v48, 3
	ds_write_b64 v3, v[4:5] offset:3072
.LBB29_85:                              ;   in Loop: Header=BB29_16 Depth=1
	s_or_b64 exec, exec, s[0:1]
	s_lshl_b32 s0, s2, 3
	v_mov_b32_e32 v3, s0
	s_waitcnt lgkmcnt(0)
	s_barrier
	ds_read_b128 v[12:15], v3 offset:3088
	ds_read_b128 v[8:11], v3 offset:3072
	s_lshl_b64 s[14:15], 3, s91
	v_cmp_eq_u64_e64 s[0:1], 1, v[40:41]
	s_not_b64 s[24:25], s[14:15]
	s_waitcnt lgkmcnt(1)
	v_readfirstlane_b32 s22, v12
	s_waitcnt lgkmcnt(0)
	v_cmp_eq_u64_e32 vcc, 1, v[8:9]
	v_readfirstlane_b32 s23, v13
	v_readfirstlane_b32 s2, v14
	v_readfirstlane_b32 s3, v15
	s_and_b64 s[18:19], vcc, s[0:1]
	s_mov_b64 s[0:1], -1
	s_mov_b64 s[12:13], -1
                                        ; implicit-def: $sgpr8_sgpr9
                                        ; implicit-def: $sgpr6_sgpr7
	s_and_saveexec_b64 s[16:17], s[18:19]
	s_cbranch_execz .LBB29_117
; %bb.86:                               ;   in Loop: Header=BB29_16 Depth=1
	ds_read_b64 v[4:5], v19 offset:5120
	s_waitcnt lgkmcnt(0)
	s_barrier
	v_readfirstlane_b32 s20, v4
	v_readfirstlane_b32 s21, v5
	s_mov_b64 s[6:7], exec
	v_readlane_b32 s8, v68, 24
	v_readlane_b32 s9, v68, 25
	s_and_b64 s[8:9], s[6:7], s[8:9]
	s_mov_b64 exec, s[8:9]
; %bb.87:                               ;   in Loop: Header=BB29_16 Depth=1
	ds_write_b64 v50, v[58:59]
; %bb.88:                               ;   in Loop: Header=BB29_16 Depth=1
	s_or_b64 exec, exec, s[6:7]
	v_cmp_lt_i64_e64 s[12:13], s[20:21], 1
	v_and_b32_e32 v31, s25, v31
	v_and_b32_e32 v30, s24, v30
	v_or_b32_e32 v39, s15, v39
	v_or_b32_e32 v38, s14, v38
	s_mov_b64 s[6:7], -1
	s_mov_b64 s[8:9], 0
	s_and_b64 vcc, exec, s[12:13]
	s_mov_b64 s[12:13], 0
	s_mov_b64 s[26:27], -1
	s_waitcnt lgkmcnt(0)
	s_barrier
                                        ; implicit-def: $vgpr6_vgpr7
	s_cbranch_vccz .LBB29_102
; %bb.89:                               ;   in Loop: Header=BB29_16 Depth=1
	s_mov_b32 s94, s85
	s_cmp_lg_u64 s[94:95], 0
	s_cbranch_scc0 .LBB29_143
; %bb.90:                               ;   in Loop: Header=BB29_16 Depth=1
	s_add_u32 s12, s82, 0
	s_addc_u32 s13, 0, 0
	s_xor_b64 s[12:13], s[12:13], 0
	v_cvt_f32_u32_e32 v3, s12
	v_cvt_f32_u32_e32 v4, s13
	s_sub_u32 s28, 0, s12
	s_subb_u32 s29, 0, s13
	v_fmac_f32_e32 v3, 0x4f800000, v4
	v_rcp_f32_e32 v3, v3
	s_nop 0
	v_mul_f32_e32 v3, 0x5f7ffffc, v3
	v_mul_f32_e32 v4, 0x2f800000, v3
	v_trunc_f32_e32 v4, v4
	v_fmac_f32_e32 v3, 0xcf800000, v4
	v_cvt_u32_f32_e32 v4, v4
	v_cvt_u32_f32_e32 v3, v3
	v_readfirstlane_b32 s30, v4
	v_readfirstlane_b32 s26, v3
	s_mul_i32 s27, s28, s30
	s_mul_hi_u32 s34, s28, s26
	s_mul_i32 s31, s29, s26
	s_add_i32 s27, s34, s27
	s_mul_i32 s35, s28, s26
	s_add_i32 s27, s27, s31
	s_mul_i32 s34, s26, s27
	s_mul_hi_u32 s36, s26, s35
	s_mul_hi_u32 s31, s26, s27
	s_add_u32 s34, s36, s34
	s_addc_u32 s31, 0, s31
	s_mul_hi_u32 s37, s30, s35
	s_mul_i32 s35, s30, s35
	s_add_u32 s34, s34, s35
	s_mul_hi_u32 s36, s30, s27
	s_addc_u32 s31, s31, s37
	s_addc_u32 s34, s36, 0
	s_mul_i32 s27, s30, s27
	s_add_u32 s27, s31, s27
	s_addc_u32 s31, 0, s34
	s_add_u32 s34, s26, s27
	s_cselect_b64 s[26:27], -1, 0
	s_cmp_lg_u64 s[26:27], 0
	s_addc_u32 s30, s30, s31
	s_mul_i32 s26, s28, s30
	s_mul_hi_u32 s27, s28, s34
	s_add_i32 s26, s27, s26
	s_mul_i32 s29, s29, s34
	s_add_i32 s26, s26, s29
	s_mul_i32 s28, s28, s34
	s_mul_hi_u32 s29, s30, s28
	s_mul_i32 s31, s30, s28
	s_mul_i32 s36, s34, s26
	s_mul_hi_u32 s28, s34, s28
	s_mul_hi_u32 s35, s34, s26
	s_add_u32 s28, s28, s36
	s_addc_u32 s35, 0, s35
	s_add_u32 s28, s28, s31
	s_mul_hi_u32 s27, s30, s26
	s_addc_u32 s28, s35, s29
	s_addc_u32 s27, s27, 0
	s_mul_i32 s26, s30, s26
	s_add_u32 s26, s28, s26
	s_addc_u32 s28, 0, s27
	s_add_u32 s31, s34, s26
	s_cselect_b64 s[26:27], -1, 0
	s_cmp_lg_u64 s[26:27], 0
	s_addc_u32 s30, s30, s28
	s_ashr_i32 s26, s95, 31
	v_readlane_b32 s28, v68, 35
	s_add_u32 s28, s28, s26
	s_mov_b32 s27, s26
	s_addc_u32 s29, s95, s26
	s_xor_b64 s[28:29], s[28:29], s[26:27]
	s_mul_i32 s35, s28, s30
	s_mul_hi_u32 s36, s28, s31
	s_mul_hi_u32 s34, s28, s30
	s_add_u32 s35, s36, s35
	s_addc_u32 s34, 0, s34
	s_mul_hi_u32 s37, s29, s31
	s_mul_i32 s31, s29, s31
	s_add_u32 s31, s35, s31
	s_mul_hi_u32 s36, s29, s30
	s_addc_u32 s31, s34, s37
	s_addc_u32 s34, s36, 0
	s_mul_i32 s30, s29, s30
	s_add_u32 s30, s31, s30
	s_addc_u32 s31, 0, s34
	s_mul_i32 s31, s12, s31
	s_mul_hi_u32 s34, s12, s30
	s_add_i32 s31, s34, s31
	s_mul_i32 s34, s13, s30
	s_add_i32 s36, s31, s34
	s_sub_i32 s34, s29, s36
	s_mul_i32 s30, s12, s30
	s_sub_u32 s28, s28, s30
	s_cselect_b64 s[30:31], -1, 0
	s_cmp_lg_u64 s[30:31], 0
	s_subb_u32 s37, s34, s13
	s_sub_u32 s38, s28, s12
	s_cselect_b64 s[34:35], -1, 0
	s_cmp_lg_u64 s[34:35], 0
	s_subb_u32 s39, s37, 0
	s_cmp_ge_u32 s39, s13
	s_cselect_b32 s40, -1, 0
	s_cmp_ge_u32 s38, s12
	s_cselect_b32 s41, -1, 0
	s_cmp_eq_u32 s39, s13
	s_cselect_b32 s40, s41, s40
	s_cmp_lg_u64 s[34:35], 0
	s_subb_u32 s37, s37, s13
	s_sub_u32 s41, s38, s12
	s_cselect_b64 s[34:35], -1, 0
	s_cmp_lg_u64 s[34:35], 0
	s_subb_u32 s34, s37, 0
	s_cmp_lg_u32 s40, 0
	s_cselect_b32 s35, s41, s38
	s_cselect_b32 s34, s34, s39
	s_cmp_lg_u64 s[30:31], 0
	s_subb_u32 s29, s29, s36
	s_cmp_ge_u32 s29, s13
	s_cselect_b32 s30, -1, 0
	s_cmp_ge_u32 s28, s12
	s_cselect_b32 s12, -1, 0
	s_cmp_eq_u32 s29, s13
	s_cselect_b32 s12, s12, s30
	s_cmp_lg_u32 s12, 0
	s_cselect_b32 s13, s34, s29
	s_cselect_b32 s12, s35, s28
	s_xor_b64 s[12:13], s[12:13], s[26:27]
	s_sub_u32 s12, s12, s26
	s_subb_u32 s13, s13, s26
	s_cbranch_execnz .LBB29_92
.LBB29_91:                              ;   in Loop: Header=BB29_16 Depth=1
	v_cvt_f32_u32_e32 v3, s82
	s_sub_i32 s12, 0, s82
	v_readlane_b32 s26, v68, 35
	v_rcp_iflag_f32_e32 v3, v3
	s_nop 0
	v_mul_f32_e32 v3, 0x4f7ffffe, v3
	v_cvt_u32_f32_e32 v3, v3
	s_nop 0
	v_readfirstlane_b32 s13, v3
	s_mul_i32 s12, s12, s13
	s_mul_hi_u32 s12, s13, s12
	s_add_i32 s13, s13, s12
	s_mul_hi_u32 s12, s26, s13
	s_mul_i32 s12, s12, s82
	s_sub_i32 s12, s26, s12
	s_sub_i32 s13, s12, s82
	s_cmp_ge_u32 s12, s82
	s_cselect_b32 s12, s13, s12
	s_sub_i32 s13, s12, s82
	s_cmp_ge_u32 s12, s82
	s_cselect_b32 s84, s13, s12
	s_mov_b64 s[12:13], s[84:85]
.LBB29_92:                              ;   in Loop: Header=BB29_16 Depth=1
	v_readlane_b32 s26, v68, 35
	s_sub_u32 s30, s26, s12
	s_subb_u32 s31, s95, s13
	v_cmp_gt_i64_e32 vcc, s[30:31], v[0:1]
	s_mov_b64 s[26:27], 0
	s_mov_b64 s[12:13], 0
                                        ; implicit-def: $vgpr6_vgpr7
	s_and_saveexec_b64 s[28:29], vcc
	s_cbranch_execz .LBB29_101
; %bb.93:                               ;   in Loop: Header=BB29_16 Depth=1
	v_mov_b64_e32 v[12:13], v[16:17]
	v_mov_b64_e32 v[14:15], v[0:1]
                                        ; implicit-def: $sgpr34_sgpr35
	s_branch .LBB29_96
.LBB29_94:                              ;   in Loop: Header=BB29_96 Depth=2
	s_or_b64 exec, exec, s[36:37]
	s_waitcnt lgkmcnt(0)
	s_barrier
	ds_read_b128 v[4:7], v19 offset:3072
	s_mov_b64 s[36:37], -1
	s_mov_b64 s[38:39], -1
	s_waitcnt lgkmcnt(0)
	s_barrier
	v_cmp_ne_u64_e32 vcc, 0, v[4:5]
	s_cbranch_vccz .LBB29_99
.LBB29_95:                              ;   in Loop: Header=BB29_96 Depth=2
	s_and_b64 s[36:37], exec, s[36:37]
	s_or_b64 s[12:13], s[36:37], s[12:13]
	s_andn2_b64 s[34:35], s[34:35], exec
	s_and_b64 s[36:37], s[38:39], exec
	s_or_b64 s[34:35], s[34:35], s[36:37]
	s_andn2_b64 exec, exec, s[12:13]
	s_cbranch_execz .LBB29_100
.LBB29_96:                              ;   Parent Loop BB29_16 Depth=1
                                        ; =>  This Inner Loop Header: Depth=2
	v_cmp_gt_i64_e32 vcc, s[56:57], v[14:15]
	s_and_saveexec_b64 s[36:37], vcc
	s_cbranch_execz .LBB29_94
; %bb.97:                               ;   in Loop: Header=BB29_96 Depth=2
	global_load_dwordx2 v[4:5], v[12:13], off
	s_waitcnt vmcnt(0)
	v_xor_b32_e32 v3, 0x80000000, v5
	v_and_b32_e32 v7, v3, v39
	v_and_b32_e32 v6, v4, v38
	v_cmp_eq_u64_e32 vcc, v[6:7], v[30:31]
	s_and_b64 exec, exec, vcc
	s_cbranch_execz .LBB29_94
; %bb.98:                               ;   in Loop: Header=BB29_96 Depth=2
	v_mov_b32_e32 v3, v19
	ds_write_b128 v19, v[2:5] offset:3072
	s_branch .LBB29_94
.LBB29_99:                              ;   in Loop: Header=BB29_96 Depth=2
	v_lshl_add_u64 v[14:15], v[14:15], 0, s[82:83]
	v_cmp_le_i64_e32 vcc, s[30:31], v[14:15]
	v_lshl_add_u64 v[12:13], v[12:13], 0, s[86:87]
	s_mov_b64 s[38:39], 0
	s_orn2_b64 s[36:37], vcc, exec
	s_branch .LBB29_95
.LBB29_100:                             ;   in Loop: Header=BB29_16 Depth=1
	s_or_b64 exec, exec, s[12:13]
	s_and_b64 s[12:13], s[34:35], exec
.LBB29_101:                             ;   in Loop: Header=BB29_16 Depth=1
	s_or_b64 exec, exec, s[28:29]
.LBB29_102:                             ;   in Loop: Header=BB29_16 Depth=1
	s_and_b64 vcc, exec, s[26:27]
	s_cbranch_vccz .LBB29_116
; %bb.103:                              ;   in Loop: Header=BB29_16 Depth=1
	v_readlane_b32 s6, v68, 34
	s_add_u32 s28, s20, s6
	v_readlane_b32 s6, v68, 36
	s_addc_u32 s7, s21, s6
	s_mov_b32 s6, s85
	s_cmp_lg_u64 s[6:7], 0
	s_cbranch_scc0 .LBB29_144
; %bb.104:                              ;   in Loop: Header=BB29_16 Depth=1
	s_add_u32 s8, s82, 0
	s_addc_u32 s9, 0, 0
	s_xor_b64 s[8:9], s[8:9], 0
	v_cvt_f32_u32_e32 v3, s8
	v_cvt_f32_u32_e32 v4, s9
	s_sub_u32 s6, 0, s8
	s_subb_u32 s29, 0, s9
	v_fmac_f32_e32 v3, 0x4f800000, v4
	v_rcp_f32_e32 v3, v3
	s_nop 0
	v_mul_f32_e32 v3, 0x5f7ffffc, v3
	v_mul_f32_e32 v4, 0x2f800000, v3
	v_trunc_f32_e32 v4, v4
	v_fmac_f32_e32 v3, 0xcf800000, v4
	v_cvt_u32_f32_e32 v4, v4
	v_cvt_u32_f32_e32 v3, v3
	v_readfirstlane_b32 s30, v4
	v_readfirstlane_b32 s26, v3
	s_mul_i32 s27, s6, s30
	s_mul_hi_u32 s34, s6, s26
	s_mul_i32 s31, s29, s26
	s_add_i32 s27, s34, s27
	s_mul_i32 s35, s6, s26
	s_add_i32 s27, s27, s31
	s_mul_i32 s34, s26, s27
	s_mul_hi_u32 s36, s26, s35
	s_mul_hi_u32 s31, s26, s27
	s_add_u32 s34, s36, s34
	s_addc_u32 s31, 0, s31
	s_mul_hi_u32 s37, s30, s35
	s_mul_i32 s35, s30, s35
	s_add_u32 s34, s34, s35
	s_mul_hi_u32 s36, s30, s27
	s_addc_u32 s31, s31, s37
	s_addc_u32 s34, s36, 0
	s_mul_i32 s27, s30, s27
	s_add_u32 s27, s31, s27
	s_addc_u32 s31, 0, s34
	s_add_u32 s34, s26, s27
	s_cselect_b64 s[26:27], -1, 0
	s_cmp_lg_u64 s[26:27], 0
	s_addc_u32 s30, s30, s31
	s_mul_i32 s26, s6, s30
	s_mul_hi_u32 s27, s6, s34
	s_add_i32 s26, s27, s26
	s_mul_i32 s29, s29, s34
	s_add_i32 s26, s26, s29
	s_mul_i32 s6, s6, s34
	s_mul_hi_u32 s29, s30, s6
	s_mul_i32 s31, s30, s6
	s_mul_i32 s36, s34, s26
	s_mul_hi_u32 s6, s34, s6
	s_mul_hi_u32 s35, s34, s26
	s_add_u32 s6, s6, s36
	s_addc_u32 s35, 0, s35
	s_add_u32 s6, s6, s31
	s_mul_hi_u32 s27, s30, s26
	s_addc_u32 s6, s35, s29
	s_addc_u32 s27, s27, 0
	s_mul_i32 s26, s30, s26
	s_add_u32 s6, s6, s26
	s_addc_u32 s29, 0, s27
	s_add_u32 s6, s34, s6
	s_cselect_b64 s[26:27], -1, 0
	s_cmp_lg_u64 s[26:27], 0
	s_addc_u32 s29, s30, s29
	s_ashr_i32 s26, s7, 31
	s_add_u32 s30, s28, s26
	s_mov_b32 s27, s26
	s_addc_u32 s31, s7, s26
	s_xor_b64 s[30:31], s[30:31], s[26:27]
	s_mul_i32 s35, s30, s29
	s_mul_hi_u32 s36, s30, s6
	s_mul_hi_u32 s34, s30, s29
	s_add_u32 s35, s36, s35
	s_addc_u32 s34, 0, s34
	s_mul_hi_u32 s37, s31, s6
	s_mul_i32 s6, s31, s6
	s_add_u32 s6, s35, s6
	s_mul_hi_u32 s36, s31, s29
	s_addc_u32 s6, s34, s37
	s_addc_u32 s34, s36, 0
	s_mul_i32 s29, s31, s29
	s_add_u32 s6, s6, s29
	s_addc_u32 s29, 0, s34
	s_mul_i32 s29, s8, s29
	s_mul_hi_u32 s34, s8, s6
	s_add_i32 s29, s34, s29
	s_mul_i32 s34, s9, s6
	s_add_i32 s29, s29, s34
	s_sub_i32 s36, s31, s29
	s_mul_i32 s6, s8, s6
	s_sub_u32 s6, s30, s6
	s_cselect_b64 s[34:35], -1, 0
	s_cmp_lg_u64 s[34:35], 0
	s_subb_u32 s30, s36, s9
	s_sub_u32 s38, s6, s8
	s_cselect_b64 s[36:37], -1, 0
	s_cmp_lg_u64 s[36:37], 0
	s_subb_u32 s39, s30, 0
	s_cmp_ge_u32 s39, s9
	s_cselect_b32 s40, -1, 0
	s_cmp_ge_u32 s38, s8
	s_cselect_b32 s41, -1, 0
	s_cmp_eq_u32 s39, s9
	s_cselect_b32 s40, s41, s40
	s_cmp_lg_u64 s[36:37], 0
	s_subb_u32 s30, s30, s9
	s_sub_u32 s41, s38, s8
	s_cselect_b64 s[36:37], -1, 0
	s_cmp_lg_u64 s[36:37], 0
	s_subb_u32 s30, s30, 0
	s_cmp_lg_u32 s40, 0
	s_cselect_b32 s36, s41, s38
	s_cselect_b32 s30, s30, s39
	s_cmp_lg_u64 s[34:35], 0
	s_subb_u32 s29, s31, s29
	s_cmp_ge_u32 s29, s9
	s_cselect_b32 s31, -1, 0
	s_cmp_ge_u32 s6, s8
	s_cselect_b32 s8, -1, 0
	s_cmp_eq_u32 s29, s9
	s_cselect_b32 s8, s8, s31
	s_cmp_lg_u32 s8, 0
	s_cselect_b32 s9, s30, s29
	s_cselect_b32 s8, s36, s6
	s_xor_b64 s[8:9], s[8:9], s[26:27]
	s_sub_u32 s8, s8, s26
	s_subb_u32 s9, s9, s26
	s_cbranch_execnz .LBB29_106
.LBB29_105:                             ;   in Loop: Header=BB29_16 Depth=1
	v_cvt_f32_u32_e32 v3, s82
	s_sub_i32 s6, 0, s82
	v_rcp_iflag_f32_e32 v3, v3
	s_nop 0
	v_mul_f32_e32 v3, 0x4f7ffffe, v3
	v_cvt_u32_f32_e32 v3, v3
	s_nop 0
	v_readfirstlane_b32 s8, v3
	s_mul_i32 s6, s6, s8
	s_mul_hi_u32 s6, s8, s6
	s_add_i32 s8, s8, s6
	s_mul_hi_u32 s6, s28, s8
	s_mul_i32 s6, s6, s82
	s_sub_i32 s6, s28, s6
	s_sub_i32 s8, s6, s82
	s_cmp_ge_u32 s6, s82
	s_cselect_b32 s6, s8, s6
	s_sub_i32 s8, s6, s82
	s_cmp_ge_u32 s6, s82
	s_cselect_b32 s84, s8, s6
	s_mov_b64 s[8:9], s[84:85]
.LBB29_106:                             ;   in Loop: Header=BB29_16 Depth=1
	s_sub_u32 s8, s28, s8
	s_subb_u32 s9, s7, s9
	v_cmp_gt_i64_e32 vcc, s[8:9], v[0:1]
                                        ; implicit-def: $vgpr6_vgpr7
	s_and_saveexec_b64 s[6:7], vcc
	s_cbranch_execz .LBB29_115
; %bb.107:                              ;   in Loop: Header=BB29_16 Depth=1
	s_mov_b64 s[28:29], 0
	v_mov_b32_e32 v14, v49
	v_mov_b64_e32 v[12:13], v[0:1]
                                        ; implicit-def: $sgpr26_sgpr27
	s_branch .LBB29_110
.LBB29_108:                             ;   in Loop: Header=BB29_110 Depth=2
	s_or_b64 exec, exec, s[30:31]
	s_waitcnt lgkmcnt(0)
	s_barrier
	ds_read_b128 v[4:7], v19 offset:3072
	s_mov_b64 s[30:31], -1
	s_mov_b64 s[34:35], -1
	s_waitcnt lgkmcnt(0)
	s_barrier
	v_cmp_ne_u64_e32 vcc, 0, v[4:5]
	s_cbranch_vccz .LBB29_113
.LBB29_109:                             ;   in Loop: Header=BB29_110 Depth=2
	s_and_b64 s[30:31], exec, s[30:31]
	s_or_b64 s[28:29], s[30:31], s[28:29]
	s_andn2_b64 s[26:27], s[26:27], exec
	s_and_b64 s[30:31], s[34:35], exec
	s_or_b64 s[26:27], s[26:27], s[30:31]
	s_andn2_b64 exec, exec, s[28:29]
	s_cbranch_execz .LBB29_114
.LBB29_110:                             ;   Parent Loop BB29_16 Depth=1
                                        ; =>  This Inner Loop Header: Depth=2
	v_cmp_gt_u64_e32 vcc, s[20:21], v[12:13]
	s_and_saveexec_b64 s[30:31], vcc
	s_cbranch_execz .LBB29_108
; %bb.111:                              ;   in Loop: Header=BB29_110 Depth=2
	ds_read_b64 v[4:5], v14
	s_waitcnt lgkmcnt(0)
	v_xor_b32_e32 v3, 0x80000000, v5
	v_and_b32_e32 v7, v3, v39
	v_and_b32_e32 v6, v4, v38
	v_cmp_eq_u64_e32 vcc, v[6:7], v[30:31]
	s_and_b64 exec, exec, vcc
	s_cbranch_execz .LBB29_108
; %bb.112:                              ;   in Loop: Header=BB29_110 Depth=2
	v_mov_b32_e32 v3, v19
	ds_write_b128 v19, v[2:5] offset:3072
	s_branch .LBB29_108
.LBB29_113:                             ;   in Loop: Header=BB29_110 Depth=2
	v_lshl_add_u64 v[12:13], v[12:13], 0, s[82:83]
	v_cmp_le_i64_e32 vcc, s[8:9], v[12:13]
	v_add_u32_e32 v14, s90, v14
	s_mov_b64 s[34:35], 0
	s_orn2_b64 s[30:31], vcc, exec
	s_branch .LBB29_109
.LBB29_114:                             ;   in Loop: Header=BB29_16 Depth=1
	s_or_b64 exec, exec, s[28:29]
	s_andn2_b64 s[8:9], s[12:13], exec
	s_and_b64 s[12:13], s[26:27], exec
	s_or_b64 s[12:13], s[8:9], s[12:13]
.LBB29_115:                             ;   in Loop: Header=BB29_16 Depth=1
	s_or_b64 exec, exec, s[6:7]
	s_mov_b64 s[6:7], 0
	s_mov_b64 s[8:9], -1
.LBB29_116:                             ;   in Loop: Header=BB29_16 Depth=1
	s_orn2_b64 s[12:13], s[12:13], exec
.LBB29_117:                             ;   in Loop: Header=BB29_16 Depth=1
	s_or_b64 exec, exec, s[16:17]
	s_andn2_b64 s[10:11], s[10:11], exec
	s_and_b64 s[8:9], s[8:9], exec
	s_or_b64 s[10:11], s[10:11], s[8:9]
	s_andn2_b64 s[8:9], s[76:77], exec
	s_and_b64 s[6:7], s[6:7], exec
	s_andn2_b64 s[60:61], s[60:61], exec
	s_or_b64 s[76:77], s[8:9], s[6:7]
                                        ; implicit-def: $vgpr12_vgpr13
	s_and_saveexec_b64 s[16:17], s[12:13]
	s_cbranch_execz .LBB29_15
; %bb.118:                              ;   in Loop: Header=BB29_16 Depth=1
	s_xor_b64 s[6:7], s[18:19], -1
	v_mov_b32_e32 v18, 1
	s_mov_b64 s[8:9], 0
	v_mov_b64_e32 v[12:13], 1
	s_and_saveexec_b64 s[0:1], s[6:7]
	s_cbranch_execz .LBB29_127
; %bb.119:                              ;   in Loop: Header=BB29_16 Depth=1
	v_cmp_le_i64_e32 vcc, v[40:41], v[8:9]
	s_and_saveexec_b64 s[6:7], vcc
	s_xor_b64 s[6:7], exec, s[6:7]
	s_cbranch_execz .LBB29_124
; %bb.120:                              ;   in Loop: Header=BB29_16 Depth=1
	ds_read_b64 v[4:5], v19 offset:5120
	v_and_b32_e32 v31, s25, v31
	v_and_b32_e32 v30, s24, v30
	v_or_b32_e32 v39, s15, v39
	v_or_b32_e32 v38, s14, v38
	s_waitcnt lgkmcnt(0)
	v_cmp_ne_u64_e32 vcc, 0, v[4:5]
	s_cbranch_vccnz .LBB29_124
; %bb.121:                              ;   in Loop: Header=BB29_16 Depth=1
	s_mov_b64 s[8:9], exec
	v_readlane_b32 s12, v68, 12
	v_readlane_b32 s13, v68, 13
	s_and_b64 s[12:13], s[8:9], s[12:13]
	s_mov_b64 exec, s[12:13]
; %bb.122:                              ;   in Loop: Header=BB29_16 Depth=1
	ds_write_b64 v19, v[8:9] offset:5128
; %bb.123:                              ;   in Loop: Header=BB29_16 Depth=1
	s_or_b64 exec, exec, s[8:9]
	s_waitcnt lgkmcnt(0)
	s_barrier
.LBB29_124:                             ;   in Loop: Header=BB29_16 Depth=1
	s_or_saveexec_b64 s[6:7], s[6:7]
	s_mov_b64 s[8:9], 0
	v_mov_b32_e32 v18, 8
	s_xor_b64 exec, exec, s[6:7]
; %bb.125:                              ;   in Loop: Header=BB29_16 Depth=1
	v_sub_co_u32_e32 v40, vcc, v40, v8
	s_mov_b64 s[8:9], exec
	s_nop 0
	v_subb_co_u32_e32 v41, vcc, v41, v9, vcc
	v_mov_b32_e32 v18, 0
; %bb.126:                              ;   in Loop: Header=BB29_16 Depth=1
	s_or_b64 exec, exec, s[6:7]
	s_and_b64 s[8:9], s[8:9], exec
	v_mov_b64_e32 v[12:13], v[40:41]
.LBB29_127:                             ;   in Loop: Header=BB29_16 Depth=1
	s_or_b64 exec, exec, s[0:1]
	s_mov_b64 s[18:19], -1
	s_mov_b64 s[6:7], -1
                                        ; implicit-def: $sgpr0_sgpr1
                                        ; implicit-def: $sgpr26_sgpr27
	s_and_saveexec_b64 s[12:13], s[8:9]
	s_xor_b64 s[20:21], exec, s[12:13]
	s_cbranch_execz .LBB29_269
; %bb.128:                              ;   in Loop: Header=BB29_16 Depth=1
	v_cmp_eq_u64_e32 vcc, 1, v[10:11]
	v_cmp_eq_u64_e64 s[0:1], 1, v[12:13]
	s_and_b64 s[34:35], vcc, s[0:1]
                                        ; implicit-def: $sgpr26_sgpr27
                                        ; implicit-def: $sgpr0_sgpr1
	s_and_saveexec_b64 s[30:31], s[34:35]
	s_cbranch_execz .LBB29_162
; %bb.129:                              ;   in Loop: Header=BB29_16 Depth=1
	ds_read_b64 v[4:5], v19 offset:5120
	s_waitcnt lgkmcnt(0)
	s_barrier
	v_readfirstlane_b32 s36, v4
	v_readfirstlane_b32 s37, v5
	s_mov_b64 s[0:1], exec
	v_readlane_b32 s6, v68, 24
	v_readlane_b32 s7, v68, 25
	s_and_b64 s[6:7], s[0:1], s[6:7]
	s_mov_b64 exec, s[6:7]
; %bb.130:                              ;   in Loop: Header=BB29_16 Depth=1
	ds_write_b64 v50, v[58:59]
; %bb.131:                              ;   in Loop: Header=BB29_16 Depth=1
	s_or_b64 exec, exec, s[0:1]
	s_lshl_b64 s[0:1], 1, s91
	v_and_b32_e32 v3, s25, v31
	v_and_b32_e32 v4, s24, v30
	v_cmp_gt_i64_e64 s[6:7], s[36:37], 0
	v_or_b32_e32 v31, s1, v3
	v_or_b32_e32 v30, s0, v4
	;; [unrolled: 1-line block ×4, first 2 shown]
	s_mov_b64 s[0:1], -1
	s_mov_b64 s[26:27], 0
	s_and_b64 vcc, exec, s[6:7]
	s_mov_b64 s[6:7], 0
	s_mov_b64 s[8:9], -1
	s_waitcnt lgkmcnt(0)
	s_barrier
                                        ; implicit-def: $vgpr6_vgpr7
	s_cbranch_vccnz .LBB29_147
; %bb.132:                              ;   in Loop: Header=BB29_16 Depth=1
	s_mov_b32 s94, s85
	s_cmp_lg_u64 s[94:95], 0
	s_cbranch_scc0 .LBB29_189
; %bb.133:                              ;   in Loop: Header=BB29_16 Depth=1
	s_add_u32 s6, s82, 0
	s_addc_u32 s7, 0, 0
	s_xor_b64 s[6:7], s[6:7], 0
	v_cvt_f32_u32_e32 v3, s6
	v_cvt_f32_u32_e32 v4, s7
	s_sub_u32 s12, 0, s6
	s_subb_u32 s13, 0, s7
	v_fmac_f32_e32 v3, 0x4f800000, v4
	v_rcp_f32_e32 v3, v3
	s_nop 0
	v_mul_f32_e32 v3, 0x5f7ffffc, v3
	v_mul_f32_e32 v4, 0x2f800000, v3
	v_trunc_f32_e32 v4, v4
	v_fmac_f32_e32 v3, 0xcf800000, v4
	v_cvt_u32_f32_e32 v4, v4
	v_cvt_u32_f32_e32 v3, v3
	v_readfirstlane_b32 s28, v4
	v_readfirstlane_b32 s8, v3
	s_mul_i32 s9, s12, s28
	s_mul_hi_u32 s38, s12, s8
	s_mul_i32 s29, s13, s8
	s_add_i32 s9, s38, s9
	s_mul_i32 s39, s12, s8
	s_add_i32 s9, s9, s29
	s_mul_i32 s38, s8, s9
	s_mul_hi_u32 s40, s8, s39
	s_mul_hi_u32 s29, s8, s9
	s_add_u32 s38, s40, s38
	s_addc_u32 s29, 0, s29
	s_mul_hi_u32 s41, s28, s39
	s_mul_i32 s39, s28, s39
	s_add_u32 s38, s38, s39
	s_mul_hi_u32 s40, s28, s9
	s_addc_u32 s29, s29, s41
	s_addc_u32 s38, s40, 0
	s_mul_i32 s9, s28, s9
	s_add_u32 s9, s29, s9
	s_addc_u32 s29, 0, s38
	s_add_u32 s38, s8, s9
	s_cselect_b64 s[8:9], -1, 0
	s_cmp_lg_u64 s[8:9], 0
	s_addc_u32 s28, s28, s29
	s_mul_i32 s8, s12, s28
	s_mul_hi_u32 s9, s12, s38
	s_add_i32 s8, s9, s8
	s_mul_i32 s13, s13, s38
	s_add_i32 s8, s8, s13
	s_mul_i32 s12, s12, s38
	s_mul_hi_u32 s13, s28, s12
	s_mul_i32 s29, s28, s12
	s_mul_i32 s40, s38, s8
	s_mul_hi_u32 s12, s38, s12
	s_mul_hi_u32 s39, s38, s8
	s_add_u32 s12, s12, s40
	s_addc_u32 s39, 0, s39
	s_add_u32 s12, s12, s29
	s_mul_hi_u32 s9, s28, s8
	s_addc_u32 s12, s39, s13
	s_addc_u32 s9, s9, 0
	s_mul_i32 s8, s28, s8
	s_add_u32 s8, s12, s8
	s_addc_u32 s12, 0, s9
	s_add_u32 s29, s38, s8
	s_cselect_b64 s[8:9], -1, 0
	s_cmp_lg_u64 s[8:9], 0
	s_addc_u32 s28, s28, s12
	s_ashr_i32 s8, s95, 31
	v_readlane_b32 s12, v68, 35
	s_add_u32 s12, s12, s8
	s_mov_b32 s9, s8
	s_addc_u32 s13, s95, s8
	s_xor_b64 s[12:13], s[12:13], s[8:9]
	s_mul_i32 s39, s12, s28
	s_mul_hi_u32 s40, s12, s29
	s_mul_hi_u32 s38, s12, s28
	s_add_u32 s39, s40, s39
	s_addc_u32 s38, 0, s38
	s_mul_hi_u32 s41, s13, s29
	s_mul_i32 s29, s13, s29
	s_add_u32 s29, s39, s29
	s_mul_hi_u32 s40, s13, s28
	s_addc_u32 s29, s38, s41
	s_addc_u32 s38, s40, 0
	s_mul_i32 s28, s13, s28
	s_add_u32 s28, s29, s28
	s_addc_u32 s29, 0, s38
	s_mul_i32 s29, s6, s29
	s_mul_hi_u32 s38, s6, s28
	s_add_i32 s29, s38, s29
	s_mul_i32 s38, s7, s28
	s_add_i32 s40, s29, s38
	s_sub_i32 s38, s13, s40
	s_mul_i32 s28, s6, s28
	s_sub_u32 s12, s12, s28
	s_cselect_b64 s[28:29], -1, 0
	s_cmp_lg_u64 s[28:29], 0
	s_subb_u32 s41, s38, s7
	s_sub_u32 s42, s12, s6
	s_cselect_b64 s[38:39], -1, 0
	s_cmp_lg_u64 s[38:39], 0
	s_subb_u32 s43, s41, 0
	s_cmp_ge_u32 s43, s7
	s_cselect_b32 s44, -1, 0
	s_cmp_ge_u32 s42, s6
	s_cselect_b32 s45, -1, 0
	s_cmp_eq_u32 s43, s7
	s_cselect_b32 s44, s45, s44
	s_cmp_lg_u64 s[38:39], 0
	s_subb_u32 s41, s41, s7
	s_sub_u32 s45, s42, s6
	s_cselect_b64 s[38:39], -1, 0
	s_cmp_lg_u64 s[38:39], 0
	s_subb_u32 s38, s41, 0
	s_cmp_lg_u32 s44, 0
	s_cselect_b32 s39, s45, s42
	s_cselect_b32 s38, s38, s43
	s_cmp_lg_u64 s[28:29], 0
	s_subb_u32 s13, s13, s40
	s_cmp_ge_u32 s13, s7
	s_cselect_b32 s28, -1, 0
	s_cmp_ge_u32 s12, s6
	s_cselect_b32 s6, -1, 0
	s_cmp_eq_u32 s13, s7
	s_cselect_b32 s6, s6, s28
	s_cmp_lg_u32 s6, 0
	s_cselect_b32 s7, s38, s13
	s_cselect_b32 s6, s39, s12
	s_xor_b64 s[6:7], s[6:7], s[8:9]
	s_sub_u32 s6, s6, s8
	s_subb_u32 s7, s7, s8
	s_cbranch_execnz .LBB29_135
.LBB29_134:                             ;   in Loop: Header=BB29_16 Depth=1
	v_cvt_f32_u32_e32 v3, s82
	s_sub_i32 s6, 0, s82
	v_readlane_b32 s8, v68, 35
	v_rcp_iflag_f32_e32 v3, v3
	s_nop 0
	v_mul_f32_e32 v3, 0x4f7ffffe, v3
	v_cvt_u32_f32_e32 v3, v3
	s_nop 0
	v_readfirstlane_b32 s7, v3
	s_mul_i32 s6, s6, s7
	s_mul_hi_u32 s6, s7, s6
	s_add_i32 s7, s7, s6
	s_mul_hi_u32 s6, s8, s7
	s_mul_i32 s6, s6, s82
	s_sub_i32 s6, s8, s6
	s_sub_i32 s7, s6, s82
	s_cmp_ge_u32 s6, s82
	s_cselect_b32 s6, s7, s6
	s_sub_i32 s7, s6, s82
	s_cmp_ge_u32 s6, s82
	s_cselect_b32 s84, s7, s6
	s_mov_b64 s[6:7], s[84:85]
.LBB29_135:                             ;   in Loop: Header=BB29_16 Depth=1
	v_readlane_b32 s8, v68, 35
	s_sub_u32 s28, s8, s6
	s_subb_u32 s29, s95, s7
	v_cmp_gt_i64_e32 vcc, s[28:29], v[0:1]
	s_mov_b64 s[8:9], 0
	s_mov_b64 s[6:7], 0
                                        ; implicit-def: $vgpr6_vgpr7
	s_and_saveexec_b64 s[12:13], vcc
	s_cbranch_execz .LBB29_146
; %bb.136:                              ;   in Loop: Header=BB29_16 Depth=1
	v_mov_b64_e32 v[8:9], v[16:17]
	v_mov_b64_e32 v[14:15], v[0:1]
                                        ; implicit-def: $sgpr38_sgpr39
	s_branch .LBB29_139
.LBB29_137:                             ;   in Loop: Header=BB29_139 Depth=2
	s_or_b64 exec, exec, s[40:41]
	s_waitcnt lgkmcnt(0)
	s_barrier
	ds_read_b128 v[4:7], v19 offset:3072
	s_mov_b64 s[40:41], -1
	s_mov_b64 s[42:43], -1
	s_waitcnt lgkmcnt(0)
	s_barrier
	v_cmp_ne_u64_e32 vcc, 0, v[4:5]
	s_cbranch_vccz .LBB29_142
.LBB29_138:                             ;   in Loop: Header=BB29_139 Depth=2
	s_and_b64 s[40:41], exec, s[40:41]
	s_or_b64 s[6:7], s[40:41], s[6:7]
	s_andn2_b64 s[38:39], s[38:39], exec
	s_and_b64 s[40:41], s[42:43], exec
	s_or_b64 s[38:39], s[38:39], s[40:41]
	s_andn2_b64 exec, exec, s[6:7]
	s_cbranch_execz .LBB29_145
.LBB29_139:                             ;   Parent Loop BB29_16 Depth=1
                                        ; =>  This Inner Loop Header: Depth=2
	v_cmp_gt_i64_e32 vcc, s[56:57], v[14:15]
	s_and_saveexec_b64 s[40:41], vcc
	s_cbranch_execz .LBB29_137
; %bb.140:                              ;   in Loop: Header=BB29_139 Depth=2
	global_load_dwordx2 v[4:5], v[8:9], off
	s_waitcnt vmcnt(0)
	v_xor_b32_e32 v3, 0x80000000, v5
	v_and_b32_e32 v7, v3, v39
	v_and_b32_e32 v6, v4, v38
	v_cmp_eq_u64_e32 vcc, v[6:7], v[30:31]
	s_and_b64 exec, exec, vcc
	s_cbranch_execz .LBB29_137
; %bb.141:                              ;   in Loop: Header=BB29_139 Depth=2
	v_mov_b32_e32 v3, v19
	ds_write_b128 v19, v[2:5] offset:3072
	s_branch .LBB29_137
.LBB29_142:                             ;   in Loop: Header=BB29_139 Depth=2
	v_lshl_add_u64 v[14:15], v[14:15], 0, s[82:83]
	v_cmp_le_i64_e32 vcc, s[28:29], v[14:15]
	v_lshl_add_u64 v[8:9], v[8:9], 0, s[86:87]
	s_mov_b64 s[42:43], 0
	s_orn2_b64 s[40:41], vcc, exec
	s_branch .LBB29_138
.LBB29_143:                             ;   in Loop: Header=BB29_16 Depth=1
                                        ; implicit-def: $sgpr12_sgpr13
	s_andn2_b64 vcc, exec, s[26:27]
	s_cbranch_vccz .LBB29_91
	s_branch .LBB29_92
.LBB29_144:                             ;   in Loop: Header=BB29_16 Depth=1
                                        ; implicit-def: $sgpr8_sgpr9
	s_branch .LBB29_105
.LBB29_145:                             ;   in Loop: Header=BB29_16 Depth=1
	s_or_b64 exec, exec, s[6:7]
	s_and_b64 s[6:7], s[38:39], exec
.LBB29_146:                             ;   in Loop: Header=BB29_16 Depth=1
	s_or_b64 exec, exec, s[12:13]
.LBB29_147:                             ;   in Loop: Header=BB29_16 Depth=1
	s_and_b64 vcc, exec, s[8:9]
	s_cbranch_vccz .LBB29_161
; %bb.148:                              ;   in Loop: Header=BB29_16 Depth=1
	v_readlane_b32 s0, v68, 34
	s_add_u32 s26, s36, s0
	v_readlane_b32 s0, v68, 36
	s_addc_u32 s1, s37, s0
	s_mov_b32 s0, s85
	s_cmp_lg_u64 s[0:1], 0
	s_cbranch_scc0 .LBB29_190
; %bb.149:                              ;   in Loop: Header=BB29_16 Depth=1
	s_add_u32 s8, s82, 0
	s_addc_u32 s9, 0, 0
	s_xor_b64 s[8:9], s[8:9], 0
	v_cvt_f32_u32_e32 v3, s8
	v_cvt_f32_u32_e32 v4, s9
	s_sub_u32 s0, 0, s8
	s_subb_u32 s27, 0, s9
	v_fmac_f32_e32 v3, 0x4f800000, v4
	v_rcp_f32_e32 v3, v3
	s_nop 0
	v_mul_f32_e32 v3, 0x5f7ffffc, v3
	v_mul_f32_e32 v4, 0x2f800000, v3
	v_trunc_f32_e32 v4, v4
	v_fmac_f32_e32 v3, 0xcf800000, v4
	v_cvt_u32_f32_e32 v4, v4
	v_cvt_u32_f32_e32 v3, v3
	v_readfirstlane_b32 s28, v4
	v_readfirstlane_b32 s12, v3
	s_mul_i32 s13, s0, s28
	s_mul_hi_u32 s38, s0, s12
	s_mul_i32 s29, s27, s12
	s_add_i32 s13, s38, s13
	s_mul_i32 s39, s0, s12
	s_add_i32 s13, s13, s29
	s_mul_i32 s38, s12, s13
	s_mul_hi_u32 s40, s12, s39
	s_mul_hi_u32 s29, s12, s13
	s_add_u32 s38, s40, s38
	s_addc_u32 s29, 0, s29
	s_mul_hi_u32 s41, s28, s39
	s_mul_i32 s39, s28, s39
	s_add_u32 s38, s38, s39
	s_mul_hi_u32 s40, s28, s13
	s_addc_u32 s29, s29, s41
	s_addc_u32 s38, s40, 0
	s_mul_i32 s13, s28, s13
	s_add_u32 s13, s29, s13
	s_addc_u32 s29, 0, s38
	s_add_u32 s38, s12, s13
	s_cselect_b64 s[12:13], -1, 0
	s_cmp_lg_u64 s[12:13], 0
	s_addc_u32 s28, s28, s29
	s_mul_i32 s12, s0, s28
	s_mul_hi_u32 s13, s0, s38
	s_add_i32 s12, s13, s12
	s_mul_i32 s27, s27, s38
	s_add_i32 s12, s12, s27
	s_mul_i32 s0, s0, s38
	s_mul_hi_u32 s27, s28, s0
	s_mul_i32 s29, s28, s0
	s_mul_i32 s40, s38, s12
	s_mul_hi_u32 s0, s38, s0
	s_mul_hi_u32 s39, s38, s12
	s_add_u32 s0, s0, s40
	s_addc_u32 s39, 0, s39
	s_add_u32 s0, s0, s29
	s_mul_hi_u32 s13, s28, s12
	s_addc_u32 s0, s39, s27
	s_addc_u32 s13, s13, 0
	s_mul_i32 s12, s28, s12
	s_add_u32 s0, s0, s12
	s_addc_u32 s27, 0, s13
	s_add_u32 s0, s38, s0
	s_cselect_b64 s[12:13], -1, 0
	s_cmp_lg_u64 s[12:13], 0
	s_addc_u32 s27, s28, s27
	s_ashr_i32 s12, s1, 31
	s_add_u32 s28, s26, s12
	s_mov_b32 s13, s12
	s_addc_u32 s29, s1, s12
	s_xor_b64 s[28:29], s[28:29], s[12:13]
	s_mul_i32 s39, s28, s27
	s_mul_hi_u32 s40, s28, s0
	s_mul_hi_u32 s38, s28, s27
	s_add_u32 s39, s40, s39
	s_addc_u32 s38, 0, s38
	s_mul_hi_u32 s41, s29, s0
	s_mul_i32 s0, s29, s0
	s_add_u32 s0, s39, s0
	s_mul_hi_u32 s40, s29, s27
	s_addc_u32 s0, s38, s41
	s_addc_u32 s38, s40, 0
	s_mul_i32 s27, s29, s27
	s_add_u32 s0, s0, s27
	s_addc_u32 s27, 0, s38
	s_mul_i32 s27, s8, s27
	s_mul_hi_u32 s38, s8, s0
	s_add_i32 s27, s38, s27
	s_mul_i32 s38, s9, s0
	s_add_i32 s27, s27, s38
	s_sub_i32 s40, s29, s27
	s_mul_i32 s0, s8, s0
	s_sub_u32 s0, s28, s0
	s_cselect_b64 s[38:39], -1, 0
	s_cmp_lg_u64 s[38:39], 0
	s_subb_u32 s28, s40, s9
	s_sub_u32 s42, s0, s8
	s_cselect_b64 s[40:41], -1, 0
	s_cmp_lg_u64 s[40:41], 0
	s_subb_u32 s43, s28, 0
	s_cmp_ge_u32 s43, s9
	s_cselect_b32 s44, -1, 0
	s_cmp_ge_u32 s42, s8
	s_cselect_b32 s45, -1, 0
	s_cmp_eq_u32 s43, s9
	s_cselect_b32 s44, s45, s44
	s_cmp_lg_u64 s[40:41], 0
	s_subb_u32 s28, s28, s9
	s_sub_u32 s45, s42, s8
	s_cselect_b64 s[40:41], -1, 0
	s_cmp_lg_u64 s[40:41], 0
	s_subb_u32 s28, s28, 0
	s_cmp_lg_u32 s44, 0
	s_cselect_b32 s40, s45, s42
	s_cselect_b32 s28, s28, s43
	s_cmp_lg_u64 s[38:39], 0
	s_subb_u32 s27, s29, s27
	s_cmp_ge_u32 s27, s9
	s_cselect_b32 s29, -1, 0
	s_cmp_ge_u32 s0, s8
	s_cselect_b32 s8, -1, 0
	s_cmp_eq_u32 s27, s9
	s_cselect_b32 s8, s8, s29
	s_cmp_lg_u32 s8, 0
	s_cselect_b32 s9, s28, s27
	s_cselect_b32 s8, s40, s0
	s_xor_b64 s[8:9], s[8:9], s[12:13]
	s_sub_u32 s8, s8, s12
	s_subb_u32 s9, s9, s12
	s_cbranch_execnz .LBB29_151
.LBB29_150:                             ;   in Loop: Header=BB29_16 Depth=1
	v_cvt_f32_u32_e32 v3, s82
	s_sub_i32 s0, 0, s82
	v_rcp_iflag_f32_e32 v3, v3
	s_nop 0
	v_mul_f32_e32 v3, 0x4f7ffffe, v3
	v_cvt_u32_f32_e32 v3, v3
	s_nop 0
	v_readfirstlane_b32 s8, v3
	s_mul_i32 s0, s0, s8
	s_mul_hi_u32 s0, s8, s0
	s_add_i32 s8, s8, s0
	s_mul_hi_u32 s0, s26, s8
	s_mul_i32 s0, s0, s82
	s_sub_i32 s0, s26, s0
	s_sub_i32 s8, s0, s82
	s_cmp_ge_u32 s0, s82
	s_cselect_b32 s0, s8, s0
	s_sub_i32 s8, s0, s82
	s_cmp_ge_u32 s0, s82
	s_cselect_b32 s84, s8, s0
	s_mov_b64 s[8:9], s[84:85]
.LBB29_151:                             ;   in Loop: Header=BB29_16 Depth=1
	s_sub_u32 s8, s26, s8
	s_subb_u32 s9, s1, s9
	v_cmp_gt_i64_e32 vcc, s[8:9], v[0:1]
                                        ; implicit-def: $vgpr6_vgpr7
	s_and_saveexec_b64 s[0:1], vcc
	s_cbranch_execz .LBB29_160
; %bb.152:                              ;   in Loop: Header=BB29_16 Depth=1
	s_mov_b64 s[12:13], 0
	v_mov_b32_e32 v14, v49
	v_mov_b64_e32 v[8:9], v[0:1]
                                        ; implicit-def: $sgpr26_sgpr27
	s_branch .LBB29_155
.LBB29_153:                             ;   in Loop: Header=BB29_155 Depth=2
	s_or_b64 exec, exec, s[28:29]
	s_waitcnt lgkmcnt(0)
	s_barrier
	ds_read_b128 v[4:7], v19 offset:3072
	s_mov_b64 s[28:29], -1
	s_mov_b64 s[38:39], -1
	s_waitcnt lgkmcnt(0)
	s_barrier
	v_cmp_eq_u64_e32 vcc, 0, v[4:5]
	s_cbranch_vccnz .LBB29_158
.LBB29_154:                             ;   in Loop: Header=BB29_155 Depth=2
	s_and_b64 s[28:29], exec, s[28:29]
	s_or_b64 s[12:13], s[28:29], s[12:13]
	s_andn2_b64 s[26:27], s[26:27], exec
	s_and_b64 s[28:29], s[38:39], exec
	s_or_b64 s[26:27], s[26:27], s[28:29]
	s_andn2_b64 exec, exec, s[12:13]
	s_cbranch_execz .LBB29_159
.LBB29_155:                             ;   Parent Loop BB29_16 Depth=1
                                        ; =>  This Inner Loop Header: Depth=2
	v_cmp_gt_u64_e32 vcc, s[36:37], v[8:9]
	s_and_saveexec_b64 s[28:29], vcc
	s_cbranch_execz .LBB29_153
; %bb.156:                              ;   in Loop: Header=BB29_155 Depth=2
	ds_read_b64 v[4:5], v14
	s_waitcnt lgkmcnt(0)
	v_xor_b32_e32 v3, 0x80000000, v5
	v_and_b32_e32 v7, v3, v39
	v_and_b32_e32 v6, v4, v38
	v_cmp_eq_u64_e32 vcc, v[6:7], v[30:31]
	s_and_b64 exec, exec, vcc
	s_cbranch_execz .LBB29_153
; %bb.157:                              ;   in Loop: Header=BB29_155 Depth=2
	v_mov_b32_e32 v3, v19
	ds_write_b128 v19, v[2:5] offset:3072
	s_branch .LBB29_153
.LBB29_158:                             ;   in Loop: Header=BB29_155 Depth=2
	v_lshl_add_u64 v[8:9], v[8:9], 0, s[82:83]
	v_cmp_le_i64_e32 vcc, s[8:9], v[8:9]
	v_add_u32_e32 v14, s90, v14
	s_mov_b64 s[38:39], 0
	s_orn2_b64 s[28:29], vcc, exec
	s_branch .LBB29_154
.LBB29_159:                             ;   in Loop: Header=BB29_16 Depth=1
	s_or_b64 exec, exec, s[12:13]
	s_andn2_b64 s[6:7], s[6:7], exec
	s_and_b64 s[8:9], s[26:27], exec
	s_or_b64 s[6:7], s[6:7], s[8:9]
.LBB29_160:                             ;   in Loop: Header=BB29_16 Depth=1
	s_or_b64 exec, exec, s[0:1]
	s_mov_b64 s[0:1], 0
	s_mov_b64 s[26:27], -1
.LBB29_161:                             ;   in Loop: Header=BB29_16 Depth=1
	s_orn2_b64 s[6:7], s[6:7], exec
.LBB29_162:                             ;   in Loop: Header=BB29_16 Depth=1
	s_or_b64 exec, exec, s[30:31]
	s_mov_b64 s[8:9], 0
	s_and_saveexec_b64 s[30:31], s[6:7]
	s_cbranch_execz .LBB29_268
; %bb.163:                              ;   in Loop: Header=BB29_16 Depth=1
	s_xor_b64 s[12:13], s[34:35], -1
	v_mov_b32_e32 v18, 1
	v_mov_b64_e32 v[8:9], 1
	s_and_saveexec_b64 s[6:7], s[12:13]
	s_cbranch_execz .LBB29_173
; %bb.164:                              ;   in Loop: Header=BB29_16 Depth=1
	v_cmp_le_i64_e32 vcc, v[12:13], v[10:11]
	s_and_saveexec_b64 s[8:9], vcc
	s_xor_b64 s[8:9], exec, s[8:9]
	s_cbranch_execz .LBB29_170
; %bb.165:                              ;   in Loop: Header=BB29_16 Depth=1
	ds_read_b64 v[4:5], v19 offset:5120
	s_lshl_b64 s[12:13], 1, s91
	v_and_b32_e32 v3, s25, v31
	v_and_b32_e32 v8, s24, v30
	v_or_b32_e32 v31, s13, v3
	s_waitcnt lgkmcnt(0)
	v_cmp_ne_u64_e32 vcc, 0, v[4:5]
	v_or_b32_e32 v30, s12, v8
	v_or_b32_e32 v39, s15, v39
	;; [unrolled: 1-line block ×3, first 2 shown]
	s_cbranch_vccnz .LBB29_169
; %bb.166:                              ;   in Loop: Header=BB29_16 Depth=1
	s_mov_b64 s[12:13], exec
	v_readlane_b32 s28, v68, 12
	v_readlane_b32 s29, v68, 13
	s_and_b64 s[28:29], s[12:13], s[28:29]
	s_mov_b64 exec, s[28:29]
; %bb.167:                              ;   in Loop: Header=BB29_16 Depth=1
	ds_write_b64 v19, v[10:11] offset:5128
; %bb.168:                              ;   in Loop: Header=BB29_16 Depth=1
	s_or_b64 exec, exec, s[12:13]
	s_waitcnt lgkmcnt(0)
	s_barrier
.LBB29_169:                             ;   in Loop: Header=BB29_16 Depth=1
                                        ; implicit-def: $vgpr8_vgpr9_vgpr10_vgpr11
.LBB29_170:                             ;   in Loop: Header=BB29_16 Depth=1
	s_or_saveexec_b64 s[8:9], s[8:9]
	s_mov_b64 s[12:13], 0
	v_mov_b32_e32 v18, 8
	s_xor_b64 exec, exec, s[8:9]
; %bb.171:                              ;   in Loop: Header=BB29_16 Depth=1
	v_sub_co_u32_e32 v12, vcc, v12, v10
	s_mov_b64 s[12:13], exec
	s_nop 0
	v_subb_co_u32_e32 v13, vcc, v13, v11, vcc
	v_mov_b32_e32 v18, 0
; %bb.172:                              ;   in Loop: Header=BB29_16 Depth=1
	s_or_b64 exec, exec, s[8:9]
	s_and_b64 s[8:9], s[12:13], exec
	v_mov_b64_e32 v[8:9], v[12:13]
.LBB29_173:                             ;   in Loop: Header=BB29_16 Depth=1
	s_or_b64 exec, exec, s[6:7]
	s_mov_b64 s[6:7], -1
                                        ; implicit-def: $sgpr36_sgpr37
                                        ; implicit-def: $sgpr38_sgpr39
	s_and_saveexec_b64 s[34:35], s[8:9]
	s_cbranch_execz .LBB29_267
; %bb.174:                              ;   in Loop: Header=BB29_16 Depth=1
	s_cmp_eq_u64 s[22:23], 1
	s_cselect_b64 s[6:7], -1, 0
	v_cmp_eq_u64_e32 vcc, 1, v[8:9]
	s_and_b64 s[42:43], s[6:7], vcc
	s_mov_b64 s[6:7], -1
                                        ; implicit-def: $sgpr38_sgpr39
                                        ; implicit-def: $sgpr36_sgpr37
	s_and_saveexec_b64 s[40:41], s[42:43]
	s_cbranch_execz .LBB29_208
; %bb.175:                              ;   in Loop: Header=BB29_16 Depth=1
	ds_read_b64 v[4:5], v19 offset:5120
	s_waitcnt lgkmcnt(0)
	s_barrier
	v_readfirstlane_b32 s44, v4
	v_readfirstlane_b32 s45, v5
	s_mov_b64 s[6:7], exec
	v_readlane_b32 s8, v68, 24
	v_readlane_b32 s9, v68, 25
	s_and_b64 s[8:9], s[6:7], s[8:9]
	s_mov_b64 exec, s[8:9]
; %bb.176:                              ;   in Loop: Header=BB29_16 Depth=1
	ds_write_b64 v50, v[58:59]
; %bb.177:                              ;   in Loop: Header=BB29_16 Depth=1
	s_or_b64 exec, exec, s[6:7]
	s_lshl_b64 s[6:7], 2, s91
	v_and_b32_e32 v3, s25, v31
	v_and_b32_e32 v4, s24, v30
	v_or_b32_e32 v31, s7, v3
	v_or_b32_e32 v30, s6, v4
	v_cmp_gt_i64_e64 s[6:7], s[44:45], 0
	v_or_b32_e32 v39, s15, v39
	v_or_b32_e32 v38, s14, v38
	s_mov_b64 s[36:37], -1
	s_mov_b64 s[38:39], 0
	s_and_b64 vcc, exec, s[6:7]
	s_mov_b64 s[6:7], 0
	s_mov_b64 s[8:9], -1
	s_waitcnt lgkmcnt(0)
	s_barrier
                                        ; implicit-def: $vgpr6_vgpr7
	s_cbranch_vccnz .LBB29_193
; %bb.178:                              ;   in Loop: Header=BB29_16 Depth=1
	s_mov_b32 s94, s85
	s_cmp_lg_u64 s[94:95], 0
	s_cbranch_scc0 .LBB29_234
; %bb.179:                              ;   in Loop: Header=BB29_16 Depth=1
	s_add_u32 s6, s82, 0
	s_addc_u32 s7, 0, 0
	s_xor_b64 s[6:7], s[6:7], 0
	v_cvt_f32_u32_e32 v3, s6
	v_cvt_f32_u32_e32 v4, s7
	s_sub_u32 s12, 0, s6
	s_subb_u32 s13, 0, s7
	v_fmac_f32_e32 v3, 0x4f800000, v4
	v_rcp_f32_e32 v3, v3
	s_nop 0
	v_mul_f32_e32 v3, 0x5f7ffffc, v3
	v_mul_f32_e32 v4, 0x2f800000, v3
	v_trunc_f32_e32 v4, v4
	v_fmac_f32_e32 v3, 0xcf800000, v4
	v_cvt_u32_f32_e32 v4, v4
	v_cvt_u32_f32_e32 v3, v3
	v_readfirstlane_b32 s28, v4
	v_readfirstlane_b32 s8, v3
	s_mul_i32 s9, s12, s28
	s_mul_hi_u32 s46, s12, s8
	s_mul_i32 s29, s13, s8
	s_add_i32 s9, s46, s9
	s_mul_i32 s47, s12, s8
	s_add_i32 s9, s9, s29
	s_mul_i32 s46, s8, s9
	s_mul_hi_u32 s48, s8, s47
	s_mul_hi_u32 s29, s8, s9
	s_add_u32 s46, s48, s46
	s_addc_u32 s29, 0, s29
	s_mul_hi_u32 s49, s28, s47
	s_mul_i32 s47, s28, s47
	s_add_u32 s46, s46, s47
	s_mul_hi_u32 s48, s28, s9
	s_addc_u32 s29, s29, s49
	s_addc_u32 s46, s48, 0
	s_mul_i32 s9, s28, s9
	s_add_u32 s9, s29, s9
	s_addc_u32 s29, 0, s46
	s_add_u32 s46, s8, s9
	s_cselect_b64 s[8:9], -1, 0
	s_cmp_lg_u64 s[8:9], 0
	s_addc_u32 s28, s28, s29
	s_mul_i32 s8, s12, s28
	s_mul_hi_u32 s9, s12, s46
	s_add_i32 s8, s9, s8
	s_mul_i32 s13, s13, s46
	s_add_i32 s8, s8, s13
	s_mul_i32 s12, s12, s46
	s_mul_hi_u32 s13, s28, s12
	s_mul_i32 s29, s28, s12
	s_mul_i32 s48, s46, s8
	s_mul_hi_u32 s12, s46, s12
	s_mul_hi_u32 s47, s46, s8
	s_add_u32 s12, s12, s48
	s_addc_u32 s47, 0, s47
	s_add_u32 s12, s12, s29
	s_mul_hi_u32 s9, s28, s8
	s_addc_u32 s12, s47, s13
	s_addc_u32 s9, s9, 0
	s_mul_i32 s8, s28, s8
	s_add_u32 s8, s12, s8
	s_addc_u32 s12, 0, s9
	s_add_u32 s29, s46, s8
	s_cselect_b64 s[8:9], -1, 0
	s_cmp_lg_u64 s[8:9], 0
	s_addc_u32 s28, s28, s12
	s_ashr_i32 s8, s95, 31
	v_readlane_b32 s12, v68, 35
	s_add_u32 s12, s12, s8
	s_mov_b32 s9, s8
	s_addc_u32 s13, s95, s8
	s_xor_b64 s[12:13], s[12:13], s[8:9]
	s_mul_i32 s47, s12, s28
	s_mul_hi_u32 s48, s12, s29
	s_mul_hi_u32 s46, s12, s28
	s_add_u32 s47, s48, s47
	s_addc_u32 s46, 0, s46
	s_mul_hi_u32 s49, s13, s29
	s_mul_i32 s29, s13, s29
	s_add_u32 s29, s47, s29
	s_mul_hi_u32 s48, s13, s28
	s_addc_u32 s29, s46, s49
	s_addc_u32 s46, s48, 0
	s_mul_i32 s28, s13, s28
	s_add_u32 s28, s29, s28
	s_addc_u32 s29, 0, s46
	s_mul_i32 s29, s6, s29
	s_mul_hi_u32 s46, s6, s28
	s_add_i32 s29, s46, s29
	s_mul_i32 s46, s7, s28
	s_add_i32 s48, s29, s46
	s_sub_i32 s46, s13, s48
	s_mul_i32 s28, s6, s28
	s_sub_u32 s12, s12, s28
	s_cselect_b64 s[28:29], -1, 0
	s_cmp_lg_u64 s[28:29], 0
	s_subb_u32 s49, s46, s7
	s_sub_u32 s50, s12, s6
	s_cselect_b64 s[46:47], -1, 0
	s_cmp_lg_u64 s[46:47], 0
	s_subb_u32 s51, s49, 0
	s_cmp_ge_u32 s51, s7
	s_cselect_b32 s52, -1, 0
	s_cmp_ge_u32 s50, s6
	s_cselect_b32 s53, -1, 0
	s_cmp_eq_u32 s51, s7
	s_cselect_b32 s52, s53, s52
	s_cmp_lg_u64 s[46:47], 0
	s_subb_u32 s49, s49, s7
	s_sub_u32 s53, s50, s6
	s_cselect_b64 s[46:47], -1, 0
	s_cmp_lg_u64 s[46:47], 0
	s_subb_u32 s46, s49, 0
	s_cmp_lg_u32 s52, 0
	s_cselect_b32 s47, s53, s50
	s_cselect_b32 s46, s46, s51
	s_cmp_lg_u64 s[28:29], 0
	s_subb_u32 s13, s13, s48
	s_cmp_ge_u32 s13, s7
	s_cselect_b32 s28, -1, 0
	s_cmp_ge_u32 s12, s6
	s_cselect_b32 s6, -1, 0
	s_cmp_eq_u32 s13, s7
	s_cselect_b32 s6, s6, s28
	s_cmp_lg_u32 s6, 0
	s_cselect_b32 s7, s46, s13
	s_cselect_b32 s6, s47, s12
	s_xor_b64 s[6:7], s[6:7], s[8:9]
	s_sub_u32 s6, s6, s8
	s_subb_u32 s7, s7, s8
	s_cbranch_execnz .LBB29_181
.LBB29_180:                             ;   in Loop: Header=BB29_16 Depth=1
	v_cvt_f32_u32_e32 v3, s82
	s_sub_i32 s6, 0, s82
	v_readlane_b32 s8, v68, 35
	v_rcp_iflag_f32_e32 v3, v3
	s_nop 0
	v_mul_f32_e32 v3, 0x4f7ffffe, v3
	v_cvt_u32_f32_e32 v3, v3
	s_nop 0
	v_readfirstlane_b32 s7, v3
	s_mul_i32 s6, s6, s7
	s_mul_hi_u32 s6, s7, s6
	s_add_i32 s7, s7, s6
	s_mul_hi_u32 s6, s8, s7
	s_mul_i32 s6, s6, s82
	s_sub_i32 s6, s8, s6
	s_sub_i32 s7, s6, s82
	s_cmp_ge_u32 s6, s82
	s_cselect_b32 s6, s7, s6
	s_sub_i32 s7, s6, s82
	s_cmp_ge_u32 s6, s82
	s_cselect_b32 s84, s7, s6
	s_mov_b64 s[6:7], s[84:85]
.LBB29_181:                             ;   in Loop: Header=BB29_16 Depth=1
	v_readlane_b32 s8, v68, 35
	s_sub_u32 s28, s8, s6
	s_subb_u32 s29, s95, s7
	v_cmp_gt_i64_e32 vcc, s[28:29], v[0:1]
	s_mov_b64 s[8:9], 0
	s_mov_b64 s[6:7], 0
                                        ; implicit-def: $vgpr6_vgpr7
	s_and_saveexec_b64 s[12:13], vcc
	s_cbranch_execz .LBB29_192
; %bb.182:                              ;   in Loop: Header=BB29_16 Depth=1
	v_mov_b64_e32 v[10:11], v[16:17]
	v_mov_b64_e32 v[12:13], v[0:1]
                                        ; implicit-def: $sgpr46_sgpr47
	s_branch .LBB29_185
.LBB29_183:                             ;   in Loop: Header=BB29_185 Depth=2
	s_or_b64 exec, exec, s[48:49]
	s_waitcnt lgkmcnt(0)
	s_barrier
	ds_read_b128 v[4:7], v19 offset:3072
	s_mov_b64 s[48:49], -1
	s_mov_b64 s[50:51], -1
	s_waitcnt lgkmcnt(0)
	s_barrier
	v_cmp_ne_u64_e32 vcc, 0, v[4:5]
	s_cbranch_vccz .LBB29_188
.LBB29_184:                             ;   in Loop: Header=BB29_185 Depth=2
	s_and_b64 s[48:49], exec, s[48:49]
	s_or_b64 s[6:7], s[48:49], s[6:7]
	s_andn2_b64 s[46:47], s[46:47], exec
	s_and_b64 s[48:49], s[50:51], exec
	s_or_b64 s[46:47], s[46:47], s[48:49]
	s_andn2_b64 exec, exec, s[6:7]
	s_cbranch_execz .LBB29_191
.LBB29_185:                             ;   Parent Loop BB29_16 Depth=1
                                        ; =>  This Inner Loop Header: Depth=2
	v_cmp_gt_i64_e32 vcc, s[56:57], v[12:13]
	s_and_saveexec_b64 s[48:49], vcc
	s_cbranch_execz .LBB29_183
; %bb.186:                              ;   in Loop: Header=BB29_185 Depth=2
	global_load_dwordx2 v[4:5], v[10:11], off
	s_waitcnt vmcnt(0)
	v_xor_b32_e32 v3, 0x80000000, v5
	v_and_b32_e32 v7, v3, v39
	v_and_b32_e32 v6, v4, v38
	v_cmp_eq_u64_e32 vcc, v[6:7], v[30:31]
	s_and_b64 exec, exec, vcc
	s_cbranch_execz .LBB29_183
; %bb.187:                              ;   in Loop: Header=BB29_185 Depth=2
	v_mov_b32_e32 v3, v19
	ds_write_b128 v19, v[2:5] offset:3072
	s_branch .LBB29_183
.LBB29_188:                             ;   in Loop: Header=BB29_185 Depth=2
	v_lshl_add_u64 v[12:13], v[12:13], 0, s[82:83]
	v_cmp_le_i64_e32 vcc, s[28:29], v[12:13]
	v_lshl_add_u64 v[10:11], v[10:11], 0, s[86:87]
	s_mov_b64 s[50:51], 0
	s_orn2_b64 s[48:49], vcc, exec
	s_branch .LBB29_184
.LBB29_189:                             ;   in Loop: Header=BB29_16 Depth=1
                                        ; implicit-def: $sgpr6_sgpr7
	s_andn2_b64 vcc, exec, s[8:9]
	s_cbranch_vccz .LBB29_134
	s_branch .LBB29_135
.LBB29_190:                             ;   in Loop: Header=BB29_16 Depth=1
                                        ; implicit-def: $sgpr8_sgpr9
	s_branch .LBB29_150
.LBB29_191:                             ;   in Loop: Header=BB29_16 Depth=1
	s_or_b64 exec, exec, s[6:7]
	s_and_b64 s[6:7], s[46:47], exec
.LBB29_192:                             ;   in Loop: Header=BB29_16 Depth=1
	s_or_b64 exec, exec, s[12:13]
.LBB29_193:                             ;   in Loop: Header=BB29_16 Depth=1
	s_and_b64 vcc, exec, s[8:9]
	s_cbranch_vccz .LBB29_207
; %bb.194:                              ;   in Loop: Header=BB29_16 Depth=1
	v_readlane_b32 s8, v68, 34
	s_add_u32 s36, s44, s8
	v_readlane_b32 s8, v68, 36
	s_addc_u32 s9, s45, s8
	s_mov_b32 s8, s85
	s_cmp_lg_u64 s[8:9], 0
	s_cbranch_scc0 .LBB29_235
; %bb.195:                              ;   in Loop: Header=BB29_16 Depth=1
	s_add_u32 s12, s82, 0
	s_addc_u32 s13, 0, 0
	s_xor_b64 s[12:13], s[12:13], 0
	v_cvt_f32_u32_e32 v3, s12
	v_cvt_f32_u32_e32 v4, s13
	s_sub_u32 s8, 0, s12
	s_subb_u32 s37, 0, s13
	v_fmac_f32_e32 v3, 0x4f800000, v4
	v_rcp_f32_e32 v3, v3
	s_nop 0
	v_mul_f32_e32 v3, 0x5f7ffffc, v3
	v_mul_f32_e32 v4, 0x2f800000, v3
	v_trunc_f32_e32 v4, v4
	v_fmac_f32_e32 v3, 0xcf800000, v4
	v_cvt_u32_f32_e32 v4, v4
	v_cvt_u32_f32_e32 v3, v3
	v_readfirstlane_b32 s38, v4
	v_readfirstlane_b32 s28, v3
	s_mul_i32 s29, s8, s38
	s_mul_hi_u32 s46, s8, s28
	s_mul_i32 s39, s37, s28
	s_add_i32 s29, s46, s29
	s_mul_i32 s47, s8, s28
	s_add_i32 s29, s29, s39
	s_mul_i32 s46, s28, s29
	s_mul_hi_u32 s48, s28, s47
	s_mul_hi_u32 s39, s28, s29
	s_add_u32 s46, s48, s46
	s_addc_u32 s39, 0, s39
	s_mul_hi_u32 s49, s38, s47
	s_mul_i32 s47, s38, s47
	s_add_u32 s46, s46, s47
	s_mul_hi_u32 s48, s38, s29
	s_addc_u32 s39, s39, s49
	s_addc_u32 s46, s48, 0
	s_mul_i32 s29, s38, s29
	s_add_u32 s29, s39, s29
	s_addc_u32 s39, 0, s46
	s_add_u32 s46, s28, s29
	s_cselect_b64 s[28:29], -1, 0
	s_cmp_lg_u64 s[28:29], 0
	s_addc_u32 s38, s38, s39
	s_mul_i32 s28, s8, s38
	s_mul_hi_u32 s29, s8, s46
	s_add_i32 s28, s29, s28
	s_mul_i32 s37, s37, s46
	s_add_i32 s28, s28, s37
	s_mul_i32 s8, s8, s46
	s_mul_hi_u32 s37, s38, s8
	s_mul_i32 s39, s38, s8
	s_mul_i32 s48, s46, s28
	s_mul_hi_u32 s8, s46, s8
	s_mul_hi_u32 s47, s46, s28
	s_add_u32 s8, s8, s48
	s_addc_u32 s47, 0, s47
	s_add_u32 s8, s8, s39
	s_mul_hi_u32 s29, s38, s28
	s_addc_u32 s8, s47, s37
	s_addc_u32 s29, s29, 0
	s_mul_i32 s28, s38, s28
	s_add_u32 s8, s8, s28
	s_addc_u32 s37, 0, s29
	s_add_u32 s8, s46, s8
	s_cselect_b64 s[28:29], -1, 0
	s_cmp_lg_u64 s[28:29], 0
	s_addc_u32 s37, s38, s37
	s_ashr_i32 s28, s9, 31
	s_add_u32 s38, s36, s28
	s_mov_b32 s29, s28
	s_addc_u32 s39, s9, s28
	s_xor_b64 s[38:39], s[38:39], s[28:29]
	s_mul_i32 s47, s38, s37
	s_mul_hi_u32 s48, s38, s8
	s_mul_hi_u32 s46, s38, s37
	s_add_u32 s47, s48, s47
	s_addc_u32 s46, 0, s46
	s_mul_hi_u32 s49, s39, s8
	s_mul_i32 s8, s39, s8
	s_add_u32 s8, s47, s8
	s_mul_hi_u32 s48, s39, s37
	s_addc_u32 s8, s46, s49
	s_addc_u32 s46, s48, 0
	s_mul_i32 s37, s39, s37
	s_add_u32 s8, s8, s37
	s_addc_u32 s37, 0, s46
	s_mul_i32 s37, s12, s37
	s_mul_hi_u32 s46, s12, s8
	s_add_i32 s37, s46, s37
	s_mul_i32 s46, s13, s8
	s_add_i32 s37, s37, s46
	s_sub_i32 s48, s39, s37
	s_mul_i32 s8, s12, s8
	s_sub_u32 s8, s38, s8
	s_cselect_b64 s[46:47], -1, 0
	s_cmp_lg_u64 s[46:47], 0
	s_subb_u32 s38, s48, s13
	s_sub_u32 s50, s8, s12
	s_cselect_b64 s[48:49], -1, 0
	s_cmp_lg_u64 s[48:49], 0
	s_subb_u32 s51, s38, 0
	s_cmp_ge_u32 s51, s13
	s_cselect_b32 s52, -1, 0
	s_cmp_ge_u32 s50, s12
	s_cselect_b32 s53, -1, 0
	s_cmp_eq_u32 s51, s13
	s_cselect_b32 s52, s53, s52
	s_cmp_lg_u64 s[48:49], 0
	s_subb_u32 s38, s38, s13
	s_sub_u32 s53, s50, s12
	s_cselect_b64 s[48:49], -1, 0
	s_cmp_lg_u64 s[48:49], 0
	s_subb_u32 s38, s38, 0
	s_cmp_lg_u32 s52, 0
	s_cselect_b32 s48, s53, s50
	s_cselect_b32 s38, s38, s51
	s_cmp_lg_u64 s[46:47], 0
	s_subb_u32 s37, s39, s37
	s_cmp_ge_u32 s37, s13
	s_cselect_b32 s39, -1, 0
	s_cmp_ge_u32 s8, s12
	s_cselect_b32 s12, -1, 0
	s_cmp_eq_u32 s37, s13
	s_cselect_b32 s12, s12, s39
	s_cmp_lg_u32 s12, 0
	s_cselect_b32 s13, s38, s37
	s_cselect_b32 s12, s48, s8
	s_xor_b64 s[12:13], s[12:13], s[28:29]
	s_sub_u32 s12, s12, s28
	s_subb_u32 s13, s13, s28
	s_cbranch_execnz .LBB29_197
.LBB29_196:                             ;   in Loop: Header=BB29_16 Depth=1
	v_cvt_f32_u32_e32 v3, s82
	s_sub_i32 s8, 0, s82
	v_rcp_iflag_f32_e32 v3, v3
	s_nop 0
	v_mul_f32_e32 v3, 0x4f7ffffe, v3
	v_cvt_u32_f32_e32 v3, v3
	s_nop 0
	v_readfirstlane_b32 s12, v3
	s_mul_i32 s8, s8, s12
	s_mul_hi_u32 s8, s12, s8
	s_add_i32 s12, s12, s8
	s_mul_hi_u32 s8, s36, s12
	s_mul_i32 s8, s8, s82
	s_sub_i32 s8, s36, s8
	s_sub_i32 s12, s8, s82
	s_cmp_ge_u32 s8, s82
	s_cselect_b32 s8, s12, s8
	s_sub_i32 s12, s8, s82
	s_cmp_ge_u32 s8, s82
	s_cselect_b32 s84, s12, s8
	s_mov_b64 s[12:13], s[84:85]
.LBB29_197:                             ;   in Loop: Header=BB29_16 Depth=1
	s_sub_u32 s12, s36, s12
	s_subb_u32 s13, s9, s13
	v_cmp_gt_i64_e32 vcc, s[12:13], v[0:1]
                                        ; implicit-def: $vgpr6_vgpr7
	s_and_saveexec_b64 s[8:9], vcc
	s_cbranch_execz .LBB29_206
; %bb.198:                              ;   in Loop: Header=BB29_16 Depth=1
	s_mov_b64 s[28:29], 0
	v_mov_b32_e32 v12, v49
	v_mov_b64_e32 v[10:11], v[0:1]
                                        ; implicit-def: $sgpr36_sgpr37
	s_branch .LBB29_201
.LBB29_199:                             ;   in Loop: Header=BB29_201 Depth=2
	s_or_b64 exec, exec, s[38:39]
	s_waitcnt lgkmcnt(0)
	s_barrier
	ds_read_b128 v[4:7], v19 offset:3072
	s_mov_b64 s[38:39], -1
	s_mov_b64 s[46:47], -1
	s_waitcnt lgkmcnt(0)
	s_barrier
	v_cmp_eq_u64_e32 vcc, 0, v[4:5]
	s_cbranch_vccnz .LBB29_204
.LBB29_200:                             ;   in Loop: Header=BB29_201 Depth=2
	s_and_b64 s[38:39], exec, s[38:39]
	s_or_b64 s[28:29], s[38:39], s[28:29]
	s_andn2_b64 s[36:37], s[36:37], exec
	s_and_b64 s[38:39], s[46:47], exec
	s_or_b64 s[36:37], s[36:37], s[38:39]
	s_andn2_b64 exec, exec, s[28:29]
	s_cbranch_execz .LBB29_205
.LBB29_201:                             ;   Parent Loop BB29_16 Depth=1
                                        ; =>  This Inner Loop Header: Depth=2
	v_cmp_gt_u64_e32 vcc, s[44:45], v[10:11]
	s_and_saveexec_b64 s[38:39], vcc
	s_cbranch_execz .LBB29_199
; %bb.202:                              ;   in Loop: Header=BB29_201 Depth=2
	ds_read_b64 v[4:5], v12
	s_waitcnt lgkmcnt(0)
	v_xor_b32_e32 v3, 0x80000000, v5
	v_and_b32_e32 v7, v3, v39
	v_and_b32_e32 v6, v4, v38
	v_cmp_eq_u64_e32 vcc, v[6:7], v[30:31]
	s_and_b64 exec, exec, vcc
	s_cbranch_execz .LBB29_199
; %bb.203:                              ;   in Loop: Header=BB29_201 Depth=2
	v_mov_b32_e32 v3, v19
	ds_write_b128 v19, v[2:5] offset:3072
	s_branch .LBB29_199
.LBB29_204:                             ;   in Loop: Header=BB29_201 Depth=2
	v_lshl_add_u64 v[10:11], v[10:11], 0, s[82:83]
	v_cmp_le_i64_e32 vcc, s[12:13], v[10:11]
	v_add_u32_e32 v12, s90, v12
	s_mov_b64 s[46:47], 0
	s_orn2_b64 s[38:39], vcc, exec
	s_branch .LBB29_200
.LBB29_205:                             ;   in Loop: Header=BB29_16 Depth=1
	s_or_b64 exec, exec, s[28:29]
	s_andn2_b64 s[6:7], s[6:7], exec
	s_and_b64 s[12:13], s[36:37], exec
	s_or_b64 s[6:7], s[6:7], s[12:13]
.LBB29_206:                             ;   in Loop: Header=BB29_16 Depth=1
	s_or_b64 exec, exec, s[8:9]
	s_mov_b64 s[36:37], 0
	s_mov_b64 s[38:39], -1
.LBB29_207:                             ;   in Loop: Header=BB29_16 Depth=1
	s_orn2_b64 s[6:7], s[6:7], exec
.LBB29_208:                             ;   in Loop: Header=BB29_16 Depth=1
	s_or_b64 exec, exec, s[40:41]
	s_mov_b64 s[8:9], 0
	s_and_saveexec_b64 s[40:41], s[6:7]
	s_cbranch_execz .LBB29_266
; %bb.209:                              ;   in Loop: Header=BB29_16 Depth=1
	s_xor_b64 s[12:13], s[42:43], -1
	v_mov_b32_e32 v18, 1
	v_mov_b64_e32 v[10:11], 1
	s_and_saveexec_b64 s[6:7], s[12:13]
	s_cbranch_execz .LBB29_218
; %bb.210:                              ;   in Loop: Header=BB29_16 Depth=1
	v_cmp_ge_i64_e32 vcc, s[22:23], v[8:9]
	s_and_saveexec_b64 s[8:9], vcc
	s_xor_b64 s[8:9], exec, s[8:9]
	s_cbranch_execz .LBB29_215
; %bb.211:                              ;   in Loop: Header=BB29_16 Depth=1
	ds_read_b64 v[4:5], v19 offset:5120
	s_lshl_b64 s[12:13], 2, s91
	v_and_b32_e32 v3, s25, v31
	v_and_b32_e32 v10, s24, v30
	v_or_b32_e32 v31, s13, v3
	s_waitcnt lgkmcnt(0)
	v_cmp_ne_u64_e32 vcc, 0, v[4:5]
	v_or_b32_e32 v30, s12, v10
	v_or_b32_e32 v39, s15, v39
	;; [unrolled: 1-line block ×3, first 2 shown]
	s_cbranch_vccnz .LBB29_215
; %bb.212:                              ;   in Loop: Header=BB29_16 Depth=1
	s_mov_b64 s[12:13], exec
	v_readlane_b32 s24, v68, 12
	v_readlane_b32 s25, v68, 13
	s_and_b64 s[24:25], s[12:13], s[24:25]
	s_mov_b64 exec, s[24:25]
; %bb.213:                              ;   in Loop: Header=BB29_16 Depth=1
	v_mov_b64_e32 v[4:5], s[22:23]
	ds_write_b64 v19, v[4:5] offset:5128
; %bb.214:                              ;   in Loop: Header=BB29_16 Depth=1
	s_or_b64 exec, exec, s[12:13]
	s_waitcnt lgkmcnt(0)
	s_barrier
.LBB29_215:                             ;   in Loop: Header=BB29_16 Depth=1
	s_or_saveexec_b64 s[8:9], s[8:9]
	s_mov_b64 s[12:13], 0
	v_mov_b32_e32 v18, 8
	s_xor_b64 exec, exec, s[8:9]
; %bb.216:                              ;   in Loop: Header=BB29_16 Depth=1
	v_mov_b32_e32 v3, s23
	v_subrev_co_u32_e32 v8, vcc, s22, v8
	s_mov_b64 s[12:13], exec
	s_nop 0
	v_subb_co_u32_e32 v9, vcc, v9, v3, vcc
	v_mov_b32_e32 v18, 0
; %bb.217:                              ;   in Loop: Header=BB29_16 Depth=1
	s_or_b64 exec, exec, s[8:9]
	s_and_b64 s[8:9], s[12:13], exec
	v_mov_b64_e32 v[10:11], v[8:9]
.LBB29_218:                             ;   in Loop: Header=BB29_16 Depth=1
	s_or_b64 exec, exec, s[6:7]
	s_mov_b64 s[6:7], -1
                                        ; implicit-def: $sgpr12_sgpr13
                                        ; implicit-def: $sgpr28_sgpr29
	s_and_saveexec_b64 s[22:23], s[8:9]
	s_cbranch_execz .LBB29_265
; %bb.219:                              ;   in Loop: Header=BB29_16 Depth=1
	s_cmp_eq_u64 s[2:3], 1
	s_cselect_b64 s[6:7], -1, 0
	v_cmp_eq_u64_e32 vcc, 1, v[10:11]
	s_and_b64 s[24:25], s[6:7], vcc
	s_mov_b64 s[8:9], -1
                                        ; implicit-def: $sgpr12_sgpr13
                                        ; implicit-def: $sgpr28_sgpr29
	s_and_saveexec_b64 s[42:43], s[24:25]
	s_cbranch_execz .LBB29_253
; %bb.220:                              ;   in Loop: Header=BB29_16 Depth=1
	ds_read_b64 v[4:5], v19 offset:5120
	s_waitcnt lgkmcnt(0)
	s_barrier
	v_readfirstlane_b32 s44, v4
	v_readfirstlane_b32 s45, v5
	s_mov_b64 s[6:7], exec
	v_readlane_b32 s8, v68, 24
	v_readlane_b32 s9, v68, 25
	s_and_b64 s[8:9], s[6:7], s[8:9]
	s_mov_b64 exec, s[8:9]
; %bb.221:                              ;   in Loop: Header=BB29_16 Depth=1
	ds_write_b64 v50, v[58:59]
; %bb.222:                              ;   in Loop: Header=BB29_16 Depth=1
	s_or_b64 exec, exec, s[6:7]
	v_cmp_gt_i64_e64 s[6:7], s[44:45], 0
	v_or_b32_e32 v31, s15, v31
	v_or_b32_e32 v30, s14, v30
	;; [unrolled: 1-line block ×4, first 2 shown]
	s_mov_b64 s[28:29], -1
	s_mov_b64 s[12:13], 0
	s_and_b64 vcc, exec, s[6:7]
	s_mov_b64 s[6:7], 0
	s_mov_b64 s[8:9], -1
	s_waitcnt lgkmcnt(0)
	s_barrier
                                        ; implicit-def: $vgpr6_vgpr7
	s_cbranch_vccnz .LBB29_238
; %bb.223:                              ;   in Loop: Header=BB29_16 Depth=1
	s_mov_b32 s94, s85
	s_cmp_lg_u64 s[94:95], 0
	s_cbranch_scc0 .LBB29_272
; %bb.224:                              ;   in Loop: Header=BB29_16 Depth=1
	s_add_u32 s6, s82, 0
	s_addc_u32 s7, 0, 0
	s_xor_b64 s[6:7], s[6:7], 0
	v_cvt_f32_u32_e32 v3, s6
	v_cvt_f32_u32_e32 v4, s7
	s_sub_u32 s46, 0, s6
	s_subb_u32 s47, 0, s7
	v_fmac_f32_e32 v3, 0x4f800000, v4
	v_rcp_f32_e32 v3, v3
	s_nop 0
	v_mul_f32_e32 v3, 0x5f7ffffc, v3
	v_mul_f32_e32 v4, 0x2f800000, v3
	v_trunc_f32_e32 v4, v4
	v_fmac_f32_e32 v3, 0xcf800000, v4
	v_cvt_u32_f32_e32 v4, v4
	v_cvt_u32_f32_e32 v3, v3
	v_readfirstlane_b32 s48, v4
	v_readfirstlane_b32 s8, v3
	s_mul_i32 s9, s46, s48
	s_mul_hi_u32 s50, s46, s8
	s_mul_i32 s49, s47, s8
	s_add_i32 s9, s50, s9
	s_mul_i32 s51, s46, s8
	s_add_i32 s9, s9, s49
	s_mul_i32 s50, s8, s9
	s_mul_hi_u32 s52, s8, s51
	s_mul_hi_u32 s49, s8, s9
	s_add_u32 s50, s52, s50
	s_addc_u32 s49, 0, s49
	s_mul_hi_u32 s53, s48, s51
	s_mul_i32 s51, s48, s51
	s_add_u32 s50, s50, s51
	s_mul_hi_u32 s52, s48, s9
	s_addc_u32 s49, s49, s53
	s_addc_u32 s50, s52, 0
	s_mul_i32 s9, s48, s9
	s_add_u32 s9, s49, s9
	s_addc_u32 s49, 0, s50
	s_add_u32 s50, s8, s9
	s_cselect_b64 s[8:9], -1, 0
	s_cmp_lg_u64 s[8:9], 0
	s_addc_u32 s48, s48, s49
	s_mul_i32 s8, s46, s48
	s_mul_hi_u32 s9, s46, s50
	s_add_i32 s8, s9, s8
	s_mul_i32 s47, s47, s50
	s_add_i32 s8, s8, s47
	s_mul_i32 s46, s46, s50
	s_mul_hi_u32 s47, s48, s46
	s_mul_i32 s49, s48, s46
	s_mul_i32 s52, s50, s8
	s_mul_hi_u32 s46, s50, s46
	s_mul_hi_u32 s51, s50, s8
	s_add_u32 s46, s46, s52
	s_addc_u32 s51, 0, s51
	s_add_u32 s46, s46, s49
	s_mul_hi_u32 s9, s48, s8
	s_addc_u32 s46, s51, s47
	s_addc_u32 s9, s9, 0
	s_mul_i32 s8, s48, s8
	s_add_u32 s8, s46, s8
	s_addc_u32 s46, 0, s9
	s_add_u32 s49, s50, s8
	s_cselect_b64 s[8:9], -1, 0
	s_cmp_lg_u64 s[8:9], 0
	s_addc_u32 s48, s48, s46
	s_ashr_i32 s8, s95, 31
	v_readlane_b32 s46, v68, 35
	s_add_u32 s46, s46, s8
	s_mov_b32 s9, s8
	s_addc_u32 s47, s95, s8
	s_xor_b64 s[46:47], s[46:47], s[8:9]
	s_mul_i32 s51, s46, s48
	s_mul_hi_u32 s52, s46, s49
	s_mul_hi_u32 s50, s46, s48
	s_add_u32 s51, s52, s51
	s_addc_u32 s50, 0, s50
	s_mul_hi_u32 s53, s47, s49
	s_mul_i32 s49, s47, s49
	s_add_u32 s49, s51, s49
	s_mul_hi_u32 s52, s47, s48
	s_addc_u32 s49, s50, s53
	s_addc_u32 s50, s52, 0
	s_mul_i32 s48, s47, s48
	s_add_u32 s48, s49, s48
	s_addc_u32 s49, 0, s50
	s_mul_i32 s49, s6, s49
	s_mul_hi_u32 s50, s6, s48
	s_add_i32 s49, s50, s49
	s_mul_i32 s50, s7, s48
	s_add_i32 s52, s49, s50
	s_sub_i32 s50, s47, s52
	s_mul_i32 s48, s6, s48
	s_sub_u32 s46, s46, s48
	s_cselect_b64 s[48:49], -1, 0
	s_cmp_lg_u64 s[48:49], 0
	s_subb_u32 s53, s50, s7
	s_sub_u32 s54, s46, s6
	s_cselect_b64 s[50:51], -1, 0
	s_cmp_lg_u64 s[50:51], 0
	s_subb_u32 s55, s53, 0
	s_cmp_ge_u32 s55, s7
	s_cselect_b32 s72, -1, 0
	s_cmp_ge_u32 s54, s6
	s_cselect_b32 s73, -1, 0
	s_cmp_eq_u32 s55, s7
	s_cselect_b32 s72, s73, s72
	s_cmp_lg_u64 s[50:51], 0
	s_subb_u32 s53, s53, s7
	s_sub_u32 s73, s54, s6
	s_cselect_b64 s[50:51], -1, 0
	s_cmp_lg_u64 s[50:51], 0
	s_subb_u32 s50, s53, 0
	s_cmp_lg_u32 s72, 0
	s_cselect_b32 s51, s73, s54
	s_cselect_b32 s50, s50, s55
	s_cmp_lg_u64 s[48:49], 0
	s_subb_u32 s47, s47, s52
	s_cmp_ge_u32 s47, s7
	s_cselect_b32 s48, -1, 0
	s_cmp_ge_u32 s46, s6
	s_cselect_b32 s6, -1, 0
	s_cmp_eq_u32 s47, s7
	s_cselect_b32 s6, s6, s48
	s_cmp_lg_u32 s6, 0
	s_cselect_b32 s7, s50, s47
	s_cselect_b32 s6, s51, s46
	s_xor_b64 s[6:7], s[6:7], s[8:9]
	s_sub_u32 s6, s6, s8
	s_subb_u32 s7, s7, s8
	s_cbranch_execnz .LBB29_226
.LBB29_225:                             ;   in Loop: Header=BB29_16 Depth=1
	v_cvt_f32_u32_e32 v3, s82
	s_sub_i32 s6, 0, s82
	v_readlane_b32 s8, v68, 35
	v_rcp_iflag_f32_e32 v3, v3
	s_nop 0
	v_mul_f32_e32 v3, 0x4f7ffffe, v3
	v_cvt_u32_f32_e32 v3, v3
	s_nop 0
	v_readfirstlane_b32 s7, v3
	s_mul_i32 s6, s6, s7
	s_mul_hi_u32 s6, s7, s6
	s_add_i32 s7, s7, s6
	s_mul_hi_u32 s6, s8, s7
	s_mul_i32 s6, s6, s82
	s_sub_i32 s6, s8, s6
	s_sub_i32 s7, s6, s82
	s_cmp_ge_u32 s6, s82
	s_cselect_b32 s6, s7, s6
	s_sub_i32 s7, s6, s82
	s_cmp_ge_u32 s6, s82
	s_cselect_b32 s84, s7, s6
	s_mov_b64 s[6:7], s[84:85]
.LBB29_226:                             ;   in Loop: Header=BB29_16 Depth=1
	v_readlane_b32 s8, v68, 35
	s_sub_u32 s48, s8, s6
	s_subb_u32 s49, s95, s7
	v_cmp_gt_i64_e32 vcc, s[48:49], v[0:1]
	s_mov_b64 s[8:9], 0
	s_mov_b64 s[6:7], 0
                                        ; implicit-def: $vgpr6_vgpr7
	s_and_saveexec_b64 s[46:47], vcc
	s_cbranch_execz .LBB29_237
; %bb.227:                              ;   in Loop: Header=BB29_16 Depth=1
	v_mov_b64_e32 v[8:9], v[16:17]
	v_mov_b64_e32 v[12:13], v[0:1]
                                        ; implicit-def: $sgpr50_sgpr51
	s_branch .LBB29_230
.LBB29_228:                             ;   in Loop: Header=BB29_230 Depth=2
	s_or_b64 exec, exec, s[52:53]
	s_waitcnt lgkmcnt(0)
	s_barrier
	ds_read_b128 v[4:7], v19 offset:3072
	s_mov_b64 s[52:53], -1
	s_mov_b64 s[54:55], -1
	s_waitcnt lgkmcnt(0)
	s_barrier
	v_cmp_ne_u64_e32 vcc, 0, v[4:5]
	s_cbranch_vccz .LBB29_233
.LBB29_229:                             ;   in Loop: Header=BB29_230 Depth=2
	s_and_b64 s[52:53], exec, s[52:53]
	s_or_b64 s[6:7], s[52:53], s[6:7]
	s_andn2_b64 s[50:51], s[50:51], exec
	s_and_b64 s[52:53], s[54:55], exec
	s_or_b64 s[50:51], s[50:51], s[52:53]
	s_andn2_b64 exec, exec, s[6:7]
	s_cbranch_execz .LBB29_236
.LBB29_230:                             ;   Parent Loop BB29_16 Depth=1
                                        ; =>  This Inner Loop Header: Depth=2
	v_cmp_gt_i64_e32 vcc, s[56:57], v[12:13]
	s_and_saveexec_b64 s[52:53], vcc
	s_cbranch_execz .LBB29_228
; %bb.231:                              ;   in Loop: Header=BB29_230 Depth=2
	global_load_dwordx2 v[4:5], v[8:9], off
	s_waitcnt vmcnt(0)
	v_xor_b32_e32 v3, 0x80000000, v5
	v_and_b32_e32 v7, v3, v39
	v_and_b32_e32 v6, v4, v38
	v_cmp_eq_u64_e32 vcc, v[6:7], v[30:31]
	s_and_b64 exec, exec, vcc
	s_cbranch_execz .LBB29_228
; %bb.232:                              ;   in Loop: Header=BB29_230 Depth=2
	v_mov_b32_e32 v3, v19
	ds_write_b128 v19, v[2:5] offset:3072
	s_branch .LBB29_228
.LBB29_233:                             ;   in Loop: Header=BB29_230 Depth=2
	v_lshl_add_u64 v[12:13], v[12:13], 0, s[82:83]
	v_cmp_le_i64_e32 vcc, s[48:49], v[12:13]
	v_lshl_add_u64 v[8:9], v[8:9], 0, s[86:87]
	s_mov_b64 s[54:55], 0
	s_orn2_b64 s[52:53], vcc, exec
	s_branch .LBB29_229
.LBB29_234:                             ;   in Loop: Header=BB29_16 Depth=1
                                        ; implicit-def: $sgpr6_sgpr7
	s_andn2_b64 vcc, exec, s[8:9]
	s_cbranch_vccz .LBB29_180
	s_branch .LBB29_181
.LBB29_235:                             ;   in Loop: Header=BB29_16 Depth=1
                                        ; implicit-def: $sgpr12_sgpr13
	s_branch .LBB29_196
.LBB29_236:                             ;   in Loop: Header=BB29_16 Depth=1
	s_or_b64 exec, exec, s[6:7]
	s_and_b64 s[6:7], s[50:51], exec
.LBB29_237:                             ;   in Loop: Header=BB29_16 Depth=1
	s_or_b64 exec, exec, s[46:47]
.LBB29_238:                             ;   in Loop: Header=BB29_16 Depth=1
	s_and_b64 vcc, exec, s[8:9]
	s_cbranch_vccz .LBB29_252
; %bb.239:                              ;   in Loop: Header=BB29_16 Depth=1
	v_readlane_b32 s8, v68, 34
	s_add_u32 s46, s44, s8
	v_readlane_b32 s8, v68, 36
	s_addc_u32 s9, s45, s8
	s_mov_b32 s8, s85
	s_cmp_lg_u64 s[8:9], 0
	s_cbranch_scc0 .LBB29_273
; %bb.240:                              ;   in Loop: Header=BB29_16 Depth=1
	s_add_u32 s12, s82, 0
	s_addc_u32 s13, 0, 0
	s_xor_b64 s[12:13], s[12:13], 0
	v_cvt_f32_u32_e32 v3, s12
	v_cvt_f32_u32_e32 v4, s13
	s_sub_u32 s8, 0, s12
	s_subb_u32 s47, 0, s13
	v_fmac_f32_e32 v3, 0x4f800000, v4
	v_rcp_f32_e32 v3, v3
	s_nop 0
	v_mul_f32_e32 v3, 0x5f7ffffc, v3
	v_mul_f32_e32 v4, 0x2f800000, v3
	v_trunc_f32_e32 v4, v4
	v_fmac_f32_e32 v3, 0xcf800000, v4
	v_cvt_u32_f32_e32 v4, v4
	v_cvt_u32_f32_e32 v3, v3
	v_readfirstlane_b32 s48, v4
	v_readfirstlane_b32 s28, v3
	s_mul_i32 s29, s8, s48
	s_mul_hi_u32 s50, s8, s28
	s_mul_i32 s49, s47, s28
	s_add_i32 s29, s50, s29
	s_mul_i32 s51, s8, s28
	s_add_i32 s29, s29, s49
	s_mul_i32 s50, s28, s29
	s_mul_hi_u32 s52, s28, s51
	s_mul_hi_u32 s49, s28, s29
	s_add_u32 s50, s52, s50
	s_addc_u32 s49, 0, s49
	s_mul_hi_u32 s53, s48, s51
	s_mul_i32 s51, s48, s51
	s_add_u32 s50, s50, s51
	s_mul_hi_u32 s52, s48, s29
	s_addc_u32 s49, s49, s53
	s_addc_u32 s50, s52, 0
	s_mul_i32 s29, s48, s29
	s_add_u32 s29, s49, s29
	s_addc_u32 s49, 0, s50
	s_add_u32 s50, s28, s29
	s_cselect_b64 s[28:29], -1, 0
	s_cmp_lg_u64 s[28:29], 0
	s_addc_u32 s48, s48, s49
	s_mul_i32 s28, s8, s48
	s_mul_hi_u32 s29, s8, s50
	s_add_i32 s28, s29, s28
	s_mul_i32 s47, s47, s50
	s_add_i32 s28, s28, s47
	s_mul_i32 s8, s8, s50
	s_mul_hi_u32 s47, s48, s8
	s_mul_i32 s49, s48, s8
	s_mul_i32 s52, s50, s28
	s_mul_hi_u32 s8, s50, s8
	s_mul_hi_u32 s51, s50, s28
	s_add_u32 s8, s8, s52
	s_addc_u32 s51, 0, s51
	s_add_u32 s8, s8, s49
	s_mul_hi_u32 s29, s48, s28
	s_addc_u32 s8, s51, s47
	s_addc_u32 s29, s29, 0
	s_mul_i32 s28, s48, s28
	s_add_u32 s8, s8, s28
	s_addc_u32 s47, 0, s29
	s_add_u32 s8, s50, s8
	s_cselect_b64 s[28:29], -1, 0
	s_cmp_lg_u64 s[28:29], 0
	s_addc_u32 s47, s48, s47
	s_ashr_i32 s28, s9, 31
	s_add_u32 s48, s46, s28
	s_mov_b32 s29, s28
	s_addc_u32 s49, s9, s28
	s_xor_b64 s[48:49], s[48:49], s[28:29]
	s_mul_i32 s51, s48, s47
	s_mul_hi_u32 s52, s48, s8
	s_mul_hi_u32 s50, s48, s47
	s_add_u32 s51, s52, s51
	s_addc_u32 s50, 0, s50
	s_mul_hi_u32 s53, s49, s8
	s_mul_i32 s8, s49, s8
	s_add_u32 s8, s51, s8
	s_mul_hi_u32 s52, s49, s47
	s_addc_u32 s8, s50, s53
	s_addc_u32 s50, s52, 0
	s_mul_i32 s47, s49, s47
	s_add_u32 s8, s8, s47
	s_addc_u32 s47, 0, s50
	s_mul_i32 s47, s12, s47
	s_mul_hi_u32 s50, s12, s8
	s_add_i32 s47, s50, s47
	s_mul_i32 s50, s13, s8
	s_add_i32 s47, s47, s50
	s_sub_i32 s52, s49, s47
	s_mul_i32 s8, s12, s8
	s_sub_u32 s8, s48, s8
	s_cselect_b64 s[50:51], -1, 0
	s_cmp_lg_u64 s[50:51], 0
	s_subb_u32 s48, s52, s13
	s_sub_u32 s54, s8, s12
	s_cselect_b64 s[52:53], -1, 0
	s_cmp_lg_u64 s[52:53], 0
	s_subb_u32 s55, s48, 0
	s_cmp_ge_u32 s55, s13
	s_cselect_b32 s72, -1, 0
	s_cmp_ge_u32 s54, s12
	s_cselect_b32 s73, -1, 0
	s_cmp_eq_u32 s55, s13
	s_cselect_b32 s72, s73, s72
	s_cmp_lg_u64 s[52:53], 0
	s_subb_u32 s48, s48, s13
	s_sub_u32 s73, s54, s12
	s_cselect_b64 s[52:53], -1, 0
	s_cmp_lg_u64 s[52:53], 0
	s_subb_u32 s48, s48, 0
	s_cmp_lg_u32 s72, 0
	s_cselect_b32 s52, s73, s54
	s_cselect_b32 s48, s48, s55
	s_cmp_lg_u64 s[50:51], 0
	s_subb_u32 s47, s49, s47
	s_cmp_ge_u32 s47, s13
	s_cselect_b32 s49, -1, 0
	s_cmp_ge_u32 s8, s12
	s_cselect_b32 s12, -1, 0
	s_cmp_eq_u32 s47, s13
	s_cselect_b32 s12, s12, s49
	s_cmp_lg_u32 s12, 0
	s_cselect_b32 s13, s48, s47
	s_cselect_b32 s12, s52, s8
	s_xor_b64 s[12:13], s[12:13], s[28:29]
	s_sub_u32 s12, s12, s28
	s_subb_u32 s13, s13, s28
	s_cbranch_execnz .LBB29_242
.LBB29_241:                             ;   in Loop: Header=BB29_16 Depth=1
	v_cvt_f32_u32_e32 v3, s82
	s_sub_i32 s8, 0, s82
	v_rcp_iflag_f32_e32 v3, v3
	s_nop 0
	v_mul_f32_e32 v3, 0x4f7ffffe, v3
	v_cvt_u32_f32_e32 v3, v3
	s_nop 0
	v_readfirstlane_b32 s12, v3
	s_mul_i32 s8, s8, s12
	s_mul_hi_u32 s8, s12, s8
	s_add_i32 s12, s12, s8
	s_mul_hi_u32 s8, s46, s12
	s_mul_i32 s8, s8, s82
	s_sub_i32 s8, s46, s8
	s_sub_i32 s12, s8, s82
	s_cmp_ge_u32 s8, s82
	s_cselect_b32 s8, s12, s8
	s_sub_i32 s12, s8, s82
	s_cmp_ge_u32 s8, s82
	s_cselect_b32 s84, s12, s8
	s_mov_b64 s[12:13], s[84:85]
.LBB29_242:                             ;   in Loop: Header=BB29_16 Depth=1
	s_sub_u32 s12, s46, s12
	s_subb_u32 s13, s9, s13
	v_cmp_gt_i64_e32 vcc, s[12:13], v[0:1]
                                        ; implicit-def: $vgpr6_vgpr7
	s_and_saveexec_b64 s[8:9], vcc
	s_cbranch_execz .LBB29_251
; %bb.243:                              ;   in Loop: Header=BB29_16 Depth=1
	s_mov_b64 s[28:29], 0
	v_mov_b32_e32 v12, v49
	v_mov_b64_e32 v[8:9], v[0:1]
                                        ; implicit-def: $sgpr46_sgpr47
	s_branch .LBB29_246
.LBB29_244:                             ;   in Loop: Header=BB29_246 Depth=2
	s_or_b64 exec, exec, s[48:49]
	s_waitcnt lgkmcnt(0)
	s_barrier
	ds_read_b128 v[4:7], v19 offset:3072
	s_mov_b64 s[48:49], -1
	s_mov_b64 s[50:51], -1
	s_waitcnt lgkmcnt(0)
	s_barrier
	v_cmp_eq_u64_e32 vcc, 0, v[4:5]
	s_cbranch_vccnz .LBB29_249
.LBB29_245:                             ;   in Loop: Header=BB29_246 Depth=2
	s_and_b64 s[48:49], exec, s[48:49]
	s_or_b64 s[28:29], s[48:49], s[28:29]
	s_andn2_b64 s[46:47], s[46:47], exec
	s_and_b64 s[48:49], s[50:51], exec
	s_or_b64 s[46:47], s[46:47], s[48:49]
	s_andn2_b64 exec, exec, s[28:29]
	s_cbranch_execz .LBB29_250
.LBB29_246:                             ;   Parent Loop BB29_16 Depth=1
                                        ; =>  This Inner Loop Header: Depth=2
	v_cmp_gt_u64_e32 vcc, s[44:45], v[8:9]
	s_and_saveexec_b64 s[48:49], vcc
	s_cbranch_execz .LBB29_244
; %bb.247:                              ;   in Loop: Header=BB29_246 Depth=2
	ds_read_b64 v[4:5], v12
	s_waitcnt lgkmcnt(0)
	v_xor_b32_e32 v3, 0x80000000, v5
	v_and_b32_e32 v7, v3, v39
	v_and_b32_e32 v6, v4, v38
	v_cmp_eq_u64_e32 vcc, v[6:7], v[30:31]
	s_and_b64 exec, exec, vcc
	s_cbranch_execz .LBB29_244
; %bb.248:                              ;   in Loop: Header=BB29_246 Depth=2
	v_mov_b32_e32 v3, v19
	ds_write_b128 v19, v[2:5] offset:3072
	s_branch .LBB29_244
.LBB29_249:                             ;   in Loop: Header=BB29_246 Depth=2
	v_lshl_add_u64 v[8:9], v[8:9], 0, s[82:83]
	v_cmp_le_i64_e32 vcc, s[12:13], v[8:9]
	v_add_u32_e32 v12, s90, v12
	s_mov_b64 s[50:51], 0
	s_orn2_b64 s[48:49], vcc, exec
	s_branch .LBB29_245
.LBB29_250:                             ;   in Loop: Header=BB29_16 Depth=1
	s_or_b64 exec, exec, s[28:29]
	s_andn2_b64 s[6:7], s[6:7], exec
	s_and_b64 s[12:13], s[46:47], exec
	s_or_b64 s[6:7], s[6:7], s[12:13]
.LBB29_251:                             ;   in Loop: Header=BB29_16 Depth=1
	s_or_b64 exec, exec, s[8:9]
	s_mov_b64 s[28:29], 0
	s_mov_b64 s[12:13], -1
.LBB29_252:                             ;   in Loop: Header=BB29_16 Depth=1
	s_orn2_b64 s[8:9], s[6:7], exec
.LBB29_253:                             ;   in Loop: Header=BB29_16 Depth=1
	s_or_b64 exec, exec, s[42:43]
	s_mov_b64 s[42:43], 0
	s_and_saveexec_b64 s[6:7], s[8:9]
	s_cbranch_execz .LBB29_264
; %bb.254:                              ;   in Loop: Header=BB29_16 Depth=1
	s_xor_b64 s[24:25], s[24:25], -1
	v_mov_b64_e32 v[4:5], 1
	v_mov_b32_e32 v18, 1
	s_and_saveexec_b64 s[8:9], s[24:25]
	s_cbranch_execz .LBB29_263
; %bb.255:                              ;   in Loop: Header=BB29_16 Depth=1
	v_cmp_ge_i64_e32 vcc, s[2:3], v[10:11]
	s_and_saveexec_b64 s[24:25], vcc
	s_xor_b64 s[24:25], exec, s[24:25]
	s_cbranch_execz .LBB29_260
; %bb.256:                              ;   in Loop: Header=BB29_16 Depth=1
	ds_read_b64 v[4:5], v19 offset:5120
	v_or_b32_e32 v31, s15, v31
	v_or_b32_e32 v30, s14, v30
	v_or_b32_e32 v39, s15, v39
	v_or_b32_e32 v38, s14, v38
	s_waitcnt lgkmcnt(0)
	v_cmp_ne_u64_e32 vcc, 0, v[4:5]
	s_cbranch_vccnz .LBB29_260
; %bb.257:                              ;   in Loop: Header=BB29_16 Depth=1
	s_mov_b64 s[14:15], exec
	v_readlane_b32 s42, v68, 12
	v_readlane_b32 s43, v68, 13
	s_and_b64 s[42:43], s[14:15], s[42:43]
	s_mov_b64 exec, s[42:43]
; %bb.258:                              ;   in Loop: Header=BB29_16 Depth=1
	v_mov_b64_e32 v[4:5], s[2:3]
	ds_write_b64 v19, v[4:5] offset:5128
; %bb.259:                              ;   in Loop: Header=BB29_16 Depth=1
	s_or_b64 exec, exec, s[14:15]
	s_waitcnt lgkmcnt(0)
	s_barrier
.LBB29_260:                             ;   in Loop: Header=BB29_16 Depth=1
	s_andn2_saveexec_b64 s[14:15], s[24:25]
; %bb.261:                              ;   in Loop: Header=BB29_16 Depth=1
	v_mov_b32_e32 v3, s3
	v_subrev_co_u32_e32 v10, vcc, s2, v10
	s_nop 1
	v_subb_co_u32_e32 v11, vcc, v11, v3, vcc
; %bb.262:                              ;   in Loop: Header=BB29_16 Depth=1
	s_or_b64 exec, exec, s[14:15]
	v_mov_b32_e32 v18, 8
	v_mov_b64_e32 v[4:5], v[10:11]
.LBB29_263:                             ;   in Loop: Header=BB29_16 Depth=1
	s_or_b64 exec, exec, s[8:9]
	s_mov_b64 s[42:43], exec
	v_mov_b64_e32 v[10:11], v[4:5]
.LBB29_264:                             ;   in Loop: Header=BB29_16 Depth=1
	s_or_b64 exec, exec, s[6:7]
	s_orn2_b64 s[6:7], s[42:43], exec
.LBB29_265:                             ;   in Loop: Header=BB29_16 Depth=1
	s_or_b64 exec, exec, s[22:23]
	s_andn2_b64 s[2:3], s[38:39], exec
	s_and_b64 s[8:9], s[12:13], exec
	s_or_b64 s[38:39], s[2:3], s[8:9]
	s_andn2_b64 s[2:3], s[36:37], exec
	s_and_b64 s[8:9], s[28:29], exec
	s_or_b64 s[36:37], s[2:3], s[8:9]
	s_and_b64 s[8:9], s[6:7], exec
	v_mov_b64_e32 v[8:9], v[10:11]
.LBB29_266:                             ;   in Loop: Header=BB29_16 Depth=1
	s_or_b64 exec, exec, s[40:41]
	s_orn2_b64 s[6:7], s[8:9], exec
.LBB29_267:                             ;   in Loop: Header=BB29_16 Depth=1
	s_or_b64 exec, exec, s[34:35]
	s_andn2_b64 s[2:3], s[26:27], exec
	s_and_b64 s[8:9], s[38:39], exec
	s_or_b64 s[26:27], s[2:3], s[8:9]
	s_andn2_b64 s[0:1], s[0:1], exec
	s_and_b64 s[2:3], s[36:37], exec
	s_or_b64 s[0:1], s[0:1], s[2:3]
	s_and_b64 s[8:9], s[6:7], exec
	v_mov_b64_e32 v[12:13], v[8:9]
.LBB29_268:                             ;   in Loop: Header=BB29_16 Depth=1
	s_or_b64 exec, exec, s[30:31]
	s_orn2_b64 s[6:7], s[8:9], exec
.LBB29_269:                             ;   in Loop: Header=BB29_16 Depth=1
	s_or_b64 exec, exec, s[20:21]
	s_mov_b64 s[8:9], 0
	s_and_saveexec_b64 s[2:3], s[6:7]
	s_xor_b64 s[2:3], exec, s[2:3]
	s_cbranch_execz .LBB29_14
; %bb.270:                              ;   in Loop: Header=BB29_16 Depth=1
	v_and_b32_e32 v3, 7, v18
	v_cmp_eq_u32_e32 vcc, 0, v3
	s_mov_b64 s[6:7], -1
	s_mov_b64 s[8:9], -1
	s_and_saveexec_b64 s[12:13], vcc
	s_cbranch_execz .LBB29_13
; %bb.271:                              ;   in Loop: Header=BB29_16 Depth=1
	s_xor_b32 s96, s96, 1
	s_add_i32 s14, s91, -2
	s_cmp_eq_u32 s91, 0
	s_cselect_b64 s[6:7], -1, 0
	s_xor_b64 s[8:9], exec, -1
	s_orn2_b64 s[6:7], s[6:7], exec
	s_mov_b32 s91, s14
	s_branch .LBB29_13
.LBB29_272:                             ;   in Loop: Header=BB29_16 Depth=1
                                        ; implicit-def: $sgpr6_sgpr7
	s_andn2_b64 vcc, exec, s[8:9]
	s_cbranch_vccz .LBB29_225
	s_branch .LBB29_226
.LBB29_273:                             ;   in Loop: Header=BB29_16 Depth=1
                                        ; implicit-def: $sgpr12_sgpr13
	s_branch .LBB29_241
.LBB29_274:
	s_or_b64 exec, exec, s[68:69]
	s_xor_b64 s[6:7], s[74:75], -1
	s_xor_b64 s[0:1], s[58:59], -1
	;; [unrolled: 1-line block ×3, first 2 shown]
	s_mov_b64 s[2:3], 0
	s_and_saveexec_b64 s[8:9], s[0:1]
	s_xor_b64 s[0:1], exec, s[8:9]
	s_cbranch_execnz .LBB29_279
; %bb.275:
	s_andn2_saveexec_b64 s[0:1], s[0:1]
	s_cbranch_execnz .LBB29_304
.LBB29_276:
	s_or_b64 exec, exec, s[0:1]
	s_and_saveexec_b64 s[0:1], s[2:3]
.LBB29_277:
	; divergent unreachable
.LBB29_278:
	s_endpgm
.LBB29_279:
	s_and_saveexec_b64 s[2:3], s[6:7]
	s_xor_b64 s[2:3], exec, s[2:3]
	s_cbranch_execz .LBB29_302
; %bb.280:
	s_and_saveexec_b64 s[6:7], s[4:5]
	s_xor_b64 s[4:5], exec, s[6:7]
; %bb.281:
	v_xor_b32_e32 v31, 0x80000000, v31
	v_mov_b64_e32 v[6:7], v[30:31]
; %bb.282:
	s_or_b64 exec, exec, s[4:5]
	s_mov_b64 s[4:5], exec
	v_readlane_b32 s6, v68, 12
	v_readlane_b32 s7, v68, 13
	;; [unrolled: 1-line block ×3, first 2 shown]
	s_and_b64 s[6:7], s[4:5], s[6:7]
	v_readlane_b32 s24, v68, 22
	v_readlane_b32 s27, v68, 7
	;; [unrolled: 1-line block ×3, first 2 shown]
	s_mov_b64 exec, s[6:7]
; %bb.283:
	v_mov_b32_e32 v2, 0
	v_mov_b32_e32 v3, s56
	ds_write_b32 v2, v3 offset:5140
; %bb.284:
	s_or_b64 exec, exec, s[4:5]
	s_waitcnt lgkmcnt(0)
	s_barrier
	s_mov_b64 s[4:5], exec
	v_readlane_b32 s6, v68, 30
	v_readlane_b32 s7, v68, 31
	s_and_b64 s[6:7], s[4:5], s[6:7]
	s_mov_b64 exec, s[6:7]
	s_cbranch_execz .LBB29_299
; %bb.285:
	v_mov_b32_e32 v2, 0
	ds_read_b32 v4, v2 offset:5140
	s_mov_b64 s[6:7], 0
                                        ; implicit-def: $sgpr8_sgpr9
                                        ; implicit-def: $sgpr10_sgpr11
                                        ; implicit-def: $sgpr12_sgpr13
	s_waitcnt lgkmcnt(0)
	v_ashrrev_i32_e32 v5, 31, v4
	s_branch .LBB29_288
.LBB29_286:                             ;   in Loop: Header=BB29_288 Depth=1
	s_or_b64 exec, exec, s[20:21]
	s_andn2_b64 s[12:13], s[12:13], exec
	s_and_b64 s[18:19], s[18:19], exec
	s_andn2_b64 s[10:11], s[10:11], exec
	s_and_b64 s[16:17], s[16:17], exec
	s_or_b64 s[12:13], s[12:13], s[18:19]
	s_or_b64 s[10:11], s[10:11], s[16:17]
.LBB29_287:                             ;   in Loop: Header=BB29_288 Depth=1
	s_or_b64 exec, exec, s[14:15]
	s_and_b64 s[14:15], exec, s[10:11]
	s_or_b64 s[6:7], s[14:15], s[6:7]
	s_andn2_b64 s[8:9], s[8:9], exec
	s_and_b64 s[14:15], s[12:13], exec
	s_or_b64 s[8:9], s[8:9], s[14:15]
	s_andn2_b64 exec, exec, s[6:7]
	s_cbranch_execz .LBB29_294
.LBB29_288:                             ; =>This Inner Loop Header: Depth=1
	v_mov_b64_e32 v[2:3], v[0:1]
	v_cmp_lt_i64_e32 vcc, v[2:3], v[4:5]
	s_or_b64 s[12:13], s[12:13], exec
	s_or_b64 s[10:11], s[10:11], exec
                                        ; implicit-def: $vgpr0_vgpr1
	s_and_saveexec_b64 s[14:15], vcc
	s_cbranch_execz .LBB29_287
; %bb.289:                              ;   in Loop: Header=BB29_288 Depth=1
	global_load_dwordx2 v[0:1], v[16:17], off
	s_mov_b64 s[16:17], -1
	s_mov_b64 s[18:19], 0
	s_waitcnt vmcnt(0)
	v_cmp_ne_u64_e32 vcc, v[0:1], v[6:7]
                                        ; implicit-def: $vgpr0_vgpr1
	s_and_saveexec_b64 s[20:21], vcc
	s_cbranch_execz .LBB29_286
; %bb.290:                              ;   in Loop: Header=BB29_288 Depth=1
	v_lshl_add_u64 v[0:1], v[2:3], 0, s[82:83]
	v_cmp_le_i64_e32 vcc, s[56:57], v[0:1]
	s_mov_b64 s[18:19], exec
	v_lshl_add_u64 v[16:17], v[16:17], 0, s[86:87]
	s_orn2_b64 s[16:17], vcc, exec
	s_branch .LBB29_286
.LBB29_291:
                                        ; implicit-def: $sgpr12_sgpr13
	s_branch .LBB29_3
.LBB29_292:
                                        ; implicit-def: $sgpr16_sgpr17
	s_branch .LBB29_6
.LBB29_293:
                                        ; implicit-def: $sgpr6_sgpr7
                                        ; kill: killed $sgpr6_sgpr7
	s_load_dwordx2 s[16:17], s[0:1], 0x0
	s_branch .LBB29_9
.LBB29_294:
	s_or_b64 exec, exec, s[6:7]
	s_xor_b64 s[6:7], s[8:9], -1
	s_and_saveexec_b64 s[8:9], s[6:7]
	s_xor_b64 s[8:9], exec, s[8:9]
	s_cbranch_execz .LBB29_299
; %bb.295:
	s_mov_b64 s[6:7], exec
	s_brev_b32 s8, -2
.LBB29_296:                             ; =>This Inner Loop Header: Depth=1
	s_ff1_i32_b64 s9, s[6:7]
	v_readlane_b32 s12, v2, s9
	s_lshl_b64 s[10:11], 1, s9
	s_min_i32 s8, s8, s12
	s_andn2_b64 s[6:7], s[6:7], s[10:11]
	s_cmp_lg_u64 s[6:7], 0
	s_cbranch_scc1 .LBB29_296
; %bb.297:
	v_mbcnt_lo_u32_b32 v0, exec_lo, 0
	v_mbcnt_hi_u32_b32 v0, exec_hi, v0
	v_cmp_eq_u32_e32 vcc, 0, v0
	s_and_saveexec_b64 s[6:7], vcc
	s_xor_b64 s[6:7], exec, s[6:7]
; %bb.298:
	v_mov_b32_e32 v0, 0
	v_mov_b32_e32 v1, s8
	ds_min_i32 v0, v1 offset:5140
.LBB29_299:
	s_or_b64 exec, exec, s[4:5]
	s_waitcnt lgkmcnt(0)
	s_barrier
	s_mov_b64 s[4:5], exec
	v_readlane_b32 s6, v68, 12
	v_readlane_b32 s7, v68, 13
	s_and_b64 s[6:7], s[4:5], s[6:7]
	s_mov_b64 exec, s[6:7]
	s_cbranch_execz .LBB29_301
; %bb.300:
	v_readlane_b32 s8, v68, 0
	v_readlane_b32 s9, v68, 1
	;; [unrolled: 1-line block ×4, first 2 shown]
	s_mul_i32 s6, s10, s9
	s_mul_hi_u32 s7, s10, s8
	s_add_i32 s6, s7, s6
	s_mul_i32 s7, s11, s8
	s_add_i32 s6, s6, s7
	s_mul_i32 s7, s10, s8
	v_readlane_b32 s12, v68, 18
	s_sub_u32 s8, s24, s7
	v_readlane_b32 s14, v68, 20
	v_readlane_b32 s15, v68, 21
	s_subb_u32 s6, 0, s6
	s_mul_i32 s7, s8, s15
	s_mul_hi_u32 s9, s8, s14
	v_readlane_b32 s13, v68, 19
	s_add_i32 s7, s9, s7
	s_mul_i32 s6, s6, s14
	s_add_i32 s7, s7, s6
	s_mul_i32 s6, s8, s14
	s_mul_i32 s8, s10, s13
	s_mul_hi_u32 s9, s10, s12
	s_add_i32 s8, s9, s8
	s_mul_i32 s9, s11, s12
	v_readlane_b32 s14, v68, 4
	s_add_i32 s9, s8, s9
	s_mul_i32 s8, s10, s12
	v_readlane_b32 s15, v68, 5
	s_mul_i32 s10, s14, s27
	s_mul_hi_u32 s11, s14, s26
	s_add_i32 s10, s11, s10
	s_mul_i32 s11, s15, s26
	s_add_i32 s10, s10, s11
	s_mul_i32 s11, s14, s26
	v_readlane_b32 s16, v68, 14
	s_sub_u32 s12, s24, s11
	v_readlane_b32 s18, v68, 16
	v_readlane_b32 s19, v68, 17
	s_subb_u32 s10, 0, s10
	s_mul_i32 s11, s12, s19
	s_mul_hi_u32 s13, s12, s18
	v_readlane_b32 s17, v68, 15
	s_add_i32 s11, s13, s11
	s_mul_i32 s10, s10, s18
	s_add_i32 s11, s11, s10
	s_mul_i32 s10, s12, s18
	s_mul_i32 s12, s14, s17
	s_mul_hi_u32 s13, s14, s16
	s_add_i32 s12, s13, s12
	s_mul_i32 s13, s15, s16
	s_add_i32 s13, s12, s13
	s_mul_i32 s12, s14, s16
	s_lshl_b64 s[8:9], s[8:9], 3
	v_readlane_b32 s14, v68, 10
	v_readlane_b32 s15, v68, 11
	s_add_u32 s8, s14, s8
	s_addc_u32 s9, s15, s9
	s_lshl_b64 s[6:7], s[6:7], 3
	v_mov_b32_e32 v2, 0
	s_add_u32 s6, s8, s6
	ds_read_b32 v0, v2 offset:5140
	s_addc_u32 s7, s9, s7
	s_lshl_b64 s[8:9], s[12:13], 3
	v_readlane_b32 s12, v68, 8
	v_readlane_b32 s13, v68, 9
	s_add_u32 s12, s12, s8
	s_addc_u32 s13, s13, s9
	s_lshl_b64 s[8:9], s[10:11], 3
	s_add_u32 s8, s12, s8
	s_addc_u32 s9, s13, s9
	s_waitcnt lgkmcnt(0)
	v_ashrrev_i32_e32 v1, 31, v0
	global_store_dwordx2 v2, v[0:1], s[8:9]
	global_store_dwordx2 v2, v[6:7], s[6:7]
.LBB29_301:
	s_or_b64 exec, exec, s[4:5]
.LBB29_302:
	s_or_saveexec_b64 s[2:3], s[2:3]
	s_mov_b64 s[4:5], 0
	s_xor_b64 exec, exec, s[2:3]
	s_cbranch_execnz .LBB29_305
.LBB29_303:
	s_or_b64 exec, exec, s[2:3]
	s_and_b64 s[2:3], s[4:5], exec
	s_andn2_saveexec_b64 s[0:1], s[0:1]
	s_cbranch_execz .LBB29_276
.LBB29_304:
	s_or_b64 s[2:3], s[2:3], exec
	s_trap 2
	s_or_b64 exec, exec, s[0:1]
	s_and_saveexec_b64 s[0:1], s[2:3]
	s_cbranch_execnz .LBB29_277
	s_branch .LBB29_278
.LBB29_305:
	s_mov_b64 s[4:5], exec
	s_trap 2
	s_branch .LBB29_303
	.section	.rodata,"a",@progbits
	.p2align	6, 0x0
	.amdhsa_kernel _ZN2at6native12_GLOBAL__N_114gatherKthValueIllLi2EEEvNS_4cuda6detail10TensorInfoIKT_T0_EES8_S8_S8_S8_NS5_IS6_S8_EENS5_IlS8_EE
		.amdhsa_group_segment_fixed_size 5144
		.amdhsa_private_segment_fixed_size 0
		.amdhsa_kernarg_size 1536
		.amdhsa_user_sgpr_count 2
		.amdhsa_user_sgpr_dispatch_ptr 0
		.amdhsa_user_sgpr_queue_ptr 0
		.amdhsa_user_sgpr_kernarg_segment_ptr 1
		.amdhsa_user_sgpr_dispatch_id 0
		.amdhsa_user_sgpr_kernarg_preload_length 0
		.amdhsa_user_sgpr_kernarg_preload_offset 0
		.amdhsa_user_sgpr_private_segment_size 0
		.amdhsa_uses_dynamic_stack 0
		.amdhsa_enable_private_segment 0
		.amdhsa_system_sgpr_workgroup_id_x 1
		.amdhsa_system_sgpr_workgroup_id_y 1
		.amdhsa_system_sgpr_workgroup_id_z 1
		.amdhsa_system_sgpr_workgroup_info 0
		.amdhsa_system_vgpr_workitem_id 0
		.amdhsa_next_free_vgpr 69
		.amdhsa_next_free_sgpr 100
		.amdhsa_accum_offset 72
		.amdhsa_reserve_vcc 1
		.amdhsa_float_round_mode_32 0
		.amdhsa_float_round_mode_16_64 0
		.amdhsa_float_denorm_mode_32 3
		.amdhsa_float_denorm_mode_16_64 3
		.amdhsa_dx10_clamp 1
		.amdhsa_ieee_mode 1
		.amdhsa_fp16_overflow 0
		.amdhsa_tg_split 0
		.amdhsa_exception_fp_ieee_invalid_op 0
		.amdhsa_exception_fp_denorm_src 0
		.amdhsa_exception_fp_ieee_div_zero 0
		.amdhsa_exception_fp_ieee_overflow 0
		.amdhsa_exception_fp_ieee_underflow 0
		.amdhsa_exception_fp_ieee_inexact 0
		.amdhsa_exception_int_div_zero 0
	.end_amdhsa_kernel
	.section	.text._ZN2at6native12_GLOBAL__N_114gatherKthValueIllLi2EEEvNS_4cuda6detail10TensorInfoIKT_T0_EES8_S8_S8_S8_NS5_IS6_S8_EENS5_IlS8_EE,"axG",@progbits,_ZN2at6native12_GLOBAL__N_114gatherKthValueIllLi2EEEvNS_4cuda6detail10TensorInfoIKT_T0_EES8_S8_S8_S8_NS5_IS6_S8_EENS5_IlS8_EE,comdat
.Lfunc_end29:
	.size	_ZN2at6native12_GLOBAL__N_114gatherKthValueIllLi2EEEvNS_4cuda6detail10TensorInfoIKT_T0_EES8_S8_S8_S8_NS5_IS6_S8_EENS5_IlS8_EE, .Lfunc_end29-_ZN2at6native12_GLOBAL__N_114gatherKthValueIllLi2EEEvNS_4cuda6detail10TensorInfoIKT_T0_EES8_S8_S8_S8_NS5_IS6_S8_EENS5_IlS8_EE
                                        ; -- End function
	.set _ZN2at6native12_GLOBAL__N_114gatherKthValueIllLi2EEEvNS_4cuda6detail10TensorInfoIKT_T0_EES8_S8_S8_S8_NS5_IS6_S8_EENS5_IlS8_EE.num_vgpr, 69
	.set _ZN2at6native12_GLOBAL__N_114gatherKthValueIllLi2EEEvNS_4cuda6detail10TensorInfoIKT_T0_EES8_S8_S8_S8_NS5_IS6_S8_EENS5_IlS8_EE.num_agpr, 0
	.set _ZN2at6native12_GLOBAL__N_114gatherKthValueIllLi2EEEvNS_4cuda6detail10TensorInfoIKT_T0_EES8_S8_S8_S8_NS5_IS6_S8_EENS5_IlS8_EE.numbered_sgpr, 100
	.set _ZN2at6native12_GLOBAL__N_114gatherKthValueIllLi2EEEvNS_4cuda6detail10TensorInfoIKT_T0_EES8_S8_S8_S8_NS5_IS6_S8_EENS5_IlS8_EE.num_named_barrier, 0
	.set _ZN2at6native12_GLOBAL__N_114gatherKthValueIllLi2EEEvNS_4cuda6detail10TensorInfoIKT_T0_EES8_S8_S8_S8_NS5_IS6_S8_EENS5_IlS8_EE.private_seg_size, 0
	.set _ZN2at6native12_GLOBAL__N_114gatherKthValueIllLi2EEEvNS_4cuda6detail10TensorInfoIKT_T0_EES8_S8_S8_S8_NS5_IS6_S8_EENS5_IlS8_EE.uses_vcc, 1
	.set _ZN2at6native12_GLOBAL__N_114gatherKthValueIllLi2EEEvNS_4cuda6detail10TensorInfoIKT_T0_EES8_S8_S8_S8_NS5_IS6_S8_EENS5_IlS8_EE.uses_flat_scratch, 0
	.set _ZN2at6native12_GLOBAL__N_114gatherKthValueIllLi2EEEvNS_4cuda6detail10TensorInfoIKT_T0_EES8_S8_S8_S8_NS5_IS6_S8_EENS5_IlS8_EE.has_dyn_sized_stack, 0
	.set _ZN2at6native12_GLOBAL__N_114gatherKthValueIllLi2EEEvNS_4cuda6detail10TensorInfoIKT_T0_EES8_S8_S8_S8_NS5_IS6_S8_EENS5_IlS8_EE.has_recursion, 0
	.set _ZN2at6native12_GLOBAL__N_114gatherKthValueIllLi2EEEvNS_4cuda6detail10TensorInfoIKT_T0_EES8_S8_S8_S8_NS5_IS6_S8_EENS5_IlS8_EE.has_indirect_call, 0
	.section	.AMDGPU.csdata,"",@progbits
; Kernel info:
; codeLenInByte = 18376
; TotalNumSgprs: 106
; NumVgprs: 69
; NumAgprs: 0
; TotalNumVgprs: 69
; ScratchSize: 0
; MemoryBound: 0
; FloatMode: 240
; IeeeMode: 1
; LDSByteSize: 5144 bytes/workgroup (compile time only)
; SGPRBlocks: 13
; VGPRBlocks: 8
; NumSGPRsForWavesPerEU: 106
; NumVGPRsForWavesPerEU: 69
; AccumOffset: 72
; Occupancy: 7
; WaveLimiterHint : 1
; COMPUTE_PGM_RSRC2:SCRATCH_EN: 0
; COMPUTE_PGM_RSRC2:USER_SGPR: 2
; COMPUTE_PGM_RSRC2:TRAP_HANDLER: 0
; COMPUTE_PGM_RSRC2:TGID_X_EN: 1
; COMPUTE_PGM_RSRC2:TGID_Y_EN: 1
; COMPUTE_PGM_RSRC2:TGID_Z_EN: 1
; COMPUTE_PGM_RSRC2:TIDIG_COMP_CNT: 0
; COMPUTE_PGM_RSRC3_GFX90A:ACCUM_OFFSET: 17
; COMPUTE_PGM_RSRC3_GFX90A:TG_SPLIT: 0
	.section	.text._ZN2at6native12_GLOBAL__N_114gatherKthValueIllLi3EEEvNS_4cuda6detail10TensorInfoIKT_T0_EES8_S8_S8_S8_NS5_IS6_S8_EENS5_IlS8_EE,"axG",@progbits,_ZN2at6native12_GLOBAL__N_114gatherKthValueIllLi3EEEvNS_4cuda6detail10TensorInfoIKT_T0_EES8_S8_S8_S8_NS5_IS6_S8_EENS5_IlS8_EE,comdat
	.globl	_ZN2at6native12_GLOBAL__N_114gatherKthValueIllLi3EEEvNS_4cuda6detail10TensorInfoIKT_T0_EES8_S8_S8_S8_NS5_IS6_S8_EENS5_IlS8_EE ; -- Begin function _ZN2at6native12_GLOBAL__N_114gatherKthValueIllLi3EEEvNS_4cuda6detail10TensorInfoIKT_T0_EES8_S8_S8_S8_NS5_IS6_S8_EENS5_IlS8_EE
	.p2align	8
	.type	_ZN2at6native12_GLOBAL__N_114gatherKthValueIllLi3EEEvNS_4cuda6detail10TensorInfoIKT_T0_EES8_S8_S8_S8_NS5_IS6_S8_EENS5_IlS8_EE,@function
_ZN2at6native12_GLOBAL__N_114gatherKthValueIllLi3EEEvNS_4cuda6detail10TensorInfoIKT_T0_EES8_S8_S8_S8_NS5_IS6_S8_EENS5_IlS8_EE: ; @_ZN2at6native12_GLOBAL__N_114gatherKthValueIllLi3EEEvNS_4cuda6detail10TensorInfoIKT_T0_EES8_S8_S8_S8_NS5_IS6_S8_EENS5_IlS8_EE
; %bb.0:
	s_load_dwordx2 s[14:15], s[0:1], 0x500
	s_load_dwordx8 s[56:63], s[0:1], 0x1a0
	s_add_u32 s12, s0, 0x500
	s_addc_u32 s13, s1, 0
	s_mov_b32 s43, 0
	s_waitcnt lgkmcnt(0)
	s_mul_i32 s4, s15, s4
	s_add_i32 s3, s4, s3
	s_mul_i32 s3, s3, s14
	s_add_i32 s42, s3, s2
	v_mov_b64_e32 v[2:3], s[42:43]
	v_cmp_le_i64_e32 vcc, s[60:61], v[2:3]
	s_cbranch_vccnz .LBB30_294
; %bb.1:
	s_load_dwordx4 s[4:7], s[0:1], 0x10
	s_mov_b32 s8, s43
	s_waitcnt lgkmcnt(0)
	s_mov_b32 s9, s7
	s_cmp_lg_u64 s[8:9], 0
	s_cbranch_scc0 .LBB30_18
; %bb.2:
	s_ashr_i32 s8, s7, 31
	s_add_u32 s10, s6, s8
	s_mov_b32 s9, s8
	s_addc_u32 s11, s7, s8
	s_xor_b64 s[16:17], s[10:11], s[8:9]
	v_cvt_f32_u32_e32 v1, s16
	v_cvt_f32_u32_e32 v2, s17
	s_sub_u32 s3, 0, s16
	s_subb_u32 s15, 0, s17
	v_fmamk_f32 v1, v2, 0x4f800000, v1
	v_rcp_f32_e32 v1, v1
	s_nop 0
	v_mul_f32_e32 v1, 0x5f7ffffc, v1
	v_mul_f32_e32 v2, 0x2f800000, v1
	v_trunc_f32_e32 v2, v2
	v_fmamk_f32 v1, v2, 0xcf800000, v1
	v_cvt_u32_f32_e32 v2, v2
	v_cvt_u32_f32_e32 v1, v1
	v_readfirstlane_b32 s20, v2
	v_readfirstlane_b32 s18, v1
	s_mul_i32 s19, s3, s20
	s_mul_hi_u32 s22, s3, s18
	s_mul_i32 s21, s15, s18
	s_add_i32 s19, s22, s19
	s_add_i32 s19, s19, s21
	s_mul_i32 s23, s3, s18
	s_mul_i32 s22, s18, s19
	s_mul_hi_u32 s24, s18, s23
	s_mul_hi_u32 s21, s18, s19
	s_add_u32 s22, s24, s22
	s_addc_u32 s21, 0, s21
	s_mul_hi_u32 s25, s20, s23
	s_mul_i32 s23, s20, s23
	s_add_u32 s22, s22, s23
	s_mul_hi_u32 s24, s20, s19
	s_addc_u32 s21, s21, s25
	s_addc_u32 s22, s24, 0
	s_mul_i32 s19, s20, s19
	s_add_u32 s19, s21, s19
	s_addc_u32 s21, 0, s22
	s_add_u32 s22, s18, s19
	s_cselect_b64 s[18:19], -1, 0
	s_cmp_lg_u64 s[18:19], 0
	s_addc_u32 s20, s20, s21
	s_mul_i32 s18, s3, s20
	s_mul_hi_u32 s19, s3, s22
	s_add_i32 s18, s19, s18
	s_mul_i32 s15, s15, s22
	s_add_i32 s18, s18, s15
	s_mul_i32 s3, s3, s22
	s_mul_hi_u32 s19, s20, s3
	s_mul_i32 s21, s20, s3
	s_mul_i32 s24, s22, s18
	s_mul_hi_u32 s3, s22, s3
	s_mul_hi_u32 s23, s22, s18
	s_add_u32 s3, s3, s24
	s_addc_u32 s23, 0, s23
	s_add_u32 s3, s3, s21
	s_mul_hi_u32 s15, s20, s18
	s_addc_u32 s3, s23, s19
	s_addc_u32 s15, s15, 0
	s_mul_i32 s18, s20, s18
	s_add_u32 s3, s3, s18
	s_addc_u32 s15, 0, s15
	s_add_u32 s3, s22, s3
	s_cselect_b64 s[18:19], -1, 0
	s_cmp_lg_u64 s[18:19], 0
	s_addc_u32 s15, s20, s15
	s_add_u32 s18, s42, 0
	s_addc_u32 s19, 0, 0
	s_xor_b64 s[18:19], s[18:19], 0
	s_mul_i32 s21, s18, s15
	s_mul_hi_u32 s22, s18, s3
	s_mul_hi_u32 s20, s18, s15
	s_add_u32 s21, s22, s21
	s_addc_u32 s20, 0, s20
	s_mul_hi_u32 s23, s19, s3
	s_mul_i32 s3, s19, s3
	s_add_u32 s3, s21, s3
	s_mul_hi_u32 s22, s19, s15
	s_addc_u32 s3, s20, s23
	s_addc_u32 s20, s22, 0
	s_mul_i32 s15, s19, s15
	s_add_u32 s3, s3, s15
	s_addc_u32 s15, 0, s20
	s_mul_i32 s20, s16, s15
	s_mul_hi_u32 s21, s16, s3
	s_add_i32 s20, s21, s20
	s_mul_i32 s21, s17, s3
	s_add_i32 s24, s20, s21
	s_sub_i32 s22, s19, s24
	s_mul_i32 s20, s16, s3
	s_sub_u32 s18, s18, s20
	s_cselect_b64 s[20:21], -1, 0
	s_cmp_lg_u64 s[20:21], 0
	s_subb_u32 s25, s22, s17
	s_sub_u32 s26, s18, s16
	s_cselect_b64 s[22:23], -1, 0
	s_cmp_lg_u64 s[22:23], 0
	s_subb_u32 s22, s25, 0
	s_cmp_ge_u32 s22, s17
	s_cselect_b32 s23, -1, 0
	s_cmp_ge_u32 s26, s16
	s_cselect_b32 s25, -1, 0
	s_cmp_eq_u32 s22, s17
	s_cselect_b32 s22, s25, s23
	s_add_u32 s23, s3, 1
	s_addc_u32 s25, s15, 0
	s_add_u32 s26, s3, 2
	s_addc_u32 s27, s15, 0
	s_cmp_lg_u32 s22, 0
	s_cselect_b32 s22, s26, s23
	s_cselect_b32 s23, s27, s25
	s_cmp_lg_u64 s[20:21], 0
	s_subb_u32 s19, s19, s24
	s_cmp_ge_u32 s19, s17
	s_cselect_b32 s20, -1, 0
	s_cmp_ge_u32 s18, s16
	s_cselect_b32 s16, -1, 0
	s_cmp_eq_u32 s19, s17
	s_cselect_b32 s16, s16, s20
	s_cmp_lg_u32 s16, 0
	s_cselect_b32 s17, s23, s15
	s_cselect_b32 s16, s22, s3
	s_xor_b64 s[8:9], 0, s[8:9]
	s_xor_b64 s[16:17], s[16:17], s[8:9]
	s_sub_u32 s16, s16, s8
	s_subb_u32 s17, s17, s9
	s_cbranch_execnz .LBB30_4
.LBB30_3:
	v_cvt_f32_u32_e32 v1, s6
	s_sub_i32 s3, 0, s6
	s_mov_b32 s17, 0
	v_rcp_iflag_f32_e32 v1, v1
	s_nop 0
	v_mul_f32_e32 v1, 0x4f7ffffe, v1
	v_cvt_u32_f32_e32 v1, v1
	s_nop 0
	v_readfirstlane_b32 s8, v1
	s_mul_i32 s3, s3, s8
	s_mul_hi_u32 s3, s8, s3
	s_add_i32 s8, s8, s3
	s_mul_hi_u32 s3, s42, s8
	s_mul_i32 s9, s3, s6
	s_sub_i32 s9, s42, s9
	s_add_i32 s8, s3, 1
	s_sub_i32 s10, s9, s6
	s_cmp_ge_u32 s9, s6
	s_cselect_b32 s3, s8, s3
	s_cselect_b32 s9, s10, s9
	s_add_i32 s8, s3, 1
	s_cmp_ge_u32 s9, s6
	s_cselect_b32 s16, s8, s3
.LBB30_4:
	s_or_b64 s[8:9], s[16:17], s[4:5]
	s_mov_b32 s8, 0
	s_cmp_lg_u64 s[8:9], 0
	s_cbranch_scc0 .LBB30_19
; %bb.5:
	s_ashr_i32 s10, s5, 31
	s_add_u32 s8, s4, s10
	s_mov_b32 s11, s10
	s_addc_u32 s9, s5, s10
	s_xor_b64 s[18:19], s[8:9], s[10:11]
	v_cvt_f32_u32_e32 v1, s18
	v_cvt_f32_u32_e32 v2, s19
	s_sub_u32 s3, 0, s18
	s_subb_u32 s15, 0, s19
	v_fmamk_f32 v1, v2, 0x4f800000, v1
	v_rcp_f32_e32 v1, v1
	s_nop 0
	v_mul_f32_e32 v1, 0x5f7ffffc, v1
	v_mul_f32_e32 v2, 0x2f800000, v1
	v_trunc_f32_e32 v2, v2
	v_fmamk_f32 v1, v2, 0xcf800000, v1
	v_cvt_u32_f32_e32 v2, v2
	v_cvt_u32_f32_e32 v1, v1
	v_readfirstlane_b32 s22, v2
	v_readfirstlane_b32 s20, v1
	s_mul_i32 s21, s3, s22
	s_mul_hi_u32 s24, s3, s20
	s_mul_i32 s23, s15, s20
	s_add_i32 s21, s24, s21
	s_add_i32 s21, s21, s23
	s_mul_i32 s25, s3, s20
	s_mul_i32 s24, s20, s21
	s_mul_hi_u32 s26, s20, s25
	s_mul_hi_u32 s23, s20, s21
	s_add_u32 s24, s26, s24
	s_addc_u32 s23, 0, s23
	s_mul_hi_u32 s27, s22, s25
	s_mul_i32 s25, s22, s25
	s_add_u32 s24, s24, s25
	s_mul_hi_u32 s26, s22, s21
	s_addc_u32 s23, s23, s27
	s_addc_u32 s24, s26, 0
	s_mul_i32 s21, s22, s21
	s_add_u32 s21, s23, s21
	s_addc_u32 s23, 0, s24
	s_add_u32 s24, s20, s21
	s_cselect_b64 s[20:21], -1, 0
	s_cmp_lg_u64 s[20:21], 0
	s_addc_u32 s22, s22, s23
	s_mul_i32 s20, s3, s22
	s_mul_hi_u32 s21, s3, s24
	s_add_i32 s20, s21, s20
	s_mul_i32 s15, s15, s24
	s_add_i32 s20, s20, s15
	s_mul_i32 s3, s3, s24
	s_mul_hi_u32 s21, s22, s3
	s_mul_i32 s23, s22, s3
	s_mul_i32 s26, s24, s20
	s_mul_hi_u32 s3, s24, s3
	s_mul_hi_u32 s25, s24, s20
	s_add_u32 s3, s3, s26
	s_addc_u32 s25, 0, s25
	s_add_u32 s3, s3, s23
	s_mul_hi_u32 s15, s22, s20
	s_addc_u32 s3, s25, s21
	s_addc_u32 s15, s15, 0
	s_mul_i32 s20, s22, s20
	s_add_u32 s3, s3, s20
	s_addc_u32 s15, 0, s15
	s_add_u32 s3, s24, s3
	s_cselect_b64 s[20:21], -1, 0
	s_cmp_lg_u64 s[20:21], 0
	s_addc_u32 s15, s22, s15
	s_ashr_i32 s20, s17, 31
	s_add_u32 s22, s16, s20
	s_mov_b32 s21, s20
	s_addc_u32 s23, s17, s20
	s_xor_b64 s[22:23], s[22:23], s[20:21]
	s_mul_i32 s25, s22, s15
	s_mul_hi_u32 s26, s22, s3
	s_mul_hi_u32 s24, s22, s15
	s_add_u32 s25, s26, s25
	s_addc_u32 s24, 0, s24
	s_mul_hi_u32 s27, s23, s3
	s_mul_i32 s3, s23, s3
	s_add_u32 s3, s25, s3
	s_mul_hi_u32 s26, s23, s15
	s_addc_u32 s3, s24, s27
	s_addc_u32 s24, s26, 0
	s_mul_i32 s15, s23, s15
	s_add_u32 s3, s3, s15
	s_addc_u32 s15, 0, s24
	s_mul_i32 s24, s18, s15
	s_mul_hi_u32 s25, s18, s3
	s_add_i32 s24, s25, s24
	s_mul_i32 s25, s19, s3
	s_add_i32 s28, s24, s25
	s_sub_i32 s26, s23, s28
	s_mul_i32 s24, s18, s3
	s_sub_u32 s22, s22, s24
	s_cselect_b64 s[24:25], -1, 0
	s_cmp_lg_u64 s[24:25], 0
	s_subb_u32 s29, s26, s19
	s_sub_u32 s30, s22, s18
	s_cselect_b64 s[26:27], -1, 0
	s_cmp_lg_u64 s[26:27], 0
	s_subb_u32 s26, s29, 0
	s_cmp_ge_u32 s26, s19
	s_cselect_b32 s27, -1, 0
	s_cmp_ge_u32 s30, s18
	s_cselect_b32 s29, -1, 0
	s_cmp_eq_u32 s26, s19
	s_cselect_b32 s26, s29, s27
	s_add_u32 s27, s3, 1
	s_addc_u32 s29, s15, 0
	s_add_u32 s30, s3, 2
	s_addc_u32 s31, s15, 0
	s_cmp_lg_u32 s26, 0
	s_cselect_b32 s26, s30, s27
	s_cselect_b32 s27, s31, s29
	s_cmp_lg_u64 s[24:25], 0
	s_subb_u32 s23, s23, s28
	s_cmp_ge_u32 s23, s19
	s_cselect_b32 s24, -1, 0
	s_cmp_ge_u32 s22, s18
	s_cselect_b32 s18, -1, 0
	s_cmp_eq_u32 s23, s19
	s_cselect_b32 s18, s18, s24
	s_cmp_lg_u32 s18, 0
	s_cselect_b32 s19, s27, s15
	s_cselect_b32 s18, s26, s3
	s_xor_b64 s[10:11], s[20:21], s[10:11]
	s_xor_b64 s[18:19], s[18:19], s[10:11]
	s_sub_u32 s18, s18, s10
	s_subb_u32 s19, s19, s11
	s_load_dwordx4 s[24:27], s[0:1], 0x1d0
	s_cbranch_execnz .LBB30_7
.LBB30_6:
	v_cvt_f32_u32_e32 v1, s4
	s_sub_i32 s3, 0, s4
	s_mov_b32 s19, 0
	v_rcp_iflag_f32_e32 v1, v1
	s_nop 0
	v_mul_f32_e32 v1, 0x4f7ffffe, v1
	v_cvt_u32_f32_e32 v1, v1
	s_nop 0
	v_readfirstlane_b32 s8, v1
	s_mul_i32 s3, s3, s8
	s_mul_hi_u32 s3, s8, s3
	s_add_i32 s8, s8, s3
	s_mul_hi_u32 s3, s16, s8
	s_mul_i32 s9, s3, s4
	s_sub_i32 s9, s16, s9
	s_add_i32 s8, s3, 1
	s_sub_i32 s10, s9, s4
	s_cmp_ge_u32 s9, s4
	s_cselect_b32 s3, s8, s3
	s_cselect_b32 s9, s10, s9
	s_add_i32 s8, s3, 1
	s_cmp_ge_u32 s9, s4
	s_cselect_b32 s18, s8, s3
.LBB30_7:
                                        ; implicit-def: $vgpr68 : SGPR spill to VGPR lane
	s_waitcnt lgkmcnt(0)
	s_mov_b32 s9, s27
	v_writelane_b32 v68, s24, 0
	s_mov_b32 s8, 0
	s_cmp_lg_u64 s[8:9], 0
	v_writelane_b32 v68, s25, 1
	v_writelane_b32 v68, s26, 2
	;; [unrolled: 1-line block ×3, first 2 shown]
	s_cbranch_scc0 .LBB30_20
; %bb.8:
	s_ashr_i32 s8, s27, 31
	s_add_u32 s10, s26, s8
	s_mov_b32 s9, s8
	s_addc_u32 s11, s27, s8
	s_xor_b64 s[20:21], s[10:11], s[8:9]
	v_cvt_f32_u32_e32 v1, s20
	v_cvt_f32_u32_e32 v2, s21
	s_sub_u32 s3, 0, s20
	s_subb_u32 s15, 0, s21
	v_fmamk_f32 v1, v2, 0x4f800000, v1
	v_rcp_f32_e32 v1, v1
	s_nop 0
	v_mul_f32_e32 v1, 0x5f7ffffc, v1
	v_mul_f32_e32 v2, 0x2f800000, v1
	v_trunc_f32_e32 v2, v2
	v_fmamk_f32 v1, v2, 0xcf800000, v1
	v_cvt_u32_f32_e32 v2, v2
	v_cvt_u32_f32_e32 v1, v1
	v_readfirstlane_b32 s24, v2
	v_readfirstlane_b32 s22, v1
	s_mul_i32 s23, s3, s24
	s_mul_hi_u32 s26, s3, s22
	s_mul_i32 s25, s15, s22
	s_add_i32 s23, s26, s23
	s_add_i32 s23, s23, s25
	s_mul_i32 s27, s3, s22
	s_mul_i32 s26, s22, s23
	s_mul_hi_u32 s28, s22, s27
	s_mul_hi_u32 s25, s22, s23
	s_add_u32 s26, s28, s26
	s_addc_u32 s25, 0, s25
	s_mul_hi_u32 s29, s24, s27
	s_mul_i32 s27, s24, s27
	s_add_u32 s26, s26, s27
	s_mul_hi_u32 s28, s24, s23
	s_addc_u32 s25, s25, s29
	s_addc_u32 s26, s28, 0
	s_mul_i32 s23, s24, s23
	s_add_u32 s23, s25, s23
	s_addc_u32 s25, 0, s26
	s_add_u32 s26, s22, s23
	s_cselect_b64 s[22:23], -1, 0
	s_cmp_lg_u64 s[22:23], 0
	s_addc_u32 s24, s24, s25
	s_mul_i32 s22, s3, s24
	s_mul_hi_u32 s23, s3, s26
	s_add_i32 s22, s23, s22
	s_mul_i32 s15, s15, s26
	s_add_i32 s22, s22, s15
	s_mul_i32 s3, s3, s26
	s_mul_hi_u32 s23, s24, s3
	s_mul_i32 s25, s24, s3
	s_mul_i32 s28, s26, s22
	s_mul_hi_u32 s3, s26, s3
	s_mul_hi_u32 s27, s26, s22
	s_add_u32 s3, s3, s28
	s_addc_u32 s27, 0, s27
	s_add_u32 s3, s3, s25
	s_mul_hi_u32 s15, s24, s22
	s_addc_u32 s3, s27, s23
	s_addc_u32 s15, s15, 0
	s_mul_i32 s22, s24, s22
	s_add_u32 s3, s3, s22
	s_addc_u32 s15, 0, s15
	s_add_u32 s3, s26, s3
	s_cselect_b64 s[22:23], -1, 0
	s_cmp_lg_u64 s[22:23], 0
	s_addc_u32 s15, s24, s15
	s_add_u32 s22, s42, 0
	s_addc_u32 s23, 0, 0
	s_xor_b64 s[22:23], s[22:23], 0
	s_mul_i32 s25, s22, s15
	s_mul_hi_u32 s26, s22, s3
	s_mul_hi_u32 s24, s22, s15
	s_add_u32 s25, s26, s25
	s_addc_u32 s24, 0, s24
	s_mul_hi_u32 s27, s23, s3
	s_mul_i32 s3, s23, s3
	s_add_u32 s3, s25, s3
	s_mul_hi_u32 s26, s23, s15
	s_addc_u32 s3, s24, s27
	s_addc_u32 s24, s26, 0
	s_mul_i32 s15, s23, s15
	s_add_u32 s3, s3, s15
	s_addc_u32 s15, 0, s24
	s_mul_i32 s24, s20, s15
	s_mul_hi_u32 s25, s20, s3
	s_add_i32 s24, s25, s24
	s_mul_i32 s25, s21, s3
	s_add_i32 s28, s24, s25
	s_sub_i32 s26, s23, s28
	s_mul_i32 s24, s20, s3
	s_sub_u32 s22, s22, s24
	s_cselect_b64 s[24:25], -1, 0
	s_cmp_lg_u64 s[24:25], 0
	s_subb_u32 s29, s26, s21
	s_sub_u32 s30, s22, s20
	s_cselect_b64 s[26:27], -1, 0
	s_cmp_lg_u64 s[26:27], 0
	s_subb_u32 s26, s29, 0
	s_cmp_ge_u32 s26, s21
	s_cselect_b32 s27, -1, 0
	s_cmp_ge_u32 s30, s20
	s_cselect_b32 s29, -1, 0
	s_cmp_eq_u32 s26, s21
	s_cselect_b32 s26, s29, s27
	s_add_u32 s27, s3, 1
	s_addc_u32 s29, s15, 0
	s_add_u32 s30, s3, 2
	s_addc_u32 s31, s15, 0
	s_cmp_lg_u32 s26, 0
	s_cselect_b32 s26, s30, s27
	s_cselect_b32 s27, s31, s29
	s_cmp_lg_u64 s[24:25], 0
	s_subb_u32 s23, s23, s28
	s_cmp_ge_u32 s23, s21
	s_cselect_b32 s24, -1, 0
	s_cmp_ge_u32 s22, s20
	s_cselect_b32 s20, -1, 0
	s_cmp_eq_u32 s23, s21
	s_cselect_b32 s20, s20, s24
	s_cmp_lg_u32 s20, 0
	s_cselect_b32 s21, s27, s15
	s_cselect_b32 s20, s26, s3
	s_load_dwordx4 s[24:27], s[0:1], 0x1d0
	s_xor_b64 s[8:9], 0, s[8:9]
	s_xor_b64 s[20:21], s[20:21], s[8:9]
	s_sub_u32 s30, s20, s8
	s_subb_u32 s31, s21, s9
	s_cbranch_execnz .LBB30_10
.LBB30_9:
	s_waitcnt lgkmcnt(0)
	v_cvt_f32_u32_e32 v1, s26
	s_sub_i32 s3, 0, s26
	s_mov_b32 s31, 0
	v_rcp_iflag_f32_e32 v1, v1
	s_nop 0
	v_mul_f32_e32 v1, 0x4f7ffffe, v1
	v_cvt_u32_f32_e32 v1, v1
	s_nop 0
	v_readfirstlane_b32 s8, v1
	s_mul_i32 s3, s3, s8
	s_mul_hi_u32 s3, s8, s3
	s_add_i32 s8, s8, s3
	s_mul_hi_u32 s3, s42, s8
	s_mul_i32 s9, s3, s26
	s_sub_i32 s9, s42, s9
	s_add_i32 s8, s3, 1
	s_sub_i32 s10, s9, s26
	s_cmp_ge_u32 s9, s26
	s_cselect_b32 s3, s8, s3
	s_cselect_b32 s9, s10, s9
	s_add_i32 s8, s3, 1
	s_cmp_ge_u32 s9, s26
	s_cselect_b32 s30, s8, s3
.LBB30_10:
	s_waitcnt lgkmcnt(0)
	s_or_b64 s[8:9], s[30:31], s[24:25]
	s_mov_b32 s8, 0
	s_cmp_lg_u64 s[8:9], 0
	v_writelane_b32 v68, s30, 4
	s_nop 1
	v_writelane_b32 v68, s31, 5
	s_cbranch_scc0 .LBB30_21
; %bb.11:
	s_ashr_i32 s10, s25, 31
	s_add_u32 s8, s24, s10
	s_mov_b32 s11, s10
	s_addc_u32 s9, s25, s10
	s_xor_b64 s[20:21], s[8:9], s[10:11]
	v_cvt_f32_u32_e32 v1, s20
	v_cvt_f32_u32_e32 v2, s21
	s_sub_u32 s3, 0, s20
	s_subb_u32 s15, 0, s21
	v_fmamk_f32 v1, v2, 0x4f800000, v1
	v_rcp_f32_e32 v1, v1
	s_nop 0
	v_mul_f32_e32 v1, 0x5f7ffffc, v1
	v_mul_f32_e32 v2, 0x2f800000, v1
	v_trunc_f32_e32 v2, v2
	v_fmamk_f32 v1, v2, 0xcf800000, v1
	v_cvt_u32_f32_e32 v2, v2
	v_cvt_u32_f32_e32 v1, v1
	v_readfirstlane_b32 s24, v2
	v_readfirstlane_b32 s22, v1
	s_mul_i32 s23, s3, s24
	s_mul_hi_u32 s26, s3, s22
	s_mul_i32 s25, s15, s22
	s_add_i32 s23, s26, s23
	s_add_i32 s23, s23, s25
	s_mul_i32 s27, s3, s22
	s_mul_i32 s26, s22, s23
	s_mul_hi_u32 s28, s22, s27
	s_mul_hi_u32 s25, s22, s23
	s_add_u32 s26, s28, s26
	s_addc_u32 s25, 0, s25
	s_mul_hi_u32 s29, s24, s27
	s_mul_i32 s27, s24, s27
	s_add_u32 s26, s26, s27
	s_mul_hi_u32 s28, s24, s23
	s_addc_u32 s25, s25, s29
	s_addc_u32 s26, s28, 0
	s_mul_i32 s23, s24, s23
	s_add_u32 s23, s25, s23
	s_addc_u32 s25, 0, s26
	s_add_u32 s26, s22, s23
	s_cselect_b64 s[22:23], -1, 0
	s_cmp_lg_u64 s[22:23], 0
	s_addc_u32 s24, s24, s25
	s_mul_i32 s22, s3, s24
	s_mul_hi_u32 s23, s3, s26
	s_add_i32 s22, s23, s22
	s_mul_i32 s15, s15, s26
	s_add_i32 s22, s22, s15
	s_mul_i32 s3, s3, s26
	s_mul_hi_u32 s23, s24, s3
	s_mul_i32 s25, s24, s3
	s_mul_i32 s28, s26, s22
	s_mul_hi_u32 s3, s26, s3
	s_mul_hi_u32 s27, s26, s22
	s_add_u32 s3, s3, s28
	s_addc_u32 s27, 0, s27
	s_add_u32 s3, s3, s25
	s_mul_hi_u32 s15, s24, s22
	s_addc_u32 s3, s27, s23
	s_addc_u32 s15, s15, 0
	s_mul_i32 s22, s24, s22
	s_add_u32 s3, s3, s22
	s_addc_u32 s15, 0, s15
	s_add_u32 s3, s26, s3
	s_cselect_b64 s[22:23], -1, 0
	s_cmp_lg_u64 s[22:23], 0
	s_addc_u32 s15, s24, s15
	s_ashr_i32 s22, s31, 31
	s_add_u32 s24, s30, s22
	s_mov_b32 s23, s22
	s_addc_u32 s25, s31, s22
	s_xor_b64 s[24:25], s[24:25], s[22:23]
	s_mul_i32 s27, s24, s15
	s_mul_hi_u32 s28, s24, s3
	s_mul_hi_u32 s26, s24, s15
	s_add_u32 s27, s28, s27
	s_addc_u32 s26, 0, s26
	s_mul_hi_u32 s29, s25, s3
	s_mul_i32 s3, s25, s3
	s_add_u32 s3, s27, s3
	s_mul_hi_u32 s28, s25, s15
	s_addc_u32 s3, s26, s29
	s_addc_u32 s26, s28, 0
	s_mul_i32 s15, s25, s15
	s_add_u32 s3, s3, s15
	s_addc_u32 s15, 0, s26
	s_mul_i32 s26, s20, s15
	s_mul_hi_u32 s27, s20, s3
	s_add_i32 s26, s27, s26
	s_mul_i32 s27, s21, s3
	s_add_i32 s30, s26, s27
	s_sub_i32 s28, s25, s30
	s_mul_i32 s26, s20, s3
	s_sub_u32 s24, s24, s26
	s_cselect_b64 s[26:27], -1, 0
	s_cmp_lg_u64 s[26:27], 0
	s_subb_u32 s31, s28, s21
	s_sub_u32 s33, s24, s20
	s_cselect_b64 s[28:29], -1, 0
	s_cmp_lg_u64 s[28:29], 0
	s_subb_u32 s28, s31, 0
	s_cmp_ge_u32 s28, s21
	s_cselect_b32 s29, -1, 0
	s_cmp_ge_u32 s33, s20
	s_cselect_b32 s31, -1, 0
	s_cmp_eq_u32 s28, s21
	s_cselect_b32 s28, s31, s29
	s_add_u32 s29, s3, 1
	s_addc_u32 s31, s15, 0
	s_add_u32 s33, s3, 2
	s_addc_u32 s34, s15, 0
	s_cmp_lg_u32 s28, 0
	s_cselect_b32 s28, s33, s29
	s_cselect_b32 s29, s34, s31
	s_cmp_lg_u64 s[26:27], 0
	s_subb_u32 s25, s25, s30
	s_cmp_ge_u32 s25, s21
	s_cselect_b32 s26, -1, 0
	s_cmp_ge_u32 s24, s20
	s_cselect_b32 s20, -1, 0
	s_cmp_eq_u32 s25, s21
	s_cselect_b32 s20, s20, s26
	s_load_dwordx4 s[24:27], s[0:1], 0x1d0
	s_cmp_lg_u32 s20, 0
	s_cselect_b32 s21, s29, s15
	s_cselect_b32 s20, s28, s3
	s_xor_b64 s[10:11], s[22:23], s[10:11]
	s_xor_b64 s[20:21], s[20:21], s[10:11]
	s_sub_u32 s20, s20, s10
	s_subb_u32 s21, s21, s11
	s_load_dwordx4 s[44:47], s[0:1], 0x370
	s_cbranch_execnz .LBB30_13
.LBB30_12:
	s_waitcnt lgkmcnt(0)
	v_cvt_f32_u32_e32 v1, s24
	s_sub_i32 s3, 0, s24
	v_readlane_b32 s10, v68, 4
	s_mov_b32 s21, 0
	v_rcp_iflag_f32_e32 v1, v1
	v_readlane_b32 s11, v68, 5
	v_mul_f32_e32 v1, 0x4f7ffffe, v1
	v_cvt_u32_f32_e32 v1, v1
	s_nop 0
	v_readfirstlane_b32 s8, v1
	s_mul_i32 s3, s3, s8
	s_mul_hi_u32 s3, s8, s3
	s_add_i32 s8, s8, s3
	s_mul_hi_u32 s3, s10, s8
	s_mul_i32 s9, s3, s24
	s_sub_i32 s9, s10, s9
	s_add_i32 s8, s3, 1
	s_sub_i32 s10, s9, s24
	s_cmp_ge_u32 s9, s24
	s_cselect_b32 s3, s8, s3
	s_cselect_b32 s9, s10, s9
	s_add_i32 s8, s3, 1
	s_cmp_ge_u32 s9, s24
	s_cselect_b32 s20, s8, s3
.LBB30_13:
	s_mov_b32 s8, 0
	s_waitcnt lgkmcnt(0)
	s_mov_b32 s9, s47
	v_writelane_b32 v68, s20, 6
	s_cmp_lg_u64 s[8:9], 0
	s_nop 0
	v_writelane_b32 v68, s21, 7
	s_cbranch_scc0 .LBB30_22
; %bb.14:
	s_ashr_i32 s8, s47, 31
	s_add_u32 s10, s46, s8
	s_mov_b32 s9, s8
	s_addc_u32 s11, s47, s8
	s_xor_b64 s[20:21], s[10:11], s[8:9]
	v_cvt_f32_u32_e32 v1, s20
	v_cvt_f32_u32_e32 v2, s21
	s_sub_u32 s3, 0, s20
	s_subb_u32 s15, 0, s21
	v_fmamk_f32 v1, v2, 0x4f800000, v1
	v_rcp_f32_e32 v1, v1
	s_nop 0
	v_mul_f32_e32 v1, 0x5f7ffffc, v1
	v_mul_f32_e32 v2, 0x2f800000, v1
	v_trunc_f32_e32 v2, v2
	v_fmamk_f32 v1, v2, 0xcf800000, v1
	v_cvt_u32_f32_e32 v2, v2
	v_cvt_u32_f32_e32 v1, v1
	v_readfirstlane_b32 s24, v2
	v_readfirstlane_b32 s22, v1
	s_mul_i32 s23, s3, s24
	s_mul_hi_u32 s26, s3, s22
	s_mul_i32 s25, s15, s22
	s_add_i32 s23, s26, s23
	s_add_i32 s23, s23, s25
	s_mul_i32 s27, s3, s22
	s_mul_i32 s26, s22, s23
	s_mul_hi_u32 s28, s22, s27
	s_mul_hi_u32 s25, s22, s23
	s_add_u32 s26, s28, s26
	s_addc_u32 s25, 0, s25
	s_mul_hi_u32 s29, s24, s27
	s_mul_i32 s27, s24, s27
	s_add_u32 s26, s26, s27
	s_mul_hi_u32 s28, s24, s23
	s_addc_u32 s25, s25, s29
	s_addc_u32 s26, s28, 0
	s_mul_i32 s23, s24, s23
	s_add_u32 s23, s25, s23
	s_addc_u32 s25, 0, s26
	s_add_u32 s26, s22, s23
	s_cselect_b64 s[22:23], -1, 0
	s_cmp_lg_u64 s[22:23], 0
	s_addc_u32 s24, s24, s25
	s_mul_i32 s22, s3, s24
	s_mul_hi_u32 s23, s3, s26
	s_add_i32 s22, s23, s22
	s_mul_i32 s15, s15, s26
	s_add_i32 s22, s22, s15
	s_mul_i32 s3, s3, s26
	s_mul_hi_u32 s23, s24, s3
	s_mul_i32 s25, s24, s3
	s_mul_i32 s28, s26, s22
	s_mul_hi_u32 s3, s26, s3
	s_mul_hi_u32 s27, s26, s22
	s_add_u32 s3, s3, s28
	s_addc_u32 s27, 0, s27
	s_add_u32 s3, s3, s25
	s_mul_hi_u32 s15, s24, s22
	s_addc_u32 s3, s27, s23
	s_addc_u32 s15, s15, 0
	s_mul_i32 s22, s24, s22
	s_add_u32 s3, s3, s22
	s_addc_u32 s15, 0, s15
	s_add_u32 s3, s26, s3
	s_cselect_b64 s[22:23], -1, 0
	s_cmp_lg_u64 s[22:23], 0
	s_addc_u32 s15, s24, s15
	s_add_u32 s22, s42, 0
	s_addc_u32 s23, 0, 0
	s_xor_b64 s[22:23], s[22:23], 0
	s_mul_i32 s25, s22, s15
	s_mul_hi_u32 s26, s22, s3
	s_mul_hi_u32 s24, s22, s15
	s_add_u32 s25, s26, s25
	s_addc_u32 s24, 0, s24
	s_mul_hi_u32 s27, s23, s3
	s_mul_i32 s3, s23, s3
	s_add_u32 s3, s25, s3
	s_mul_hi_u32 s26, s23, s15
	s_addc_u32 s3, s24, s27
	s_addc_u32 s24, s26, 0
	s_mul_i32 s15, s23, s15
	s_add_u32 s3, s3, s15
	s_addc_u32 s15, 0, s24
	s_mul_i32 s24, s20, s15
	s_mul_hi_u32 s25, s20, s3
	s_add_i32 s24, s25, s24
	s_mul_i32 s25, s21, s3
	s_add_i32 s28, s24, s25
	s_sub_i32 s26, s23, s28
	s_mul_i32 s24, s20, s3
	s_sub_u32 s22, s22, s24
	s_cselect_b64 s[24:25], -1, 0
	s_cmp_lg_u64 s[24:25], 0
	s_subb_u32 s29, s26, s21
	s_sub_u32 s30, s22, s20
	s_cselect_b64 s[26:27], -1, 0
	s_cmp_lg_u64 s[26:27], 0
	s_subb_u32 s26, s29, 0
	s_cmp_ge_u32 s26, s21
	s_cselect_b32 s27, -1, 0
	s_cmp_ge_u32 s30, s20
	s_cselect_b32 s29, -1, 0
	s_cmp_eq_u32 s26, s21
	s_cselect_b32 s26, s29, s27
	s_add_u32 s27, s3, 1
	s_addc_u32 s29, s15, 0
	s_add_u32 s30, s3, 2
	s_addc_u32 s31, s15, 0
	s_cmp_lg_u32 s26, 0
	s_cselect_b32 s26, s30, s27
	s_cselect_b32 s27, s31, s29
	s_cmp_lg_u64 s[24:25], 0
	s_subb_u32 s23, s23, s28
	s_cmp_ge_u32 s23, s21
	s_cselect_b32 s24, -1, 0
	s_cmp_ge_u32 s22, s20
	s_cselect_b32 s20, -1, 0
	s_cmp_eq_u32 s23, s21
	s_cselect_b32 s20, s20, s24
	s_cmp_lg_u32 s20, 0
	s_cselect_b32 s21, s27, s15
	s_cselect_b32 s20, s26, s3
	s_xor_b64 s[8:9], 0, s[8:9]
	s_xor_b64 s[20:21], s[20:21], s[8:9]
	s_sub_u32 s48, s20, s8
	s_subb_u32 s49, s21, s9
	s_cbranch_execnz .LBB30_16
.LBB30_15:
	v_cvt_f32_u32_e32 v1, s46
	s_sub_i32 s3, 0, s46
	s_mov_b32 s49, 0
	v_rcp_iflag_f32_e32 v1, v1
	s_nop 0
	v_mul_f32_e32 v1, 0x4f7ffffe, v1
	v_cvt_u32_f32_e32 v1, v1
	s_nop 0
	v_readfirstlane_b32 s8, v1
	s_mul_i32 s3, s3, s8
	s_mul_hi_u32 s3, s8, s3
	s_add_i32 s8, s8, s3
	s_mul_hi_u32 s3, s42, s8
	s_mul_i32 s9, s3, s46
	s_sub_i32 s9, s42, s9
	s_add_i32 s8, s3, 1
	s_sub_i32 s10, s9, s46
	s_cmp_ge_u32 s9, s46
	s_cselect_b32 s3, s8, s3
	s_cselect_b32 s9, s10, s9
	s_add_i32 s8, s3, 1
	s_cmp_ge_u32 s9, s46
	s_cselect_b32 s48, s8, s3
.LBB30_16:
	s_load_dwordx2 s[20:21], s[0:1], 0xe0
	s_load_dwordx4 s[8:11], s[0:1], 0xd0
	s_or_b64 s[22:23], s[48:49], s[44:45]
	s_mov_b32 s22, 0
	s_cmp_lg_u64 s[22:23], 0
	s_cbranch_scc0 .LBB30_23
; %bb.17:
	s_ashr_i32 s22, s45, 31
	s_add_u32 s24, s44, s22
	s_mov_b32 s23, s22
	s_addc_u32 s25, s45, s22
	s_xor_b64 s[26:27], s[24:25], s[22:23]
	v_cvt_f32_u32_e32 v1, s26
	v_cvt_f32_u32_e32 v2, s27
	s_sub_u32 s3, 0, s26
	s_subb_u32 s15, 0, s27
	s_mov_b64 s[24:25], 0
	v_fmamk_f32 v1, v2, 0x4f800000, v1
	v_rcp_f32_e32 v1, v1
	s_nop 0
	v_mul_f32_e32 v1, 0x5f7ffffc, v1
	v_mul_f32_e32 v2, 0x2f800000, v1
	v_trunc_f32_e32 v2, v2
	v_fmamk_f32 v1, v2, 0xcf800000, v1
	v_cvt_u32_f32_e32 v2, v2
	v_cvt_u32_f32_e32 v1, v1
	v_readfirstlane_b32 s30, v2
	v_readfirstlane_b32 s28, v1
	s_mul_i32 s29, s3, s30
	s_mul_hi_u32 s33, s3, s28
	s_mul_i32 s31, s15, s28
	s_add_i32 s29, s33, s29
	s_add_i32 s29, s29, s31
	s_mul_i32 s34, s3, s28
	s_mul_i32 s33, s28, s29
	s_mul_hi_u32 s35, s28, s34
	s_mul_hi_u32 s31, s28, s29
	s_add_u32 s33, s35, s33
	s_addc_u32 s31, 0, s31
	s_mul_hi_u32 s36, s30, s34
	s_mul_i32 s34, s30, s34
	s_add_u32 s33, s33, s34
	s_mul_hi_u32 s35, s30, s29
	s_addc_u32 s31, s31, s36
	s_addc_u32 s33, s35, 0
	s_mul_i32 s29, s30, s29
	s_add_u32 s29, s31, s29
	s_addc_u32 s31, 0, s33
	s_add_u32 s33, s28, s29
	s_cselect_b64 s[28:29], -1, 0
	s_cmp_lg_u64 s[28:29], 0
	s_addc_u32 s30, s30, s31
	s_mul_i32 s28, s3, s30
	s_mul_hi_u32 s29, s3, s33
	s_add_i32 s28, s29, s28
	s_mul_i32 s15, s15, s33
	s_add_i32 s28, s28, s15
	s_mul_i32 s3, s3, s33
	s_mul_hi_u32 s29, s30, s3
	s_mul_i32 s31, s30, s3
	s_mul_i32 s35, s33, s28
	s_mul_hi_u32 s3, s33, s3
	s_mul_hi_u32 s34, s33, s28
	s_add_u32 s3, s3, s35
	s_addc_u32 s34, 0, s34
	s_add_u32 s3, s3, s31
	s_mul_hi_u32 s15, s30, s28
	s_addc_u32 s3, s34, s29
	s_addc_u32 s15, s15, 0
	s_mul_i32 s28, s30, s28
	s_add_u32 s3, s3, s28
	s_addc_u32 s15, 0, s15
	s_add_u32 s3, s33, s3
	s_cselect_b64 s[28:29], -1, 0
	s_cmp_lg_u64 s[28:29], 0
	s_addc_u32 s15, s30, s15
	s_ashr_i32 s28, s49, 31
	s_add_u32 s30, s48, s28
	s_mov_b32 s29, s28
	s_addc_u32 s31, s49, s28
	s_xor_b64 s[30:31], s[30:31], s[28:29]
	s_mul_i32 s34, s30, s15
	s_mul_hi_u32 s35, s30, s3
	s_mul_hi_u32 s33, s30, s15
	s_add_u32 s34, s35, s34
	s_addc_u32 s33, 0, s33
	s_mul_hi_u32 s36, s31, s3
	s_mul_i32 s3, s31, s3
	s_add_u32 s3, s34, s3
	s_mul_hi_u32 s35, s31, s15
	s_addc_u32 s3, s33, s36
	s_addc_u32 s33, s35, 0
	s_mul_i32 s15, s31, s15
	s_add_u32 s3, s3, s15
	s_addc_u32 s15, 0, s33
	s_mul_i32 s33, s26, s15
	s_mul_hi_u32 s34, s26, s3
	s_add_i32 s33, s34, s33
	s_mul_i32 s34, s27, s3
	s_add_i32 s33, s33, s34
	s_sub_i32 s36, s31, s33
	s_mul_i32 s34, s26, s3
	s_sub_u32 s30, s30, s34
	s_cselect_b64 s[34:35], -1, 0
	s_cmp_lg_u64 s[34:35], 0
	s_subb_u32 s38, s36, s27
	s_sub_u32 s39, s30, s26
	s_cselect_b64 s[36:37], -1, 0
	s_cmp_lg_u64 s[36:37], 0
	s_subb_u32 s36, s38, 0
	s_cmp_ge_u32 s36, s27
	s_cselect_b32 s37, -1, 0
	s_cmp_ge_u32 s39, s26
	s_cselect_b32 s38, -1, 0
	s_cmp_eq_u32 s36, s27
	s_cselect_b32 s36, s38, s37
	s_add_u32 s37, s3, 1
	s_addc_u32 s38, s15, 0
	s_add_u32 s39, s3, 2
	s_addc_u32 s40, s15, 0
	s_cmp_lg_u32 s36, 0
	s_cselect_b32 s36, s39, s37
	s_cselect_b32 s37, s40, s38
	s_cmp_lg_u64 s[34:35], 0
	s_subb_u32 s31, s31, s33
	s_cmp_ge_u32 s31, s27
	s_cselect_b32 s33, -1, 0
	s_cmp_ge_u32 s30, s26
	s_cselect_b32 s26, -1, 0
	s_cmp_eq_u32 s31, s27
	s_cselect_b32 s26, s26, s33
	s_cmp_lg_u32 s26, 0
	s_cselect_b32 s27, s37, s15
	s_cselect_b32 s26, s36, s3
	s_xor_b64 s[22:23], s[28:29], s[22:23]
	s_xor_b64 s[26:27], s[26:27], s[22:23]
	s_sub_u32 s22, s26, s22
	s_subb_u32 s23, s27, s23
	v_writelane_b32 v68, s22, 20
	s_nop 1
	v_writelane_b32 v68, s23, 21
	s_branch .LBB30_24
.LBB30_18:
                                        ; implicit-def: $sgpr16_sgpr17
	s_branch .LBB30_3
.LBB30_19:
                                        ; implicit-def: $sgpr18_sgpr19
	s_load_dwordx4 s[24:27], s[0:1], 0x1d0
	s_branch .LBB30_6
.LBB30_20:
                                        ; implicit-def: $sgpr30_sgpr31
	s_branch .LBB30_9
.LBB30_21:
                                        ; implicit-def: $sgpr20_sgpr21
	s_load_dwordx4 s[44:47], s[0:1], 0x370
	s_branch .LBB30_12
.LBB30_22:
                                        ; implicit-def: $sgpr48_sgpr49
	s_branch .LBB30_15
.LBB30_23:
	s_mov_b64 s[24:25], -1
                                        ; implicit-def: $sgpr22_sgpr23
                                        ; kill: killed $sgpr22_sgpr23
.LBB30_24:
	s_load_dwordx2 s[22:23], s[0:1], 0x440
	s_load_dwordx4 s[28:31], s[0:1], 0x430
	s_andn2_b64 vcc, exec, s[24:25]
	s_waitcnt lgkmcnt(0)
	v_writelane_b32 v68, s22, 8
	s_nop 1
	v_writelane_b32 v68, s23, 9
	s_load_dwordx2 s[22:23], s[0:1], 0x2a0
	v_writelane_b32 v68, s28, 10
	s_nop 1
	v_writelane_b32 v68, s29, 11
	v_writelane_b32 v68, s30, 12
	;; [unrolled: 1-line block ×3, first 2 shown]
	s_load_dwordx4 s[28:31], s[0:1], 0x290
	s_waitcnt lgkmcnt(0)
	v_writelane_b32 v68, s22, 14
	s_nop 1
	v_writelane_b32 v68, s23, 15
	s_load_dwordx2 s[22:23], s[0:1], 0x0
	v_writelane_b32 v68, s28, 16
	s_nop 1
	v_writelane_b32 v68, s29, 17
	v_writelane_b32 v68, s30, 18
	;; [unrolled: 1-line block ×3, first 2 shown]
	s_cbranch_vccnz .LBB30_26
; %bb.25:
	v_cvt_f32_u32_e32 v1, s44
	s_sub_i32 s3, 0, s44
	s_mov_b32 s27, 0
	v_rcp_iflag_f32_e32 v1, v1
	s_nop 0
	v_mul_f32_e32 v1, 0x4f7ffffe, v1
	v_cvt_u32_f32_e32 v1, v1
	s_nop 0
	v_readfirstlane_b32 s15, v1
	s_mul_i32 s3, s3, s15
	s_mul_hi_u32 s3, s15, s3
	s_add_i32 s15, s15, s3
	s_mul_hi_u32 s3, s48, s15
	s_mul_i32 s24, s3, s44
	s_sub_i32 s24, s48, s24
	s_add_i32 s15, s3, 1
	s_sub_i32 s25, s24, s44
	s_cmp_ge_u32 s24, s44
	s_cselect_b32 s3, s15, s3
	s_cselect_b32 s24, s25, s24
	s_add_i32 s15, s3, 1
	s_cmp_ge_u32 s24, s44
	s_cselect_b32 s26, s15, s3
	v_writelane_b32 v68, s26, 20
	s_nop 1
	v_writelane_b32 v68, s27, 21
.LBB30_26:
	v_writelane_b32 v68, s48, 22
	s_load_dwordx2 s[24:25], s[0:1], 0x360
	s_mov_b32 s97, 0
	v_writelane_b32 v68, s49, 23
	v_writelane_b32 v68, s44, 24
	s_load_dwordx2 s[0:1], s[0:1], 0x1c0
	s_nop 0
	v_writelane_b32 v68, s45, 25
	v_writelane_b32 v68, s46, 26
	;; [unrolled: 1-line block ×3, first 2 shown]
	s_waitcnt lgkmcnt(0)
	v_writelane_b32 v68, s24, 28
	s_nop 1
	v_writelane_b32 v68, s25, 29
	v_writelane_b32 v68, s0, 30
	v_cmp_eq_u32_e64 s[24:25], 0, v0
	s_nop 0
	v_writelane_b32 v68, s1, 31
	s_mov_b64 s[0:1], exec
	v_writelane_b32 v68, s24, 32
	s_nop 1
	v_writelane_b32 v68, s25, 33
	s_and_b64 s[24:25], s[0:1], s[24:25]
	s_mov_b64 exec, s[24:25]
	s_cbranch_execz .LBB30_28
; %bb.27:
	v_mov_b32_e32 v2, 0
	v_mov_b32_e32 v4, s56
	;; [unrolled: 1-line block ×4, first 2 shown]
	ds_write_b32 v2, v2 offset:5136
	ds_write_b128 v2, v[2:5] offset:5120
.LBB30_28:
	s_or_b64 exec, exec, s[0:1]
	s_mul_i32 s0, s18, s5
	s_mul_hi_u32 s1, s18, s4
	s_add_i32 s0, s1, s0
	s_mul_i32 s1, s19, s4
	s_add_i32 s0, s0, s1
	s_mul_i32 s1, s18, s4
	s_sub_u32 s3, s16, s1
	s_subb_u32 s0, s17, s0
	s_mul_i32 s1, s3, s11
	s_mul_hi_u32 s4, s3, s10
	s_add_i32 s1, s4, s1
	s_mul_i32 s0, s0, s10
	s_add_i32 s1, s1, s0
	s_mul_i32 s0, s3, s10
	s_mul_i32 s3, s18, s9
	s_mul_hi_u32 s4, s18, s8
	s_add_i32 s3, s4, s3
	s_mul_i32 s4, s19, s8
	s_add_i32 s5, s3, s4
	s_mul_i32 s3, s16, s7
	s_mul_hi_u32 s7, s16, s6
	s_add_i32 s3, s7, s3
	s_mul_i32 s7, s17, s6
	s_mul_i32 s4, s18, s8
	s_add_i32 s3, s3, s7
	s_mul_i32 s6, s16, s6
	s_mov_b32 s8, s42
	v_writelane_b32 v68, s8, 34
	s_sub_u32 s6, s42, s6
	s_subb_u32 s3, 0, s3
	v_writelane_b32 v68, s9, 35
	s_mul_i32 s7, s6, s21
	s_mul_hi_u32 s8, s6, s20
	s_add_i32 s7, s8, s7
	s_mul_i32 s3, s3, s20
	s_add_i32 s7, s7, s3
	s_lshl_b64 s[8:9], s[4:5], 3
	s_add_u32 s3, s22, s8
	s_addc_u32 s4, s23, s9
	s_lshl_b64 s[0:1], s[0:1], 3
	s_mul_i32 s6, s6, s20
	s_add_u32 s3, s3, s0
	v_mbcnt_lo_u32_b32 v1, -1, 0
	s_addc_u32 s4, s4, s1
	s_lshl_b64 s[10:11], s[6:7], 3
	v_mbcnt_hi_u32_b32 v48, -1, v1
	s_add_u32 s88, s3, s10
	v_cmp_gt_u32_e32 vcc, 64, v0
	v_cmp_gt_i32_e64 s[6:7], 4, v48
	s_addc_u32 s89, s4, s11
	s_and_b64 s[98:99], vcc, s[6:7]
	v_cmp_gt_u32_e64 s[6:7], 2, v0
	v_mov_b64_e32 v[2:3], 0x180
	v_mov_b32_e32 v19, 0
	v_writelane_b32 v68, s6, 36
	v_mov_b32_e32 v1, v19
	s_waitcnt lgkmcnt(0)
	v_writelane_b32 v68, s7, 37
	v_cmp_gt_i64_e64 s[6:7], s[56:57], v[2:3]
	s_barrier
	s_nop 0
	v_writelane_b32 v68, s6, 38
	s_load_dword s3, s[12:13], 0xc
	v_lshlrev_b32_e32 v6, 2, v48
	v_writelane_b32 v68, s7, 39
	v_cmp_gt_u64_e64 s[6:7], s[56:57], v[0:1]
	v_and_b32_e32 v51, 0x100, v6
	s_waitcnt lgkmcnt(0)
	s_and_b32 s94, s3, 0xffff
	v_writelane_b32 v68, s6, 40
	s_bfe_u32 s3, s3, 0xa0006
	s_cmp_gt_u32 s94, 63
	v_writelane_b32 v68, s7, 41
	v_mad_u64_u32 v[2:3], s[6:7], s62, v0, 0
	v_mov_b32_e32 v4, v3
	v_mad_u64_u32 v[4:5], s[6:7], s63, v0, v[4:5]
	v_cmp_gt_i64_e64 s[6:7], s[56:57], v[0:1]
	v_lshlrev_b64 v[6:7], v48, -1
	v_lshlrev_b32_e32 v53, 5, v0
	v_writelane_b32 v68, s6, 42
	v_not_b32_e32 v25, v7
	v_not_b32_e32 v24, v6
	v_writelane_b32 v68, s7, 43
	s_cselect_b64 s[6:7], -1, 0
	v_writelane_b32 v68, s6, 44
	v_lshrrev_b32_e32 v6, 1, v0
	v_or_b32_e32 v7, 24, v53
	v_writelane_b32 v68, s7, 45
	s_add_u32 s6, s94, -1
	s_addc_u32 s7, 0, -1
	s_add_u32 s73, s6, s56
	s_addc_u32 s81, s7, s57
	s_cmp_lt_u32 s2, s14
	s_cselect_b32 s2, 12, 18
	s_add_u32 s50, s12, s2
	s_addc_u32 s51, s13, 0
	s_add_i32 s2, s3, -1
	s_bfe_u32 s12, s94, 0x30006
	s_and_b32 s2, s2, 0xffff
	v_writelane_b32 v68, s6, 46
	s_cmp_gt_u32 s2, 6
	v_writelane_b32 v68, s7, 47
	s_cselect_b64 s[6:7], -1, 0
	v_writelane_b32 v68, s6, 48
	s_and_b32 s33, s3, 0x3f8
	s_cmp_lg_u32 s12, 0
	v_writelane_b32 v68, s7, 49
	v_writelane_b32 v68, s12, 50
	s_cselect_b64 s[2:3], -1, 0
	v_writelane_b32 v68, s2, 51
	v_and_b32_e32 v6, 0x1e0, v6
	v_or_b32_e32 v52, 0xc00, v6
	v_writelane_b32 v68, s3, 52
	s_add_u32 s2, s8, s10
	s_addc_u32 s3, s9, s11
	s_add_u32 s0, s2, s0
	s_addc_u32 s1, s3, s1
	;; [unrolled: 2-line block ×3, first 2 shown]
	s_lshl_b64 s[0:1], s[62:63], 3
	v_writelane_b32 v68, s0, 53
	v_mov_b32_e32 v3, v4
	v_lshlrev_b32_e32 v49, 3, v0
	v_writelane_b32 v68, s1, 54
	v_mad_u64_u32 v[26:27], s[0:1], s62, v7, 0
	v_mov_b32_e32 v6, v27
	v_mad_u64_u32 v[6:7], s[0:1], s63, v7, v[6:7]
	v_or_b32_e32 v7, 16, v53
	v_mad_u64_u32 v[28:29], s[0:1], s62, v7, 0
	v_mov_b32_e32 v27, v6
	v_mov_b32_e32 v6, v29
	v_mad_u64_u32 v[6:7], s[0:1], s63, v7, v[6:7]
	v_or_b32_e32 v7, 8, v53
	v_mad_u64_u32 v[32:33], s[0:1], s62, v7, 0
	v_mov_b32_e32 v29, v6
	v_mov_b32_e32 v6, v33
	v_mad_u64_u32 v[6:7], s[0:1], s63, v7, v[6:7]
	s_mul_i32 s0, s63, s94
	s_mul_hi_u32 s1, s62, s94
	v_writelane_b32 v68, s2, 55
	s_add_i32 s1, s1, s0
	s_mul_i32 s0, s62, s94
	v_writelane_b32 v68, s3, 56
	s_lshl_b64 s[78:79], s[0:1], 3
	v_writelane_b32 v68, s78, 57
	v_lshlrev_b64 v[4:5], 3, v[2:3]
	v_lshlrev_b64 v[34:35], 5, v[2:3]
	v_mov_b32_e32 v2, 0xc00
	v_writelane_b32 v68, s79, 58
	v_cmp_eq_u32_e64 s[4:5], 0, v48
	v_add_u32_e32 v50, 0xc00, v49
	v_lshl_add_u64 v[20:21], s[88:89], 0, v[4:5]
	v_lshlrev_b32_e32 v22, 2, v0
	v_mov_b32_e32 v23, v19
	s_mov_b32 s95, s97
	s_lshl_b64 s[84:85], s[62:63], 5
	v_mov_b32_e32 v33, v6
	v_lshl_add_u64 v[36:37], s[56:57], 0, v[0:1]
	v_lshl_or_b32 v54, v48, 3, v2
	v_lshl_add_u64 v[16:17], s[2:3], 0, v[4:5]
	s_lshl_b32 s90, s94, 3
	s_mov_b32 s91, 62
	s_mov_b64 s[10:11], 0
	v_mov_b64_e32 v[6:7], 0
	v_mov_b64_e32 v[40:41], s[58:59]
	;; [unrolled: 1-line block ×5, first 2 shown]
	v_mov_b32_e32 v2, 1
	v_mov_b32_e32 v58, v19
	;; [unrolled: 1-line block ×3, first 2 shown]
	s_mov_b32 s44, 0
	v_writelane_b32 v68, s50, 59
                                        ; implicit-def: $sgpr58_sgpr59
                                        ; implicit-def: $sgpr82_sgpr83
                                        ; implicit-def: $sgpr60_sgpr61
                                        ; implicit-def: $sgpr76_sgpr77
                                        ; implicit-def: $sgpr28_sgpr29
                                        ; implicit-def: $sgpr74_sgpr75
	s_nop 1
	v_writelane_b32 v68, s51, 60
	s_branch .LBB30_32
.LBB30_29:                              ;   in Loop: Header=BB30_32 Depth=1
	s_or_b64 exec, exec, s[12:13]
	s_and_b64 s[6:7], s[6:7], exec
	s_andn2_b64 s[26:27], s[26:27], exec
	s_andn2_b64 s[2:3], s[2:3], exec
	s_orn2_b64 s[18:19], s[8:9], exec
.LBB30_30:                              ;   in Loop: Header=BB30_32 Depth=1
	s_or_b64 exec, exec, s[0:1]
	s_andn2_b64 s[0:1], s[74:75], exec
	s_and_b64 s[6:7], s[6:7], exec
	s_or_b64 s[74:75], s[0:1], s[6:7]
	s_andn2_b64 s[0:1], s[28:29], exec
	s_and_b64 s[6:7], s[26:27], exec
	s_or_b64 s[28:29], s[0:1], s[6:7]
	;; [unrolled: 3-line block ×3, first 2 shown]
	s_orn2_b64 s[2:3], s[18:19], exec
.LBB30_31:                              ;   in Loop: Header=BB30_32 Depth=1
	s_or_b64 exec, exec, s[16:17]
	s_and_b64 s[0:1], exec, s[2:3]
	s_or_b64 s[10:11], s[0:1], s[10:11]
	s_andn2_b64 s[0:1], s[60:61], exec
	s_and_b64 s[2:3], s[74:75], exec
	s_or_b64 s[60:61], s[0:1], s[2:3]
	s_andn2_b64 s[0:1], s[82:83], exec
	s_and_b64 s[2:3], s[28:29], exec
	;; [unrolled: 3-line block ×3, first 2 shown]
	s_or_b64 s[58:59], s[0:1], s[2:3]
	v_mov_b64_e32 v[40:41], v[12:13]
	s_andn2_b64 exec, exec, s[10:11]
	s_cbranch_execz .LBB30_290
.LBB30_32:                              ; =>This Loop Header: Depth=1
                                        ;     Child Loop BB30_38 Depth 2
                                        ;     Child Loop BB30_51 Depth 2
                                        ;     Child Loop BB30_85 Depth 2
                                        ;     Child Loop BB30_89 Depth 2
                                        ;     Child Loop BB30_74 Depth 2
                                        ;     Child Loop BB30_79 Depth 2
                                        ;     Child Loop BB30_67 Depth 2
                                        ;     Child Loop BB30_99 Depth 2
                                        ;     Child Loop BB30_112 Depth 2
                                        ;     Child Loop BB30_126 Depth 2
                                        ;     Child Loop BB30_155 Depth 2
                                        ;     Child Loop BB30_171 Depth 2
                                        ;     Child Loop BB30_201 Depth 2
                                        ;     Child Loop BB30_217 Depth 2
                                        ;     Child Loop BB30_246 Depth 2
                                        ;     Child Loop BB30_262 Depth 2
	ds_read_b128 v[8:11], v19 offset:5120
	s_waitcnt lgkmcnt(0)
	v_readfirstlane_b32 s65, v9
	v_readfirstlane_b32 s64, v8
	s_nop 1
	v_cmp_gt_i64_e64 s[0:1], s[64:65], 0
	s_and_b64 vcc, exec, s[0:1]
	s_cbranch_vccnz .LBB30_59
; %bb.33:                               ;   in Loop: Header=BB30_32 Depth=1
	v_readlane_b32 s0, v68, 38
	v_readlane_b32 s1, v68, 39
	s_and_b64 vcc, exec, s[0:1]
	s_cbranch_vccz .LBB30_46
; %bb.34:                               ;   in Loop: Header=BB30_32 Depth=1
	s_mov_b64 s[0:1], 0x181
	v_cmp_gt_i64_e32 vcc, s[0:1], v[10:11]
	s_mov_b64 s[0:1], 0
	s_mov_b64 s[2:3], 0
	s_cbranch_vccz .LBB30_47
; %bb.35:                               ;   in Loop: Header=BB30_32 Depth=1
	s_mov_b64 s[6:7], exec
	v_readlane_b32 s2, v68, 40
	v_readlane_b32 s3, v68, 41
	s_and_b64 s[2:3], s[6:7], s[2:3]
	s_mov_b64 exec, s[2:3]
	s_cbranch_execz .LBB30_93
; %bb.36:                               ;   in Loop: Header=BB30_32 Depth=1
	global_load_ushort v3, v19, s[50:51]
	global_load_dwordx2 v[4:5], v[20:21], off
	v_readlane_b32 s2, v68, 55
	v_readlane_b32 s3, v68, 56
	v_readlane_b32 s16, v68, 53
	v_readlane_b32 s17, v68, 54
	v_mov_b64_e32 v[8:9], s[2:3]
	s_mov_b64 s[8:9], 0
	s_waitcnt vmcnt(1)
	v_readfirstlane_b32 s2, v3
	s_and_b32 s2, 0xffff, s2
	v_and_b32_e32 v18, 0xffff, v3
	v_add_u32_e32 v3, s2, v0
	s_mul_i32 s12, s17, s2
	s_mul_hi_u32 s13, s16, s2
	s_mul_i32 s14, s16, s2
	v_mad_u64_u32 v[8:9], s[2:3], s16, v3, v[8:9]
	v_mov_b32_e32 v10, v9
	v_mad_u64_u32 v[10:11], s[2:3], s17, v3, v[10:11]
	s_add_i32 s15, s13, s12
	v_mov_b32_e32 v9, v10
	v_mov_b64_e32 v[10:11], v[0:1]
	s_branch .LBB30_38
.LBB30_37:                              ;   in Loop: Header=BB30_38 Depth=2
	s_or_b64 exec, exec, s[2:3]
	v_lshl_add_u64 v[8:9], v[8:9], 0, s[14:15]
	v_mov_b64_e32 v[4:5], v[12:13]
	s_andn2_b64 exec, exec, s[8:9]
	s_cbranch_execz .LBB30_93
.LBB30_38:                              ;   Parent Loop BB30_32 Depth=1
                                        ; =>  This Inner Loop Header: Depth=2
	v_lshl_add_u64 v[10:11], v[10:11], 0, v[18:19]
	v_cmp_gt_i64_e64 s[2:3], s[56:57], v[10:11]
	v_cmp_le_i64_e32 vcc, s[56:57], v[10:11]
	v_mov_b64_e32 v[12:13], 0
	s_and_saveexec_b64 s[12:13], s[2:3]
	s_cbranch_execz .LBB30_40
; %bb.39:                               ;   in Loop: Header=BB30_38 Depth=2
	global_load_dwordx2 v[12:13], v[8:9], off
.LBB30_40:                              ;   in Loop: Header=BB30_38 Depth=2
	s_or_b64 exec, exec, s[12:13]
	s_waitcnt vmcnt(0) lgkmcnt(0)
	v_xor_b32_e32 v3, 0x80000000, v5
	v_and_b32_e32 v15, v3, v39
	v_and_b32_e32 v14, v4, v38
	v_cmp_eq_u64_e64 s[12:13], v[14:15], v[30:31]
	s_cmp_lg_u64 s[12:13], 0
	s_cselect_b64 s[2:3], -1, 0
	s_and_b64 s[2:3], s[4:5], s[2:3]
	v_mov_b32_e32 v3, 0
	s_and_saveexec_b64 s[16:17], s[2:3]
	s_cbranch_execz .LBB30_44
; %bb.41:                               ;   in Loop: Header=BB30_38 Depth=2
	s_mov_b64 s[20:21], exec
	v_mbcnt_lo_u32_b32 v3, s20, 0
	v_mbcnt_hi_u32_b32 v3, s21, v3
	s_bcnt1_i32_b64 s22, s[12:13]
	v_cmp_eq_u32_e64 s[2:3], 0, v3
                                        ; implicit-def: $vgpr14
	s_and_saveexec_b64 s[18:19], s[2:3]
; %bb.42:                               ;   in Loop: Header=BB30_38 Depth=2
	s_bcnt1_i32_b64 s2, s[20:21]
	s_mul_i32 s2, s22, s2
	v_mov_b32_e32 v14, s2
	ds_add_rtn_u32 v14, v19, v14 offset:5136
; %bb.43:                               ;   in Loop: Header=BB30_38 Depth=2
	s_or_b64 exec, exec, s[18:19]
	s_waitcnt lgkmcnt(0)
	v_readfirstlane_b32 s2, v14
	s_nop 1
	v_mov_b32_e32 v14, s2
	v_mad_u32_u24 v3, s22, v3, v14
.LBB30_44:                              ;   in Loop: Header=BB30_38 Depth=2
	s_or_b64 exec, exec, s[16:17]
	ds_bpermute_b32 v3, v51, v3
	s_and_b64 s[2:3], exec, vcc
	s_or_b64 s[8:9], s[2:3], s[8:9]
	s_and_saveexec_b64 s[2:3], s[12:13]
	s_cbranch_execz .LBB30_37
; %bb.45:                               ;   in Loop: Header=BB30_38 Depth=2
	v_and_b32_e32 v15, s12, v24
	v_and_b32_e32 v14, s13, v25
	v_bcnt_u32_b32 v15, v15, 0
	v_bcnt_u32_b32 v14, v14, v15
	v_lshlrev_b32_e32 v14, 3, v14
	s_waitcnt lgkmcnt(0)
	v_lshl_add_u32 v3, v3, 3, v14
	ds_write_b64 v3, v[4:5]
	s_branch .LBB30_37
.LBB30_46:                              ;   in Loop: Header=BB30_32 Depth=1
	s_mov_b64 s[0:1], -1
	s_mov_b64 s[2:3], 0
.LBB30_47:                              ;   in Loop: Header=BB30_32 Depth=1
	s_and_b64 vcc, exec, s[0:1]
	s_cbranch_vccz .LBB30_57
.LBB30_48:                              ;   in Loop: Header=BB30_32 Depth=1
	s_mov_b64 s[0:1], exec
	v_readlane_b32 s2, v68, 42
	v_readlane_b32 s3, v68, 43
	s_and_b64 s[2:3], s[0:1], s[2:3]
	s_mov_b64 exec, s[2:3]
	s_cbranch_execz .LBB30_54
; %bb.49:                               ;   in Loop: Header=BB30_32 Depth=1
	global_load_ushort v3, v19, s[50:51]
	global_load_dwordx2 v[4:5], v[20:21], off
	s_waitcnt vmcnt(1)
	v_add_u32_sdwa v18, v3, v0 dst_sel:DWORD dst_unused:UNUSED_PAD src0_sel:WORD_0 src1_sel:DWORD
	v_readfirstlane_b32 s6, v3
	v_cmp_gt_i64_e32 vcc, s[56:57], v[18:19]
	v_mov_b32_e32 v3, v0
	s_and_saveexec_b64 s[2:3], vcc
	s_cbranch_execz .LBB30_53
; %bb.50:                               ;   in Loop: Header=BB30_32 Depth=1
	s_and_b32 s96, s6, 0xffff
	v_readlane_b32 s6, v68, 55
	v_readlane_b32 s7, v68, 56
	;; [unrolled: 1-line block ×4, first 2 shown]
	v_mov_b64_e32 v[8:9], s[6:7]
	v_mad_u64_u32 v[8:9], s[6:7], s8, v18, v[8:9]
	v_mov_b32_e32 v10, v9
	v_mad_u64_u32 v[10:11], s[6:7], s9, v18, v[10:11]
	s_mul_i32 s6, s9, s96
	s_mul_hi_u32 s7, s8, s96
	v_mov_b32_e32 v9, v10
	s_add_i32 s7, s7, s6
	s_mul_i32 s6, s8, s96
	s_mov_b64 s[8:9], 0
	v_mov_b64_e32 v[12:13], v[18:19]
	v_mov_b64_e32 v[14:15], v[0:1]
.LBB30_51:                              ;   Parent Loop BB30_32 Depth=1
                                        ; =>  This Inner Loop Header: Depth=2
	global_load_dwordx2 v[10:11], v[8:9], off
	v_mov_b64_e32 v[42:43], v[12:13]
	v_lshl_add_u64 v[12:13], v[42:43], 0, s[96:97]
	v_lshlrev_b32_e32 v3, 3, v14
	v_cmp_le_i64_e32 vcc, s[56:57], v[12:13]
	v_lshl_add_u64 v[8:9], v[8:9], 0, s[6:7]
	s_waitcnt vmcnt(1)
	ds_write_b64 v3, v[4:5]
	v_mov_b64_e32 v[14:15], v[42:43]
	s_or_b64 s[8:9], vcc, s[8:9]
	s_waitcnt vmcnt(0)
	v_mov_b64_e32 v[4:5], v[10:11]
	s_andn2_b64 exec, exec, s[8:9]
	s_cbranch_execnz .LBB30_51
; %bb.52:                               ;   in Loop: Header=BB30_32 Depth=1
	s_or_b64 exec, exec, s[8:9]
	v_subrev_u32_e32 v3, s96, v12
	v_mov_b64_e32 v[4:5], v[10:11]
.LBB30_53:                              ;   in Loop: Header=BB30_32 Depth=1
	s_or_b64 exec, exec, s[2:3]
	v_lshlrev_b32_e32 v3, 3, v3
	s_waitcnt vmcnt(0)
	ds_write_b64 v3, v[4:5]
.LBB30_54:                              ;   in Loop: Header=BB30_32 Depth=1
	s_or_b64 exec, exec, s[0:1]
	s_waitcnt lgkmcnt(0)
	s_barrier
	s_mov_b64 s[0:1], exec
	v_readlane_b32 s2, v68, 32
	v_readlane_b32 s3, v68, 33
	s_and_b64 s[2:3], s[0:1], s[2:3]
	s_mov_b64 exec, s[2:3]
; %bb.55:                               ;   in Loop: Header=BB30_32 Depth=1
	ds_write_b64 v19, v[56:57] offset:5120
; %bb.56:                               ;   in Loop: Header=BB30_32 Depth=1
	s_or_b64 exec, exec, s[0:1]
	s_mov_b64 s[2:3], -1
	s_waitcnt lgkmcnt(0)
	s_barrier
.LBB30_57:                              ;   in Loop: Header=BB30_32 Depth=1
	s_and_b64 vcc, exec, s[2:3]
	s_cbranch_vccz .LBB30_59
; %bb.58:                               ;   in Loop: Header=BB30_32 Depth=1
	ds_read_b64 v[4:5], v19 offset:5120
	s_waitcnt lgkmcnt(0)
	v_readfirstlane_b32 s64, v4
.LBB30_59:                              ;   in Loop: Header=BB30_32 Depth=1
	s_cmp_lt_i32 s64, 1
	s_mov_b64 s[0:1], -1
                                        ; implicit-def: $vgpr14_vgpr15
                                        ; implicit-def: $vgpr10_vgpr11
	s_cbranch_scc1 .LBB30_69
; %bb.60:                               ;   in Loop: Header=BB30_32 Depth=1
	s_and_b64 vcc, exec, s[0:1]
	s_cbranch_vccnz .LBB30_83
.LBB30_61:                              ;   in Loop: Header=BB30_32 Depth=1
	s_lshl_b32 s2, s44, 6
	s_and_saveexec_b64 s[0:1], s[4:5]
	s_cbranch_execz .LBB30_63
.LBB30_62:                              ;   in Loop: Header=BB30_32 Depth=1
	v_lshl_add_u32 v3, s2, 3, v52
	ds_write_b128 v3, v[8:11]
	ds_write_b128 v3, v[12:15] offset:16
.LBB30_63:                              ;   in Loop: Header=BB30_32 Depth=1
	s_or_b64 exec, exec, s[0:1]
	s_waitcnt lgkmcnt(0)
	s_barrier
	s_and_saveexec_b64 s[0:1], s[98:99]
	s_cbranch_execz .LBB30_101
; %bb.64:                               ;   in Loop: Header=BB30_32 Depth=1
	v_readlane_b32 s6, v68, 44
	v_readlane_b32 s7, v68, 45
	s_andn2_b64 vcc, exec, s[6:7]
	v_mov_b64_e32 v[4:5], 0
	s_cbranch_vccnz .LBB30_100
; %bb.65:                               ;   in Loop: Header=BB30_32 Depth=1
	v_readlane_b32 s6, v68, 48
	v_readlane_b32 s7, v68, 49
	s_andn2_b64 vcc, exec, s[6:7]
	s_cbranch_vccnz .LBB30_96
; %bb.66:                               ;   in Loop: Header=BB30_32 Depth=1
	v_lshl_add_u32 v3, s44, 9, v54
	v_mov_b64_e32 v[4:5], 0
	s_mov_b32 s3, 0
.LBB30_67:                              ;   Parent Loop BB30_32 Depth=1
                                        ; =>  This Inner Loop Header: Depth=2
	ds_read2_b64 v[8:11], v3 offset1:4
	ds_read2_b64 v[12:15], v3 offset0:8 offset1:12
	ds_read2_b64 v[42:45], v3 offset0:16 offset1:20
	;; [unrolled: 1-line block ×3, first 2 shown]
	s_add_i32 s3, s3, 8
	s_waitcnt lgkmcnt(3)
	v_lshl_add_u64 v[4:5], v[8:9], 0, v[4:5]
	v_lshl_add_u64 v[4:5], v[10:11], 0, v[4:5]
	s_waitcnt lgkmcnt(2)
	v_lshl_add_u64 v[4:5], v[12:13], 0, v[4:5]
	v_lshl_add_u64 v[4:5], v[14:15], 0, v[4:5]
	;; [unrolled: 3-line block ×3, first 2 shown]
	s_waitcnt lgkmcnt(0)
	v_lshl_add_u64 v[4:5], v[60:61], 0, v[4:5]
	v_add_u32_e32 v3, 0x100, v3
	s_cmp_eq_u32 s33, s3
	v_lshl_add_u64 v[4:5], v[62:63], 0, v[4:5]
	s_cbranch_scc0 .LBB30_67
; %bb.68:                               ;   in Loop: Header=BB30_32 Depth=1
	s_mov_b32 s3, s33
	s_branch .LBB30_97
.LBB30_69:                              ;   in Loop: Header=BB30_32 Depth=1
	global_load_ushort v3, v19, s[50:51]
	s_mov_b32 s0, s97
	s_waitcnt vmcnt(0)
	v_readfirstlane_b32 s1, v3
	s_and_b32 s66, s1, 0xffff
	s_lshl_b32 s96, s66, 2
	s_mov_b32 s1, s57
	s_cmp_lg_u64 s[0:1], 0
	s_cbranch_scc0 .LBB30_92
; %bb.70:                               ;   in Loop: Header=BB30_32 Depth=1
	s_add_u32 s0, s96, 0
	s_addc_u32 s1, 0, 0
	s_xor_b64 s[0:1], s[0:1], 0
	v_cvt_f32_u32_e32 v3, s0
	v_cvt_f32_u32_e32 v4, s1
	s_sub_u32 s6, 0, s0
	s_subb_u32 s7, 0, s1
	v_fmac_f32_e32 v3, 0x4f800000, v4
	v_rcp_f32_e32 v3, v3
	s_nop 0
	v_mul_f32_e32 v3, 0x5f7ffffc, v3
	v_mul_f32_e32 v4, 0x2f800000, v3
	v_trunc_f32_e32 v4, v4
	v_fmac_f32_e32 v3, 0xcf800000, v4
	v_cvt_u32_f32_e32 v4, v4
	v_cvt_u32_f32_e32 v3, v3
	v_readfirstlane_b32 s8, v4
	v_readfirstlane_b32 s2, v3
	s_mul_i32 s3, s6, s8
	s_mul_hi_u32 s12, s6, s2
	s_mul_i32 s9, s7, s2
	s_add_i32 s3, s12, s3
	s_mul_i32 s13, s6, s2
	s_add_i32 s3, s3, s9
	s_mul_i32 s12, s2, s3
	s_mul_hi_u32 s14, s2, s13
	s_mul_hi_u32 s9, s2, s3
	s_add_u32 s12, s14, s12
	s_addc_u32 s9, 0, s9
	s_mul_hi_u32 s15, s8, s13
	s_mul_i32 s13, s8, s13
	s_add_u32 s12, s12, s13
	s_mul_hi_u32 s14, s8, s3
	s_addc_u32 s9, s9, s15
	s_addc_u32 s12, s14, 0
	s_mul_i32 s3, s8, s3
	s_add_u32 s3, s9, s3
	s_addc_u32 s9, 0, s12
	s_add_u32 s12, s2, s3
	s_cselect_b64 s[2:3], -1, 0
	s_cmp_lg_u64 s[2:3], 0
	s_addc_u32 s8, s8, s9
	s_mul_i32 s2, s6, s8
	s_mul_hi_u32 s3, s6, s12
	s_add_i32 s2, s3, s2
	s_mul_i32 s7, s7, s12
	s_add_i32 s2, s2, s7
	s_mul_i32 s6, s6, s12
	s_mul_hi_u32 s7, s8, s6
	s_mul_i32 s9, s8, s6
	s_mul_i32 s14, s12, s2
	s_mul_hi_u32 s6, s12, s6
	s_mul_hi_u32 s13, s12, s2
	s_add_u32 s6, s6, s14
	s_addc_u32 s13, 0, s13
	s_add_u32 s6, s6, s9
	s_mul_hi_u32 s3, s8, s2
	s_addc_u32 s6, s13, s7
	s_addc_u32 s3, s3, 0
	s_mul_i32 s2, s8, s2
	s_add_u32 s2, s6, s2
	s_addc_u32 s6, 0, s3
	s_add_u32 s9, s12, s2
	s_cselect_b64 s[2:3], -1, 0
	s_cmp_lg_u64 s[2:3], 0
	s_addc_u32 s8, s8, s6
	s_ashr_i32 s2, s57, 31
	s_add_u32 s6, s56, s2
	s_mov_b32 s3, s2
	s_addc_u32 s7, s57, s2
	s_xor_b64 s[6:7], s[6:7], s[2:3]
	s_mul_i32 s13, s6, s8
	s_mul_hi_u32 s14, s6, s9
	s_mul_hi_u32 s12, s6, s8
	s_add_u32 s13, s14, s13
	s_addc_u32 s12, 0, s12
	s_mul_hi_u32 s15, s7, s9
	s_mul_i32 s9, s7, s9
	s_add_u32 s9, s13, s9
	s_mul_hi_u32 s14, s7, s8
	s_addc_u32 s9, s12, s15
	s_addc_u32 s12, s14, 0
	s_mul_i32 s8, s7, s8
	s_add_u32 s8, s9, s8
	s_addc_u32 s9, 0, s12
	s_mul_i32 s9, s0, s9
	s_mul_hi_u32 s12, s0, s8
	s_add_i32 s9, s12, s9
	s_mul_i32 s12, s1, s8
	s_add_i32 s14, s9, s12
	s_sub_i32 s12, s7, s14
	s_mul_i32 s8, s0, s8
	s_sub_u32 s6, s6, s8
	s_cselect_b64 s[8:9], -1, 0
	s_cmp_lg_u64 s[8:9], 0
	s_subb_u32 s15, s12, s1
	s_sub_u32 s16, s6, s0
	s_cselect_b64 s[12:13], -1, 0
	s_cmp_lg_u64 s[12:13], 0
	s_subb_u32 s17, s15, 0
	s_cmp_ge_u32 s17, s1
	s_cselect_b32 s18, -1, 0
	s_cmp_ge_u32 s16, s0
	s_cselect_b32 s19, -1, 0
	s_cmp_eq_u32 s17, s1
	s_cselect_b32 s18, s19, s18
	s_cmp_lg_u64 s[12:13], 0
	s_subb_u32 s15, s15, s1
	s_sub_u32 s19, s16, s0
	s_cselect_b64 s[12:13], -1, 0
	s_cmp_lg_u64 s[12:13], 0
	s_subb_u32 s12, s15, 0
	s_cmp_lg_u32 s18, 0
	s_cselect_b32 s13, s19, s16
	s_cselect_b32 s12, s12, s17
	s_cmp_lg_u64 s[8:9], 0
	s_subb_u32 s7, s7, s14
	s_cmp_ge_u32 s7, s1
	s_cselect_b32 s8, -1, 0
	s_cmp_ge_u32 s6, s0
	s_cselect_b32 s0, -1, 0
	s_cmp_eq_u32 s7, s1
	s_cselect_b32 s0, s0, s8
	s_cmp_lg_u32 s0, 0
	s_cselect_b32 s1, s12, s7
	s_cselect_b32 s0, s13, s6
	s_xor_b64 s[0:1], s[0:1], s[2:3]
	s_sub_u32 s54, s0, s2
	s_subb_u32 s55, s1, s2
	s_cbranch_execnz .LBB30_72
.LBB30_71:                              ;   in Loop: Header=BB30_32 Depth=1
	v_cvt_f32_u32_e32 v3, s96
	s_sub_i32 s0, 0, s96
	s_mov_b32 s55, s97
	v_rcp_iflag_f32_e32 v3, v3
	s_nop 0
	v_mul_f32_e32 v3, 0x4f7ffffe, v3
	v_cvt_u32_f32_e32 v3, v3
	s_nop 0
	v_readfirstlane_b32 s1, v3
	s_mul_i32 s0, s0, s1
	s_mul_hi_u32 s0, s1, s0
	s_add_i32 s1, s1, s0
	s_mul_hi_u32 s0, s56, s1
	s_mul_i32 s0, s0, s96
	s_sub_i32 s0, s56, s0
	s_sub_i32 s1, s0, s96
	s_cmp_ge_u32 s0, s96
	s_cselect_b32 s0, s1, s0
	s_sub_i32 s1, s0, s96
	s_cmp_ge_u32 s0, s96
	s_cselect_b32 s54, s1, s0
.LBB30_72:                              ;   in Loop: Header=BB30_32 Depth=1
	s_sub_u32 s68, s56, s54
	s_subb_u32 s69, s57, s55
	s_mov_b32 s67, s97
	v_cmp_gt_i64_e32 vcc, s[68:69], v[22:23]
	v_mov_b64_e32 v[8:9], 0
	v_mov_b64_e32 v[10:11], 0
	;; [unrolled: 1-line block ×4, first 2 shown]
	s_and_saveexec_b64 s[70:71], vcc
	s_cbranch_execz .LBB30_76
; %bb.73:                               ;   in Loop: Header=BB30_32 Depth=1
	s_mul_i32 s0, s85, s66
	s_mul_hi_u32 s1, s84, s66
	s_mov_b32 s80, s44
	s_mov_b32 s72, s73
	s_add_i32 s65, s1, s0
	s_mov_b64 s[0:1], 0
	s_mov_b64 s[92:93], s[88:89]
	s_mov_b64 s[8:9], 0
	s_mov_b64 s[86:87], 0
	s_mov_b64 s[78:79], 0
	s_mov_b64 s[6:7], 0
	v_mov_b64_e32 v[4:5], v[22:23]
.LBB30_74:                              ;   Parent Loop BB30_32 Depth=1
                                        ; =>  This Inner Loop Header: Depth=2
	v_lshl_add_u64 v[8:9], s[88:89], 0, v[34:35]
	v_lshl_add_u64 v[10:11], s[88:89], 0, v[32:33]
	;; [unrolled: 1-line block ×4, first 2 shown]
	global_load_dwordx2 v[8:9], v[8:9], off
	s_nop 0
	global_load_dwordx2 v[10:11], v[10:11], off
	s_nop 0
	;; [unrolled: 2-line block ×3, first 2 shown]
	global_load_dwordx2 v[14:15], v[14:15], off
	v_mov_b32_e32 v43, v19
	v_mov_b32_e32 v45, v19
	;; [unrolled: 1-line block ×3, first 2 shown]
	s_mul_i32 s73, s84, s66
	v_lshl_add_u64 v[4:5], v[4:5], 0, s[96:97]
	v_cmp_le_i64_e32 vcc, s[68:69], v[4:5]
	s_waitcnt vmcnt(3)
	v_xor_b32_e32 v9, 0x80000000, v9
	s_waitcnt vmcnt(2)
	v_xor_b32_e32 v11, 0x80000000, v11
	v_and_b32_e32 v60, v8, v38
	v_and_b32_e32 v61, v9, v39
	v_lshrrev_b64 v[8:9], s91, v[8:9]
	s_waitcnt vmcnt(1)
	v_xor_b32_e32 v13, 0x80000000, v13
	v_and_b32_e32 v62, v10, v38
	v_and_b32_e32 v63, v11, v39
	v_lshrrev_b64 v[10:11], s91, v[10:11]
	v_and_b32_e32 v18, 3, v8
	s_waitcnt vmcnt(0)
	v_xor_b32_e32 v15, 0x80000000, v15
	v_and_b32_e32 v64, v12, v38
	v_and_b32_e32 v65, v13, v39
	v_lshrrev_b64 v[12:13], s91, v[12:13]
	v_cmp_eq_u64_e64 s[2:3], v[60:61], v[30:31]
	v_and_b32_e32 v42, 3, v10
	v_cmp_eq_u64_e64 s[18:19], 0, v[18:19]
	v_and_b32_e32 v66, v14, v38
	v_and_b32_e32 v67, v15, v39
	v_lshrrev_b64 v[14:15], s91, v[14:15]
	v_cmp_eq_u64_e64 s[14:15], v[62:63], v[30:31]
	v_and_b32_e32 v44, 3, v12
	v_cmp_eq_u64_e64 s[20:21], 0, v[42:43]
	s_and_b64 s[18:19], s[2:3], s[18:19]
	v_cmp_eq_u64_e64 s[16:17], v[64:65], v[30:31]
	v_and_b32_e32 v46, 3, v14
	v_cmp_eq_u64_e64 s[22:23], 0, v[44:45]
	v_cndmask_b32_e64 v3, 0, 1, s[18:19]
	s_and_b64 s[18:19], s[14:15], s[20:21]
	v_cmp_eq_u64_e64 s[12:13], v[66:67], v[30:31]
	v_cmp_eq_u64_e64 s[24:25], 0, v[46:47]
	v_cndmask_b32_e64 v8, 0, 1, s[18:19]
	s_and_b64 s[18:19], s[16:17], s[22:23]
	v_cndmask_b32_e64 v9, 0, 1, s[18:19]
	s_and_b64 s[18:19], s[12:13], s[24:25]
	v_cndmask_b32_e64 v10, 0, 1, s[18:19]
	v_cmp_ne_u32_e64 s[18:19], 0, v3
	v_cmp_ne_u32_e64 s[20:21], 0, v8
	v_cmp_ne_u32_e64 s[22:23], 0, v9
	v_cmp_ne_u32_e64 s[24:25], 0, v10
	s_bcnt1_i32_b64 s18, s[18:19]
	s_bcnt1_i32_b64 s19, s[20:21]
	s_bcnt1_i32_b64 s20, s[22:23]
	s_bcnt1_i32_b64 s21, s[24:25]
	s_add_u32 s6, s18, s6
	s_addc_u32 s7, 0, s7
	s_add_u32 s6, s6, s19
	s_addc_u32 s7, s7, 0
	s_add_u32 s6, s6, s20
	s_addc_u32 s7, s7, 0
	v_cmp_eq_u64_e64 s[26:27], 1, v[18:19]
	s_add_u32 s6, s6, s21
	v_cmp_eq_u64_e64 s[30:31], 1, v[42:43]
	s_addc_u32 s7, s7, 0
	s_and_b64 s[18:19], s[2:3], s[26:27]
	v_cmp_eq_u64_e64 s[34:35], 1, v[44:45]
	v_cndmask_b32_e64 v3, 0, 1, s[18:19]
	s_and_b64 s[18:19], s[14:15], s[30:31]
	v_cmp_eq_u64_e64 s[36:37], 1, v[46:47]
	v_cndmask_b32_e64 v10, 0, 1, s[18:19]
	s_and_b64 s[18:19], s[16:17], s[34:35]
	v_cndmask_b32_e64 v11, 0, 1, s[18:19]
	s_and_b64 s[18:19], s[12:13], s[36:37]
	v_cndmask_b32_e64 v12, 0, 1, s[18:19]
	v_cmp_ne_u32_e64 s[18:19], 0, v3
	v_cmp_ne_u32_e64 s[20:21], 0, v10
	v_cmp_ne_u32_e64 s[22:23], 0, v11
	v_cmp_ne_u32_e64 s[24:25], 0, v12
	s_bcnt1_i32_b64 s18, s[18:19]
	s_bcnt1_i32_b64 s19, s[20:21]
	s_bcnt1_i32_b64 s20, s[22:23]
	s_bcnt1_i32_b64 s21, s[24:25]
	s_add_u32 s18, s18, s78
	s_addc_u32 s22, 0, s79
	s_add_u32 s18, s18, s19
	s_addc_u32 s19, s22, 0
	s_add_u32 s18, s18, s20
	s_addc_u32 s19, s19, 0
	v_cmp_eq_u64_e64 s[38:39], 2, v[18:19]
	s_add_u32 s78, s18, s21
	v_cmp_eq_u64_e64 s[40:41], 2, v[42:43]
	s_addc_u32 s79, s19, 0
	s_and_b64 s[18:19], s[2:3], s[38:39]
	v_cmp_eq_u64_e64 s[42:43], 2, v[44:45]
	v_cndmask_b32_e64 v3, 0, 1, s[18:19]
	s_and_b64 s[18:19], s[14:15], s[40:41]
	;; [unrolled: 28-line block ×3, first 2 shown]
	v_cmp_eq_u64_e64 s[52:53], 3, v[46:47]
	v_cndmask_b32_e64 v14, 0, 1, s[2:3]
	s_and_b64 s[2:3], s[16:17], s[50:51]
	v_cndmask_b32_e64 v15, 0, 1, s[2:3]
	s_and_b64 s[2:3], s[12:13], s[52:53]
	v_cndmask_b32_e64 v18, 0, 1, s[2:3]
	v_cmp_ne_u32_e64 s[2:3], 0, v3
	v_cmp_ne_u32_e64 s[12:13], 0, v14
	;; [unrolled: 1-line block ×4, first 2 shown]
	s_bcnt1_i32_b64 s2, s[2:3]
	s_bcnt1_i32_b64 s3, s[12:13]
	;; [unrolled: 1-line block ×4, first 2 shown]
	s_add_u32 s2, s2, s8
	s_addc_u32 s8, 0, s9
	s_add_u32 s2, s2, s3
	s_addc_u32 s3, s8, 0
	;; [unrolled: 2-line block ×5, first 2 shown]
	v_mov_b64_e32 v[8:9], s[6:7]
	v_mov_b64_e32 v[10:11], s[78:79]
	;; [unrolled: 1-line block ×3, first 2 shown]
	s_or_b64 s[0:1], vcc, s[0:1]
	v_mov_b64_e32 v[14:15], s[8:9]
	s_andn2_b64 exec, exec, s[0:1]
	s_cbranch_execnz .LBB30_74
; %bb.75:                               ;   in Loop: Header=BB30_32 Depth=1
	s_or_b64 exec, exec, s[0:1]
	v_readlane_b32 s78, v68, 57
	v_readlane_b32 s50, v68, 59
	s_mov_b64 s[88:89], s[92:93]
	v_readlane_b32 s79, v68, 58
	s_mov_b32 s73, s72
	v_readlane_b32 s51, v68, 60
	s_mov_b32 s44, s80
.LBB30_76:                              ;   in Loop: Header=BB30_32 Depth=1
	s_or_b64 exec, exec, s[70:71]
	v_lshl_add_u64 v[4:5], s[68:69], 0, v[0:1]
	v_cmp_gt_i64_e32 vcc, s[56:57], v[4:5]
	s_and_saveexec_b64 s[0:1], vcc
	s_cbranch_execz .LBB30_82
; %bb.77:                               ;   in Loop: Header=BB30_32 Depth=1
	v_mul_lo_u32 v3, v5, s62
	v_mul_lo_u32 v18, v4, s63
	v_mad_u64_u32 v[42:43], s[2:3], v4, s62, 0
	v_add3_u32 v43, v43, v18, v3
	v_lshl_add_u64 v[42:43], v[42:43], 3, s[88:89]
	global_load_dwordx2 v[44:45], v[42:43], off
	v_lshl_add_u64 v[42:43], v[36:37], 0, s[66:67]
	v_readlane_b32 s2, v68, 55
	v_mov_b32_e32 v3, s55
	v_subrev_co_u32_e32 v18, vcc, s54, v42
	v_readlane_b32 s3, v68, 56
	s_nop 0
	v_subb_co_u32_e32 v3, vcc, v43, v3, vcc
	v_readlane_b32 s6, v68, 53
	v_mov_b64_e32 v[42:43], s[2:3]
	v_readlane_b32 s7, v68, 54
	v_mad_u64_u32 v[42:43], s[2:3], s6, v18, v[42:43]
	v_mul_lo_u32 v3, s6, v3
	v_mul_lo_u32 v46, s7, v18
	s_mul_i32 s2, s7, s66
	s_mul_hi_u32 s3, s6, s66
	v_add3_u32 v43, v46, v43, v3
	s_add_i32 s7, s3, s2
	s_mul_i32 s6, s6, s66
	s_mov_b64 s[8:9], 0
	s_branch .LBB30_79
.LBB30_78:                              ;   in Loop: Header=BB30_79 Depth=2
	s_or_b64 exec, exec, s[12:13]
	s_waitcnt vmcnt(0)
	v_xor_b32_e32 v45, 0x80000000, v45
	v_and_b32_e32 v61, v45, v39
	v_and_b32_e32 v60, v44, v38
	v_lshrrev_b64 v[44:45], s91, v[44:45]
	s_and_b64 s[2:3], exec, vcc
	v_and_b32_e32 v18, 3, v44
	s_or_b64 s[8:9], s[2:3], s[8:9]
	v_cmp_eq_u64_e32 vcc, v[60:61], v[30:31]
	v_cmp_eq_u64_e64 s[2:3], 0, v[18:19]
	s_and_b64 s[2:3], vcc, s[2:3]
	v_lshl_add_u64 v[42:43], v[42:43], 0, s[6:7]
	v_cndmask_b32_e64 v3, 0, 1, s[2:3]
	v_cmp_ne_u32_e64 s[2:3], 0, v3
	s_bcnt1_i32_b64 s96, s[2:3]
	v_cmp_eq_u64_e64 s[2:3], 1, v[18:19]
	s_and_b64 s[2:3], vcc, s[2:3]
	v_lshl_add_u64 v[8:9], s[96:97], 0, v[8:9]
	v_cndmask_b32_e64 v3, 0, 1, s[2:3]
	v_cmp_ne_u32_e64 s[2:3], 0, v3
	s_bcnt1_i32_b64 s96, s[2:3]
	;; [unrolled: 6-line block ×3, first 2 shown]
	v_cmp_eq_u64_e64 s[2:3], 3, v[18:19]
	s_and_b64 s[2:3], vcc, s[2:3]
	v_lshl_add_u64 v[12:13], s[96:97], 0, v[12:13]
	v_cndmask_b32_e64 v3, 0, 1, s[2:3]
	v_cmp_ne_u32_e32 vcc, 0, v3
	s_bcnt1_i32_b64 s96, vcc
	v_lshl_add_u64 v[14:15], s[96:97], 0, v[14:15]
	v_mov_b64_e32 v[44:45], v[46:47]
	s_andn2_b64 exec, exec, s[8:9]
	s_cbranch_execz .LBB30_81
.LBB30_79:                              ;   Parent Loop BB30_32 Depth=1
                                        ; =>  This Inner Loop Header: Depth=2
	v_lshl_add_u64 v[4:5], v[4:5], 0, s[66:67]
	v_cmp_gt_i64_e64 s[2:3], s[56:57], v[4:5]
	v_cmp_le_i64_e32 vcc, s[56:57], v[4:5]
	v_mov_b64_e32 v[46:47], 0
	s_and_saveexec_b64 s[12:13], s[2:3]
	s_cbranch_execz .LBB30_78
; %bb.80:                               ;   in Loop: Header=BB30_79 Depth=2
	global_load_dwordx2 v[46:47], v[42:43], off
	s_branch .LBB30_78
.LBB30_81:                              ;   in Loop: Header=BB30_32 Depth=1
	s_or_b64 exec, exec, s[8:9]
.LBB30_82:                              ;   in Loop: Header=BB30_32 Depth=1
	s_or_b64 exec, exec, s[0:1]
	s_branch .LBB30_61
.LBB30_83:                              ;   in Loop: Header=BB30_32 Depth=1
	global_load_ushort v3, v19, s[50:51]
	v_mov_b64_e32 v[8:9], 0
	v_mov_b64_e32 v[10:11], 0
	;; [unrolled: 1-line block ×4, first 2 shown]
	s_waitcnt vmcnt(0)
	v_readfirstlane_b32 s0, v3
	s_and_b32 s65, 0xffff, s0
	s_lshl_b32 s96, s65, 2
	v_cvt_f32_u32_e32 v4, s96
	s_sub_i32 s0, 0, s96
	v_rcp_iflag_f32_e32 v4, v4
	s_nop 0
	v_mul_f32_e32 v4, 0x4f7ffffe, v4
	v_cvt_u32_f32_e32 v4, v4
	s_nop 0
	v_readfirstlane_b32 s1, v4
	s_mul_i32 s0, s0, s1
	s_mul_hi_u32 s0, s1, s0
	s_add_i32 s1, s1, s0
	s_mul_hi_u32 s0, s64, s1
	s_mul_i32 s1, s0, s96
	s_sub_i32 s1, s64, s1
	s_add_i32 s2, s0, 1
	s_sub_i32 s3, s1, s96
	s_cmp_ge_u32 s1, s96
	s_cselect_b32 s0, s2, s0
	s_cselect_b32 s1, s3, s1
	s_add_i32 s2, s0, 1
	s_cmp_ge_u32 s1, s96
	s_cselect_b32 s0, s2, s0
	s_mul_hi_u32 s1, s65, s0
	s_mul_i32 s0, s65, s0
	s_lshl_b64 s[6:7], s[0:1], 2
	v_cmp_gt_u64_e32 vcc, s[6:7], v[22:23]
	s_and_saveexec_b64 s[8:9], vcc
	s_cbranch_execz .LBB30_87
; %bb.84:                               ;   in Loop: Header=BB30_32 Depth=1
	s_mov_b32 s72, s44
	s_lshl_b32 s1, s65, 5
	s_mov_b64 s[54:55], 0
	v_mov_b32_e32 v55, v53
	s_mov_b64 s[66:67], 0
	s_mov_b64 s[68:69], 0
	;; [unrolled: 1-line block ×4, first 2 shown]
	v_mov_b64_e32 v[4:5], v[22:23]
.LBB30_85:                              ;   Parent Loop BB30_32 Depth=1
                                        ; =>  This Inner Loop Header: Depth=2
	ds_read_b128 v[12:15], v55
	ds_read_b128 v[8:11], v55 offset:16
	v_mov_b32_e32 v43, v19
	v_mov_b32_e32 v45, v19
	;; [unrolled: 1-line block ×3, first 2 shown]
	s_waitcnt lgkmcnt(1)
	v_xor_b32_e32 v13, 0x80000000, v13
	v_xor_b32_e32 v15, 0x80000000, v15
	v_and_b32_e32 v60, v12, v38
	v_and_b32_e32 v61, v13, v39
	v_lshrrev_b64 v[12:13], s91, v[12:13]
	s_waitcnt lgkmcnt(0)
	v_xor_b32_e32 v9, 0x80000000, v9
	v_and_b32_e32 v62, v14, v38
	v_and_b32_e32 v63, v15, v39
	v_lshrrev_b64 v[14:15], s91, v[14:15]
	v_and_b32_e32 v18, 3, v12
	v_xor_b32_e32 v11, 0x80000000, v11
	v_and_b32_e32 v64, v8, v38
	v_and_b32_e32 v65, v9, v39
	v_lshrrev_b64 v[8:9], s91, v[8:9]
	v_cmp_eq_u64_e64 s[18:19], v[60:61], v[30:31]
	v_and_b32_e32 v42, 3, v14
	v_cmp_eq_u64_e64 s[2:3], 0, v[18:19]
	v_and_b32_e32 v66, v10, v38
	v_and_b32_e32 v67, v11, v39
	v_lshrrev_b64 v[10:11], s91, v[10:11]
	v_cmp_eq_u64_e64 s[16:17], v[62:63], v[30:31]
	v_and_b32_e32 v44, 3, v8
	v_cmp_eq_u64_e64 s[30:31], 0, v[42:43]
	s_and_b64 s[2:3], s[18:19], s[2:3]
	v_cmp_eq_u64_e64 s[14:15], v[64:65], v[30:31]
	v_and_b32_e32 v46, 3, v10
	v_cmp_eq_u64_e64 s[34:35], 0, v[44:45]
	v_cndmask_b32_e64 v8, 0, 1, s[2:3]
	s_and_b64 s[2:3], s[16:17], s[30:31]
	v_cmp_eq_u64_e64 s[12:13], v[66:67], v[30:31]
	v_cmp_eq_u64_e64 s[36:37], 0, v[46:47]
	v_cndmask_b32_e64 v9, 0, 1, s[2:3]
	s_and_b64 s[2:3], s[14:15], s[34:35]
	v_cndmask_b32_e64 v10, 0, 1, s[2:3]
	s_and_b64 s[2:3], s[12:13], s[36:37]
	v_cndmask_b32_e64 v11, 0, 1, s[2:3]
	v_cmp_ne_u32_e64 s[2:3], 0, v8
	v_cmp_ne_u32_e64 s[30:31], 0, v9
	v_cmp_ne_u32_e64 s[34:35], 0, v10
	v_cmp_ne_u32_e64 s[36:37], 0, v11
	s_bcnt1_i32_b64 s2, s[2:3]
	s_bcnt1_i32_b64 s3, s[30:31]
	s_bcnt1_i32_b64 s30, s[34:35]
	s_bcnt1_i32_b64 s31, s[36:37]
	s_add_u32 s2, s2, s78
	s_addc_u32 s34, 0, s79
	s_add_u32 s2, s2, s3
	s_addc_u32 s3, s34, 0
	s_add_u32 s2, s2, s30
	s_addc_u32 s3, s3, 0
	v_cmp_eq_u64_e64 s[38:39], 1, v[18:19]
	s_add_u32 s78, s2, s31
	v_cmp_eq_u64_e64 s[40:41], 1, v[42:43]
	s_addc_u32 s79, s3, 0
	s_and_b64 s[2:3], s[18:19], s[38:39]
	v_cmp_eq_u64_e64 s[42:43], 1, v[44:45]
	v_cndmask_b32_e64 v10, 0, 1, s[2:3]
	s_and_b64 s[2:3], s[16:17], s[40:41]
	v_cmp_eq_u64_e64 s[44:45], 1, v[46:47]
	v_cndmask_b32_e64 v11, 0, 1, s[2:3]
	s_and_b64 s[2:3], s[14:15], s[42:43]
	v_cndmask_b32_e64 v12, 0, 1, s[2:3]
	s_and_b64 s[2:3], s[12:13], s[44:45]
	v_cndmask_b32_e64 v13, 0, 1, s[2:3]
	v_cmp_ne_u32_e64 s[2:3], 0, v10
	v_cmp_ne_u32_e64 s[30:31], 0, v11
	v_cmp_ne_u32_e64 s[34:35], 0, v12
	v_cmp_ne_u32_e64 s[36:37], 0, v13
	s_bcnt1_i32_b64 s2, s[2:3]
	s_bcnt1_i32_b64 s3, s[30:31]
	s_bcnt1_i32_b64 s30, s[34:35]
	s_bcnt1_i32_b64 s31, s[36:37]
	s_add_u32 s2, s2, s70
	s_addc_u32 s34, 0, s71
	s_add_u32 s2, s2, s3
	s_addc_u32 s3, s34, 0
	s_add_u32 s2, s2, s30
	s_addc_u32 s3, s3, 0
	v_cmp_eq_u64_e64 s[46:47], 2, v[18:19]
	s_add_u32 s70, s2, s31
	v_cmp_eq_u64_e64 s[48:49], 2, v[42:43]
	s_addc_u32 s71, s3, 0
	s_and_b64 s[2:3], s[18:19], s[46:47]
	v_cmp_eq_u64_e64 s[50:51], 2, v[44:45]
	v_cndmask_b32_e64 v12, 0, 1, s[2:3]
	s_and_b64 s[2:3], s[16:17], s[48:49]
	;; [unrolled: 28-line block ×3, first 2 shown]
	v_cmp_eq_u64_e64 s[20:21], 3, v[46:47]
	v_cndmask_b32_e64 v15, 0, 1, s[2:3]
	s_and_b64 s[2:3], s[14:15], s[22:23]
	v_cndmask_b32_e64 v18, 0, 1, s[2:3]
	s_and_b64 s[2:3], s[12:13], s[20:21]
	v_cndmask_b32_e64 v42, 0, 1, s[2:3]
	v_cmp_ne_u32_e64 s[2:3], 0, v14
	v_cmp_ne_u32_e64 s[12:13], 0, v15
	;; [unrolled: 1-line block ×4, first 2 shown]
	s_bcnt1_i32_b64 s2, s[2:3]
	s_bcnt1_i32_b64 s3, s[12:13]
	s_bcnt1_i32_b64 s12, s[14:15]
	s_bcnt1_i32_b64 s13, s[16:17]
	s_add_u32 s2, s2, s66
	s_addc_u32 s14, 0, s67
	s_add_u32 s2, s2, s3
	s_addc_u32 s3, s14, 0
	;; [unrolled: 2-line block ×3, first 2 shown]
	v_lshl_add_u64 v[4:5], v[4:5], 0, s[96:97]
	s_add_u32 s66, s2, s13
	v_cmp_le_u64_e32 vcc, s[6:7], v[4:5]
	s_addc_u32 s67, s3, 0
	v_add_u32_e32 v55, s1, v55
	v_mov_b64_e32 v[8:9], s[78:79]
	v_mov_b64_e32 v[10:11], s[70:71]
	;; [unrolled: 1-line block ×3, first 2 shown]
	s_or_b64 s[54:55], vcc, s[54:55]
	v_mov_b64_e32 v[14:15], s[66:67]
	s_andn2_b64 exec, exec, s[54:55]
	s_cbranch_execnz .LBB30_85
; %bb.86:                               ;   in Loop: Header=BB30_32 Depth=1
	s_or_b64 exec, exec, s[54:55]
	v_readlane_b32 s78, v68, 57
	v_readlane_b32 s50, v68, 59
	v_readlane_b32 s79, v68, 58
	v_readlane_b32 s51, v68, 60
	s_mov_b32 s44, s72
.LBB30_87:                              ;   in Loop: Header=BB30_32 Depth=1
	s_or_b64 exec, exec, s[8:9]
	s_and_b32 s8, s64, 0x7fffffff
	s_mov_b32 s9, s97
	v_lshl_add_u64 v[42:43], s[6:7], 0, v[0:1]
	v_and_b32_e32 v4, 0xffff, v3
	v_mov_b32_e32 v5, v19
	v_cmp_gt_u64_e32 vcc, s[8:9], v[42:43]
	s_and_saveexec_b64 s[6:7], vcc
	s_cbranch_execz .LBB30_91
; %bb.88:                               ;   in Loop: Header=BB30_32 Depth=1
	v_lshl_add_u32 v3, s0, 5, v49
	s_lshl_b32 s20, s65, 3
	s_mov_b64 s[0:1], 0
.LBB30_89:                              ;   Parent Loop BB30_32 Depth=1
                                        ; =>  This Inner Loop Header: Depth=2
	ds_read_b64 v[44:45], v3
	v_lshl_add_u64 v[42:43], v[42:43], 0, v[4:5]
	v_cmp_le_u64_e32 vcc, s[8:9], v[42:43]
	v_add_u32_e32 v3, s20, v3
	s_waitcnt lgkmcnt(0)
	v_xor_b32_e32 v45, 0x80000000, v45
	v_and_b32_e32 v46, v44, v38
	v_and_b32_e32 v47, v45, v39
	v_lshrrev_b64 v[44:45], s91, v[44:45]
	v_and_b32_e32 v18, 3, v44
	v_cmp_eq_u64_e64 s[2:3], v[46:47], v[30:31]
	v_cmp_eq_u64_e64 s[12:13], 0, v[18:19]
	;; [unrolled: 1-line block ×3, first 2 shown]
	s_and_b64 s[12:13], s[2:3], s[12:13]
	v_cmp_eq_u64_e64 s[16:17], 2, v[18:19]
	v_cmp_eq_u64_e64 s[18:19], 3, v[18:19]
	v_cndmask_b32_e64 v18, 0, 1, s[12:13]
	s_and_b64 s[12:13], s[2:3], s[14:15]
	v_cndmask_b32_e64 v44, 0, 1, s[12:13]
	s_and_b64 s[12:13], s[2:3], s[16:17]
	s_and_b64 s[2:3], s[2:3], s[18:19]
	v_cndmask_b32_e64 v46, 0, 1, s[2:3]
	v_cmp_ne_u32_e64 s[2:3], 0, v18
	v_cndmask_b32_e64 v45, 0, 1, s[12:13]
	v_cmp_ne_u32_e64 s[12:13], 0, v44
	s_bcnt1_i32_b64 s96, s[2:3]
	v_cmp_ne_u32_e64 s[14:15], 0, v45
	v_lshl_add_u64 v[8:9], s[96:97], 0, v[8:9]
	s_bcnt1_i32_b64 s96, s[12:13]
	v_cmp_ne_u32_e64 s[16:17], 0, v46
	v_lshl_add_u64 v[10:11], s[96:97], 0, v[10:11]
	s_bcnt1_i32_b64 s96, s[14:15]
	v_lshl_add_u64 v[12:13], s[96:97], 0, v[12:13]
	s_bcnt1_i32_b64 s96, s[16:17]
	s_or_b64 s[0:1], vcc, s[0:1]
	v_lshl_add_u64 v[14:15], s[96:97], 0, v[14:15]
	s_andn2_b64 exec, exec, s[0:1]
	s_cbranch_execnz .LBB30_89
; %bb.90:                               ;   in Loop: Header=BB30_32 Depth=1
	s_or_b64 exec, exec, s[0:1]
.LBB30_91:                              ;   in Loop: Header=BB30_32 Depth=1
	s_or_b64 exec, exec, s[6:7]
	s_lshl_b32 s2, s44, 6
	s_and_saveexec_b64 s[0:1], s[4:5]
	s_cbranch_execnz .LBB30_62
	s_branch .LBB30_63
.LBB30_92:                              ;   in Loop: Header=BB30_32 Depth=1
                                        ; implicit-def: $sgpr54_sgpr55
	s_branch .LBB30_71
.LBB30_93:                              ;   in Loop: Header=BB30_32 Depth=1
	s_or_b64 exec, exec, s[6:7]
	s_waitcnt lgkmcnt(0)
	s_barrier
	s_mov_b64 s[2:3], exec
	v_readlane_b32 s6, v68, 32
	v_readlane_b32 s7, v68, 33
	s_and_b64 s[6:7], s[2:3], s[6:7]
	s_mov_b64 exec, s[6:7]
	s_cbranch_execz .LBB30_95
; %bb.94:                               ;   in Loop: Header=BB30_32 Depth=1
	ds_read_b32 v4, v19 offset:5136
	s_waitcnt lgkmcnt(0)
	v_ashrrev_i32_e32 v5, 31, v4
	ds_write_b64 v19, v[4:5] offset:5120
.LBB30_95:                              ;   in Loop: Header=BB30_32 Depth=1
	s_or_b64 exec, exec, s[2:3]
	s_waitcnt lgkmcnt(0)
	s_barrier
	s_mov_b64 s[2:3], -1
	s_and_b64 vcc, exec, s[0:1]
	s_cbranch_vccnz .LBB30_48
	s_branch .LBB30_57
.LBB30_96:                              ;   in Loop: Header=BB30_32 Depth=1
	s_mov_b32 s3, 0
	v_mov_b64_e32 v[4:5], 0
.LBB30_97:                              ;   in Loop: Header=BB30_32 Depth=1
	v_readlane_b32 s6, v68, 51
	v_readlane_b32 s7, v68, 52
	s_andn2_b64 vcc, exec, s[6:7]
	s_cbranch_vccnz .LBB30_100
; %bb.98:                               ;   in Loop: Header=BB30_32 Depth=1
	s_lshl_b32 s6, s44, 9
	s_lshl_b32 s3, s3, 5
	s_add_i32 s6, s6, s3
	v_add_u32_e32 v3, s6, v54
	v_readlane_b32 s3, v68, 50
.LBB30_99:                              ;   Parent Loop BB30_32 Depth=1
                                        ; =>  This Inner Loop Header: Depth=2
	ds_read_b64 v[8:9], v3
	s_add_i32 s3, s3, -1
	v_add_u32_e32 v3, 32, v3
	s_cmp_lg_u32 s3, 0
	s_waitcnt lgkmcnt(0)
	v_lshl_add_u64 v[4:5], v[8:9], 0, v[4:5]
	s_cbranch_scc1 .LBB30_99
.LBB30_100:                             ;   in Loop: Header=BB30_32 Depth=1
	v_add_lshl_u32 v3, s2, v48, 3
	ds_write_b64 v3, v[4:5] offset:3072
.LBB30_101:                             ;   in Loop: Header=BB30_32 Depth=1
	s_or_b64 exec, exec, s[0:1]
	s_lshl_b32 s0, s2, 3
	v_mov_b32_e32 v3, s0
	s_waitcnt lgkmcnt(0)
	s_barrier
	ds_read_b128 v[12:15], v3 offset:3088
	ds_read_b128 v[8:11], v3 offset:3072
	s_lshl_b64 s[14:15], 3, s91
	v_cmp_eq_u64_e64 s[2:3], 1, v[40:41]
	s_not_b64 s[24:25], s[14:15]
	s_waitcnt lgkmcnt(1)
	v_readfirstlane_b32 s22, v12
	s_waitcnt lgkmcnt(0)
	v_cmp_eq_u64_e32 vcc, 1, v[8:9]
	v_readfirstlane_b32 s23, v13
	v_readfirstlane_b32 s12, v14
	;; [unrolled: 1-line block ×3, first 2 shown]
	s_and_b64 s[18:19], vcc, s[2:3]
	s_mov_b64 s[2:3], -1
	s_mov_b64 s[8:9], -1
                                        ; implicit-def: $sgpr6_sgpr7
                                        ; implicit-def: $sgpr0_sgpr1
	s_and_saveexec_b64 s[16:17], s[18:19]
	s_cbranch_execz .LBB30_133
; %bb.102:                              ;   in Loop: Header=BB30_32 Depth=1
	ds_read_b64 v[4:5], v19 offset:5120
	s_waitcnt lgkmcnt(0)
	s_barrier
	v_readfirstlane_b32 s20, v4
	v_readfirstlane_b32 s21, v5
	s_mov_b64 s[0:1], exec
	v_readlane_b32 s6, v68, 36
	v_readlane_b32 s7, v68, 37
	s_and_b64 s[6:7], s[0:1], s[6:7]
	s_mov_b64 exec, s[6:7]
; %bb.103:                              ;   in Loop: Header=BB30_32 Depth=1
	ds_write_b64 v50, v[58:59]
; %bb.104:                              ;   in Loop: Header=BB30_32 Depth=1
	s_or_b64 exec, exec, s[0:1]
	v_cmp_lt_i64_e64 s[8:9], s[20:21], 1
	v_and_b32_e32 v31, s25, v31
	v_and_b32_e32 v30, s24, v30
	v_or_b32_e32 v39, s15, v39
	v_or_b32_e32 v38, s14, v38
	s_mov_b64 s[0:1], -1
	s_mov_b64 s[6:7], 0
	s_and_b64 vcc, exec, s[8:9]
	s_mov_b64 s[8:9], 0
	s_mov_b64 s[26:27], -1
	s_waitcnt lgkmcnt(0)
	s_barrier
                                        ; implicit-def: $vgpr6_vgpr7
	s_cbranch_vccz .LBB30_118
; %bb.105:                              ;   in Loop: Header=BB30_32 Depth=1
	s_mov_b32 s80, s97
	s_cmp_lg_u64 s[80:81], 0
	s_cbranch_scc0 .LBB30_159
; %bb.106:                              ;   in Loop: Header=BB30_32 Depth=1
	s_add_u32 s8, s94, 0
	s_addc_u32 s9, 0, 0
	s_xor_b64 s[8:9], s[8:9], 0
	v_cvt_f32_u32_e32 v3, s8
	v_cvt_f32_u32_e32 v4, s9
	s_sub_u32 s30, 0, s8
	s_subb_u32 s31, 0, s9
	v_fmac_f32_e32 v3, 0x4f800000, v4
	v_rcp_f32_e32 v3, v3
	s_nop 0
	v_mul_f32_e32 v3, 0x5f7ffffc, v3
	v_mul_f32_e32 v4, 0x2f800000, v3
	v_trunc_f32_e32 v4, v4
	v_fmac_f32_e32 v3, 0xcf800000, v4
	v_cvt_u32_f32_e32 v4, v4
	v_cvt_u32_f32_e32 v3, v3
	v_readfirstlane_b32 s34, v4
	v_readfirstlane_b32 s26, v3
	s_mul_i32 s27, s30, s34
	s_mul_hi_u32 s36, s30, s26
	s_mul_i32 s35, s31, s26
	s_add_i32 s27, s36, s27
	s_mul_i32 s37, s30, s26
	s_add_i32 s27, s27, s35
	s_mul_i32 s36, s26, s27
	s_mul_hi_u32 s38, s26, s37
	s_mul_hi_u32 s35, s26, s27
	s_add_u32 s36, s38, s36
	s_addc_u32 s35, 0, s35
	s_mul_hi_u32 s39, s34, s37
	s_mul_i32 s37, s34, s37
	s_add_u32 s36, s36, s37
	s_mul_hi_u32 s38, s34, s27
	s_addc_u32 s35, s35, s39
	s_addc_u32 s36, s38, 0
	s_mul_i32 s27, s34, s27
	s_add_u32 s27, s35, s27
	s_addc_u32 s35, 0, s36
	s_add_u32 s36, s26, s27
	s_cselect_b64 s[26:27], -1, 0
	s_cmp_lg_u64 s[26:27], 0
	s_addc_u32 s34, s34, s35
	s_mul_i32 s26, s30, s34
	s_mul_hi_u32 s27, s30, s36
	s_add_i32 s26, s27, s26
	s_mul_i32 s31, s31, s36
	s_add_i32 s26, s26, s31
	s_mul_i32 s30, s30, s36
	s_mul_hi_u32 s31, s34, s30
	s_mul_i32 s35, s34, s30
	s_mul_i32 s38, s36, s26
	s_mul_hi_u32 s30, s36, s30
	s_mul_hi_u32 s37, s36, s26
	s_add_u32 s30, s30, s38
	s_addc_u32 s37, 0, s37
	s_add_u32 s30, s30, s35
	s_mul_hi_u32 s27, s34, s26
	s_addc_u32 s30, s37, s31
	s_addc_u32 s27, s27, 0
	s_mul_i32 s26, s34, s26
	s_add_u32 s26, s30, s26
	s_addc_u32 s30, 0, s27
	s_add_u32 s35, s36, s26
	s_cselect_b64 s[26:27], -1, 0
	s_cmp_lg_u64 s[26:27], 0
	s_addc_u32 s34, s34, s30
	s_ashr_i32 s26, s81, 31
	s_add_u32 s30, s73, s26
	s_mov_b32 s27, s26
	s_addc_u32 s31, s81, s26
	s_xor_b64 s[30:31], s[30:31], s[26:27]
	s_mul_i32 s37, s30, s34
	s_mul_hi_u32 s38, s30, s35
	s_mul_hi_u32 s36, s30, s34
	s_add_u32 s37, s38, s37
	s_addc_u32 s36, 0, s36
	s_mul_hi_u32 s39, s31, s35
	s_mul_i32 s35, s31, s35
	s_add_u32 s35, s37, s35
	s_mul_hi_u32 s38, s31, s34
	s_addc_u32 s35, s36, s39
	s_addc_u32 s36, s38, 0
	s_mul_i32 s34, s31, s34
	s_add_u32 s34, s35, s34
	s_addc_u32 s35, 0, s36
	s_mul_i32 s35, s8, s35
	s_mul_hi_u32 s36, s8, s34
	s_add_i32 s35, s36, s35
	s_mul_i32 s36, s9, s34
	s_add_i32 s38, s35, s36
	s_sub_i32 s36, s31, s38
	s_mul_i32 s34, s8, s34
	s_sub_u32 s30, s30, s34
	s_cselect_b64 s[34:35], -1, 0
	s_cmp_lg_u64 s[34:35], 0
	s_subb_u32 s39, s36, s9
	s_sub_u32 s40, s30, s8
	s_cselect_b64 s[36:37], -1, 0
	s_cmp_lg_u64 s[36:37], 0
	s_subb_u32 s41, s39, 0
	s_cmp_ge_u32 s41, s9
	s_cselect_b32 s42, -1, 0
	s_cmp_ge_u32 s40, s8
	s_cselect_b32 s43, -1, 0
	s_cmp_eq_u32 s41, s9
	s_cselect_b32 s42, s43, s42
	s_cmp_lg_u64 s[36:37], 0
	s_subb_u32 s39, s39, s9
	s_sub_u32 s43, s40, s8
	s_cselect_b64 s[36:37], -1, 0
	s_cmp_lg_u64 s[36:37], 0
	s_subb_u32 s36, s39, 0
	s_cmp_lg_u32 s42, 0
	s_cselect_b32 s37, s43, s40
	s_cselect_b32 s36, s36, s41
	s_cmp_lg_u64 s[34:35], 0
	s_subb_u32 s31, s31, s38
	s_cmp_ge_u32 s31, s9
	s_cselect_b32 s34, -1, 0
	s_cmp_ge_u32 s30, s8
	s_cselect_b32 s8, -1, 0
	s_cmp_eq_u32 s31, s9
	s_cselect_b32 s8, s8, s34
	s_cmp_lg_u32 s8, 0
	s_cselect_b32 s9, s36, s31
	s_cselect_b32 s8, s37, s30
	s_xor_b64 s[8:9], s[8:9], s[26:27]
	s_sub_u32 s8, s8, s26
	s_subb_u32 s9, s9, s26
	s_cbranch_execnz .LBB30_108
.LBB30_107:                             ;   in Loop: Header=BB30_32 Depth=1
	v_cvt_f32_u32_e32 v3, s94
	s_sub_i32 s8, 0, s94
	v_rcp_iflag_f32_e32 v3, v3
	s_nop 0
	v_mul_f32_e32 v3, 0x4f7ffffe, v3
	v_cvt_u32_f32_e32 v3, v3
	s_nop 0
	v_readfirstlane_b32 s9, v3
	s_mul_i32 s8, s8, s9
	s_mul_hi_u32 s8, s9, s8
	s_add_i32 s9, s9, s8
	s_mul_hi_u32 s8, s73, s9
	s_mul_i32 s8, s8, s94
	s_sub_i32 s8, s73, s8
	s_sub_i32 s9, s8, s94
	s_cmp_ge_u32 s8, s94
	s_cselect_b32 s8, s9, s8
	s_sub_i32 s9, s8, s94
	s_cmp_ge_u32 s8, s94
	s_cselect_b32 s96, s9, s8
	s_mov_b64 s[8:9], s[96:97]
.LBB30_108:                             ;   in Loop: Header=BB30_32 Depth=1
	s_sub_u32 s34, s73, s8
	s_subb_u32 s35, s81, s9
	v_cmp_gt_i64_e32 vcc, s[34:35], v[0:1]
	s_mov_b64 s[26:27], 0
	s_mov_b64 s[8:9], 0
                                        ; implicit-def: $vgpr6_vgpr7
	s_and_saveexec_b64 s[30:31], vcc
	s_cbranch_execz .LBB30_117
; %bb.109:                              ;   in Loop: Header=BB30_32 Depth=1
	v_mov_b64_e32 v[12:13], v[16:17]
	v_mov_b64_e32 v[14:15], v[0:1]
                                        ; implicit-def: $sgpr36_sgpr37
	s_branch .LBB30_112
.LBB30_110:                             ;   in Loop: Header=BB30_112 Depth=2
	s_or_b64 exec, exec, s[38:39]
	s_waitcnt lgkmcnt(0)
	s_barrier
	ds_read_b128 v[4:7], v19 offset:3072
	s_mov_b64 s[38:39], -1
	s_mov_b64 s[40:41], -1
	s_waitcnt lgkmcnt(0)
	s_barrier
	v_cmp_ne_u64_e32 vcc, 0, v[4:5]
	s_cbranch_vccz .LBB30_115
.LBB30_111:                             ;   in Loop: Header=BB30_112 Depth=2
	s_and_b64 s[38:39], exec, s[38:39]
	s_or_b64 s[8:9], s[38:39], s[8:9]
	s_andn2_b64 s[36:37], s[36:37], exec
	s_and_b64 s[38:39], s[40:41], exec
	s_or_b64 s[36:37], s[36:37], s[38:39]
	s_andn2_b64 exec, exec, s[8:9]
	s_cbranch_execz .LBB30_116
.LBB30_112:                             ;   Parent Loop BB30_32 Depth=1
                                        ; =>  This Inner Loop Header: Depth=2
	v_cmp_gt_i64_e32 vcc, s[56:57], v[14:15]
	s_and_saveexec_b64 s[38:39], vcc
	s_cbranch_execz .LBB30_110
; %bb.113:                              ;   in Loop: Header=BB30_112 Depth=2
	global_load_dwordx2 v[4:5], v[12:13], off
	s_waitcnt vmcnt(0)
	v_xor_b32_e32 v3, 0x80000000, v5
	v_and_b32_e32 v7, v3, v39
	v_and_b32_e32 v6, v4, v38
	v_cmp_eq_u64_e32 vcc, v[6:7], v[30:31]
	s_and_b64 exec, exec, vcc
	s_cbranch_execz .LBB30_110
; %bb.114:                              ;   in Loop: Header=BB30_112 Depth=2
	v_mov_b32_e32 v3, v19
	ds_write_b128 v19, v[2:5] offset:3072
	s_branch .LBB30_110
.LBB30_115:                             ;   in Loop: Header=BB30_112 Depth=2
	v_lshl_add_u64 v[14:15], v[14:15], 0, s[94:95]
	v_cmp_le_i64_e32 vcc, s[34:35], v[14:15]
	v_lshl_add_u64 v[12:13], v[12:13], 0, s[78:79]
	s_mov_b64 s[40:41], 0
	s_orn2_b64 s[38:39], vcc, exec
	s_branch .LBB30_111
.LBB30_116:                             ;   in Loop: Header=BB30_32 Depth=1
	s_or_b64 exec, exec, s[8:9]
	s_and_b64 s[8:9], s[36:37], exec
.LBB30_117:                             ;   in Loop: Header=BB30_32 Depth=1
	s_or_b64 exec, exec, s[30:31]
.LBB30_118:                             ;   in Loop: Header=BB30_32 Depth=1
	s_and_b64 vcc, exec, s[26:27]
	s_cbranch_vccz .LBB30_132
; %bb.119:                              ;   in Loop: Header=BB30_32 Depth=1
	v_readlane_b32 s0, v68, 46
	s_add_u32 s30, s20, s0
	v_readlane_b32 s0, v68, 47
	s_addc_u32 s1, s21, s0
	s_mov_b32 s0, s97
	s_cmp_lg_u64 s[0:1], 0
	s_cbranch_scc0 .LBB30_160
; %bb.120:                              ;   in Loop: Header=BB30_32 Depth=1
	s_add_u32 s6, s94, 0
	s_addc_u32 s7, 0, 0
	s_xor_b64 s[6:7], s[6:7], 0
	v_cvt_f32_u32_e32 v3, s6
	v_cvt_f32_u32_e32 v4, s7
	s_sub_u32 s0, 0, s6
	s_subb_u32 s31, 0, s7
	v_fmac_f32_e32 v3, 0x4f800000, v4
	v_rcp_f32_e32 v3, v3
	s_nop 0
	v_mul_f32_e32 v3, 0x5f7ffffc, v3
	v_mul_f32_e32 v4, 0x2f800000, v3
	v_trunc_f32_e32 v4, v4
	v_fmac_f32_e32 v3, 0xcf800000, v4
	v_cvt_u32_f32_e32 v4, v4
	v_cvt_u32_f32_e32 v3, v3
	v_readfirstlane_b32 s34, v4
	v_readfirstlane_b32 s26, v3
	s_mul_i32 s27, s0, s34
	s_mul_hi_u32 s36, s0, s26
	s_mul_i32 s35, s31, s26
	s_add_i32 s27, s36, s27
	s_mul_i32 s37, s0, s26
	s_add_i32 s27, s27, s35
	s_mul_i32 s36, s26, s27
	s_mul_hi_u32 s38, s26, s37
	s_mul_hi_u32 s35, s26, s27
	s_add_u32 s36, s38, s36
	s_addc_u32 s35, 0, s35
	s_mul_hi_u32 s39, s34, s37
	s_mul_i32 s37, s34, s37
	s_add_u32 s36, s36, s37
	s_mul_hi_u32 s38, s34, s27
	s_addc_u32 s35, s35, s39
	s_addc_u32 s36, s38, 0
	s_mul_i32 s27, s34, s27
	s_add_u32 s27, s35, s27
	s_addc_u32 s35, 0, s36
	s_add_u32 s36, s26, s27
	s_cselect_b64 s[26:27], -1, 0
	s_cmp_lg_u64 s[26:27], 0
	s_addc_u32 s34, s34, s35
	s_mul_i32 s26, s0, s34
	s_mul_hi_u32 s27, s0, s36
	s_add_i32 s26, s27, s26
	s_mul_i32 s31, s31, s36
	s_add_i32 s26, s26, s31
	s_mul_i32 s0, s0, s36
	s_mul_hi_u32 s31, s34, s0
	s_mul_i32 s35, s34, s0
	s_mul_i32 s38, s36, s26
	s_mul_hi_u32 s0, s36, s0
	s_mul_hi_u32 s37, s36, s26
	s_add_u32 s0, s0, s38
	s_addc_u32 s37, 0, s37
	s_add_u32 s0, s0, s35
	s_mul_hi_u32 s27, s34, s26
	s_addc_u32 s0, s37, s31
	s_addc_u32 s27, s27, 0
	s_mul_i32 s26, s34, s26
	s_add_u32 s0, s0, s26
	s_addc_u32 s31, 0, s27
	s_add_u32 s0, s36, s0
	s_cselect_b64 s[26:27], -1, 0
	s_cmp_lg_u64 s[26:27], 0
	s_addc_u32 s31, s34, s31
	s_ashr_i32 s26, s1, 31
	s_add_u32 s34, s30, s26
	s_mov_b32 s27, s26
	s_addc_u32 s35, s1, s26
	s_xor_b64 s[34:35], s[34:35], s[26:27]
	s_mul_i32 s37, s34, s31
	s_mul_hi_u32 s38, s34, s0
	s_mul_hi_u32 s36, s34, s31
	s_add_u32 s37, s38, s37
	s_addc_u32 s36, 0, s36
	s_mul_hi_u32 s39, s35, s0
	s_mul_i32 s0, s35, s0
	s_add_u32 s0, s37, s0
	s_mul_hi_u32 s38, s35, s31
	s_addc_u32 s0, s36, s39
	s_addc_u32 s36, s38, 0
	s_mul_i32 s31, s35, s31
	s_add_u32 s0, s0, s31
	s_addc_u32 s31, 0, s36
	s_mul_i32 s31, s6, s31
	s_mul_hi_u32 s36, s6, s0
	s_add_i32 s31, s36, s31
	s_mul_i32 s36, s7, s0
	s_add_i32 s31, s31, s36
	s_sub_i32 s38, s35, s31
	s_mul_i32 s0, s6, s0
	s_sub_u32 s0, s34, s0
	s_cselect_b64 s[36:37], -1, 0
	s_cmp_lg_u64 s[36:37], 0
	s_subb_u32 s34, s38, s7
	s_sub_u32 s40, s0, s6
	s_cselect_b64 s[38:39], -1, 0
	s_cmp_lg_u64 s[38:39], 0
	s_subb_u32 s41, s34, 0
	s_cmp_ge_u32 s41, s7
	s_cselect_b32 s42, -1, 0
	s_cmp_ge_u32 s40, s6
	s_cselect_b32 s43, -1, 0
	s_cmp_eq_u32 s41, s7
	s_cselect_b32 s42, s43, s42
	s_cmp_lg_u64 s[38:39], 0
	s_subb_u32 s34, s34, s7
	s_sub_u32 s43, s40, s6
	s_cselect_b64 s[38:39], -1, 0
	s_cmp_lg_u64 s[38:39], 0
	s_subb_u32 s34, s34, 0
	s_cmp_lg_u32 s42, 0
	s_cselect_b32 s38, s43, s40
	s_cselect_b32 s34, s34, s41
	s_cmp_lg_u64 s[36:37], 0
	s_subb_u32 s31, s35, s31
	s_cmp_ge_u32 s31, s7
	s_cselect_b32 s35, -1, 0
	s_cmp_ge_u32 s0, s6
	s_cselect_b32 s6, -1, 0
	s_cmp_eq_u32 s31, s7
	s_cselect_b32 s6, s6, s35
	s_cmp_lg_u32 s6, 0
	s_cselect_b32 s7, s34, s31
	s_cselect_b32 s6, s38, s0
	s_xor_b64 s[6:7], s[6:7], s[26:27]
	s_sub_u32 s6, s6, s26
	s_subb_u32 s7, s7, s26
	s_cbranch_execnz .LBB30_122
.LBB30_121:                             ;   in Loop: Header=BB30_32 Depth=1
	v_cvt_f32_u32_e32 v3, s94
	s_sub_i32 s0, 0, s94
	v_rcp_iflag_f32_e32 v3, v3
	s_nop 0
	v_mul_f32_e32 v3, 0x4f7ffffe, v3
	v_cvt_u32_f32_e32 v3, v3
	s_nop 0
	v_readfirstlane_b32 s6, v3
	s_mul_i32 s0, s0, s6
	s_mul_hi_u32 s0, s6, s0
	s_add_i32 s6, s6, s0
	s_mul_hi_u32 s0, s30, s6
	s_mul_i32 s0, s0, s94
	s_sub_i32 s0, s30, s0
	s_sub_i32 s6, s0, s94
	s_cmp_ge_u32 s0, s94
	s_cselect_b32 s0, s6, s0
	s_sub_i32 s6, s0, s94
	s_cmp_ge_u32 s0, s94
	s_cselect_b32 s96, s6, s0
	s_mov_b64 s[6:7], s[96:97]
.LBB30_122:                             ;   in Loop: Header=BB30_32 Depth=1
	s_sub_u32 s6, s30, s6
	s_subb_u32 s7, s1, s7
	v_cmp_gt_i64_e32 vcc, s[6:7], v[0:1]
                                        ; implicit-def: $vgpr6_vgpr7
	s_and_saveexec_b64 s[0:1], vcc
	s_cbranch_execz .LBB30_131
; %bb.123:                              ;   in Loop: Header=BB30_32 Depth=1
	s_mov_b64 s[30:31], 0
	v_mov_b32_e32 v14, v49
	v_mov_b64_e32 v[12:13], v[0:1]
                                        ; implicit-def: $sgpr26_sgpr27
	s_branch .LBB30_126
.LBB30_124:                             ;   in Loop: Header=BB30_126 Depth=2
	s_or_b64 exec, exec, s[34:35]
	s_waitcnt lgkmcnt(0)
	s_barrier
	ds_read_b128 v[4:7], v19 offset:3072
	s_mov_b64 s[34:35], -1
	s_mov_b64 s[36:37], -1
	s_waitcnt lgkmcnt(0)
	s_barrier
	v_cmp_ne_u64_e32 vcc, 0, v[4:5]
	s_cbranch_vccz .LBB30_129
.LBB30_125:                             ;   in Loop: Header=BB30_126 Depth=2
	s_and_b64 s[34:35], exec, s[34:35]
	s_or_b64 s[30:31], s[34:35], s[30:31]
	s_andn2_b64 s[26:27], s[26:27], exec
	s_and_b64 s[34:35], s[36:37], exec
	s_or_b64 s[26:27], s[26:27], s[34:35]
	s_andn2_b64 exec, exec, s[30:31]
	s_cbranch_execz .LBB30_130
.LBB30_126:                             ;   Parent Loop BB30_32 Depth=1
                                        ; =>  This Inner Loop Header: Depth=2
	v_cmp_gt_u64_e32 vcc, s[20:21], v[12:13]
	s_and_saveexec_b64 s[34:35], vcc
	s_cbranch_execz .LBB30_124
; %bb.127:                              ;   in Loop: Header=BB30_126 Depth=2
	ds_read_b64 v[4:5], v14
	s_waitcnt lgkmcnt(0)
	v_xor_b32_e32 v3, 0x80000000, v5
	v_and_b32_e32 v7, v3, v39
	v_and_b32_e32 v6, v4, v38
	v_cmp_eq_u64_e32 vcc, v[6:7], v[30:31]
	s_and_b64 exec, exec, vcc
	s_cbranch_execz .LBB30_124
; %bb.128:                              ;   in Loop: Header=BB30_126 Depth=2
	v_mov_b32_e32 v3, v19
	ds_write_b128 v19, v[2:5] offset:3072
	s_branch .LBB30_124
.LBB30_129:                             ;   in Loop: Header=BB30_126 Depth=2
	v_lshl_add_u64 v[12:13], v[12:13], 0, s[94:95]
	v_cmp_le_i64_e32 vcc, s[6:7], v[12:13]
	v_add_u32_e32 v14, s90, v14
	s_mov_b64 s[36:37], 0
	s_orn2_b64 s[34:35], vcc, exec
	s_branch .LBB30_125
.LBB30_130:                             ;   in Loop: Header=BB30_32 Depth=1
	s_or_b64 exec, exec, s[30:31]
	s_andn2_b64 s[6:7], s[8:9], exec
	s_and_b64 s[8:9], s[26:27], exec
	s_or_b64 s[8:9], s[6:7], s[8:9]
.LBB30_131:                             ;   in Loop: Header=BB30_32 Depth=1
	s_or_b64 exec, exec, s[0:1]
	s_mov_b64 s[0:1], 0
	s_mov_b64 s[6:7], -1
.LBB30_132:                             ;   in Loop: Header=BB30_32 Depth=1
	s_orn2_b64 s[8:9], s[8:9], exec
.LBB30_133:                             ;   in Loop: Header=BB30_32 Depth=1
	s_or_b64 exec, exec, s[16:17]
	s_andn2_b64 s[16:17], s[28:29], exec
	s_and_b64 s[6:7], s[6:7], exec
	s_or_b64 s[28:29], s[16:17], s[6:7]
	s_andn2_b64 s[6:7], s[76:77], exec
	s_and_b64 s[0:1], s[0:1], exec
	s_andn2_b64 s[74:75], s[74:75], exec
	s_or_b64 s[76:77], s[6:7], s[0:1]
                                        ; implicit-def: $vgpr12_vgpr13
	s_and_saveexec_b64 s[16:17], s[8:9]
	s_cbranch_execz .LBB30_31
; %bb.134:                              ;   in Loop: Header=BB30_32 Depth=1
	s_xor_b64 s[2:3], s[18:19], -1
	v_mov_b32_e32 v18, 1
	s_mov_b64 s[6:7], 0
	v_mov_b64_e32 v[12:13], 1
	s_and_saveexec_b64 s[0:1], s[2:3]
	s_cbranch_execz .LBB30_143
; %bb.135:                              ;   in Loop: Header=BB30_32 Depth=1
	v_cmp_le_i64_e32 vcc, v[40:41], v[8:9]
	s_and_saveexec_b64 s[2:3], vcc
	s_xor_b64 s[2:3], exec, s[2:3]
	s_cbranch_execz .LBB30_140
; %bb.136:                              ;   in Loop: Header=BB30_32 Depth=1
	ds_read_b64 v[4:5], v19 offset:5120
	v_and_b32_e32 v31, s25, v31
	v_and_b32_e32 v30, s24, v30
	v_or_b32_e32 v39, s15, v39
	v_or_b32_e32 v38, s14, v38
	s_waitcnt lgkmcnt(0)
	v_cmp_ne_u64_e32 vcc, 0, v[4:5]
	s_cbranch_vccnz .LBB30_140
; %bb.137:                              ;   in Loop: Header=BB30_32 Depth=1
	s_mov_b64 s[6:7], exec
	v_readlane_b32 s8, v68, 32
	v_readlane_b32 s9, v68, 33
	s_and_b64 s[8:9], s[6:7], s[8:9]
	s_mov_b64 exec, s[8:9]
; %bb.138:                              ;   in Loop: Header=BB30_32 Depth=1
	ds_write_b64 v19, v[8:9] offset:5128
; %bb.139:                              ;   in Loop: Header=BB30_32 Depth=1
	s_or_b64 exec, exec, s[6:7]
	s_waitcnt lgkmcnt(0)
	s_barrier
.LBB30_140:                             ;   in Loop: Header=BB30_32 Depth=1
	s_or_saveexec_b64 s[2:3], s[2:3]
	s_mov_b64 s[6:7], 0
	v_mov_b32_e32 v18, 8
	s_xor_b64 exec, exec, s[2:3]
; %bb.141:                              ;   in Loop: Header=BB30_32 Depth=1
	v_sub_co_u32_e32 v40, vcc, v40, v8
	s_mov_b64 s[6:7], exec
	s_nop 0
	v_subb_co_u32_e32 v41, vcc, v41, v9, vcc
	v_mov_b32_e32 v18, 0
; %bb.142:                              ;   in Loop: Header=BB30_32 Depth=1
	s_or_b64 exec, exec, s[2:3]
	s_and_b64 s[6:7], s[6:7], exec
	v_mov_b64_e32 v[12:13], v[40:41]
.LBB30_143:                             ;   in Loop: Header=BB30_32 Depth=1
	s_or_b64 exec, exec, s[0:1]
	s_mov_b64 s[18:19], -1
	s_mov_b64 s[0:1], -1
                                        ; implicit-def: $sgpr2_sgpr3
                                        ; implicit-def: $sgpr26_sgpr27
	s_and_saveexec_b64 s[8:9], s[6:7]
	s_xor_b64 s[20:21], exec, s[8:9]
	s_cbranch_execz .LBB30_285
; %bb.144:                              ;   in Loop: Header=BB30_32 Depth=1
	v_cmp_eq_u64_e32 vcc, 1, v[10:11]
	v_cmp_eq_u64_e64 s[2:3], 1, v[12:13]
	s_and_b64 s[34:35], vcc, s[2:3]
                                        ; implicit-def: $sgpr26_sgpr27
                                        ; implicit-def: $sgpr2_sgpr3
	s_and_saveexec_b64 s[30:31], s[34:35]
	s_cbranch_execz .LBB30_178
; %bb.145:                              ;   in Loop: Header=BB30_32 Depth=1
	ds_read_b64 v[4:5], v19 offset:5120
	s_waitcnt lgkmcnt(0)
	s_barrier
	v_readfirstlane_b32 s36, v4
	v_readfirstlane_b32 s37, v5
	s_mov_b64 s[0:1], exec
	v_readlane_b32 s2, v68, 36
	v_readlane_b32 s3, v68, 37
	s_and_b64 s[2:3], s[0:1], s[2:3]
	s_mov_b64 exec, s[2:3]
; %bb.146:                              ;   in Loop: Header=BB30_32 Depth=1
	ds_write_b64 v50, v[58:59]
; %bb.147:                              ;   in Loop: Header=BB30_32 Depth=1
	s_or_b64 exec, exec, s[0:1]
	s_lshl_b64 s[0:1], 1, s91
	v_and_b32_e32 v3, s25, v31
	v_and_b32_e32 v4, s24, v30
	v_or_b32_e32 v31, s1, v3
	v_or_b32_e32 v30, s0, v4
	v_cmp_gt_i64_e64 s[0:1], s[36:37], 0
	v_or_b32_e32 v39, s15, v39
	v_or_b32_e32 v38, s14, v38
	s_mov_b64 s[2:3], -1
	s_mov_b64 s[26:27], 0
	s_and_b64 vcc, exec, s[0:1]
	s_mov_b64 s[0:1], 0
	s_mov_b64 s[6:7], -1
	s_waitcnt lgkmcnt(0)
	s_barrier
                                        ; implicit-def: $vgpr6_vgpr7
	s_cbranch_vccnz .LBB30_163
; %bb.148:                              ;   in Loop: Header=BB30_32 Depth=1
	s_mov_b32 s80, s97
	s_mov_b32 s48, s44
	s_cmp_lg_u64 s[80:81], 0
	s_cbranch_scc0 .LBB30_205
; %bb.149:                              ;   in Loop: Header=BB30_32 Depth=1
	s_add_u32 s0, s94, 0
	s_addc_u32 s1, 0, 0
	s_xor_b64 s[0:1], s[0:1], 0
	v_cvt_f32_u32_e32 v3, s0
	v_cvt_f32_u32_e32 v4, s1
	s_sub_u32 s8, 0, s0
	s_subb_u32 s9, 0, s1
	v_fmac_f32_e32 v3, 0x4f800000, v4
	v_rcp_f32_e32 v3, v3
	s_nop 0
	v_mul_f32_e32 v3, 0x5f7ffffc, v3
	v_mul_f32_e32 v4, 0x2f800000, v3
	v_trunc_f32_e32 v4, v4
	v_fmac_f32_e32 v3, 0xcf800000, v4
	v_cvt_u32_f32_e32 v4, v4
	v_cvt_u32_f32_e32 v3, v3
	v_readfirstlane_b32 s38, v4
	v_readfirstlane_b32 s6, v3
	s_mul_i32 s7, s8, s38
	s_mul_hi_u32 s40, s8, s6
	s_mul_i32 s39, s9, s6
	s_add_i32 s7, s40, s7
	s_mul_i32 s41, s8, s6
	s_add_i32 s7, s7, s39
	s_mul_i32 s40, s6, s7
	s_mul_hi_u32 s42, s6, s41
	s_mul_hi_u32 s39, s6, s7
	s_add_u32 s40, s42, s40
	s_addc_u32 s39, 0, s39
	s_mul_hi_u32 s43, s38, s41
	s_mul_i32 s41, s38, s41
	s_add_u32 s40, s40, s41
	s_mul_hi_u32 s42, s38, s7
	s_addc_u32 s39, s39, s43
	s_addc_u32 s40, s42, 0
	s_mul_i32 s7, s38, s7
	s_add_u32 s7, s39, s7
	s_addc_u32 s39, 0, s40
	s_add_u32 s40, s6, s7
	s_cselect_b64 s[6:7], -1, 0
	s_cmp_lg_u64 s[6:7], 0
	s_addc_u32 s38, s38, s39
	s_mul_i32 s6, s8, s38
	s_mul_hi_u32 s7, s8, s40
	s_add_i32 s6, s7, s6
	s_mul_i32 s9, s9, s40
	s_add_i32 s6, s6, s9
	s_mul_i32 s8, s8, s40
	s_mul_hi_u32 s9, s38, s8
	s_mul_i32 s39, s38, s8
	s_mul_i32 s42, s40, s6
	s_mul_hi_u32 s8, s40, s8
	s_mul_hi_u32 s41, s40, s6
	s_add_u32 s8, s8, s42
	s_addc_u32 s41, 0, s41
	s_add_u32 s8, s8, s39
	s_mul_hi_u32 s7, s38, s6
	s_addc_u32 s8, s41, s9
	s_addc_u32 s7, s7, 0
	s_mul_i32 s6, s38, s6
	s_add_u32 s6, s8, s6
	s_addc_u32 s8, 0, s7
	s_add_u32 s39, s40, s6
	s_cselect_b64 s[6:7], -1, 0
	s_cmp_lg_u64 s[6:7], 0
	s_addc_u32 s38, s38, s8
	s_ashr_i32 s6, s81, 31
	s_add_u32 s8, s73, s6
	s_mov_b32 s7, s6
	s_addc_u32 s9, s81, s6
	s_xor_b64 s[8:9], s[8:9], s[6:7]
	s_mul_i32 s41, s8, s38
	s_mul_hi_u32 s42, s8, s39
	s_mul_hi_u32 s40, s8, s38
	s_add_u32 s41, s42, s41
	s_addc_u32 s40, 0, s40
	s_mul_hi_u32 s43, s9, s39
	s_mul_i32 s39, s9, s39
	s_add_u32 s39, s41, s39
	s_mul_hi_u32 s42, s9, s38
	s_addc_u32 s39, s40, s43
	s_addc_u32 s40, s42, 0
	s_mul_i32 s38, s9, s38
	s_add_u32 s38, s39, s38
	s_addc_u32 s39, 0, s40
	s_mul_i32 s39, s0, s39
	s_mul_hi_u32 s40, s0, s38
	s_add_i32 s39, s40, s39
	s_mul_i32 s40, s1, s38
	s_add_i32 s42, s39, s40
	s_sub_i32 s40, s9, s42
	s_mul_i32 s38, s0, s38
	s_sub_u32 s8, s8, s38
	s_cselect_b64 s[38:39], -1, 0
	s_cmp_lg_u64 s[38:39], 0
	s_subb_u32 s43, s40, s1
	s_sub_u32 s44, s8, s0
	s_cselect_b64 s[40:41], -1, 0
	s_cmp_lg_u64 s[40:41], 0
	s_subb_u32 s45, s43, 0
	s_cmp_ge_u32 s45, s1
	s_cselect_b32 s46, -1, 0
	s_cmp_ge_u32 s44, s0
	s_cselect_b32 s47, -1, 0
	s_cmp_eq_u32 s45, s1
	s_cselect_b32 s46, s47, s46
	s_cmp_lg_u64 s[40:41], 0
	s_subb_u32 s43, s43, s1
	s_sub_u32 s47, s44, s0
	s_cselect_b64 s[40:41], -1, 0
	s_cmp_lg_u64 s[40:41], 0
	s_subb_u32 s40, s43, 0
	s_cmp_lg_u32 s46, 0
	s_cselect_b32 s41, s47, s44
	s_cselect_b32 s40, s40, s45
	s_cmp_lg_u64 s[38:39], 0
	s_subb_u32 s9, s9, s42
	s_cmp_ge_u32 s9, s1
	s_cselect_b32 s38, -1, 0
	s_cmp_ge_u32 s8, s0
	s_cselect_b32 s0, -1, 0
	s_cmp_eq_u32 s9, s1
	s_cselect_b32 s0, s0, s38
	s_cmp_lg_u32 s0, 0
	s_cselect_b32 s1, s40, s9
	s_cselect_b32 s0, s41, s8
	s_xor_b64 s[0:1], s[0:1], s[6:7]
	s_sub_u32 s0, s0, s6
	s_subb_u32 s1, s1, s6
	s_cbranch_execnz .LBB30_151
.LBB30_150:                             ;   in Loop: Header=BB30_32 Depth=1
	v_cvt_f32_u32_e32 v3, s94
	s_sub_i32 s0, 0, s94
	v_rcp_iflag_f32_e32 v3, v3
	s_nop 0
	v_mul_f32_e32 v3, 0x4f7ffffe, v3
	v_cvt_u32_f32_e32 v3, v3
	s_nop 0
	v_readfirstlane_b32 s1, v3
	s_mul_i32 s0, s0, s1
	s_mul_hi_u32 s0, s1, s0
	s_add_i32 s1, s1, s0
	s_mul_hi_u32 s0, s73, s1
	s_mul_i32 s0, s0, s94
	s_sub_i32 s0, s73, s0
	s_sub_i32 s1, s0, s94
	s_cmp_ge_u32 s0, s94
	s_cselect_b32 s0, s1, s0
	s_sub_i32 s1, s0, s94
	s_cmp_ge_u32 s0, s94
	s_cselect_b32 s96, s1, s0
	s_mov_b64 s[0:1], s[96:97]
.LBB30_151:                             ;   in Loop: Header=BB30_32 Depth=1
	s_sub_u32 s38, s73, s0
	s_subb_u32 s39, s81, s1
	v_cmp_gt_i64_e32 vcc, s[38:39], v[0:1]
	s_mov_b64 s[6:7], 0
	s_mov_b64 s[0:1], 0
                                        ; implicit-def: $vgpr6_vgpr7
	s_and_saveexec_b64 s[8:9], vcc
	s_cbranch_execz .LBB30_162
; %bb.152:                              ;   in Loop: Header=BB30_32 Depth=1
	v_mov_b64_e32 v[8:9], v[16:17]
	v_mov_b64_e32 v[14:15], v[0:1]
                                        ; implicit-def: $sgpr40_sgpr41
	s_branch .LBB30_155
.LBB30_153:                             ;   in Loop: Header=BB30_155 Depth=2
	s_or_b64 exec, exec, s[42:43]
	s_waitcnt lgkmcnt(0)
	s_barrier
	ds_read_b128 v[4:7], v19 offset:3072
	s_mov_b64 s[42:43], -1
	s_mov_b64 s[44:45], -1
	s_waitcnt lgkmcnt(0)
	s_barrier
	v_cmp_ne_u64_e32 vcc, 0, v[4:5]
	s_cbranch_vccz .LBB30_158
.LBB30_154:                             ;   in Loop: Header=BB30_155 Depth=2
	s_and_b64 s[42:43], exec, s[42:43]
	s_or_b64 s[0:1], s[42:43], s[0:1]
	s_andn2_b64 s[40:41], s[40:41], exec
	s_and_b64 s[42:43], s[44:45], exec
	s_or_b64 s[40:41], s[40:41], s[42:43]
	s_andn2_b64 exec, exec, s[0:1]
	s_cbranch_execz .LBB30_161
.LBB30_155:                             ;   Parent Loop BB30_32 Depth=1
                                        ; =>  This Inner Loop Header: Depth=2
	v_cmp_gt_i64_e32 vcc, s[56:57], v[14:15]
	s_and_saveexec_b64 s[42:43], vcc
	s_cbranch_execz .LBB30_153
; %bb.156:                              ;   in Loop: Header=BB30_155 Depth=2
	global_load_dwordx2 v[4:5], v[8:9], off
	s_waitcnt vmcnt(0)
	v_xor_b32_e32 v3, 0x80000000, v5
	v_and_b32_e32 v7, v3, v39
	v_and_b32_e32 v6, v4, v38
	v_cmp_eq_u64_e32 vcc, v[6:7], v[30:31]
	s_and_b64 exec, exec, vcc
	s_cbranch_execz .LBB30_153
; %bb.157:                              ;   in Loop: Header=BB30_155 Depth=2
	v_mov_b32_e32 v3, v19
	ds_write_b128 v19, v[2:5] offset:3072
	s_branch .LBB30_153
.LBB30_158:                             ;   in Loop: Header=BB30_155 Depth=2
	v_lshl_add_u64 v[14:15], v[14:15], 0, s[94:95]
	v_cmp_le_i64_e32 vcc, s[38:39], v[14:15]
	v_lshl_add_u64 v[8:9], v[8:9], 0, s[78:79]
	s_mov_b64 s[44:45], 0
	s_orn2_b64 s[42:43], vcc, exec
	s_branch .LBB30_154
.LBB30_159:                             ;   in Loop: Header=BB30_32 Depth=1
                                        ; implicit-def: $sgpr8_sgpr9
	s_andn2_b64 vcc, exec, s[26:27]
	s_cbranch_vccz .LBB30_107
	s_branch .LBB30_108
.LBB30_160:                             ;   in Loop: Header=BB30_32 Depth=1
                                        ; implicit-def: $sgpr6_sgpr7
	s_branch .LBB30_121
.LBB30_161:                             ;   in Loop: Header=BB30_32 Depth=1
	s_or_b64 exec, exec, s[0:1]
	s_and_b64 s[0:1], s[40:41], exec
.LBB30_162:                             ;   in Loop: Header=BB30_32 Depth=1
	s_or_b64 exec, exec, s[8:9]
	s_mov_b32 s44, s48
.LBB30_163:                             ;   in Loop: Header=BB30_32 Depth=1
	s_and_b64 vcc, exec, s[6:7]
	s_cbranch_vccz .LBB30_177
; %bb.164:                              ;   in Loop: Header=BB30_32 Depth=1
	v_readlane_b32 s2, v68, 46
	s_add_u32 s26, s36, s2
	v_readlane_b32 s2, v68, 47
	s_addc_u32 s3, s37, s2
	s_mov_b32 s2, s97
	s_cmp_lg_u64 s[2:3], 0
	s_cbranch_scc0 .LBB30_206
; %bb.165:                              ;   in Loop: Header=BB30_32 Depth=1
	s_add_u32 s6, s94, 0
	s_addc_u32 s7, 0, 0
	s_xor_b64 s[6:7], s[6:7], 0
	v_cvt_f32_u32_e32 v3, s6
	v_cvt_f32_u32_e32 v4, s7
	s_sub_u32 s2, 0, s6
	s_subb_u32 s27, 0, s7
	s_mov_b32 s48, s44
	v_fmac_f32_e32 v3, 0x4f800000, v4
	v_rcp_f32_e32 v3, v3
	s_nop 0
	v_mul_f32_e32 v3, 0x5f7ffffc, v3
	v_mul_f32_e32 v4, 0x2f800000, v3
	v_trunc_f32_e32 v4, v4
	v_fmac_f32_e32 v3, 0xcf800000, v4
	v_cvt_u32_f32_e32 v4, v4
	v_cvt_u32_f32_e32 v3, v3
	v_readfirstlane_b32 s38, v4
	v_readfirstlane_b32 s8, v3
	s_mul_i32 s9, s2, s38
	s_mul_hi_u32 s40, s2, s8
	s_mul_i32 s39, s27, s8
	s_add_i32 s9, s40, s9
	s_mul_i32 s41, s2, s8
	s_add_i32 s9, s9, s39
	s_mul_i32 s40, s8, s9
	s_mul_hi_u32 s42, s8, s41
	s_mul_hi_u32 s39, s8, s9
	s_add_u32 s40, s42, s40
	s_addc_u32 s39, 0, s39
	s_mul_hi_u32 s43, s38, s41
	s_mul_i32 s41, s38, s41
	s_add_u32 s40, s40, s41
	s_mul_hi_u32 s42, s38, s9
	s_addc_u32 s39, s39, s43
	s_addc_u32 s40, s42, 0
	s_mul_i32 s9, s38, s9
	s_add_u32 s9, s39, s9
	s_addc_u32 s39, 0, s40
	s_add_u32 s40, s8, s9
	s_cselect_b64 s[8:9], -1, 0
	s_cmp_lg_u64 s[8:9], 0
	s_addc_u32 s38, s38, s39
	s_mul_i32 s8, s2, s38
	s_mul_hi_u32 s9, s2, s40
	s_add_i32 s8, s9, s8
	s_mul_i32 s27, s27, s40
	s_add_i32 s8, s8, s27
	s_mul_i32 s2, s2, s40
	s_mul_hi_u32 s27, s38, s2
	s_mul_i32 s39, s38, s2
	s_mul_i32 s42, s40, s8
	s_mul_hi_u32 s2, s40, s2
	s_mul_hi_u32 s41, s40, s8
	s_add_u32 s2, s2, s42
	s_addc_u32 s41, 0, s41
	s_add_u32 s2, s2, s39
	s_mul_hi_u32 s9, s38, s8
	s_addc_u32 s2, s41, s27
	s_addc_u32 s9, s9, 0
	s_mul_i32 s8, s38, s8
	s_add_u32 s2, s2, s8
	s_addc_u32 s27, 0, s9
	s_add_u32 s2, s40, s2
	s_cselect_b64 s[8:9], -1, 0
	s_cmp_lg_u64 s[8:9], 0
	s_addc_u32 s27, s38, s27
	s_ashr_i32 s8, s3, 31
	s_add_u32 s38, s26, s8
	s_mov_b32 s9, s8
	s_addc_u32 s39, s3, s8
	s_xor_b64 s[38:39], s[38:39], s[8:9]
	s_mul_i32 s41, s38, s27
	s_mul_hi_u32 s42, s38, s2
	s_mul_hi_u32 s40, s38, s27
	s_add_u32 s41, s42, s41
	s_addc_u32 s40, 0, s40
	s_mul_hi_u32 s43, s39, s2
	s_mul_i32 s2, s39, s2
	s_add_u32 s2, s41, s2
	s_mul_hi_u32 s42, s39, s27
	s_addc_u32 s2, s40, s43
	s_addc_u32 s40, s42, 0
	s_mul_i32 s27, s39, s27
	s_add_u32 s2, s2, s27
	s_addc_u32 s27, 0, s40
	s_mul_i32 s27, s6, s27
	s_mul_hi_u32 s40, s6, s2
	s_add_i32 s27, s40, s27
	s_mul_i32 s40, s7, s2
	s_add_i32 s27, s27, s40
	s_sub_i32 s42, s39, s27
	s_mul_i32 s2, s6, s2
	s_sub_u32 s2, s38, s2
	s_cselect_b64 s[40:41], -1, 0
	s_cmp_lg_u64 s[40:41], 0
	s_subb_u32 s38, s42, s7
	s_sub_u32 s44, s2, s6
	s_cselect_b64 s[42:43], -1, 0
	s_cmp_lg_u64 s[42:43], 0
	s_subb_u32 s45, s38, 0
	s_cmp_ge_u32 s45, s7
	s_cselect_b32 s46, -1, 0
	s_cmp_ge_u32 s44, s6
	s_cselect_b32 s47, -1, 0
	s_cmp_eq_u32 s45, s7
	s_cselect_b32 s46, s47, s46
	s_cmp_lg_u64 s[42:43], 0
	s_subb_u32 s38, s38, s7
	s_sub_u32 s47, s44, s6
	s_cselect_b64 s[42:43], -1, 0
	s_cmp_lg_u64 s[42:43], 0
	s_subb_u32 s38, s38, 0
	s_cmp_lg_u32 s46, 0
	s_cselect_b32 s42, s47, s44
	s_cselect_b32 s38, s38, s45
	s_cmp_lg_u64 s[40:41], 0
	s_subb_u32 s27, s39, s27
	s_cmp_ge_u32 s27, s7
	s_cselect_b32 s39, -1, 0
	s_cmp_ge_u32 s2, s6
	s_cselect_b32 s6, -1, 0
	s_cmp_eq_u32 s27, s7
	s_cselect_b32 s6, s6, s39
	s_cmp_lg_u32 s6, 0
	s_cselect_b32 s7, s38, s27
	s_cselect_b32 s6, s42, s2
	s_xor_b64 s[6:7], s[6:7], s[8:9]
	s_sub_u32 s6, s6, s8
	s_mov_b32 s44, s48
	s_subb_u32 s7, s7, s8
	s_cbranch_execnz .LBB30_167
.LBB30_166:                             ;   in Loop: Header=BB30_32 Depth=1
	v_cvt_f32_u32_e32 v3, s94
	s_sub_i32 s2, 0, s94
	v_rcp_iflag_f32_e32 v3, v3
	s_nop 0
	v_mul_f32_e32 v3, 0x4f7ffffe, v3
	v_cvt_u32_f32_e32 v3, v3
	s_nop 0
	v_readfirstlane_b32 s6, v3
	s_mul_i32 s2, s2, s6
	s_mul_hi_u32 s2, s6, s2
	s_add_i32 s6, s6, s2
	s_mul_hi_u32 s2, s26, s6
	s_mul_i32 s2, s2, s94
	s_sub_i32 s2, s26, s2
	s_sub_i32 s6, s2, s94
	s_cmp_ge_u32 s2, s94
	s_cselect_b32 s2, s6, s2
	s_sub_i32 s6, s2, s94
	s_cmp_ge_u32 s2, s94
	s_cselect_b32 s96, s6, s2
	s_mov_b64 s[6:7], s[96:97]
.LBB30_167:                             ;   in Loop: Header=BB30_32 Depth=1
	s_sub_u32 s6, s26, s6
	s_subb_u32 s7, s3, s7
	v_cmp_gt_i64_e32 vcc, s[6:7], v[0:1]
                                        ; implicit-def: $vgpr6_vgpr7
	s_and_saveexec_b64 s[2:3], vcc
	s_cbranch_execz .LBB30_176
; %bb.168:                              ;   in Loop: Header=BB30_32 Depth=1
	s_mov_b64 s[8:9], 0
	v_mov_b32_e32 v14, v49
	v_mov_b64_e32 v[8:9], v[0:1]
                                        ; implicit-def: $sgpr26_sgpr27
	s_branch .LBB30_171
.LBB30_169:                             ;   in Loop: Header=BB30_171 Depth=2
	s_or_b64 exec, exec, s[38:39]
	s_waitcnt lgkmcnt(0)
	s_barrier
	ds_read_b128 v[4:7], v19 offset:3072
	s_mov_b64 s[38:39], -1
	s_mov_b64 s[40:41], -1
	s_waitcnt lgkmcnt(0)
	s_barrier
	v_cmp_eq_u64_e32 vcc, 0, v[4:5]
	s_cbranch_vccnz .LBB30_174
.LBB30_170:                             ;   in Loop: Header=BB30_171 Depth=2
	s_and_b64 s[38:39], exec, s[38:39]
	s_or_b64 s[8:9], s[38:39], s[8:9]
	s_andn2_b64 s[26:27], s[26:27], exec
	s_and_b64 s[38:39], s[40:41], exec
	s_or_b64 s[26:27], s[26:27], s[38:39]
	s_andn2_b64 exec, exec, s[8:9]
	s_cbranch_execz .LBB30_175
.LBB30_171:                             ;   Parent Loop BB30_32 Depth=1
                                        ; =>  This Inner Loop Header: Depth=2
	v_cmp_gt_u64_e32 vcc, s[36:37], v[8:9]
	s_and_saveexec_b64 s[38:39], vcc
	s_cbranch_execz .LBB30_169
; %bb.172:                              ;   in Loop: Header=BB30_171 Depth=2
	ds_read_b64 v[4:5], v14
	s_waitcnt lgkmcnt(0)
	v_xor_b32_e32 v3, 0x80000000, v5
	v_and_b32_e32 v7, v3, v39
	v_and_b32_e32 v6, v4, v38
	v_cmp_eq_u64_e32 vcc, v[6:7], v[30:31]
	s_and_b64 exec, exec, vcc
	s_cbranch_execz .LBB30_169
; %bb.173:                              ;   in Loop: Header=BB30_171 Depth=2
	v_mov_b32_e32 v3, v19
	ds_write_b128 v19, v[2:5] offset:3072
	s_branch .LBB30_169
.LBB30_174:                             ;   in Loop: Header=BB30_171 Depth=2
	v_lshl_add_u64 v[8:9], v[8:9], 0, s[94:95]
	v_cmp_le_i64_e32 vcc, s[6:7], v[8:9]
	v_add_u32_e32 v14, s90, v14
	s_mov_b64 s[40:41], 0
	s_orn2_b64 s[38:39], vcc, exec
	s_branch .LBB30_170
.LBB30_175:                             ;   in Loop: Header=BB30_32 Depth=1
	s_or_b64 exec, exec, s[8:9]
	s_andn2_b64 s[0:1], s[0:1], exec
	s_and_b64 s[6:7], s[26:27], exec
	s_or_b64 s[0:1], s[0:1], s[6:7]
.LBB30_176:                             ;   in Loop: Header=BB30_32 Depth=1
	s_or_b64 exec, exec, s[2:3]
	s_mov_b64 s[2:3], 0
	s_mov_b64 s[26:27], -1
.LBB30_177:                             ;   in Loop: Header=BB30_32 Depth=1
	s_orn2_b64 s[0:1], s[0:1], exec
.LBB30_178:                             ;   in Loop: Header=BB30_32 Depth=1
	s_or_b64 exec, exec, s[30:31]
	s_mov_b64 s[6:7], 0
	s_and_saveexec_b64 s[30:31], s[0:1]
	s_cbranch_execz .LBB30_284
; %bb.179:                              ;   in Loop: Header=BB30_32 Depth=1
	s_xor_b64 s[8:9], s[34:35], -1
	v_mov_b32_e32 v18, 1
	v_mov_b64_e32 v[8:9], 1
	s_and_saveexec_b64 s[0:1], s[8:9]
	s_cbranch_execz .LBB30_189
; %bb.180:                              ;   in Loop: Header=BB30_32 Depth=1
	v_cmp_le_i64_e32 vcc, v[12:13], v[10:11]
	s_and_saveexec_b64 s[6:7], vcc
	s_xor_b64 s[6:7], exec, s[6:7]
	s_cbranch_execz .LBB30_186
; %bb.181:                              ;   in Loop: Header=BB30_32 Depth=1
	ds_read_b64 v[4:5], v19 offset:5120
	s_lshl_b64 s[8:9], 1, s91
	v_and_b32_e32 v3, s25, v31
	v_and_b32_e32 v8, s24, v30
	v_or_b32_e32 v31, s9, v3
	s_waitcnt lgkmcnt(0)
	v_cmp_ne_u64_e32 vcc, 0, v[4:5]
	v_or_b32_e32 v30, s8, v8
	v_or_b32_e32 v39, s15, v39
	;; [unrolled: 1-line block ×3, first 2 shown]
	s_cbranch_vccnz .LBB30_185
; %bb.182:                              ;   in Loop: Header=BB30_32 Depth=1
	s_mov_b64 s[8:9], exec
	v_readlane_b32 s34, v68, 32
	v_readlane_b32 s35, v68, 33
	s_and_b64 s[34:35], s[8:9], s[34:35]
	s_mov_b64 exec, s[34:35]
; %bb.183:                              ;   in Loop: Header=BB30_32 Depth=1
	ds_write_b64 v19, v[10:11] offset:5128
; %bb.184:                              ;   in Loop: Header=BB30_32 Depth=1
	s_or_b64 exec, exec, s[8:9]
	s_waitcnt lgkmcnt(0)
	s_barrier
.LBB30_185:                             ;   in Loop: Header=BB30_32 Depth=1
                                        ; implicit-def: $vgpr8_vgpr9_vgpr10_vgpr11
.LBB30_186:                             ;   in Loop: Header=BB30_32 Depth=1
	s_or_saveexec_b64 s[6:7], s[6:7]
	s_mov_b64 s[8:9], 0
	v_mov_b32_e32 v18, 8
	s_xor_b64 exec, exec, s[6:7]
; %bb.187:                              ;   in Loop: Header=BB30_32 Depth=1
	v_sub_co_u32_e32 v12, vcc, v12, v10
	s_mov_b64 s[8:9], exec
	s_nop 0
	v_subb_co_u32_e32 v13, vcc, v13, v11, vcc
	v_mov_b32_e32 v18, 0
; %bb.188:                              ;   in Loop: Header=BB30_32 Depth=1
	s_or_b64 exec, exec, s[6:7]
	s_and_b64 s[6:7], s[8:9], exec
	v_mov_b64_e32 v[8:9], v[12:13]
.LBB30_189:                             ;   in Loop: Header=BB30_32 Depth=1
	s_or_b64 exec, exec, s[0:1]
	s_mov_b64 s[0:1], -1
                                        ; implicit-def: $sgpr36_sgpr37
                                        ; implicit-def: $sgpr38_sgpr39
	s_and_saveexec_b64 s[34:35], s[6:7]
	s_cbranch_execz .LBB30_283
; %bb.190:                              ;   in Loop: Header=BB30_32 Depth=1
	s_cmp_eq_u64 s[22:23], 1
	s_cselect_b64 s[0:1], -1, 0
	v_cmp_eq_u64_e32 vcc, 1, v[8:9]
	s_and_b64 s[42:43], s[0:1], vcc
	s_mov_b64 s[0:1], -1
                                        ; implicit-def: $sgpr38_sgpr39
                                        ; implicit-def: $sgpr36_sgpr37
	s_and_saveexec_b64 s[40:41], s[42:43]
	s_cbranch_execz .LBB30_224
; %bb.191:                              ;   in Loop: Header=BB30_32 Depth=1
	ds_read_b64 v[4:5], v19 offset:5120
	s_mov_b32 s64, s44
	s_waitcnt lgkmcnt(0)
	s_barrier
	v_readfirstlane_b32 s44, v4
	v_readfirstlane_b32 s45, v5
	s_mov_b64 s[0:1], exec
	v_readlane_b32 s6, v68, 36
	v_readlane_b32 s7, v68, 37
	s_and_b64 s[6:7], s[0:1], s[6:7]
	s_mov_b64 exec, s[6:7]
; %bb.192:                              ;   in Loop: Header=BB30_32 Depth=1
	ds_write_b64 v50, v[58:59]
; %bb.193:                              ;   in Loop: Header=BB30_32 Depth=1
	s_or_b64 exec, exec, s[0:1]
	s_lshl_b64 s[0:1], 2, s91
	v_and_b32_e32 v3, s25, v31
	v_and_b32_e32 v4, s24, v30
	v_or_b32_e32 v31, s1, v3
	v_or_b32_e32 v30, s0, v4
	v_cmp_gt_i64_e64 s[0:1], s[44:45], 0
	v_or_b32_e32 v39, s15, v39
	v_or_b32_e32 v38, s14, v38
	s_mov_b64 s[36:37], -1
	s_mov_b64 s[38:39], 0
	s_and_b64 vcc, exec, s[0:1]
	s_mov_b64 s[0:1], 0
	s_mov_b64 s[6:7], -1
	s_waitcnt lgkmcnt(0)
	s_barrier
                                        ; implicit-def: $vgpr6_vgpr7
	s_cbranch_vccnz .LBB30_209
; %bb.194:                              ;   in Loop: Header=BB30_32 Depth=1
	s_mov_b32 s80, s97
	s_cmp_lg_u64 s[80:81], 0
	s_cbranch_scc0 .LBB30_250
; %bb.195:                              ;   in Loop: Header=BB30_32 Depth=1
	s_add_u32 s0, s94, 0
	s_addc_u32 s1, 0, 0
	s_xor_b64 s[0:1], s[0:1], 0
	v_cvt_f32_u32_e32 v3, s0
	v_cvt_f32_u32_e32 v4, s1
	s_sub_u32 s8, 0, s0
	s_subb_u32 s9, 0, s1
	s_mov_b32 s65, s81
	v_fmac_f32_e32 v3, 0x4f800000, v4
	v_rcp_f32_e32 v3, v3
	s_nop 0
	v_mul_f32_e32 v3, 0x5f7ffffc, v3
	v_mul_f32_e32 v4, 0x2f800000, v3
	v_trunc_f32_e32 v4, v4
	v_fmac_f32_e32 v3, 0xcf800000, v4
	v_cvt_u32_f32_e32 v4, v4
	v_cvt_u32_f32_e32 v3, v3
	v_readfirstlane_b32 s46, v4
	v_readfirstlane_b32 s6, v3
	s_mul_i32 s7, s8, s46
	s_mul_hi_u32 s48, s8, s6
	s_mul_i32 s47, s9, s6
	s_add_i32 s7, s48, s7
	s_mul_i32 s49, s8, s6
	s_add_i32 s7, s7, s47
	s_mul_i32 s48, s6, s7
	s_mul_hi_u32 s50, s6, s49
	s_mul_hi_u32 s47, s6, s7
	s_add_u32 s48, s50, s48
	s_addc_u32 s47, 0, s47
	s_mul_hi_u32 s51, s46, s49
	s_mul_i32 s49, s46, s49
	s_add_u32 s48, s48, s49
	s_mul_hi_u32 s50, s46, s7
	s_addc_u32 s47, s47, s51
	s_addc_u32 s48, s50, 0
	s_mul_i32 s7, s46, s7
	s_add_u32 s7, s47, s7
	s_addc_u32 s47, 0, s48
	s_add_u32 s48, s6, s7
	s_cselect_b64 s[6:7], -1, 0
	s_cmp_lg_u64 s[6:7], 0
	s_addc_u32 s46, s46, s47
	s_mul_i32 s6, s8, s46
	s_mul_hi_u32 s7, s8, s48
	s_add_i32 s6, s7, s6
	s_mul_i32 s9, s9, s48
	s_add_i32 s6, s6, s9
	s_mul_i32 s8, s8, s48
	s_mul_hi_u32 s9, s46, s8
	s_mul_i32 s47, s46, s8
	s_mul_i32 s50, s48, s6
	s_mul_hi_u32 s8, s48, s8
	s_mul_hi_u32 s49, s48, s6
	s_add_u32 s8, s8, s50
	s_addc_u32 s49, 0, s49
	s_add_u32 s8, s8, s47
	s_mul_hi_u32 s7, s46, s6
	s_addc_u32 s8, s49, s9
	s_addc_u32 s7, s7, 0
	s_mul_i32 s6, s46, s6
	s_add_u32 s6, s8, s6
	s_addc_u32 s8, 0, s7
	s_add_u32 s47, s48, s6
	s_cselect_b64 s[6:7], -1, 0
	s_cmp_lg_u64 s[6:7], 0
	s_addc_u32 s46, s46, s8
	s_ashr_i32 s6, s81, 31
	s_add_u32 s8, s73, s6
	s_mov_b32 s7, s6
	s_addc_u32 s9, s81, s6
	s_xor_b64 s[8:9], s[8:9], s[6:7]
	s_mul_i32 s49, s8, s46
	s_mul_hi_u32 s50, s8, s47
	s_mul_hi_u32 s48, s8, s46
	s_add_u32 s49, s50, s49
	s_addc_u32 s48, 0, s48
	s_mul_hi_u32 s51, s9, s47
	s_mul_i32 s47, s9, s47
	s_add_u32 s47, s49, s47
	s_mul_hi_u32 s50, s9, s46
	s_addc_u32 s47, s48, s51
	s_addc_u32 s48, s50, 0
	s_mul_i32 s46, s9, s46
	s_add_u32 s46, s47, s46
	s_addc_u32 s47, 0, s48
	s_mul_i32 s47, s0, s47
	s_mul_hi_u32 s48, s0, s46
	s_add_i32 s47, s48, s47
	s_mul_i32 s48, s1, s46
	s_add_i32 s50, s47, s48
	s_sub_i32 s48, s9, s50
	s_mul_i32 s46, s0, s46
	s_sub_u32 s8, s8, s46
	s_cselect_b64 s[46:47], -1, 0
	s_cmp_lg_u64 s[46:47], 0
	s_subb_u32 s51, s48, s1
	s_sub_u32 s52, s8, s0
	s_cselect_b64 s[48:49], -1, 0
	s_cmp_lg_u64 s[48:49], 0
	s_subb_u32 s53, s51, 0
	s_cmp_ge_u32 s53, s1
	s_cselect_b32 s54, -1, 0
	s_cmp_ge_u32 s52, s0
	s_cselect_b32 s55, -1, 0
	s_cmp_eq_u32 s53, s1
	s_cselect_b32 s54, s55, s54
	s_cmp_lg_u64 s[48:49], 0
	s_subb_u32 s51, s51, s1
	s_sub_u32 s55, s52, s0
	s_cselect_b64 s[48:49], -1, 0
	s_cmp_lg_u64 s[48:49], 0
	s_subb_u32 s48, s51, 0
	s_cmp_lg_u32 s54, 0
	s_cselect_b32 s49, s55, s52
	s_cselect_b32 s48, s48, s53
	s_cmp_lg_u64 s[46:47], 0
	s_subb_u32 s9, s9, s50
	s_cmp_ge_u32 s9, s1
	s_cselect_b32 s46, -1, 0
	s_cmp_ge_u32 s8, s0
	s_cselect_b32 s0, -1, 0
	s_cmp_eq_u32 s9, s1
	s_cselect_b32 s0, s0, s46
	s_cmp_lg_u32 s0, 0
	s_cselect_b32 s1, s48, s9
	s_cselect_b32 s0, s49, s8
	s_xor_b64 s[0:1], s[0:1], s[6:7]
	s_sub_u32 s0, s0, s6
	s_subb_u32 s1, s1, s6
	s_cbranch_execnz .LBB30_197
.LBB30_196:                             ;   in Loop: Header=BB30_32 Depth=1
	v_cvt_f32_u32_e32 v3, s94
	s_sub_i32 s0, 0, s94
	v_rcp_iflag_f32_e32 v3, v3
	s_nop 0
	v_mul_f32_e32 v3, 0x4f7ffffe, v3
	v_cvt_u32_f32_e32 v3, v3
	s_nop 0
	v_readfirstlane_b32 s1, v3
	s_mul_i32 s0, s0, s1
	s_mul_hi_u32 s0, s1, s0
	s_add_i32 s1, s1, s0
	s_mul_hi_u32 s0, s73, s1
	s_mul_i32 s0, s0, s94
	s_sub_i32 s0, s73, s0
	s_sub_i32 s1, s0, s94
	s_cmp_ge_u32 s0, s94
	s_cselect_b32 s0, s1, s0
	s_sub_i32 s1, s0, s94
	s_cmp_ge_u32 s0, s94
	s_cselect_b32 s96, s1, s0
	s_mov_b64 s[0:1], s[96:97]
.LBB30_197:                             ;   in Loop: Header=BB30_32 Depth=1
	s_sub_u32 s46, s73, s0
	s_subb_u32 s47, s65, s1
	s_mov_b32 s81, s65
	v_cmp_gt_i64_e32 vcc, s[46:47], v[0:1]
	s_mov_b64 s[6:7], 0
	s_mov_b64 s[0:1], 0
                                        ; implicit-def: $vgpr6_vgpr7
	s_and_saveexec_b64 s[8:9], vcc
	s_cbranch_execz .LBB30_208
; %bb.198:                              ;   in Loop: Header=BB30_32 Depth=1
	v_mov_b64_e32 v[10:11], v[16:17]
	v_mov_b64_e32 v[12:13], v[0:1]
                                        ; implicit-def: $sgpr48_sgpr49
	s_branch .LBB30_201
.LBB30_199:                             ;   in Loop: Header=BB30_201 Depth=2
	s_or_b64 exec, exec, s[50:51]
	s_waitcnt lgkmcnt(0)
	s_barrier
	ds_read_b128 v[4:7], v19 offset:3072
	s_mov_b64 s[50:51], -1
	s_mov_b64 s[52:53], -1
	s_waitcnt lgkmcnt(0)
	s_barrier
	v_cmp_ne_u64_e32 vcc, 0, v[4:5]
	s_cbranch_vccz .LBB30_204
.LBB30_200:                             ;   in Loop: Header=BB30_201 Depth=2
	s_and_b64 s[50:51], exec, s[50:51]
	s_or_b64 s[0:1], s[50:51], s[0:1]
	s_andn2_b64 s[48:49], s[48:49], exec
	s_and_b64 s[50:51], s[52:53], exec
	s_or_b64 s[48:49], s[48:49], s[50:51]
	s_andn2_b64 exec, exec, s[0:1]
	s_cbranch_execz .LBB30_207
.LBB30_201:                             ;   Parent Loop BB30_32 Depth=1
                                        ; =>  This Inner Loop Header: Depth=2
	v_cmp_gt_i64_e32 vcc, s[56:57], v[12:13]
	s_and_saveexec_b64 s[50:51], vcc
	s_cbranch_execz .LBB30_199
; %bb.202:                              ;   in Loop: Header=BB30_201 Depth=2
	global_load_dwordx2 v[4:5], v[10:11], off
	s_waitcnt vmcnt(0)
	v_xor_b32_e32 v3, 0x80000000, v5
	v_and_b32_e32 v7, v3, v39
	v_and_b32_e32 v6, v4, v38
	v_cmp_eq_u64_e32 vcc, v[6:7], v[30:31]
	s_and_b64 exec, exec, vcc
	s_cbranch_execz .LBB30_199
; %bb.203:                              ;   in Loop: Header=BB30_201 Depth=2
	v_mov_b32_e32 v3, v19
	ds_write_b128 v19, v[2:5] offset:3072
	s_branch .LBB30_199
.LBB30_204:                             ;   in Loop: Header=BB30_201 Depth=2
	v_lshl_add_u64 v[12:13], v[12:13], 0, s[94:95]
	v_cmp_le_i64_e32 vcc, s[46:47], v[12:13]
	v_lshl_add_u64 v[10:11], v[10:11], 0, s[78:79]
	s_mov_b64 s[52:53], 0
	s_orn2_b64 s[50:51], vcc, exec
	s_branch .LBB30_200
.LBB30_205:                             ;   in Loop: Header=BB30_32 Depth=1
                                        ; implicit-def: $sgpr0_sgpr1
	s_andn2_b64 vcc, exec, s[6:7]
	s_cbranch_vccz .LBB30_150
	s_branch .LBB30_151
.LBB30_206:                             ;   in Loop: Header=BB30_32 Depth=1
                                        ; implicit-def: $sgpr6_sgpr7
	s_branch .LBB30_166
.LBB30_207:                             ;   in Loop: Header=BB30_32 Depth=1
	s_or_b64 exec, exec, s[0:1]
	s_and_b64 s[0:1], s[48:49], exec
.LBB30_208:                             ;   in Loop: Header=BB30_32 Depth=1
	s_or_b64 exec, exec, s[8:9]
	v_readlane_b32 s50, v68, 59
	v_readlane_b32 s51, v68, 60
.LBB30_209:                             ;   in Loop: Header=BB30_32 Depth=1
	s_and_b64 vcc, exec, s[6:7]
	s_cbranch_vccz .LBB30_223
; %bb.210:                              ;   in Loop: Header=BB30_32 Depth=1
	v_readlane_b32 s6, v68, 46
	s_add_u32 s38, s44, s6
	v_readlane_b32 s6, v68, 47
	s_addc_u32 s7, s45, s6
	s_mov_b32 s6, s97
	s_cmp_lg_u64 s[6:7], 0
	s_cbranch_scc0 .LBB30_251
; %bb.211:                              ;   in Loop: Header=BB30_32 Depth=1
	s_add_u32 s8, s94, 0
	s_addc_u32 s9, 0, 0
	s_xor_b64 s[8:9], s[8:9], 0
	v_cvt_f32_u32_e32 v3, s8
	v_cvt_f32_u32_e32 v4, s9
	s_sub_u32 s6, 0, s8
	s_subb_u32 s39, 0, s9
	v_fmac_f32_e32 v3, 0x4f800000, v4
	v_rcp_f32_e32 v3, v3
	s_nop 0
	v_mul_f32_e32 v3, 0x5f7ffffc, v3
	v_mul_f32_e32 v4, 0x2f800000, v3
	v_trunc_f32_e32 v4, v4
	v_fmac_f32_e32 v3, 0xcf800000, v4
	v_cvt_u32_f32_e32 v4, v4
	v_cvt_u32_f32_e32 v3, v3
	v_readfirstlane_b32 s46, v4
	v_readfirstlane_b32 s36, v3
	s_mul_i32 s37, s6, s46
	s_mul_hi_u32 s48, s6, s36
	s_mul_i32 s47, s39, s36
	s_add_i32 s37, s48, s37
	s_mul_i32 s49, s6, s36
	s_add_i32 s37, s37, s47
	s_mul_i32 s48, s36, s37
	s_mul_hi_u32 s50, s36, s49
	s_mul_hi_u32 s47, s36, s37
	s_add_u32 s48, s50, s48
	s_addc_u32 s47, 0, s47
	s_mul_hi_u32 s51, s46, s49
	s_mul_i32 s49, s46, s49
	s_add_u32 s48, s48, s49
	s_mul_hi_u32 s50, s46, s37
	s_addc_u32 s47, s47, s51
	s_addc_u32 s48, s50, 0
	s_mul_i32 s37, s46, s37
	s_add_u32 s37, s47, s37
	s_addc_u32 s47, 0, s48
	s_add_u32 s48, s36, s37
	s_cselect_b64 s[36:37], -1, 0
	s_cmp_lg_u64 s[36:37], 0
	s_addc_u32 s46, s46, s47
	s_mul_i32 s36, s6, s46
	s_mul_hi_u32 s37, s6, s48
	s_add_i32 s36, s37, s36
	s_mul_i32 s39, s39, s48
	s_add_i32 s36, s36, s39
	s_mul_i32 s6, s6, s48
	s_mul_hi_u32 s39, s46, s6
	s_mul_i32 s47, s46, s6
	s_mul_i32 s50, s48, s36
	s_mul_hi_u32 s6, s48, s6
	s_mul_hi_u32 s49, s48, s36
	s_add_u32 s6, s6, s50
	s_addc_u32 s49, 0, s49
	s_add_u32 s6, s6, s47
	s_mul_hi_u32 s37, s46, s36
	s_addc_u32 s6, s49, s39
	s_addc_u32 s37, s37, 0
	s_mul_i32 s36, s46, s36
	s_add_u32 s6, s6, s36
	s_addc_u32 s39, 0, s37
	s_add_u32 s6, s48, s6
	s_cselect_b64 s[36:37], -1, 0
	s_cmp_lg_u64 s[36:37], 0
	s_addc_u32 s39, s46, s39
	s_ashr_i32 s36, s7, 31
	s_add_u32 s46, s38, s36
	s_mov_b32 s37, s36
	s_addc_u32 s47, s7, s36
	s_xor_b64 s[46:47], s[46:47], s[36:37]
	s_mul_i32 s49, s46, s39
	s_mul_hi_u32 s50, s46, s6
	s_mul_hi_u32 s48, s46, s39
	s_add_u32 s49, s50, s49
	s_addc_u32 s48, 0, s48
	s_mul_hi_u32 s51, s47, s6
	s_mul_i32 s6, s47, s6
	s_add_u32 s6, s49, s6
	s_mul_hi_u32 s50, s47, s39
	s_addc_u32 s6, s48, s51
	s_addc_u32 s48, s50, 0
	s_mul_i32 s39, s47, s39
	s_add_u32 s6, s6, s39
	s_addc_u32 s39, 0, s48
	s_mul_i32 s39, s8, s39
	s_mul_hi_u32 s48, s8, s6
	s_add_i32 s39, s48, s39
	s_mul_i32 s48, s9, s6
	s_add_i32 s39, s39, s48
	s_sub_i32 s50, s47, s39
	s_mul_i32 s6, s8, s6
	s_sub_u32 s6, s46, s6
	s_cselect_b64 s[48:49], -1, 0
	s_cmp_lg_u64 s[48:49], 0
	s_subb_u32 s46, s50, s9
	s_sub_u32 s52, s6, s8
	s_cselect_b64 s[50:51], -1, 0
	s_cmp_lg_u64 s[50:51], 0
	s_subb_u32 s53, s46, 0
	s_cmp_ge_u32 s53, s9
	s_cselect_b32 s54, -1, 0
	s_cmp_ge_u32 s52, s8
	s_cselect_b32 s55, -1, 0
	s_cmp_eq_u32 s53, s9
	s_cselect_b32 s54, s55, s54
	s_cmp_lg_u64 s[50:51], 0
	s_subb_u32 s46, s46, s9
	s_sub_u32 s55, s52, s8
	s_cselect_b64 s[50:51], -1, 0
	s_cmp_lg_u64 s[50:51], 0
	s_subb_u32 s46, s46, 0
	s_cmp_lg_u32 s54, 0
	s_cselect_b32 s50, s55, s52
	s_cselect_b32 s46, s46, s53
	s_cmp_lg_u64 s[48:49], 0
	s_subb_u32 s39, s47, s39
	s_cmp_ge_u32 s39, s9
	s_cselect_b32 s47, -1, 0
	s_cmp_ge_u32 s6, s8
	s_cselect_b32 s8, -1, 0
	s_cmp_eq_u32 s39, s9
	s_cselect_b32 s8, s8, s47
	s_cmp_lg_u32 s8, 0
	s_cselect_b32 s9, s46, s39
	s_cselect_b32 s8, s50, s6
	s_xor_b64 s[8:9], s[8:9], s[36:37]
	v_readlane_b32 s50, v68, 59
	s_sub_u32 s8, s8, s36
	v_readlane_b32 s51, v68, 60
	s_subb_u32 s9, s9, s36
	s_cbranch_execnz .LBB30_213
.LBB30_212:                             ;   in Loop: Header=BB30_32 Depth=1
	v_cvt_f32_u32_e32 v3, s94
	s_sub_i32 s6, 0, s94
	v_rcp_iflag_f32_e32 v3, v3
	s_nop 0
	v_mul_f32_e32 v3, 0x4f7ffffe, v3
	v_cvt_u32_f32_e32 v3, v3
	s_nop 0
	v_readfirstlane_b32 s8, v3
	s_mul_i32 s6, s6, s8
	s_mul_hi_u32 s6, s8, s6
	s_add_i32 s8, s8, s6
	s_mul_hi_u32 s6, s38, s8
	s_mul_i32 s6, s6, s94
	s_sub_i32 s6, s38, s6
	s_sub_i32 s8, s6, s94
	s_cmp_ge_u32 s6, s94
	s_cselect_b32 s6, s8, s6
	s_sub_i32 s8, s6, s94
	s_cmp_ge_u32 s6, s94
	s_cselect_b32 s96, s8, s6
	s_mov_b64 s[8:9], s[96:97]
.LBB30_213:                             ;   in Loop: Header=BB30_32 Depth=1
	s_sub_u32 s8, s38, s8
	s_subb_u32 s9, s7, s9
	v_cmp_gt_i64_e32 vcc, s[8:9], v[0:1]
                                        ; implicit-def: $vgpr6_vgpr7
	s_and_saveexec_b64 s[6:7], vcc
	s_cbranch_execz .LBB30_222
; %bb.214:                              ;   in Loop: Header=BB30_32 Depth=1
	s_mov_b64 s[36:37], 0
	v_mov_b32_e32 v12, v49
	v_mov_b64_e32 v[10:11], v[0:1]
                                        ; implicit-def: $sgpr38_sgpr39
	s_branch .LBB30_217
.LBB30_215:                             ;   in Loop: Header=BB30_217 Depth=2
	s_or_b64 exec, exec, s[46:47]
	s_waitcnt lgkmcnt(0)
	s_barrier
	ds_read_b128 v[4:7], v19 offset:3072
	s_mov_b64 s[46:47], -1
	s_mov_b64 s[48:49], -1
	s_waitcnt lgkmcnt(0)
	s_barrier
	v_cmp_eq_u64_e32 vcc, 0, v[4:5]
	s_cbranch_vccnz .LBB30_220
.LBB30_216:                             ;   in Loop: Header=BB30_217 Depth=2
	s_and_b64 s[46:47], exec, s[46:47]
	s_or_b64 s[36:37], s[46:47], s[36:37]
	s_andn2_b64 s[38:39], s[38:39], exec
	s_and_b64 s[46:47], s[48:49], exec
	s_or_b64 s[38:39], s[38:39], s[46:47]
	s_andn2_b64 exec, exec, s[36:37]
	s_cbranch_execz .LBB30_221
.LBB30_217:                             ;   Parent Loop BB30_32 Depth=1
                                        ; =>  This Inner Loop Header: Depth=2
	v_cmp_gt_u64_e32 vcc, s[44:45], v[10:11]
	s_and_saveexec_b64 s[46:47], vcc
	s_cbranch_execz .LBB30_215
; %bb.218:                              ;   in Loop: Header=BB30_217 Depth=2
	ds_read_b64 v[4:5], v12
	s_waitcnt lgkmcnt(0)
	v_xor_b32_e32 v3, 0x80000000, v5
	v_and_b32_e32 v7, v3, v39
	v_and_b32_e32 v6, v4, v38
	v_cmp_eq_u64_e32 vcc, v[6:7], v[30:31]
	s_and_b64 exec, exec, vcc
	s_cbranch_execz .LBB30_215
; %bb.219:                              ;   in Loop: Header=BB30_217 Depth=2
	v_mov_b32_e32 v3, v19
	ds_write_b128 v19, v[2:5] offset:3072
	s_branch .LBB30_215
.LBB30_220:                             ;   in Loop: Header=BB30_217 Depth=2
	v_lshl_add_u64 v[10:11], v[10:11], 0, s[94:95]
	v_cmp_le_i64_e32 vcc, s[8:9], v[10:11]
	v_add_u32_e32 v12, s90, v12
	s_mov_b64 s[48:49], 0
	s_orn2_b64 s[46:47], vcc, exec
	s_branch .LBB30_216
.LBB30_221:                             ;   in Loop: Header=BB30_32 Depth=1
	s_or_b64 exec, exec, s[36:37]
	s_andn2_b64 s[0:1], s[0:1], exec
	s_and_b64 s[8:9], s[38:39], exec
	s_or_b64 s[0:1], s[0:1], s[8:9]
.LBB30_222:                             ;   in Loop: Header=BB30_32 Depth=1
	s_or_b64 exec, exec, s[6:7]
	s_mov_b64 s[36:37], 0
	s_mov_b64 s[38:39], -1
.LBB30_223:                             ;   in Loop: Header=BB30_32 Depth=1
	s_orn2_b64 s[0:1], s[0:1], exec
	s_mov_b32 s44, s64
.LBB30_224:                             ;   in Loop: Header=BB30_32 Depth=1
	s_or_b64 exec, exec, s[40:41]
	s_mov_b64 s[6:7], 0
	s_and_saveexec_b64 s[40:41], s[0:1]
	s_cbranch_execz .LBB30_282
; %bb.225:                              ;   in Loop: Header=BB30_32 Depth=1
	s_xor_b64 s[6:7], s[42:43], -1
	v_mov_b32_e32 v18, 1
	s_mov_b64 s[8:9], 0
	v_mov_b64_e32 v[10:11], 1
	s_and_saveexec_b64 s[0:1], s[6:7]
	s_cbranch_execz .LBB30_234
; %bb.226:                              ;   in Loop: Header=BB30_32 Depth=1
	v_cmp_ge_i64_e32 vcc, s[22:23], v[8:9]
	s_and_saveexec_b64 s[6:7], vcc
	s_xor_b64 s[6:7], exec, s[6:7]
	s_cbranch_execz .LBB30_231
; %bb.227:                              ;   in Loop: Header=BB30_32 Depth=1
	ds_read_b64 v[4:5], v19 offset:5120
	s_lshl_b64 s[8:9], 2, s91
	v_and_b32_e32 v3, s25, v31
	v_and_b32_e32 v10, s24, v30
	v_or_b32_e32 v31, s9, v3
	s_waitcnt lgkmcnt(0)
	v_cmp_ne_u64_e32 vcc, 0, v[4:5]
	v_or_b32_e32 v30, s8, v10
	v_or_b32_e32 v39, s15, v39
	;; [unrolled: 1-line block ×3, first 2 shown]
	s_cbranch_vccnz .LBB30_231
; %bb.228:                              ;   in Loop: Header=BB30_32 Depth=1
	s_mov_b64 s[8:9], exec
	v_readlane_b32 s24, v68, 32
	v_readlane_b32 s25, v68, 33
	s_and_b64 s[24:25], s[8:9], s[24:25]
	s_mov_b64 exec, s[24:25]
; %bb.229:                              ;   in Loop: Header=BB30_32 Depth=1
	v_mov_b64_e32 v[4:5], s[22:23]
	ds_write_b64 v19, v[4:5] offset:5128
; %bb.230:                              ;   in Loop: Header=BB30_32 Depth=1
	s_or_b64 exec, exec, s[8:9]
	s_waitcnt lgkmcnt(0)
	s_barrier
.LBB30_231:                             ;   in Loop: Header=BB30_32 Depth=1
	s_or_saveexec_b64 s[6:7], s[6:7]
	s_mov_b64 s[8:9], 0
	v_mov_b32_e32 v18, 8
	s_xor_b64 exec, exec, s[6:7]
; %bb.232:                              ;   in Loop: Header=BB30_32 Depth=1
	v_mov_b32_e32 v3, s23
	v_subrev_co_u32_e32 v8, vcc, s22, v8
	s_mov_b64 s[8:9], exec
	s_nop 0
	v_subb_co_u32_e32 v9, vcc, v9, v3, vcc
	v_mov_b32_e32 v18, 0
; %bb.233:                              ;   in Loop: Header=BB30_32 Depth=1
	s_or_b64 exec, exec, s[6:7]
	s_and_b64 s[8:9], s[8:9], exec
	v_mov_b64_e32 v[10:11], v[8:9]
.LBB30_234:                             ;   in Loop: Header=BB30_32 Depth=1
	s_or_b64 exec, exec, s[0:1]
	s_mov_b64 s[6:7], -1
                                        ; implicit-def: $sgpr0_sgpr1
                                        ; implicit-def: $sgpr46_sgpr47
	s_and_saveexec_b64 s[22:23], s[8:9]
	s_cbranch_execz .LBB30_281
; %bb.235:                              ;   in Loop: Header=BB30_32 Depth=1
	s_cmp_eq_u64 s[12:13], 1
	s_cselect_b64 s[0:1], -1, 0
	v_cmp_eq_u64_e32 vcc, 1, v[10:11]
	s_and_b64 s[24:25], s[0:1], vcc
	s_mov_b64 s[8:9], -1
                                        ; implicit-def: $sgpr0_sgpr1
                                        ; implicit-def: $sgpr46_sgpr47
	s_and_saveexec_b64 s[42:43], s[24:25]
	s_cbranch_execz .LBB30_269
; %bb.236:                              ;   in Loop: Header=BB30_32 Depth=1
	ds_read_b64 v[4:5], v19 offset:5120
	s_mov_b32 s68, s44
	s_waitcnt lgkmcnt(0)
	s_barrier
	v_readfirstlane_b32 s44, v4
	v_readfirstlane_b32 s45, v5
	s_mov_b64 s[0:1], exec
	v_readlane_b32 s6, v68, 36
	v_readlane_b32 s7, v68, 37
	s_and_b64 s[6:7], s[0:1], s[6:7]
	s_mov_b64 exec, s[6:7]
; %bb.237:                              ;   in Loop: Header=BB30_32 Depth=1
	ds_write_b64 v50, v[58:59]
; %bb.238:                              ;   in Loop: Header=BB30_32 Depth=1
	s_or_b64 exec, exec, s[0:1]
	v_cmp_gt_i64_e64 s[6:7], s[44:45], 0
	v_or_b32_e32 v31, s15, v31
	v_or_b32_e32 v30, s14, v30
	;; [unrolled: 1-line block ×4, first 2 shown]
	s_mov_b64 s[46:47], -1
	s_mov_b64 s[0:1], 0
	s_and_b64 vcc, exec, s[6:7]
	s_mov_b64 s[6:7], 0
	s_waitcnt lgkmcnt(0)
	s_barrier
                                        ; implicit-def: $vgpr6_vgpr7
	s_cbranch_vccnz .LBB30_254
; %bb.239:                              ;   in Loop: Header=BB30_32 Depth=1
	s_mov_b32 s80, s97
	s_cmp_lg_u64 s[80:81], 0
	s_cbranch_scc0 .LBB30_288
; %bb.240:                              ;   in Loop: Header=BB30_32 Depth=1
	s_add_u32 s6, s94, 0
	s_addc_u32 s7, 0, 0
	s_xor_b64 s[6:7], s[6:7], 0
	v_cvt_f32_u32_e32 v3, s6
	v_cvt_f32_u32_e32 v4, s7
	s_sub_u32 s48, 0, s6
	s_subb_u32 s49, 0, s7
	s_mov_b32 s69, s81
	v_fmac_f32_e32 v3, 0x4f800000, v4
	v_rcp_f32_e32 v3, v3
	s_nop 0
	v_mul_f32_e32 v3, 0x5f7ffffc, v3
	v_mul_f32_e32 v4, 0x2f800000, v3
	v_trunc_f32_e32 v4, v4
	v_fmac_f32_e32 v3, 0xcf800000, v4
	v_cvt_u32_f32_e32 v4, v4
	v_cvt_u32_f32_e32 v3, v3
	v_readfirstlane_b32 s50, v4
	v_readfirstlane_b32 s8, v3
	s_mul_i32 s9, s48, s50
	s_mul_hi_u32 s52, s48, s8
	s_mul_i32 s51, s49, s8
	s_add_i32 s9, s52, s9
	s_mul_i32 s53, s48, s8
	s_add_i32 s9, s9, s51
	s_mul_i32 s52, s8, s9
	s_mul_hi_u32 s54, s8, s53
	s_mul_hi_u32 s51, s8, s9
	s_add_u32 s52, s54, s52
	s_addc_u32 s51, 0, s51
	s_mul_hi_u32 s55, s50, s53
	s_mul_i32 s53, s50, s53
	s_add_u32 s52, s52, s53
	s_mul_hi_u32 s54, s50, s9
	s_addc_u32 s51, s51, s55
	s_addc_u32 s52, s54, 0
	s_mul_i32 s9, s50, s9
	s_add_u32 s9, s51, s9
	s_addc_u32 s51, 0, s52
	s_add_u32 s52, s8, s9
	s_cselect_b64 s[8:9], -1, 0
	s_cmp_lg_u64 s[8:9], 0
	s_addc_u32 s50, s50, s51
	s_mul_i32 s8, s48, s50
	s_mul_hi_u32 s9, s48, s52
	s_add_i32 s8, s9, s8
	s_mul_i32 s49, s49, s52
	s_add_i32 s8, s8, s49
	s_mul_i32 s48, s48, s52
	s_mul_hi_u32 s49, s50, s48
	s_mul_i32 s51, s50, s48
	s_mul_i32 s54, s52, s8
	s_mul_hi_u32 s48, s52, s48
	s_mul_hi_u32 s53, s52, s8
	s_add_u32 s48, s48, s54
	s_addc_u32 s53, 0, s53
	s_add_u32 s48, s48, s51
	s_mul_hi_u32 s9, s50, s8
	s_addc_u32 s48, s53, s49
	s_addc_u32 s9, s9, 0
	s_mul_i32 s8, s50, s8
	s_add_u32 s8, s48, s8
	s_addc_u32 s48, 0, s9
	s_add_u32 s51, s52, s8
	s_cselect_b64 s[8:9], -1, 0
	s_cmp_lg_u64 s[8:9], 0
	s_addc_u32 s50, s50, s48
	s_ashr_i32 s8, s81, 31
	s_add_u32 s48, s73, s8
	s_mov_b32 s9, s8
	s_addc_u32 s49, s81, s8
	s_xor_b64 s[48:49], s[48:49], s[8:9]
	s_mul_i32 s53, s48, s50
	s_mul_hi_u32 s54, s48, s51
	s_mul_hi_u32 s52, s48, s50
	s_add_u32 s53, s54, s53
	s_addc_u32 s52, 0, s52
	s_mul_hi_u32 s55, s49, s51
	s_mul_i32 s51, s49, s51
	s_add_u32 s51, s53, s51
	s_mul_hi_u32 s54, s49, s50
	s_addc_u32 s51, s52, s55
	s_addc_u32 s52, s54, 0
	s_mul_i32 s50, s49, s50
	s_add_u32 s50, s51, s50
	s_addc_u32 s51, 0, s52
	s_mul_i32 s51, s6, s51
	s_mul_hi_u32 s52, s6, s50
	s_add_i32 s51, s52, s51
	s_mul_i32 s52, s7, s50
	s_add_i32 s54, s51, s52
	s_sub_i32 s52, s49, s54
	s_mul_i32 s50, s6, s50
	s_sub_u32 s48, s48, s50
	s_cselect_b64 s[50:51], -1, 0
	s_cmp_lg_u64 s[50:51], 0
	s_subb_u32 s55, s52, s7
	s_sub_u32 s64, s48, s6
	s_cselect_b64 s[52:53], -1, 0
	s_cmp_lg_u64 s[52:53], 0
	s_subb_u32 s65, s55, 0
	s_cmp_ge_u32 s65, s7
	s_cselect_b32 s66, -1, 0
	s_cmp_ge_u32 s64, s6
	s_cselect_b32 s67, -1, 0
	s_cmp_eq_u32 s65, s7
	s_cselect_b32 s66, s67, s66
	s_cmp_lg_u64 s[52:53], 0
	s_subb_u32 s55, s55, s7
	s_sub_u32 s67, s64, s6
	s_cselect_b64 s[52:53], -1, 0
	s_cmp_lg_u64 s[52:53], 0
	s_subb_u32 s52, s55, 0
	s_cmp_lg_u32 s66, 0
	s_cselect_b32 s53, s67, s64
	s_cselect_b32 s52, s52, s65
	s_cmp_lg_u64 s[50:51], 0
	s_subb_u32 s49, s49, s54
	s_cmp_ge_u32 s49, s7
	s_cselect_b32 s50, -1, 0
	s_cmp_ge_u32 s48, s6
	s_cselect_b32 s6, -1, 0
	s_cmp_eq_u32 s49, s7
	s_cselect_b32 s6, s6, s50
	s_cmp_lg_u32 s6, 0
	s_cselect_b32 s7, s52, s49
	s_cselect_b32 s6, s53, s48
	s_xor_b64 s[6:7], s[6:7], s[8:9]
	s_sub_u32 s6, s6, s8
	s_subb_u32 s7, s7, s8
	s_cbranch_execnz .LBB30_242
.LBB30_241:                             ;   in Loop: Header=BB30_32 Depth=1
	v_cvt_f32_u32_e32 v3, s94
	s_sub_i32 s6, 0, s94
	v_rcp_iflag_f32_e32 v3, v3
	s_nop 0
	v_mul_f32_e32 v3, 0x4f7ffffe, v3
	v_cvt_u32_f32_e32 v3, v3
	s_nop 0
	v_readfirstlane_b32 s7, v3
	s_mul_i32 s6, s6, s7
	s_mul_hi_u32 s6, s7, s6
	s_add_i32 s7, s7, s6
	s_mul_hi_u32 s6, s73, s7
	s_mul_i32 s6, s6, s94
	s_sub_i32 s6, s73, s6
	s_sub_i32 s7, s6, s94
	s_cmp_ge_u32 s6, s94
	s_cselect_b32 s6, s7, s6
	s_sub_i32 s7, s6, s94
	s_cmp_ge_u32 s6, s94
	s_cselect_b32 s96, s7, s6
	s_mov_b64 s[6:7], s[96:97]
.LBB30_242:                             ;   in Loop: Header=BB30_32 Depth=1
	s_sub_u32 s50, s73, s6
	s_subb_u32 s51, s69, s7
	v_cmp_gt_i64_e32 vcc, s[50:51], v[0:1]
	s_mov_b64 s[8:9], 0
	s_mov_b64 s[6:7], 0
                                        ; implicit-def: $vgpr6_vgpr7
	s_and_saveexec_b64 s[48:49], vcc
	s_cbranch_execz .LBB30_253
; %bb.243:                              ;   in Loop: Header=BB30_32 Depth=1
	v_mov_b64_e32 v[8:9], v[16:17]
	v_mov_b64_e32 v[12:13], v[0:1]
                                        ; implicit-def: $sgpr52_sgpr53
	s_branch .LBB30_246
.LBB30_244:                             ;   in Loop: Header=BB30_246 Depth=2
	s_or_b64 exec, exec, s[54:55]
	s_waitcnt lgkmcnt(0)
	s_barrier
	ds_read_b128 v[4:7], v19 offset:3072
	s_mov_b64 s[54:55], -1
	s_mov_b64 s[64:65], -1
	s_waitcnt lgkmcnt(0)
	s_barrier
	v_cmp_ne_u64_e32 vcc, 0, v[4:5]
	s_cbranch_vccz .LBB30_249
.LBB30_245:                             ;   in Loop: Header=BB30_246 Depth=2
	s_and_b64 s[54:55], exec, s[54:55]
	s_or_b64 s[6:7], s[54:55], s[6:7]
	s_andn2_b64 s[52:53], s[52:53], exec
	s_and_b64 s[54:55], s[64:65], exec
	s_or_b64 s[52:53], s[52:53], s[54:55]
	s_andn2_b64 exec, exec, s[6:7]
	s_cbranch_execz .LBB30_252
.LBB30_246:                             ;   Parent Loop BB30_32 Depth=1
                                        ; =>  This Inner Loop Header: Depth=2
	v_cmp_gt_i64_e32 vcc, s[56:57], v[12:13]
	s_and_saveexec_b64 s[54:55], vcc
	s_cbranch_execz .LBB30_244
; %bb.247:                              ;   in Loop: Header=BB30_246 Depth=2
	global_load_dwordx2 v[4:5], v[8:9], off
	s_waitcnt vmcnt(0)
	v_xor_b32_e32 v3, 0x80000000, v5
	v_and_b32_e32 v7, v3, v39
	v_and_b32_e32 v6, v4, v38
	v_cmp_eq_u64_e32 vcc, v[6:7], v[30:31]
	s_and_b64 exec, exec, vcc
	s_cbranch_execz .LBB30_244
; %bb.248:                              ;   in Loop: Header=BB30_246 Depth=2
	v_mov_b32_e32 v3, v19
	ds_write_b128 v19, v[2:5] offset:3072
	s_branch .LBB30_244
.LBB30_249:                             ;   in Loop: Header=BB30_246 Depth=2
	v_lshl_add_u64 v[12:13], v[12:13], 0, s[94:95]
	v_cmp_le_i64_e32 vcc, s[50:51], v[12:13]
	v_lshl_add_u64 v[8:9], v[8:9], 0, s[78:79]
	s_mov_b64 s[64:65], 0
	s_orn2_b64 s[54:55], vcc, exec
	s_branch .LBB30_245
.LBB30_250:                             ;   in Loop: Header=BB30_32 Depth=1
	s_mov_b32 s65, s81
                                        ; implicit-def: $sgpr0_sgpr1
	s_andn2_b64 vcc, exec, s[6:7]
	s_cbranch_vccz .LBB30_196
	s_branch .LBB30_197
.LBB30_251:                             ;   in Loop: Header=BB30_32 Depth=1
                                        ; implicit-def: $sgpr8_sgpr9
	s_branch .LBB30_212
.LBB30_252:                             ;   in Loop: Header=BB30_32 Depth=1
	s_or_b64 exec, exec, s[6:7]
	s_and_b64 s[6:7], s[52:53], exec
.LBB30_253:                             ;   in Loop: Header=BB30_32 Depth=1
	s_or_b64 exec, exec, s[48:49]
	v_readlane_b32 s50, v68, 59
	s_mov_b32 s81, s69
	v_readlane_b32 s51, v68, 60
.LBB30_254:                             ;   in Loop: Header=BB30_32 Depth=1
	s_and_b64 vcc, exec, s[8:9]
	s_cbranch_vccz .LBB30_268
; %bb.255:                              ;   in Loop: Header=BB30_32 Depth=1
	v_readlane_b32 s0, v68, 46
	s_add_u32 s48, s44, s0
	v_readlane_b32 s0, v68, 47
	s_addc_u32 s1, s45, s0
	s_mov_b32 s0, s97
	s_cmp_lg_u64 s[0:1], 0
	s_cbranch_scc0 .LBB30_289
; %bb.256:                              ;   in Loop: Header=BB30_32 Depth=1
	s_add_u32 s8, s94, 0
	s_addc_u32 s9, 0, 0
	s_xor_b64 s[8:9], s[8:9], 0
	v_cvt_f32_u32_e32 v3, s8
	v_cvt_f32_u32_e32 v4, s9
	s_sub_u32 s0, 0, s8
	s_subb_u32 s49, 0, s9
	v_fmac_f32_e32 v3, 0x4f800000, v4
	v_rcp_f32_e32 v3, v3
	s_nop 0
	v_mul_f32_e32 v3, 0x5f7ffffc, v3
	v_mul_f32_e32 v4, 0x2f800000, v3
	v_trunc_f32_e32 v4, v4
	v_fmac_f32_e32 v3, 0xcf800000, v4
	v_cvt_u32_f32_e32 v4, v4
	v_cvt_u32_f32_e32 v3, v3
	v_readfirstlane_b32 s50, v4
	v_readfirstlane_b32 s46, v3
	s_mul_i32 s47, s0, s50
	s_mul_hi_u32 s52, s0, s46
	s_mul_i32 s51, s49, s46
	s_add_i32 s47, s52, s47
	s_mul_i32 s53, s0, s46
	s_add_i32 s47, s47, s51
	s_mul_i32 s52, s46, s47
	s_mul_hi_u32 s54, s46, s53
	s_mul_hi_u32 s51, s46, s47
	s_add_u32 s52, s54, s52
	s_addc_u32 s51, 0, s51
	s_mul_hi_u32 s55, s50, s53
	s_mul_i32 s53, s50, s53
	s_add_u32 s52, s52, s53
	s_mul_hi_u32 s54, s50, s47
	s_addc_u32 s51, s51, s55
	s_addc_u32 s52, s54, 0
	s_mul_i32 s47, s50, s47
	s_add_u32 s47, s51, s47
	s_addc_u32 s51, 0, s52
	s_add_u32 s52, s46, s47
	s_cselect_b64 s[46:47], -1, 0
	s_cmp_lg_u64 s[46:47], 0
	s_addc_u32 s50, s50, s51
	s_mul_i32 s46, s0, s50
	s_mul_hi_u32 s47, s0, s52
	s_add_i32 s46, s47, s46
	s_mul_i32 s49, s49, s52
	s_add_i32 s46, s46, s49
	s_mul_i32 s0, s0, s52
	s_mul_hi_u32 s49, s50, s0
	s_mul_i32 s51, s50, s0
	s_mul_i32 s54, s52, s46
	s_mul_hi_u32 s0, s52, s0
	s_mul_hi_u32 s53, s52, s46
	s_add_u32 s0, s0, s54
	s_addc_u32 s53, 0, s53
	s_add_u32 s0, s0, s51
	s_mul_hi_u32 s47, s50, s46
	s_addc_u32 s0, s53, s49
	s_addc_u32 s47, s47, 0
	s_mul_i32 s46, s50, s46
	s_add_u32 s0, s0, s46
	s_addc_u32 s49, 0, s47
	s_add_u32 s0, s52, s0
	s_cselect_b64 s[46:47], -1, 0
	s_cmp_lg_u64 s[46:47], 0
	s_addc_u32 s49, s50, s49
	s_ashr_i32 s46, s1, 31
	s_add_u32 s50, s48, s46
	s_mov_b32 s47, s46
	s_addc_u32 s51, s1, s46
	s_xor_b64 s[50:51], s[50:51], s[46:47]
	s_mul_i32 s53, s50, s49
	s_mul_hi_u32 s54, s50, s0
	s_mul_hi_u32 s52, s50, s49
	s_add_u32 s53, s54, s53
	s_addc_u32 s52, 0, s52
	s_mul_hi_u32 s55, s51, s0
	s_mul_i32 s0, s51, s0
	s_add_u32 s0, s53, s0
	s_mul_hi_u32 s54, s51, s49
	s_addc_u32 s0, s52, s55
	s_addc_u32 s52, s54, 0
	s_mul_i32 s49, s51, s49
	s_add_u32 s0, s0, s49
	s_addc_u32 s49, 0, s52
	s_mul_i32 s49, s8, s49
	s_mul_hi_u32 s52, s8, s0
	s_add_i32 s49, s52, s49
	s_mul_i32 s52, s9, s0
	s_add_i32 s49, s49, s52
	s_sub_i32 s54, s51, s49
	s_mul_i32 s0, s8, s0
	s_sub_u32 s0, s50, s0
	s_cselect_b64 s[52:53], -1, 0
	s_cmp_lg_u64 s[52:53], 0
	s_subb_u32 s50, s54, s9
	s_sub_u32 s64, s0, s8
	s_cselect_b64 s[54:55], -1, 0
	s_cmp_lg_u64 s[54:55], 0
	s_subb_u32 s65, s50, 0
	s_cmp_ge_u32 s65, s9
	s_cselect_b32 s66, -1, 0
	s_cmp_ge_u32 s64, s8
	s_cselect_b32 s67, -1, 0
	s_cmp_eq_u32 s65, s9
	s_cselect_b32 s66, s67, s66
	s_cmp_lg_u64 s[54:55], 0
	s_subb_u32 s50, s50, s9
	s_sub_u32 s67, s64, s8
	s_cselect_b64 s[54:55], -1, 0
	s_cmp_lg_u64 s[54:55], 0
	s_subb_u32 s50, s50, 0
	s_cmp_lg_u32 s66, 0
	s_cselect_b32 s54, s67, s64
	s_cselect_b32 s50, s50, s65
	s_cmp_lg_u64 s[52:53], 0
	s_subb_u32 s49, s51, s49
	s_cmp_ge_u32 s49, s9
	s_cselect_b32 s51, -1, 0
	s_cmp_ge_u32 s0, s8
	s_cselect_b32 s8, -1, 0
	s_cmp_eq_u32 s49, s9
	s_cselect_b32 s8, s8, s51
	s_cmp_lg_u32 s8, 0
	s_cselect_b32 s9, s50, s49
	s_cselect_b32 s8, s54, s0
	s_xor_b64 s[8:9], s[8:9], s[46:47]
	v_readlane_b32 s50, v68, 59
	s_sub_u32 s8, s8, s46
	v_readlane_b32 s51, v68, 60
	s_subb_u32 s9, s9, s46
	s_cbranch_execnz .LBB30_258
.LBB30_257:                             ;   in Loop: Header=BB30_32 Depth=1
	v_cvt_f32_u32_e32 v3, s94
	s_sub_i32 s0, 0, s94
	v_rcp_iflag_f32_e32 v3, v3
	s_nop 0
	v_mul_f32_e32 v3, 0x4f7ffffe, v3
	v_cvt_u32_f32_e32 v3, v3
	s_nop 0
	v_readfirstlane_b32 s8, v3
	s_mul_i32 s0, s0, s8
	s_mul_hi_u32 s0, s8, s0
	s_add_i32 s8, s8, s0
	s_mul_hi_u32 s0, s48, s8
	s_mul_i32 s0, s0, s94
	s_sub_i32 s0, s48, s0
	s_sub_i32 s8, s0, s94
	s_cmp_ge_u32 s0, s94
	s_cselect_b32 s0, s8, s0
	s_sub_i32 s8, s0, s94
	s_cmp_ge_u32 s0, s94
	s_cselect_b32 s96, s8, s0
	s_mov_b64 s[8:9], s[96:97]
.LBB30_258:                             ;   in Loop: Header=BB30_32 Depth=1
	s_sub_u32 s8, s48, s8
	s_subb_u32 s9, s1, s9
	v_cmp_gt_i64_e32 vcc, s[8:9], v[0:1]
                                        ; implicit-def: $vgpr6_vgpr7
	s_and_saveexec_b64 s[0:1], vcc
	s_cbranch_execz .LBB30_267
; %bb.259:                              ;   in Loop: Header=BB30_32 Depth=1
	s_mov_b64 s[46:47], 0
	v_mov_b32_e32 v12, v49
	v_mov_b64_e32 v[8:9], v[0:1]
                                        ; implicit-def: $sgpr48_sgpr49
	s_branch .LBB30_262
.LBB30_260:                             ;   in Loop: Header=BB30_262 Depth=2
	s_or_b64 exec, exec, s[50:51]
	s_waitcnt lgkmcnt(0)
	s_barrier
	ds_read_b128 v[4:7], v19 offset:3072
	s_mov_b64 s[50:51], -1
	s_mov_b64 s[52:53], -1
	s_waitcnt lgkmcnt(0)
	s_barrier
	v_cmp_eq_u64_e32 vcc, 0, v[4:5]
	s_cbranch_vccnz .LBB30_265
.LBB30_261:                             ;   in Loop: Header=BB30_262 Depth=2
	s_and_b64 s[50:51], exec, s[50:51]
	s_or_b64 s[46:47], s[50:51], s[46:47]
	s_andn2_b64 s[48:49], s[48:49], exec
	s_and_b64 s[50:51], s[52:53], exec
	s_or_b64 s[48:49], s[48:49], s[50:51]
	s_andn2_b64 exec, exec, s[46:47]
	s_cbranch_execz .LBB30_266
.LBB30_262:                             ;   Parent Loop BB30_32 Depth=1
                                        ; =>  This Inner Loop Header: Depth=2
	v_cmp_gt_u64_e32 vcc, s[44:45], v[8:9]
	s_and_saveexec_b64 s[50:51], vcc
	s_cbranch_execz .LBB30_260
; %bb.263:                              ;   in Loop: Header=BB30_262 Depth=2
	ds_read_b64 v[4:5], v12
	s_waitcnt lgkmcnt(0)
	v_xor_b32_e32 v3, 0x80000000, v5
	v_and_b32_e32 v7, v3, v39
	v_and_b32_e32 v6, v4, v38
	v_cmp_eq_u64_e32 vcc, v[6:7], v[30:31]
	s_and_b64 exec, exec, vcc
	s_cbranch_execz .LBB30_260
; %bb.264:                              ;   in Loop: Header=BB30_262 Depth=2
	v_mov_b32_e32 v3, v19
	ds_write_b128 v19, v[2:5] offset:3072
	s_branch .LBB30_260
.LBB30_265:                             ;   in Loop: Header=BB30_262 Depth=2
	v_lshl_add_u64 v[8:9], v[8:9], 0, s[94:95]
	v_cmp_le_i64_e32 vcc, s[8:9], v[8:9]
	v_add_u32_e32 v12, s90, v12
	s_mov_b64 s[52:53], 0
	s_orn2_b64 s[50:51], vcc, exec
	s_branch .LBB30_261
.LBB30_266:                             ;   in Loop: Header=BB30_32 Depth=1
	s_or_b64 exec, exec, s[46:47]
	s_andn2_b64 s[6:7], s[6:7], exec
	s_and_b64 s[8:9], s[48:49], exec
	v_readlane_b32 s50, v68, 59
	s_or_b64 s[6:7], s[6:7], s[8:9]
	v_readlane_b32 s51, v68, 60
.LBB30_267:                             ;   in Loop: Header=BB30_32 Depth=1
	s_or_b64 exec, exec, s[0:1]
	s_mov_b64 s[46:47], 0
	s_mov_b64 s[0:1], -1
.LBB30_268:                             ;   in Loop: Header=BB30_32 Depth=1
	s_orn2_b64 s[8:9], s[6:7], exec
	s_mov_b32 s44, s68
.LBB30_269:                             ;   in Loop: Header=BB30_32 Depth=1
	s_or_b64 exec, exec, s[42:43]
	s_mov_b64 s[42:43], 0
	s_and_saveexec_b64 s[6:7], s[8:9]
	s_cbranch_execz .LBB30_280
; %bb.270:                              ;   in Loop: Header=BB30_32 Depth=1
	s_xor_b64 s[24:25], s[24:25], -1
	v_mov_b64_e32 v[4:5], 1
	v_mov_b32_e32 v18, 1
	s_and_saveexec_b64 s[8:9], s[24:25]
	s_cbranch_execz .LBB30_279
; %bb.271:                              ;   in Loop: Header=BB30_32 Depth=1
	v_cmp_ge_i64_e32 vcc, s[12:13], v[10:11]
	s_and_saveexec_b64 s[24:25], vcc
	s_xor_b64 s[24:25], exec, s[24:25]
	s_cbranch_execz .LBB30_276
; %bb.272:                              ;   in Loop: Header=BB30_32 Depth=1
	ds_read_b64 v[4:5], v19 offset:5120
	v_or_b32_e32 v31, s15, v31
	v_or_b32_e32 v30, s14, v30
	;; [unrolled: 1-line block ×4, first 2 shown]
	s_waitcnt lgkmcnt(0)
	v_cmp_ne_u64_e32 vcc, 0, v[4:5]
	s_cbranch_vccnz .LBB30_276
; %bb.273:                              ;   in Loop: Header=BB30_32 Depth=1
	s_mov_b64 s[14:15], exec
	v_readlane_b32 s42, v68, 32
	v_readlane_b32 s43, v68, 33
	s_and_b64 s[42:43], s[14:15], s[42:43]
	s_mov_b64 exec, s[42:43]
; %bb.274:                              ;   in Loop: Header=BB30_32 Depth=1
	v_mov_b64_e32 v[4:5], s[12:13]
	ds_write_b64 v19, v[4:5] offset:5128
; %bb.275:                              ;   in Loop: Header=BB30_32 Depth=1
	s_or_b64 exec, exec, s[14:15]
	s_waitcnt lgkmcnt(0)
	s_barrier
.LBB30_276:                             ;   in Loop: Header=BB30_32 Depth=1
	s_andn2_saveexec_b64 s[14:15], s[24:25]
; %bb.277:                              ;   in Loop: Header=BB30_32 Depth=1
	v_mov_b32_e32 v3, s13
	v_subrev_co_u32_e32 v10, vcc, s12, v10
	s_nop 1
	v_subb_co_u32_e32 v11, vcc, v11, v3, vcc
; %bb.278:                              ;   in Loop: Header=BB30_32 Depth=1
	s_or_b64 exec, exec, s[14:15]
	v_mov_b32_e32 v18, 8
	v_mov_b64_e32 v[4:5], v[10:11]
.LBB30_279:                             ;   in Loop: Header=BB30_32 Depth=1
	s_or_b64 exec, exec, s[8:9]
	s_mov_b64 s[42:43], exec
	v_mov_b64_e32 v[10:11], v[4:5]
.LBB30_280:                             ;   in Loop: Header=BB30_32 Depth=1
	s_or_b64 exec, exec, s[6:7]
	s_orn2_b64 s[6:7], s[42:43], exec
.LBB30_281:                             ;   in Loop: Header=BB30_32 Depth=1
	s_or_b64 exec, exec, s[22:23]
	s_andn2_b64 s[8:9], s[38:39], exec
	s_and_b64 s[0:1], s[0:1], exec
	s_or_b64 s[38:39], s[8:9], s[0:1]
	s_andn2_b64 s[0:1], s[36:37], exec
	s_and_b64 s[8:9], s[46:47], exec
	s_or_b64 s[36:37], s[0:1], s[8:9]
	s_and_b64 s[6:7], s[6:7], exec
	v_mov_b64_e32 v[8:9], v[10:11]
.LBB30_282:                             ;   in Loop: Header=BB30_32 Depth=1
	s_or_b64 exec, exec, s[40:41]
	s_orn2_b64 s[0:1], s[6:7], exec
.LBB30_283:                             ;   in Loop: Header=BB30_32 Depth=1
	s_or_b64 exec, exec, s[34:35]
	s_andn2_b64 s[6:7], s[26:27], exec
	s_and_b64 s[8:9], s[38:39], exec
	s_or_b64 s[26:27], s[6:7], s[8:9]
	s_andn2_b64 s[2:3], s[2:3], exec
	s_and_b64 s[6:7], s[36:37], exec
	s_or_b64 s[2:3], s[2:3], s[6:7]
	s_and_b64 s[6:7], s[0:1], exec
	v_mov_b64_e32 v[12:13], v[8:9]
.LBB30_284:                             ;   in Loop: Header=BB30_32 Depth=1
	s_or_b64 exec, exec, s[30:31]
	s_orn2_b64 s[0:1], s[6:7], exec
.LBB30_285:                             ;   in Loop: Header=BB30_32 Depth=1
	s_or_b64 exec, exec, s[20:21]
	s_mov_b64 s[6:7], 0
	s_and_saveexec_b64 s[8:9], s[0:1]
	s_xor_b64 s[0:1], exec, s[8:9]
	s_cbranch_execz .LBB30_30
; %bb.286:                              ;   in Loop: Header=BB30_32 Depth=1
	v_and_b32_e32 v3, 7, v18
	v_cmp_eq_u32_e32 vcc, 0, v3
	s_mov_b64 s[8:9], -1
	s_mov_b64 s[6:7], -1
	s_and_saveexec_b64 s[12:13], vcc
	s_cbranch_execz .LBB30_29
; %bb.287:                              ;   in Loop: Header=BB30_32 Depth=1
	s_xor_b32 s44, s44, 1
	s_add_i32 s14, s91, -2
	s_cmp_eq_u32 s91, 0
	s_cselect_b64 s[8:9], -1, 0
	s_xor_b64 s[6:7], exec, -1
	s_orn2_b64 s[8:9], s[8:9], exec
	s_mov_b32 s91, s14
	s_branch .LBB30_29
.LBB30_288:                             ;   in Loop: Header=BB30_32 Depth=1
	s_mov_b32 s69, s81
                                        ; implicit-def: $sgpr6_sgpr7
	s_andn2_b64 vcc, exec, s[8:9]
	s_cbranch_vccz .LBB30_241
	s_branch .LBB30_242
.LBB30_289:                             ;   in Loop: Header=BB30_32 Depth=1
                                        ; implicit-def: $sgpr8_sgpr9
	s_branch .LBB30_257
.LBB30_290:
	s_or_b64 exec, exec, s[10:11]
	s_xor_b64 s[6:7], s[82:83], -1
	s_xor_b64 s[0:1], s[58:59], -1
	;; [unrolled: 1-line block ×3, first 2 shown]
	s_mov_b64 s[2:3], 0
	s_and_saveexec_b64 s[8:9], s[0:1]
	s_xor_b64 s[0:1], exec, s[8:9]
	s_cbranch_execnz .LBB30_295
; %bb.291:
	s_andn2_saveexec_b64 s[0:1], s[0:1]
	s_cbranch_execnz .LBB30_317
.LBB30_292:
	s_or_b64 exec, exec, s[0:1]
	s_and_saveexec_b64 s[0:1], s[2:3]
.LBB30_293:
	; divergent unreachable
.LBB30_294:
	s_endpgm
.LBB30_295:
	s_and_saveexec_b64 s[2:3], s[6:7]
	s_xor_b64 s[2:3], exec, s[2:3]
	s_cbranch_execz .LBB30_315
; %bb.296:
	s_and_saveexec_b64 s[6:7], s[4:5]
	s_xor_b64 s[4:5], exec, s[6:7]
; %bb.297:
	v_xor_b32_e32 v31, 0x80000000, v31
	v_mov_b64_e32 v[6:7], v[30:31]
; %bb.298:
	s_or_b64 exec, exec, s[4:5]
	s_mov_b64 s[4:5], exec
	v_readlane_b32 s6, v68, 32
	v_readlane_b32 s7, v68, 33
	;; [unrolled: 1-line block ×4, first 2 shown]
	s_and_b64 s[6:7], s[4:5], s[6:7]
	v_readlane_b32 s24, v68, 34
	v_readlane_b32 s29, v68, 25
	;; [unrolled: 1-line block ×6, first 2 shown]
	s_mov_b64 exec, s[6:7]
; %bb.299:
	v_mov_b32_e32 v2, 0
	v_mov_b32_e32 v3, s56
	ds_write_b32 v2, v3 offset:5140
; %bb.300:
	s_or_b64 exec, exec, s[4:5]
	s_waitcnt lgkmcnt(0)
	s_barrier
	s_mov_b64 s[4:5], exec
	v_readlane_b32 s6, v68, 42
	v_readlane_b32 s7, v68, 43
	s_and_b64 s[6:7], s[4:5], s[6:7]
	s_mov_b64 exec, s[6:7]
	s_cbranch_execz .LBB30_312
; %bb.301:
	v_mov_b32_e32 v2, 0
	ds_read_b32 v4, v2 offset:5140
	s_mov_b64 s[6:7], 0
                                        ; implicit-def: $sgpr8_sgpr9
                                        ; implicit-def: $sgpr10_sgpr11
                                        ; implicit-def: $sgpr12_sgpr13
	s_waitcnt lgkmcnt(0)
	v_ashrrev_i32_e32 v5, 31, v4
	s_branch .LBB30_304
.LBB30_302:                             ;   in Loop: Header=BB30_304 Depth=1
	s_or_b64 exec, exec, s[20:21]
	s_andn2_b64 s[12:13], s[12:13], exec
	s_and_b64 s[18:19], s[18:19], exec
	s_andn2_b64 s[10:11], s[10:11], exec
	s_and_b64 s[16:17], s[16:17], exec
	s_or_b64 s[12:13], s[12:13], s[18:19]
	s_or_b64 s[10:11], s[10:11], s[16:17]
.LBB30_303:                             ;   in Loop: Header=BB30_304 Depth=1
	s_or_b64 exec, exec, s[14:15]
	s_and_b64 s[14:15], exec, s[10:11]
	s_or_b64 s[6:7], s[14:15], s[6:7]
	s_andn2_b64 s[8:9], s[8:9], exec
	s_and_b64 s[14:15], s[12:13], exec
	s_or_b64 s[8:9], s[8:9], s[14:15]
	s_andn2_b64 exec, exec, s[6:7]
	s_cbranch_execz .LBB30_307
.LBB30_304:                             ; =>This Inner Loop Header: Depth=1
	v_mov_b64_e32 v[2:3], v[0:1]
	v_cmp_lt_i64_e32 vcc, v[2:3], v[4:5]
	s_or_b64 s[12:13], s[12:13], exec
	s_or_b64 s[10:11], s[10:11], exec
                                        ; implicit-def: $vgpr0_vgpr1
	s_and_saveexec_b64 s[14:15], vcc
	s_cbranch_execz .LBB30_303
; %bb.305:                              ;   in Loop: Header=BB30_304 Depth=1
	global_load_dwordx2 v[0:1], v[16:17], off
	s_mov_b64 s[16:17], -1
	s_mov_b64 s[18:19], 0
	s_waitcnt vmcnt(0)
	v_cmp_ne_u64_e32 vcc, v[0:1], v[6:7]
                                        ; implicit-def: $vgpr0_vgpr1
	s_and_saveexec_b64 s[20:21], vcc
	s_cbranch_execz .LBB30_302
; %bb.306:                              ;   in Loop: Header=BB30_304 Depth=1
	v_lshl_add_u64 v[0:1], v[2:3], 0, s[94:95]
	v_cmp_le_i64_e32 vcc, s[56:57], v[0:1]
	s_mov_b64 s[18:19], exec
	v_lshl_add_u64 v[16:17], v[16:17], 0, s[78:79]
	s_orn2_b64 s[16:17], vcc, exec
	s_branch .LBB30_302
.LBB30_307:
	s_or_b64 exec, exec, s[6:7]
	s_xor_b64 s[6:7], s[8:9], -1
	s_and_saveexec_b64 s[8:9], s[6:7]
	s_xor_b64 s[8:9], exec, s[8:9]
	s_cbranch_execz .LBB30_312
; %bb.308:
	s_mov_b64 s[6:7], exec
	s_brev_b32 s8, -2
.LBB30_309:                             ; =>This Inner Loop Header: Depth=1
	s_ff1_i32_b64 s9, s[6:7]
	v_readlane_b32 s12, v2, s9
	s_lshl_b64 s[10:11], 1, s9
	s_min_i32 s8, s8, s12
	s_andn2_b64 s[6:7], s[6:7], s[10:11]
	s_cmp_lg_u64 s[6:7], 0
	s_cbranch_scc1 .LBB30_309
; %bb.310:
	v_mbcnt_lo_u32_b32 v0, exec_lo, 0
	v_mbcnt_hi_u32_b32 v0, exec_hi, v0
	v_cmp_eq_u32_e32 vcc, 0, v0
	s_and_saveexec_b64 s[6:7], vcc
	s_xor_b64 s[6:7], exec, s[6:7]
; %bb.311:
	v_mov_b32_e32 v0, 0
	v_mov_b32_e32 v1, s8
	ds_min_i32 v0, v1 offset:5140
.LBB30_312:
	s_or_b64 exec, exec, s[4:5]
	s_waitcnt lgkmcnt(0)
	s_barrier
	s_mov_b64 s[4:5], exec
	v_readlane_b32 s6, v68, 32
	v_readlane_b32 s7, v68, 33
	s_and_b64 s[6:7], s[4:5], s[6:7]
	s_mov_b64 exec, s[6:7]
	s_cbranch_execz .LBB30_314
; %bb.313:
	s_mul_i32 s6, s26, s31
	s_mul_hi_u32 s7, s26, s30
	s_add_i32 s6, s7, s6
	s_mul_i32 s7, s27, s30
	s_add_i32 s6, s6, s7
	s_mul_i32 s7, s26, s30
	v_readlane_b32 s10, v68, 8
	s_sub_u32 s8, s24, s7
	v_readlane_b32 s11, v68, 9
	s_subb_u32 s6, 0, s6
	s_mul_i32 s7, s8, s11
	s_mul_hi_u32 s9, s8, s10
	v_readlane_b32 s12, v68, 0
	s_add_i32 s7, s9, s7
	s_mul_i32 s6, s6, s10
	v_readlane_b32 s13, v68, 1
	v_readlane_b32 s18, v68, 6
	s_add_i32 s7, s7, s6
	s_mul_i32 s6, s8, s10
	v_readlane_b32 s19, v68, 7
	s_mul_i32 s8, s18, s13
	s_mul_hi_u32 s9, s18, s12
	s_add_i32 s8, s9, s8
	s_mul_i32 s9, s19, s12
	s_add_i32 s8, s8, s9
	s_mul_i32 s9, s18, s12
	v_readlane_b32 s16, v68, 4
	v_readlane_b32 s20, v68, 16
	;; [unrolled: 1-line block ×3, first 2 shown]
	s_sub_u32 s10, s16, s9
	v_readlane_b32 s22, v68, 18
	v_readlane_b32 s23, v68, 19
	s_subb_u32 s8, s17, s8
	s_mul_i32 s9, s10, s23
	s_mul_hi_u32 s11, s10, s22
	v_readlane_b32 s14, v68, 2
	v_readlane_b32 s15, v68, 3
	;; [unrolled: 1-line block ×3, first 2 shown]
	s_add_i32 s9, s11, s9
	s_mul_i32 s8, s8, s22
	s_add_i32 s9, s9, s8
	s_mul_i32 s8, s10, s22
	s_mul_i32 s10, s18, s21
	s_mul_hi_u32 s11, s18, s20
	s_mul_i32 s12, s16, s15
	s_mul_hi_u32 s13, s16, s14
	s_add_i32 s10, s11, s10
	s_mul_i32 s11, s19, s20
	s_add_i32 s12, s13, s12
	s_mul_i32 s13, s17, s14
	s_add_i32 s11, s10, s11
	s_add_i32 s12, s12, s13
	s_mul_i32 s13, s16, s14
	v_readlane_b32 s16, v68, 14
	s_sub_u32 s14, s24, s13
	v_readlane_b32 s17, v68, 15
	s_subb_u32 s12, 0, s12
	s_mul_i32 s13, s14, s17
	s_mul_hi_u32 s15, s14, s16
	s_mul_i32 s10, s18, s20
	s_add_i32 s13, s15, s13
	s_mul_i32 s12, s12, s16
	v_readlane_b32 s18, v68, 20
	s_add_i32 s13, s13, s12
	s_mul_i32 s12, s14, s16
	v_readlane_b32 s19, v68, 21
	s_mul_i32 s14, s18, s29
	s_mul_hi_u32 s15, s18, s28
	s_add_i32 s14, s15, s14
	s_mul_i32 s15, s19, s28
	s_add_i32 s14, s14, s15
	s_mul_i32 s15, s18, s28
	v_readlane_b32 s20, v68, 10
	s_sub_u32 s16, s26, s15
	v_readlane_b32 s22, v68, 12
	v_readlane_b32 s23, v68, 13
	s_subb_u32 s14, s27, s14
	s_mul_i32 s15, s16, s23
	s_mul_hi_u32 s17, s16, s22
	v_readlane_b32 s21, v68, 11
	s_add_i32 s15, s17, s15
	s_mul_i32 s14, s14, s22
	s_add_i32 s15, s15, s14
	s_mul_i32 s14, s16, s22
	s_mul_i32 s16, s18, s21
	s_mul_hi_u32 s17, s18, s20
	s_add_i32 s16, s17, s16
	s_mul_i32 s17, s19, s20
	s_add_i32 s17, s16, s17
	s_mul_i32 s16, s18, s20
	s_lshl_b64 s[10:11], s[10:11], 3
	v_readlane_b32 s18, v68, 30
	v_readlane_b32 s19, v68, 31
	s_add_u32 s10, s18, s10
	s_addc_u32 s11, s19, s11
	s_lshl_b64 s[8:9], s[8:9], 3
	s_add_u32 s10, s10, s8
	s_addc_u32 s11, s11, s9
	s_lshl_b64 s[8:9], s[12:13], 3
	;; [unrolled: 3-line block ×3, first 2 shown]
	v_readlane_b32 s12, v68, 28
	v_mov_b32_e32 v2, 0
	v_readlane_b32 s13, v68, 29
	s_add_u32 s12, s12, s10
	ds_read_b32 v0, v2 offset:5140
	s_addc_u32 s13, s13, s11
	s_lshl_b64 s[10:11], s[14:15], 3
	s_add_u32 s10, s12, s10
	s_addc_u32 s11, s13, s11
	s_lshl_b64 s[6:7], s[6:7], 3
	s_add_u32 s6, s10, s6
	s_addc_u32 s7, s11, s7
	s_waitcnt lgkmcnt(0)
	v_ashrrev_i32_e32 v1, 31, v0
	global_store_dwordx2 v2, v[0:1], s[6:7]
	global_store_dwordx2 v2, v[6:7], s[8:9]
.LBB30_314:
	s_or_b64 exec, exec, s[4:5]
.LBB30_315:
	s_or_saveexec_b64 s[2:3], s[2:3]
	s_mov_b64 s[4:5], 0
	s_xor_b64 exec, exec, s[2:3]
	s_cbranch_execnz .LBB30_318
.LBB30_316:
	s_or_b64 exec, exec, s[2:3]
	s_and_b64 s[2:3], s[4:5], exec
	s_andn2_saveexec_b64 s[0:1], s[0:1]
	s_cbranch_execz .LBB30_292
.LBB30_317:
	s_or_b64 s[2:3], s[2:3], exec
	s_trap 2
	s_or_b64 exec, exec, s[0:1]
	s_and_saveexec_b64 s[0:1], s[2:3]
	s_cbranch_execnz .LBB30_293
	s_branch .LBB30_294
.LBB30_318:
	s_mov_b64 s[4:5], exec
	s_trap 2
	s_branch .LBB30_316
	.section	.rodata,"a",@progbits
	.p2align	6, 0x0
	.amdhsa_kernel _ZN2at6native12_GLOBAL__N_114gatherKthValueIllLi3EEEvNS_4cuda6detail10TensorInfoIKT_T0_EES8_S8_S8_S8_NS5_IS6_S8_EENS5_IlS8_EE
		.amdhsa_group_segment_fixed_size 5144
		.amdhsa_private_segment_fixed_size 0
		.amdhsa_kernarg_size 1536
		.amdhsa_user_sgpr_count 2
		.amdhsa_user_sgpr_dispatch_ptr 0
		.amdhsa_user_sgpr_queue_ptr 0
		.amdhsa_user_sgpr_kernarg_segment_ptr 1
		.amdhsa_user_sgpr_dispatch_id 0
		.amdhsa_user_sgpr_kernarg_preload_length 0
		.amdhsa_user_sgpr_kernarg_preload_offset 0
		.amdhsa_user_sgpr_private_segment_size 0
		.amdhsa_uses_dynamic_stack 0
		.amdhsa_enable_private_segment 0
		.amdhsa_system_sgpr_workgroup_id_x 1
		.amdhsa_system_sgpr_workgroup_id_y 1
		.amdhsa_system_sgpr_workgroup_id_z 1
		.amdhsa_system_sgpr_workgroup_info 0
		.amdhsa_system_vgpr_workitem_id 0
		.amdhsa_next_free_vgpr 69
		.amdhsa_next_free_sgpr 100
		.amdhsa_accum_offset 72
		.amdhsa_reserve_vcc 1
		.amdhsa_float_round_mode_32 0
		.amdhsa_float_round_mode_16_64 0
		.amdhsa_float_denorm_mode_32 3
		.amdhsa_float_denorm_mode_16_64 3
		.amdhsa_dx10_clamp 1
		.amdhsa_ieee_mode 1
		.amdhsa_fp16_overflow 0
		.amdhsa_tg_split 0
		.amdhsa_exception_fp_ieee_invalid_op 0
		.amdhsa_exception_fp_denorm_src 0
		.amdhsa_exception_fp_ieee_div_zero 0
		.amdhsa_exception_fp_ieee_overflow 0
		.amdhsa_exception_fp_ieee_underflow 0
		.amdhsa_exception_fp_ieee_inexact 0
		.amdhsa_exception_int_div_zero 0
	.end_amdhsa_kernel
	.section	.text._ZN2at6native12_GLOBAL__N_114gatherKthValueIllLi3EEEvNS_4cuda6detail10TensorInfoIKT_T0_EES8_S8_S8_S8_NS5_IS6_S8_EENS5_IlS8_EE,"axG",@progbits,_ZN2at6native12_GLOBAL__N_114gatherKthValueIllLi3EEEvNS_4cuda6detail10TensorInfoIKT_T0_EES8_S8_S8_S8_NS5_IS6_S8_EENS5_IlS8_EE,comdat
.Lfunc_end30:
	.size	_ZN2at6native12_GLOBAL__N_114gatherKthValueIllLi3EEEvNS_4cuda6detail10TensorInfoIKT_T0_EES8_S8_S8_S8_NS5_IS6_S8_EENS5_IlS8_EE, .Lfunc_end30-_ZN2at6native12_GLOBAL__N_114gatherKthValueIllLi3EEEvNS_4cuda6detail10TensorInfoIKT_T0_EES8_S8_S8_S8_NS5_IS6_S8_EENS5_IlS8_EE
                                        ; -- End function
	.set _ZN2at6native12_GLOBAL__N_114gatherKthValueIllLi3EEEvNS_4cuda6detail10TensorInfoIKT_T0_EES8_S8_S8_S8_NS5_IS6_S8_EENS5_IlS8_EE.num_vgpr, 69
	.set _ZN2at6native12_GLOBAL__N_114gatherKthValueIllLi3EEEvNS_4cuda6detail10TensorInfoIKT_T0_EES8_S8_S8_S8_NS5_IS6_S8_EENS5_IlS8_EE.num_agpr, 0
	.set _ZN2at6native12_GLOBAL__N_114gatherKthValueIllLi3EEEvNS_4cuda6detail10TensorInfoIKT_T0_EES8_S8_S8_S8_NS5_IS6_S8_EENS5_IlS8_EE.numbered_sgpr, 100
	.set _ZN2at6native12_GLOBAL__N_114gatherKthValueIllLi3EEEvNS_4cuda6detail10TensorInfoIKT_T0_EES8_S8_S8_S8_NS5_IS6_S8_EENS5_IlS8_EE.num_named_barrier, 0
	.set _ZN2at6native12_GLOBAL__N_114gatherKthValueIllLi3EEEvNS_4cuda6detail10TensorInfoIKT_T0_EES8_S8_S8_S8_NS5_IS6_S8_EENS5_IlS8_EE.private_seg_size, 0
	.set _ZN2at6native12_GLOBAL__N_114gatherKthValueIllLi3EEEvNS_4cuda6detail10TensorInfoIKT_T0_EES8_S8_S8_S8_NS5_IS6_S8_EENS5_IlS8_EE.uses_vcc, 1
	.set _ZN2at6native12_GLOBAL__N_114gatherKthValueIllLi3EEEvNS_4cuda6detail10TensorInfoIKT_T0_EES8_S8_S8_S8_NS5_IS6_S8_EENS5_IlS8_EE.uses_flat_scratch, 0
	.set _ZN2at6native12_GLOBAL__N_114gatherKthValueIllLi3EEEvNS_4cuda6detail10TensorInfoIKT_T0_EES8_S8_S8_S8_NS5_IS6_S8_EENS5_IlS8_EE.has_dyn_sized_stack, 0
	.set _ZN2at6native12_GLOBAL__N_114gatherKthValueIllLi3EEEvNS_4cuda6detail10TensorInfoIKT_T0_EES8_S8_S8_S8_NS5_IS6_S8_EENS5_IlS8_EE.has_recursion, 0
	.set _ZN2at6native12_GLOBAL__N_114gatherKthValueIllLi3EEEvNS_4cuda6detail10TensorInfoIKT_T0_EES8_S8_S8_S8_NS5_IS6_S8_EENS5_IlS8_EE.has_indirect_call, 0
	.section	.AMDGPU.csdata,"",@progbits
; Kernel info:
; codeLenInByte = 20876
; TotalNumSgprs: 106
; NumVgprs: 69
; NumAgprs: 0
; TotalNumVgprs: 69
; ScratchSize: 0
; MemoryBound: 0
; FloatMode: 240
; IeeeMode: 1
; LDSByteSize: 5144 bytes/workgroup (compile time only)
; SGPRBlocks: 13
; VGPRBlocks: 8
; NumSGPRsForWavesPerEU: 106
; NumVGPRsForWavesPerEU: 69
; AccumOffset: 72
; Occupancy: 7
; WaveLimiterHint : 1
; COMPUTE_PGM_RSRC2:SCRATCH_EN: 0
; COMPUTE_PGM_RSRC2:USER_SGPR: 2
; COMPUTE_PGM_RSRC2:TRAP_HANDLER: 0
; COMPUTE_PGM_RSRC2:TGID_X_EN: 1
; COMPUTE_PGM_RSRC2:TGID_Y_EN: 1
; COMPUTE_PGM_RSRC2:TGID_Z_EN: 1
; COMPUTE_PGM_RSRC2:TIDIG_COMP_CNT: 0
; COMPUTE_PGM_RSRC3_GFX90A:ACCUM_OFFSET: 17
; COMPUTE_PGM_RSRC3_GFX90A:TG_SPLIT: 0
	.section	.text._ZN2at6native12_GLOBAL__N_114gatherKthValueIllLin1EEEvNS_4cuda6detail10TensorInfoIKT_T0_EES8_S8_S8_S8_NS5_IS6_S8_EENS5_IlS8_EE,"axG",@progbits,_ZN2at6native12_GLOBAL__N_114gatherKthValueIllLin1EEEvNS_4cuda6detail10TensorInfoIKT_T0_EES8_S8_S8_S8_NS5_IS6_S8_EENS5_IlS8_EE,comdat
	.globl	_ZN2at6native12_GLOBAL__N_114gatherKthValueIllLin1EEEvNS_4cuda6detail10TensorInfoIKT_T0_EES8_S8_S8_S8_NS5_IS6_S8_EENS5_IlS8_EE ; -- Begin function _ZN2at6native12_GLOBAL__N_114gatherKthValueIllLin1EEEvNS_4cuda6detail10TensorInfoIKT_T0_EES8_S8_S8_S8_NS5_IS6_S8_EENS5_IlS8_EE
	.p2align	8
	.type	_ZN2at6native12_GLOBAL__N_114gatherKthValueIllLin1EEEvNS_4cuda6detail10TensorInfoIKT_T0_EES8_S8_S8_S8_NS5_IS6_S8_EENS5_IlS8_EE,@function
_ZN2at6native12_GLOBAL__N_114gatherKthValueIllLin1EEEvNS_4cuda6detail10TensorInfoIKT_T0_EES8_S8_S8_S8_NS5_IS6_S8_EENS5_IlS8_EE: ; @_ZN2at6native12_GLOBAL__N_114gatherKthValueIllLin1EEEvNS_4cuda6detail10TensorInfoIKT_T0_EES8_S8_S8_S8_NS5_IS6_S8_EENS5_IlS8_EE
; %bb.0:
	s_load_dwordx2 s[12:13], s[0:1], 0x500
	s_load_dwordx8 s[56:63], s[0:1], 0x1a0
	s_add_u32 s10, s0, 0x500
	s_addc_u32 s11, s1, 0
	s_mov_b32 s7, 0
	s_waitcnt lgkmcnt(0)
	s_mul_i32 s4, s13, s4
	s_add_i32 s3, s4, s3
	s_mul_i32 s3, s3, s12
	s_add_i32 s6, s3, s2
	v_mov_b64_e32 v[2:3], s[6:7]
	v_cmp_le_i64_e32 vcc, s[60:61], v[2:3]
	s_cbranch_vccnz .LBB31_298
; %bb.1:
	s_load_dword s13, s[0:1], 0x198
	s_mov_b64 s[4:5], 0
	s_mov_b64 s[8:9], s[6:7]
	s_waitcnt lgkmcnt(0)
	s_cmp_lt_i32 s13, 2
	s_cbranch_scc1 .LBB31_9
; %bb.2:
	s_mov_b32 s14, 0
	s_add_i32 s4, s13, -1
	s_mov_b32 s5, s14
	s_add_i32 s3, s13, 1
	s_lshl_b64 s[4:5], s[4:5], 3
	s_add_u32 s4, s0, s4
	s_addc_u32 s5, s1, s5
	s_add_u32 s16, s4, 8
	s_addc_u32 s17, s5, 0
	s_mov_b64 s[4:5], 0
	s_mov_b64 s[18:19], s[6:7]
.LBB31_3:                               ; =>This Inner Loop Header: Depth=1
	s_load_dwordx2 s[20:21], s[16:17], 0x0
	s_waitcnt lgkmcnt(0)
	s_or_b64 s[8:9], s[18:19], s[20:21]
	s_mov_b32 s15, s9
	s_cmp_lg_u64 s[14:15], 0
	s_cbranch_scc0 .LBB31_8
; %bb.4:                                ;   in Loop: Header=BB31_3 Depth=1
	s_ashr_i32 s8, s21, 31
	s_add_u32 s22, s20, s8
	s_mov_b32 s9, s8
	s_addc_u32 s23, s21, s8
	s_xor_b64 s[22:23], s[22:23], s[8:9]
	v_cvt_f32_u32_e32 v1, s22
	v_cvt_f32_u32_e32 v2, s23
	s_sub_u32 s13, 0, s22
	s_subb_u32 s15, 0, s23
	v_fmac_f32_e32 v1, 0x4f800000, v2
	v_rcp_f32_e32 v1, v1
	s_nop 0
	v_mul_f32_e32 v1, 0x5f7ffffc, v1
	v_mul_f32_e32 v2, 0x2f800000, v1
	v_trunc_f32_e32 v2, v2
	v_fmac_f32_e32 v1, 0xcf800000, v2
	v_cvt_u32_f32_e32 v2, v2
	v_cvt_u32_f32_e32 v1, v1
	v_readfirstlane_b32 s26, v2
	v_readfirstlane_b32 s24, v1
	s_mul_i32 s25, s13, s26
	s_mul_hi_u32 s28, s13, s24
	s_mul_i32 s27, s15, s24
	s_add_i32 s25, s28, s25
	s_add_i32 s25, s25, s27
	s_mul_i32 s29, s13, s24
	s_mul_i32 s28, s24, s25
	s_mul_hi_u32 s30, s24, s29
	s_mul_hi_u32 s27, s24, s25
	s_add_u32 s28, s30, s28
	s_addc_u32 s27, 0, s27
	s_mul_hi_u32 s31, s26, s29
	s_mul_i32 s29, s26, s29
	s_add_u32 s28, s28, s29
	s_mul_hi_u32 s30, s26, s25
	s_addc_u32 s27, s27, s31
	s_addc_u32 s28, s30, 0
	s_mul_i32 s25, s26, s25
	s_add_u32 s25, s27, s25
	s_addc_u32 s27, 0, s28
	s_add_u32 s28, s24, s25
	s_cselect_b64 s[24:25], -1, 0
	s_cmp_lg_u64 s[24:25], 0
	s_addc_u32 s26, s26, s27
	s_mul_i32 s24, s13, s26
	s_mul_hi_u32 s25, s13, s28
	s_add_i32 s24, s25, s24
	s_mul_i32 s15, s15, s28
	s_add_i32 s24, s24, s15
	s_mul_i32 s13, s13, s28
	s_mul_hi_u32 s25, s26, s13
	s_mul_i32 s27, s26, s13
	s_mul_i32 s30, s28, s24
	s_mul_hi_u32 s13, s28, s13
	s_mul_hi_u32 s29, s28, s24
	s_add_u32 s13, s13, s30
	s_addc_u32 s29, 0, s29
	s_add_u32 s13, s13, s27
	s_mul_hi_u32 s15, s26, s24
	s_addc_u32 s13, s29, s25
	s_addc_u32 s15, s15, 0
	s_mul_i32 s24, s26, s24
	s_add_u32 s13, s13, s24
	s_addc_u32 s15, 0, s15
	s_add_u32 s13, s28, s13
	s_cselect_b64 s[24:25], -1, 0
	s_cmp_lg_u64 s[24:25], 0
	s_addc_u32 s15, s26, s15
	s_ashr_i32 s24, s19, 31
	s_add_u32 s26, s18, s24
	s_mov_b32 s25, s24
	s_addc_u32 s27, s19, s24
	s_xor_b64 s[26:27], s[26:27], s[24:25]
	s_mul_i32 s29, s26, s15
	s_mul_hi_u32 s30, s26, s13
	s_mul_hi_u32 s28, s26, s15
	s_add_u32 s29, s30, s29
	s_addc_u32 s28, 0, s28
	s_mul_hi_u32 s31, s27, s13
	s_mul_i32 s13, s27, s13
	s_add_u32 s13, s29, s13
	s_mul_hi_u32 s30, s27, s15
	s_addc_u32 s13, s28, s31
	s_addc_u32 s28, s30, 0
	s_mul_i32 s15, s27, s15
	s_add_u32 s13, s13, s15
	s_addc_u32 s15, 0, s28
	s_mul_i32 s28, s22, s15
	s_mul_hi_u32 s29, s22, s13
	s_add_i32 s28, s29, s28
	s_mul_i32 s29, s23, s13
	s_add_i32 s33, s28, s29
	s_sub_i32 s30, s27, s33
	s_mul_i32 s28, s22, s13
	s_sub_u32 s26, s26, s28
	s_cselect_b64 s[28:29], -1, 0
	s_cmp_lg_u64 s[28:29], 0
	s_subb_u32 s34, s30, s23
	s_sub_u32 s35, s26, s22
	s_cselect_b64 s[30:31], -1, 0
	s_cmp_lg_u64 s[30:31], 0
	s_subb_u32 s30, s34, 0
	s_cmp_ge_u32 s30, s23
	s_cselect_b32 s31, -1, 0
	s_cmp_ge_u32 s35, s22
	s_cselect_b32 s34, -1, 0
	s_cmp_eq_u32 s30, s23
	s_cselect_b32 s30, s34, s31
	s_add_u32 s31, s13, 1
	s_addc_u32 s34, s15, 0
	s_add_u32 s35, s13, 2
	s_addc_u32 s36, s15, 0
	s_cmp_lg_u32 s30, 0
	s_cselect_b32 s30, s35, s31
	s_cselect_b32 s31, s36, s34
	s_cmp_lg_u64 s[28:29], 0
	s_subb_u32 s27, s27, s33
	s_cmp_ge_u32 s27, s23
	s_cselect_b32 s28, -1, 0
	s_cmp_ge_u32 s26, s22
	s_cselect_b32 s22, -1, 0
	s_cmp_eq_u32 s27, s23
	s_cselect_b32 s22, s22, s28
	s_cmp_lg_u32 s22, 0
	s_cselect_b32 s23, s31, s15
	s_cselect_b32 s22, s30, s13
	s_xor_b64 s[8:9], s[24:25], s[8:9]
	s_xor_b64 s[22:23], s[22:23], s[8:9]
	s_sub_u32 s8, s22, s8
	s_subb_u32 s9, s23, s9
	s_cbranch_execnz .LBB31_6
.LBB31_5:                               ;   in Loop: Header=BB31_3 Depth=1
	v_cvt_f32_u32_e32 v1, s20
	s_sub_i32 s8, 0, s20
	v_rcp_iflag_f32_e32 v1, v1
	s_nop 0
	v_mul_f32_e32 v1, 0x4f7ffffe, v1
	v_cvt_u32_f32_e32 v1, v1
	s_nop 0
	v_readfirstlane_b32 s9, v1
	s_mul_i32 s8, s8, s9
	s_mul_hi_u32 s8, s9, s8
	s_add_i32 s9, s9, s8
	s_mul_hi_u32 s8, s18, s9
	s_mul_i32 s13, s8, s20
	s_sub_i32 s13, s18, s13
	s_add_i32 s9, s8, 1
	s_sub_i32 s15, s13, s20
	s_cmp_ge_u32 s13, s20
	s_cselect_b32 s8, s9, s8
	s_cselect_b32 s13, s15, s13
	s_add_i32 s9, s8, 1
	s_cmp_ge_u32 s13, s20
	s_cselect_b32 s8, s9, s8
	s_mov_b32 s9, s14
.LBB31_6:                               ;   in Loop: Header=BB31_3 Depth=1
	s_mul_i32 s13, s8, s21
	s_mul_hi_u32 s15, s8, s20
	s_load_dwordx2 s[22:23], s[16:17], 0xc8
	s_add_i32 s13, s15, s13
	s_mul_i32 s15, s9, s20
	s_add_i32 s13, s13, s15
	s_mul_i32 s15, s8, s20
	s_sub_u32 s15, s18, s15
	s_subb_u32 s13, s19, s13
	s_waitcnt lgkmcnt(0)
	s_mul_i32 s13, s22, s13
	s_mul_hi_u32 s18, s22, s15
	s_add_i32 s13, s18, s13
	s_mul_i32 s18, s23, s15
	s_add_i32 s13, s13, s18
	s_mul_i32 s15, s22, s15
	s_add_u32 s4, s15, s4
	s_addc_u32 s5, s13, s5
	s_add_i32 s3, s3, -1
	s_add_u32 s16, s16, -8
	s_addc_u32 s17, s17, -1
	s_cmp_gt_u32 s3, 2
	s_cbranch_scc0 .LBB31_9
; %bb.7:                                ;   in Loop: Header=BB31_3 Depth=1
	s_mov_b64 s[18:19], s[8:9]
	s_branch .LBB31_3
.LBB31_8:                               ;   in Loop: Header=BB31_3 Depth=1
                                        ; implicit-def: $sgpr8_sgpr9
	s_branch .LBB31_5
.LBB31_9:
	s_load_dword s13, s[0:1], 0x358
	s_load_dwordx2 s[14:15], s[0:1], 0xd0
	s_add_u32 s16, s0, 0x1c0
	s_addc_u32 s17, s1, 0
	s_mov_b64 s[54:55], 0
	s_waitcnt lgkmcnt(0)
	s_cmp_lt_i32 s13, 2
	s_mov_b64 s[60:61], s[6:7]
	s_cbranch_scc1 .LBB31_17
; %bb.10:
	s_mov_b32 s18, 0
	s_add_i32 s20, s13, -1
	s_mov_b32 s21, s18
	s_add_i32 s3, s13, 1
	s_lshl_b64 s[20:21], s[20:21], 3
	s_add_u32 s13, s16, s20
	s_addc_u32 s19, s17, s21
	s_add_u32 s20, s13, 8
	s_addc_u32 s21, s19, 0
	s_mov_b64 s[22:23], s[6:7]
.LBB31_11:                              ; =>This Inner Loop Header: Depth=1
	s_load_dwordx2 s[24:25], s[20:21], 0x0
	s_waitcnt lgkmcnt(0)
	s_or_b64 s[26:27], s[22:23], s[24:25]
	s_mov_b32 s19, s27
	s_cmp_lg_u64 s[18:19], 0
	s_cbranch_scc0 .LBB31_16
; %bb.12:                               ;   in Loop: Header=BB31_11 Depth=1
	s_ashr_i32 s26, s25, 31
	s_add_u32 s28, s24, s26
	s_mov_b32 s27, s26
	s_addc_u32 s29, s25, s26
	s_xor_b64 s[28:29], s[28:29], s[26:27]
	v_cvt_f32_u32_e32 v1, s28
	v_cvt_f32_u32_e32 v2, s29
	s_sub_u32 s13, 0, s28
	s_subb_u32 s19, 0, s29
	v_fmac_f32_e32 v1, 0x4f800000, v2
	v_rcp_f32_e32 v1, v1
	s_nop 0
	v_mul_f32_e32 v1, 0x5f7ffffc, v1
	v_mul_f32_e32 v2, 0x2f800000, v1
	v_trunc_f32_e32 v2, v2
	v_fmac_f32_e32 v1, 0xcf800000, v2
	v_cvt_u32_f32_e32 v2, v2
	v_cvt_u32_f32_e32 v1, v1
	v_readfirstlane_b32 s33, v2
	v_readfirstlane_b32 s30, v1
	s_mul_i32 s31, s13, s33
	s_mul_hi_u32 s35, s13, s30
	s_mul_i32 s34, s19, s30
	s_add_i32 s31, s35, s31
	s_add_i32 s31, s31, s34
	s_mul_i32 s36, s13, s30
	s_mul_i32 s35, s30, s31
	s_mul_hi_u32 s37, s30, s36
	s_mul_hi_u32 s34, s30, s31
	s_add_u32 s35, s37, s35
	s_addc_u32 s34, 0, s34
	s_mul_hi_u32 s38, s33, s36
	s_mul_i32 s36, s33, s36
	s_add_u32 s35, s35, s36
	s_mul_hi_u32 s37, s33, s31
	s_addc_u32 s34, s34, s38
	s_addc_u32 s35, s37, 0
	s_mul_i32 s31, s33, s31
	s_add_u32 s31, s34, s31
	s_addc_u32 s34, 0, s35
	s_add_u32 s35, s30, s31
	s_cselect_b64 s[30:31], -1, 0
	s_cmp_lg_u64 s[30:31], 0
	s_addc_u32 s33, s33, s34
	s_mul_i32 s30, s13, s33
	s_mul_hi_u32 s31, s13, s35
	s_add_i32 s30, s31, s30
	s_mul_i32 s19, s19, s35
	s_add_i32 s30, s30, s19
	s_mul_i32 s13, s13, s35
	s_mul_hi_u32 s31, s33, s13
	s_mul_i32 s34, s33, s13
	s_mul_i32 s37, s35, s30
	s_mul_hi_u32 s13, s35, s13
	s_mul_hi_u32 s36, s35, s30
	s_add_u32 s13, s13, s37
	s_addc_u32 s36, 0, s36
	s_add_u32 s13, s13, s34
	s_mul_hi_u32 s19, s33, s30
	s_addc_u32 s13, s36, s31
	s_addc_u32 s19, s19, 0
	s_mul_i32 s30, s33, s30
	s_add_u32 s13, s13, s30
	s_addc_u32 s19, 0, s19
	s_add_u32 s13, s35, s13
	s_cselect_b64 s[30:31], -1, 0
	s_cmp_lg_u64 s[30:31], 0
	s_addc_u32 s19, s33, s19
	s_ashr_i32 s30, s23, 31
	s_add_u32 s34, s22, s30
	s_mov_b32 s31, s30
	s_addc_u32 s35, s23, s30
	s_xor_b64 s[34:35], s[34:35], s[30:31]
	s_mul_i32 s36, s34, s19
	s_mul_hi_u32 s37, s34, s13
	s_mul_hi_u32 s33, s34, s19
	s_add_u32 s36, s37, s36
	s_addc_u32 s33, 0, s33
	s_mul_hi_u32 s38, s35, s13
	s_mul_i32 s13, s35, s13
	s_add_u32 s13, s36, s13
	s_mul_hi_u32 s37, s35, s19
	s_addc_u32 s13, s33, s38
	s_addc_u32 s33, s37, 0
	s_mul_i32 s19, s35, s19
	s_add_u32 s13, s13, s19
	s_addc_u32 s19, 0, s33
	s_mul_i32 s33, s28, s19
	s_mul_hi_u32 s36, s28, s13
	s_add_i32 s33, s36, s33
	s_mul_i32 s36, s29, s13
	s_add_i32 s33, s33, s36
	s_sub_i32 s38, s35, s33
	s_mul_i32 s36, s28, s13
	s_sub_u32 s34, s34, s36
	s_cselect_b64 s[36:37], -1, 0
	s_cmp_lg_u64 s[36:37], 0
	s_subb_u32 s40, s38, s29
	s_sub_u32 s41, s34, s28
	s_cselect_b64 s[38:39], -1, 0
	s_cmp_lg_u64 s[38:39], 0
	s_subb_u32 s38, s40, 0
	s_cmp_ge_u32 s38, s29
	s_cselect_b32 s39, -1, 0
	s_cmp_ge_u32 s41, s28
	s_cselect_b32 s40, -1, 0
	s_cmp_eq_u32 s38, s29
	s_cselect_b32 s38, s40, s39
	s_add_u32 s39, s13, 1
	s_addc_u32 s40, s19, 0
	s_add_u32 s41, s13, 2
	s_addc_u32 s42, s19, 0
	s_cmp_lg_u32 s38, 0
	s_cselect_b32 s38, s41, s39
	s_cselect_b32 s39, s42, s40
	s_cmp_lg_u64 s[36:37], 0
	s_subb_u32 s33, s35, s33
	s_cmp_ge_u32 s33, s29
	s_cselect_b32 s35, -1, 0
	s_cmp_ge_u32 s34, s28
	s_cselect_b32 s28, -1, 0
	s_cmp_eq_u32 s33, s29
	s_cselect_b32 s28, s28, s35
	s_cmp_lg_u32 s28, 0
	s_cselect_b32 s29, s39, s19
	s_cselect_b32 s28, s38, s13
	s_xor_b64 s[26:27], s[30:31], s[26:27]
	s_xor_b64 s[28:29], s[28:29], s[26:27]
	s_sub_u32 s60, s28, s26
	s_subb_u32 s61, s29, s27
	s_cbranch_execnz .LBB31_14
.LBB31_13:                              ;   in Loop: Header=BB31_11 Depth=1
	v_cvt_f32_u32_e32 v1, s24
	s_sub_i32 s13, 0, s24
	s_mov_b32 s61, s18
	v_rcp_iflag_f32_e32 v1, v1
	s_nop 0
	v_mul_f32_e32 v1, 0x4f7ffffe, v1
	v_cvt_u32_f32_e32 v1, v1
	s_nop 0
	v_readfirstlane_b32 s19, v1
	s_mul_i32 s13, s13, s19
	s_mul_hi_u32 s13, s19, s13
	s_add_i32 s19, s19, s13
	s_mul_hi_u32 s13, s22, s19
	s_mul_i32 s26, s13, s24
	s_sub_i32 s26, s22, s26
	s_add_i32 s19, s13, 1
	s_sub_i32 s27, s26, s24
	s_cmp_ge_u32 s26, s24
	s_cselect_b32 s13, s19, s13
	s_cselect_b32 s26, s27, s26
	s_add_i32 s19, s13, 1
	s_cmp_ge_u32 s26, s24
	s_cselect_b32 s60, s19, s13
.LBB31_14:                              ;   in Loop: Header=BB31_11 Depth=1
	s_mul_i32 s13, s60, s25
	s_mul_hi_u32 s19, s60, s24
	s_load_dwordx2 s[26:27], s[20:21], 0xc8
	s_add_i32 s13, s19, s13
	s_mul_i32 s19, s61, s24
	s_add_i32 s13, s13, s19
	s_mul_i32 s19, s60, s24
	s_sub_u32 s19, s22, s19
	s_subb_u32 s13, s23, s13
	s_waitcnt lgkmcnt(0)
	s_mul_i32 s13, s26, s13
	s_mul_hi_u32 s22, s26, s19
	s_add_i32 s13, s22, s13
	s_mul_i32 s22, s27, s19
	s_add_i32 s13, s13, s22
	s_mul_i32 s19, s26, s19
	s_add_u32 s54, s19, s54
	s_addc_u32 s55, s13, s55
	s_add_i32 s3, s3, -1
	s_add_u32 s20, s20, -8
	s_addc_u32 s21, s21, -1
	s_cmp_gt_u32 s3, 2
	s_cbranch_scc0 .LBB31_17
; %bb.15:                               ;   in Loop: Header=BB31_11 Depth=1
	s_mov_b64 s[22:23], s[60:61]
	s_branch .LBB31_11
.LBB31_16:                              ;   in Loop: Header=BB31_11 Depth=1
                                        ; implicit-def: $sgpr60_sgpr61
	s_branch .LBB31_13
.LBB31_17:
	s_load_dword s18, s[0:1], 0x4f8
	s_load_dwordx2 s[20:21], s[16:17], 0xd0
	s_add_u32 s13, s0, 0x360
                                        ; implicit-def: $vgpr63 : SGPR spill to VGPR lane
                                        ; kill: killed $sgpr16 killed $sgpr17
	s_addc_u32 s17, s1, 0
	s_mov_b64 s[64:65], 0
	s_waitcnt lgkmcnt(0)
	s_cmp_lt_i32 s18, 2
	v_writelane_b32 v63, s20, 0
	s_nop 1
	v_writelane_b32 v63, s21, 1
	s_cbranch_scc1 .LBB31_25
; %bb.18:
	s_mov_b32 s16, 0
	s_add_i32 s3, s18, 1
	s_add_i32 s18, s18, -1
	s_mov_b32 s19, s16
	s_lshl_b64 s[18:19], s[18:19], 3
	s_add_u32 s13, s13, s18
	s_addc_u32 s17, s17, s19
	s_add_u32 s18, s13, 8
	s_addc_u32 s19, s17, 0
.LBB31_19:                              ; =>This Inner Loop Header: Depth=1
	s_load_dwordx2 s[20:21], s[18:19], 0x0
	s_waitcnt lgkmcnt(0)
	s_or_b64 s[22:23], s[6:7], s[20:21]
	s_mov_b32 s17, s23
	s_cmp_lg_u64 s[16:17], 0
	s_cbranch_scc0 .LBB31_24
; %bb.20:                               ;   in Loop: Header=BB31_19 Depth=1
	s_ashr_i32 s22, s21, 31
	s_add_u32 s24, s20, s22
	s_mov_b32 s23, s22
	s_addc_u32 s25, s21, s22
	s_xor_b64 s[24:25], s[24:25], s[22:23]
	v_cvt_f32_u32_e32 v1, s24
	v_cvt_f32_u32_e32 v2, s25
	s_sub_u32 s13, 0, s24
	s_subb_u32 s17, 0, s25
	v_fmac_f32_e32 v1, 0x4f800000, v2
	v_rcp_f32_e32 v1, v1
	s_nop 0
	v_mul_f32_e32 v1, 0x5f7ffffc, v1
	v_mul_f32_e32 v2, 0x2f800000, v1
	v_trunc_f32_e32 v2, v2
	v_fmac_f32_e32 v1, 0xcf800000, v2
	v_cvt_u32_f32_e32 v2, v2
	v_cvt_u32_f32_e32 v1, v1
	v_readfirstlane_b32 s28, v2
	v_readfirstlane_b32 s26, v1
	s_mul_i32 s27, s13, s28
	s_mul_hi_u32 s30, s13, s26
	s_mul_i32 s29, s17, s26
	s_add_i32 s27, s30, s27
	s_add_i32 s27, s27, s29
	s_mul_i32 s31, s13, s26
	s_mul_i32 s30, s26, s27
	s_mul_hi_u32 s33, s26, s31
	s_mul_hi_u32 s29, s26, s27
	s_add_u32 s30, s33, s30
	s_addc_u32 s29, 0, s29
	s_mul_hi_u32 s34, s28, s31
	s_mul_i32 s31, s28, s31
	s_add_u32 s30, s30, s31
	s_mul_hi_u32 s33, s28, s27
	s_addc_u32 s29, s29, s34
	s_addc_u32 s30, s33, 0
	s_mul_i32 s27, s28, s27
	s_add_u32 s27, s29, s27
	s_addc_u32 s29, 0, s30
	s_add_u32 s30, s26, s27
	s_cselect_b64 s[26:27], -1, 0
	s_cmp_lg_u64 s[26:27], 0
	s_addc_u32 s28, s28, s29
	s_mul_i32 s26, s13, s28
	s_mul_hi_u32 s27, s13, s30
	s_add_i32 s26, s27, s26
	s_mul_i32 s17, s17, s30
	s_add_i32 s26, s26, s17
	s_mul_i32 s13, s13, s30
	s_mul_hi_u32 s27, s28, s13
	s_mul_i32 s29, s28, s13
	s_mul_i32 s33, s30, s26
	s_mul_hi_u32 s13, s30, s13
	s_mul_hi_u32 s31, s30, s26
	s_add_u32 s13, s13, s33
	s_addc_u32 s31, 0, s31
	s_add_u32 s13, s13, s29
	s_mul_hi_u32 s17, s28, s26
	s_addc_u32 s13, s31, s27
	s_addc_u32 s17, s17, 0
	s_mul_i32 s26, s28, s26
	s_add_u32 s13, s13, s26
	s_addc_u32 s17, 0, s17
	s_add_u32 s13, s30, s13
	s_cselect_b64 s[26:27], -1, 0
	s_cmp_lg_u64 s[26:27], 0
	s_addc_u32 s17, s28, s17
	s_ashr_i32 s26, s7, 31
	s_add_u32 s28, s6, s26
	s_mov_b32 s27, s26
	s_addc_u32 s29, s7, s26
	s_xor_b64 s[28:29], s[28:29], s[26:27]
	s_mul_i32 s31, s28, s17
	s_mul_hi_u32 s33, s28, s13
	s_mul_hi_u32 s30, s28, s17
	s_add_u32 s31, s33, s31
	s_addc_u32 s30, 0, s30
	s_mul_hi_u32 s34, s29, s13
	s_mul_i32 s13, s29, s13
	s_add_u32 s13, s31, s13
	s_mul_hi_u32 s33, s29, s17
	s_addc_u32 s13, s30, s34
	s_addc_u32 s30, s33, 0
	s_mul_i32 s17, s29, s17
	s_add_u32 s13, s13, s17
	s_addc_u32 s17, 0, s30
	s_mul_i32 s30, s24, s17
	s_mul_hi_u32 s31, s24, s13
	s_add_i32 s30, s31, s30
	s_mul_i32 s31, s25, s13
	s_add_i32 s33, s30, s31
	s_sub_i32 s34, s29, s33
	s_mul_i32 s30, s24, s13
	s_sub_u32 s28, s28, s30
	s_cselect_b64 s[30:31], -1, 0
	s_cmp_lg_u64 s[30:31], 0
	s_subb_u32 s36, s34, s25
	s_sub_u32 s37, s28, s24
	s_cselect_b64 s[34:35], -1, 0
	s_cmp_lg_u64 s[34:35], 0
	s_subb_u32 s34, s36, 0
	s_cmp_ge_u32 s34, s25
	s_cselect_b32 s35, -1, 0
	s_cmp_ge_u32 s37, s24
	s_cselect_b32 s36, -1, 0
	s_cmp_eq_u32 s34, s25
	s_cselect_b32 s34, s36, s35
	s_add_u32 s35, s13, 1
	s_addc_u32 s36, s17, 0
	s_add_u32 s37, s13, 2
	s_addc_u32 s38, s17, 0
	s_cmp_lg_u32 s34, 0
	s_cselect_b32 s34, s37, s35
	s_cselect_b32 s35, s38, s36
	s_cmp_lg_u64 s[30:31], 0
	s_subb_u32 s29, s29, s33
	s_cmp_ge_u32 s29, s25
	s_cselect_b32 s30, -1, 0
	s_cmp_ge_u32 s28, s24
	s_cselect_b32 s24, -1, 0
	s_cmp_eq_u32 s29, s25
	s_cselect_b32 s24, s24, s30
	s_cmp_lg_u32 s24, 0
	s_cselect_b32 s25, s35, s17
	s_cselect_b32 s24, s34, s13
	s_xor_b64 s[22:23], s[26:27], s[22:23]
	s_xor_b64 s[24:25], s[24:25], s[22:23]
	s_sub_u32 s68, s24, s22
	s_subb_u32 s69, s25, s23
	s_cbranch_execnz .LBB31_22
.LBB31_21:                              ;   in Loop: Header=BB31_19 Depth=1
	v_cvt_f32_u32_e32 v1, s20
	s_sub_i32 s13, 0, s20
	s_mov_b32 s69, s16
	v_rcp_iflag_f32_e32 v1, v1
	s_nop 0
	v_mul_f32_e32 v1, 0x4f7ffffe, v1
	v_cvt_u32_f32_e32 v1, v1
	s_nop 0
	v_readfirstlane_b32 s17, v1
	s_mul_i32 s13, s13, s17
	s_mul_hi_u32 s13, s17, s13
	s_add_i32 s17, s17, s13
	s_mul_hi_u32 s13, s6, s17
	s_mul_i32 s22, s13, s20
	s_sub_i32 s22, s6, s22
	s_add_i32 s17, s13, 1
	s_sub_i32 s23, s22, s20
	s_cmp_ge_u32 s22, s20
	s_cselect_b32 s13, s17, s13
	s_cselect_b32 s22, s23, s22
	s_add_i32 s17, s13, 1
	s_cmp_ge_u32 s22, s20
	s_cselect_b32 s68, s17, s13
.LBB31_22:                              ;   in Loop: Header=BB31_19 Depth=1
	s_mul_i32 s13, s68, s21
	s_mul_hi_u32 s17, s68, s20
	s_load_dwordx2 s[22:23], s[18:19], 0xc8
	s_add_i32 s13, s17, s13
	s_mul_i32 s17, s69, s20
	s_add_i32 s13, s13, s17
	s_mul_i32 s17, s68, s20
	s_sub_u32 s6, s6, s17
	s_subb_u32 s7, s7, s13
	s_waitcnt lgkmcnt(0)
	s_mul_i32 s7, s22, s7
	s_mul_hi_u32 s13, s22, s6
	s_add_i32 s7, s13, s7
	s_mul_i32 s13, s23, s6
	s_add_i32 s7, s7, s13
	s_mul_i32 s6, s22, s6
	s_add_u32 s64, s6, s64
	s_addc_u32 s65, s7, s65
	s_add_i32 s3, s3, -1
	s_add_u32 s18, s18, -8
	s_addc_u32 s19, s19, -1
	s_cmp_gt_u32 s3, 2
	s_cbranch_scc0 .LBB31_26
; %bb.23:                               ;   in Loop: Header=BB31_19 Depth=1
	s_mov_b64 s[6:7], s[68:69]
	s_branch .LBB31_19
.LBB31_24:                              ;   in Loop: Header=BB31_19 Depth=1
                                        ; implicit-def: $sgpr68_sgpr69
	s_branch .LBB31_21
.LBB31_25:
	s_mov_b64 s[68:69], s[6:7]
.LBB31_26:
	s_load_dwordx2 s[6:7], s[0:1], 0x430
	s_mov_b32 s79, 0
                                        ; kill: killed $sgpr0 killed $sgpr1
	s_waitcnt lgkmcnt(0)
	v_writelane_b32 v63, s6, 2
	s_nop 1
	v_writelane_b32 v63, s7, 3
	s_load_dwordx2 s[16:17], s[0:1], 0x0
	s_load_dwordx2 s[6:7], s[0:1], 0x1c0
	s_waitcnt lgkmcnt(0)
	v_writelane_b32 v63, s6, 4
	s_nop 1
	v_writelane_b32 v63, s7, 5
	s_load_dwordx2 s[6:7], s[0:1], 0x360
	s_waitcnt lgkmcnt(0)
	v_writelane_b32 v63, s6, 6
	s_nop 1
	v_writelane_b32 v63, s7, 7
	v_cmp_eq_u32_e64 s[6:7], 0, v0
	s_mov_b64 s[0:1], exec
	s_nop 0
	v_writelane_b32 v63, s6, 8
	s_nop 1
	v_writelane_b32 v63, s7, 9
	s_and_b64 s[6:7], s[0:1], s[6:7]
	s_mov_b64 exec, s[6:7]
	s_cbranch_execz .LBB31_28
; %bb.27:
	v_mov_b32_e32 v2, 0
	v_mov_b32_e32 v4, s56
	v_mov_b32_e32 v5, s57
	v_mov_b32_e32 v3, v2
	ds_write_b32 v2, v2 offset:5136
	ds_write_b128 v2, v[2:5] offset:5120
.LBB31_28:
	s_or_b64 exec, exec, s[0:1]
	s_mul_i32 s0, s14, s9
	s_mul_hi_u32 s1, s14, s8
	s_add_i32 s0, s1, s0
	s_mul_i32 s1, s15, s8
	s_add_i32 s1, s0, s1
	s_mul_i32 s0, s14, s8
	s_lshl_b64 s[0:1], s[0:1], 3
	s_add_u32 s8, s16, s0
	v_mbcnt_lo_u32_b32 v1, -1, 0
	s_addc_u32 s9, s17, s1
	s_lshl_b64 s[82:83], s[4:5], 3
	v_mbcnt_hi_u32_b32 v56, -1, v1
	s_add_u32 s4, s8, s82
	v_cmp_gt_u32_e32 vcc, 64, v0
	v_cmp_gt_i32_e64 s[6:7], 4, v56
	s_addc_u32 s5, s9, s83
	s_and_b64 s[90:91], vcc, s[6:7]
	v_cmp_gt_u32_e64 s[6:7], 2, v0
	v_mov_b64_e32 v[2:3], 0x180
	v_mov_b32_e32 v19, 0
	v_writelane_b32 v63, s6, 10
	v_mov_b32_e32 v1, v19
	s_waitcnt lgkmcnt(0)
	v_writelane_b32 v63, s7, 11
	v_cmp_gt_i64_e64 s[6:7], s[56:57], v[2:3]
	s_barrier
	s_nop 0
	v_writelane_b32 v63, s6, 12
	s_load_dword s3, s[10:11], 0xc
	v_lshlrev_b32_e32 v6, 2, v56
	v_writelane_b32 v63, s7, 13
	v_cmp_gt_u64_e64 s[6:7], s[56:57], v[0:1]
	v_and_b32_e32 v59, 0x100, v6
	s_waitcnt lgkmcnt(0)
	s_and_b32 s76, s3, 0xffff
	v_writelane_b32 v63, s6, 14
	s_bfe_u32 s3, s3, 0xa0006
	s_cmp_gt_u32 s76, 63
	v_writelane_b32 v63, s7, 15
	v_mad_u64_u32 v[2:3], s[6:7], s62, v0, 0
	v_mov_b32_e32 v4, v3
	v_mad_u64_u32 v[4:5], s[6:7], s63, v0, v[4:5]
	v_mov_b32_e32 v3, v4
	v_lshlrev_b64 v[4:5], 3, v[2:3]
	v_writelane_b32 v63, s4, 16
	v_lshlrev_b64 v[6:7], v56, -1
	v_not_b32_e32 v24, v6
	v_writelane_b32 v63, s5, 17
	v_lshl_add_u64 v[20:21], s[4:5], 0, v[4:5]
	v_cmp_gt_i64_e64 s[4:5], s[56:57], v[0:1]
	v_lshrrev_b32_e32 v6, 1, v0
	v_and_b32_e32 v6, 0x1e0, v6
	v_writelane_b32 v63, s4, 18
	v_lshlrev_b32_e32 v61, 5, v0
	v_not_b32_e32 v25, v7
	v_writelane_b32 v63, s5, 19
	s_cselect_b64 s[4:5], -1, 0
	v_writelane_b32 v63, s4, 20
	v_or_b32_e32 v60, 0xc00, v6
	v_or_b32_e32 v9, 24, v61
	v_writelane_b32 v63, s5, 21
	s_add_u32 s4, s76, -1
	s_addc_u32 s5, 0, -1
	v_writelane_b32 v63, s4, 22
	s_add_u32 s4, s4, s56
	s_addc_u32 s99, s5, s57
	s_cmp_lt_u32 s2, s12
	s_cselect_b32 s2, 12, 18
	s_add_u32 s80, s10, s2
	s_addc_u32 s81, s11, 0
	s_add_i32 s2, s3, -1
	v_writelane_b32 v63, s4, 23
	s_bfe_u32 s4, s76, 0x30006
	s_and_b32 s2, s2, 0xffff
	s_cmp_gt_u32 s2, 6
	v_writelane_b32 v63, s5, 24
	s_cselect_b64 s[6:7], -1, 0
	v_writelane_b32 v63, s6, 25
	s_and_b32 s33, s3, 0x3f8
	s_cmp_lg_u32 s4, 0
	v_writelane_b32 v63, s7, 26
	v_writelane_b32 v63, s4, 27
	s_cselect_b64 s[2:3], -1, 0
	v_writelane_b32 v63, s2, 28
	v_mov_b64_e32 v[6:7], s[8:9]
	v_cmp_eq_u32_e64 s[86:87], 0, v56
	v_writelane_b32 v63, s3, 29
	s_add_u32 s2, s0, s82
	s_addc_u32 s3, s1, s83
	s_add_u32 s2, s16, s2
	s_addc_u32 s3, s17, s3
	v_writelane_b32 v63, s2, 30
	v_lshlrev_b64 v[2:3], 5, v[2:3]
	v_lshlrev_b32_e32 v57, 3, v0
	v_writelane_b32 v63, s3, 31
	s_lshl_b64 s[2:3], s[62:63], 3
	v_writelane_b32 v63, s2, 32
	v_lshl_add_u64 v[34:35], s[8:9], 0, v[2:3]
	v_mov_b32_e32 v2, 0xc00
	v_writelane_b32 v63, s3, 33
	v_mad_u64_u32 v[26:27], s[2:3], s62, v9, v[6:7]
	v_mov_b32_e32 v8, v27
	v_mad_u64_u32 v[8:9], s[2:3], s63, v9, v[8:9]
	s_lshl_b64 s[2:3], s[62:63], 5
	s_nop 0
	v_writelane_b32 v63, s2, 34
	v_or_b32_e32 v9, 16, v61
	v_mov_b32_e32 v27, v8
	v_writelane_b32 v63, s3, 35
	v_mad_u64_u32 v[28:29], s[2:3], s62, v9, v[6:7]
	v_mov_b32_e32 v8, v29
	v_mad_u64_u32 v[8:9], s[2:3], s63, v9, v[8:9]
	v_mov_b32_e32 v29, v8
	v_or_b32_e32 v8, 8, v61
	v_mad_u64_u32 v[30:31], s[2:3], s62, v8, v[6:7]
	v_mov_b32_e32 v6, v31
	v_mad_u64_u32 v[6:7], s[2:3], s63, v8, v[6:7]
	s_add_u32 s2, s16, s82
	s_addc_u32 s3, s17, s83
	v_writelane_b32 v63, s86, 36
	s_add_u32 s0, s2, s0
	s_addc_u32 s1, s3, s1
	v_writelane_b32 v63, s87, 37
	v_writelane_b32 v63, s90, 38
	v_lshl_add_u64 v[16:17], s[0:1], 0, v[4:5]
	s_mul_i32 s0, s63, s76
	s_mul_hi_u32 s1, s62, s76
	v_writelane_b32 v63, s91, 39
	s_add_i32 s1, s1, s0
	s_mul_i32 s0, s62, s76
	v_writelane_b32 v63, s80, 40
	v_add_u32_e32 v58, 0xc00, v57
	v_lshlrev_b32_e32 v22, 2, v0
	v_mov_b32_e32 v23, v19
	s_mov_b32 s77, s79
	v_mov_b32_e32 v31, v6
	v_lshl_add_u64 v[36:37], s[56:57], 0, v[0:1]
	v_lshl_or_b32 v62, v56, 3, v2
	s_lshl_b64 s[92:93], s[0:1], 3
	s_lshl_b32 s98, s76, 3
	s_mov_b32 s70, 62
	s_mov_b64 s[66:67], 0
	v_mov_b64_e32 v[6:7], 0
	v_mov_b64_e32 v[40:41], s[58:59]
	;; [unrolled: 1-line block ×5, first 2 shown]
	v_mov_b32_e32 v2, 1
	v_mov_b32_e32 v66, v19
	;; [unrolled: 1-line block ×3, first 2 shown]
	s_mov_b32 s71, 0
	v_writelane_b32 v63, s81, 41
                                        ; implicit-def: $sgpr58_sgpr59
                                        ; implicit-def: $sgpr10_sgpr11
                                        ; implicit-def: $sgpr74_sgpr75
                                        ; implicit-def: $sgpr96_sgpr97
                                        ; implicit-def: $sgpr28_sgpr29
                                        ; implicit-def: $sgpr94_sgpr95
	v_writelane_b32 v63, s98, 42
	s_branch .LBB31_32
.LBB31_29:                              ;   in Loop: Header=BB31_32 Depth=1
	s_or_b64 exec, exec, s[12:13]
	s_and_b64 s[6:7], s[6:7], exec
	s_andn2_b64 s[26:27], s[26:27], exec
	s_andn2_b64 s[2:3], s[2:3], exec
	s_orn2_b64 s[18:19], s[8:9], exec
.LBB31_30:                              ;   in Loop: Header=BB31_32 Depth=1
	s_or_b64 exec, exec, s[0:1]
	s_andn2_b64 s[0:1], s[94:95], exec
	s_and_b64 s[6:7], s[6:7], exec
	s_or_b64 s[94:95], s[0:1], s[6:7]
	s_andn2_b64 s[0:1], s[28:29], exec
	s_and_b64 s[6:7], s[26:27], exec
	s_or_b64 s[28:29], s[0:1], s[6:7]
	;; [unrolled: 3-line block ×3, first 2 shown]
	s_orn2_b64 s[2:3], s[18:19], exec
.LBB31_31:                              ;   in Loop: Header=BB31_32 Depth=1
	s_or_b64 exec, exec, s[16:17]
	s_and_b64 s[0:1], exec, s[2:3]
	s_or_b64 s[66:67], s[0:1], s[66:67]
	s_andn2_b64 s[0:1], s[74:75], exec
	s_and_b64 s[2:3], s[94:95], exec
	s_or_b64 s[74:75], s[0:1], s[2:3]
	s_andn2_b64 s[0:1], s[10:11], exec
	s_and_b64 s[2:3], s[28:29], exec
	;; [unrolled: 3-line block ×3, first 2 shown]
	s_or_b64 s[58:59], s[0:1], s[2:3]
	v_mov_b64_e32 v[40:41], v[12:13]
	s_andn2_b64 exec, exec, s[66:67]
	s_cbranch_execz .LBB31_294
.LBB31_32:                              ; =>This Loop Header: Depth=1
                                        ;     Child Loop BB31_38 Depth 2
                                        ;     Child Loop BB31_51 Depth 2
	;; [unrolled: 1-line block ×16, first 2 shown]
	ds_read_b128 v[8:11], v19 offset:5120
	s_waitcnt lgkmcnt(0)
	v_readfirstlane_b32 s85, v9
	v_readfirstlane_b32 s84, v8
	s_nop 1
	v_cmp_gt_i64_e64 s[0:1], s[84:85], 0
	s_and_b64 vcc, exec, s[0:1]
	s_cbranch_vccnz .LBB31_59
; %bb.33:                               ;   in Loop: Header=BB31_32 Depth=1
	v_readlane_b32 s0, v63, 12
	v_readlane_b32 s1, v63, 13
	s_and_b64 vcc, exec, s[0:1]
	s_cbranch_vccz .LBB31_46
; %bb.34:                               ;   in Loop: Header=BB31_32 Depth=1
	s_mov_b64 s[0:1], 0x181
	v_cmp_gt_i64_e32 vcc, s[0:1], v[10:11]
	s_mov_b64 s[0:1], 0
	s_mov_b64 s[2:3], 0
	s_cbranch_vccz .LBB31_47
; %bb.35:                               ;   in Loop: Header=BB31_32 Depth=1
	s_mov_b64 s[6:7], exec
	v_readlane_b32 s2, v63, 14
	v_readlane_b32 s3, v63, 15
	s_and_b64 s[2:3], s[6:7], s[2:3]
	s_mov_b64 exec, s[2:3]
	s_cbranch_execz .LBB31_93
; %bb.36:                               ;   in Loop: Header=BB31_32 Depth=1
	global_load_ushort v3, v19, s[80:81]
	global_load_dwordx2 v[4:5], v[20:21], off
	v_readlane_b32 s2, v63, 30
	v_readlane_b32 s3, v63, 31
	;; [unrolled: 1-line block ×4, first 2 shown]
	v_mov_b64_e32 v[8:9], s[2:3]
	s_mov_b64 s[8:9], 0
	s_waitcnt vmcnt(1)
	v_readfirstlane_b32 s2, v3
	s_and_b32 s2, 0xffff, s2
	v_and_b32_e32 v18, 0xffff, v3
	v_add_u32_e32 v3, s2, v0
	s_mul_i32 s12, s5, s2
	s_mul_hi_u32 s13, s4, s2
	s_mul_i32 s14, s4, s2
	v_mad_u64_u32 v[8:9], s[2:3], s4, v3, v[8:9]
	v_mov_b32_e32 v10, v9
	v_mad_u64_u32 v[10:11], s[2:3], s5, v3, v[10:11]
	s_add_i32 s15, s13, s12
	v_mov_b32_e32 v9, v10
	v_mov_b64_e32 v[10:11], v[0:1]
	s_branch .LBB31_38
.LBB31_37:                              ;   in Loop: Header=BB31_38 Depth=2
	s_or_b64 exec, exec, s[2:3]
	v_lshl_add_u64 v[8:9], v[8:9], 0, s[14:15]
	v_mov_b64_e32 v[4:5], v[12:13]
	s_andn2_b64 exec, exec, s[8:9]
	s_cbranch_execz .LBB31_93
.LBB31_38:                              ;   Parent Loop BB31_32 Depth=1
                                        ; =>  This Inner Loop Header: Depth=2
	v_lshl_add_u64 v[10:11], v[10:11], 0, v[18:19]
	v_cmp_gt_i64_e64 s[2:3], s[56:57], v[10:11]
	v_cmp_le_i64_e32 vcc, s[56:57], v[10:11]
	v_mov_b64_e32 v[12:13], 0
	s_and_saveexec_b64 s[12:13], s[2:3]
	s_cbranch_execz .LBB31_40
; %bb.39:                               ;   in Loop: Header=BB31_38 Depth=2
	global_load_dwordx2 v[12:13], v[8:9], off
.LBB31_40:                              ;   in Loop: Header=BB31_38 Depth=2
	s_or_b64 exec, exec, s[12:13]
	s_waitcnt vmcnt(0) lgkmcnt(0)
	v_xor_b32_e32 v3, 0x80000000, v5
	v_and_b32_e32 v15, v3, v39
	v_and_b32_e32 v14, v4, v38
	v_cmp_eq_u64_e64 s[12:13], v[14:15], v[32:33]
	s_cmp_lg_u64 s[12:13], 0
	s_cselect_b64 s[2:3], -1, 0
	s_and_b64 s[2:3], s[86:87], s[2:3]
	v_mov_b32_e32 v3, 0
	s_and_saveexec_b64 s[16:17], s[2:3]
	s_cbranch_execz .LBB31_44
; %bb.41:                               ;   in Loop: Header=BB31_38 Depth=2
	s_mov_b64 s[20:21], exec
	v_mbcnt_lo_u32_b32 v3, s20, 0
	v_mbcnt_hi_u32_b32 v3, s21, v3
	s_bcnt1_i32_b64 s22, s[12:13]
	v_cmp_eq_u32_e64 s[2:3], 0, v3
                                        ; implicit-def: $vgpr14
	s_and_saveexec_b64 s[18:19], s[2:3]
; %bb.42:                               ;   in Loop: Header=BB31_38 Depth=2
	s_bcnt1_i32_b64 s2, s[20:21]
	s_mul_i32 s2, s22, s2
	v_mov_b32_e32 v14, s2
	ds_add_rtn_u32 v14, v19, v14 offset:5136
; %bb.43:                               ;   in Loop: Header=BB31_38 Depth=2
	s_or_b64 exec, exec, s[18:19]
	s_waitcnt lgkmcnt(0)
	v_readfirstlane_b32 s2, v14
	s_nop 1
	v_mov_b32_e32 v14, s2
	v_mad_u32_u24 v3, s22, v3, v14
.LBB31_44:                              ;   in Loop: Header=BB31_38 Depth=2
	s_or_b64 exec, exec, s[16:17]
	ds_bpermute_b32 v3, v59, v3
	s_and_b64 s[2:3], exec, vcc
	s_or_b64 s[8:9], s[2:3], s[8:9]
	s_and_saveexec_b64 s[2:3], s[12:13]
	s_cbranch_execz .LBB31_37
; %bb.45:                               ;   in Loop: Header=BB31_38 Depth=2
	v_and_b32_e32 v15, s12, v24
	v_and_b32_e32 v14, s13, v25
	v_bcnt_u32_b32 v15, v15, 0
	v_bcnt_u32_b32 v14, v14, v15
	v_lshlrev_b32_e32 v14, 3, v14
	s_waitcnt lgkmcnt(0)
	v_lshl_add_u32 v3, v3, 3, v14
	ds_write_b64 v3, v[4:5]
	s_branch .LBB31_37
.LBB31_46:                              ;   in Loop: Header=BB31_32 Depth=1
	s_mov_b64 s[0:1], -1
	s_mov_b64 s[2:3], 0
.LBB31_47:                              ;   in Loop: Header=BB31_32 Depth=1
	s_and_b64 vcc, exec, s[0:1]
	s_cbranch_vccz .LBB31_57
.LBB31_48:                              ;   in Loop: Header=BB31_32 Depth=1
	s_mov_b64 s[0:1], exec
	v_readlane_b32 s2, v63, 18
	v_readlane_b32 s3, v63, 19
	s_and_b64 s[2:3], s[0:1], s[2:3]
	s_mov_b64 exec, s[2:3]
	s_cbranch_execz .LBB31_54
; %bb.49:                               ;   in Loop: Header=BB31_32 Depth=1
	global_load_ushort v3, v19, s[80:81]
	global_load_dwordx2 v[4:5], v[20:21], off
	s_waitcnt vmcnt(1)
	v_add_u32_sdwa v18, v3, v0 dst_sel:DWORD dst_unused:UNUSED_PAD src0_sel:WORD_0 src1_sel:DWORD
	v_readfirstlane_b32 s6, v3
	v_cmp_gt_i64_e32 vcc, s[56:57], v[18:19]
	v_mov_b32_e32 v3, v0
	s_and_saveexec_b64 s[2:3], vcc
	s_cbranch_execz .LBB31_53
; %bb.50:                               ;   in Loop: Header=BB31_32 Depth=1
	v_readlane_b32 s4, v63, 30
	v_readlane_b32 s5, v63, 31
	s_and_b32 s78, s6, 0xffff
	s_mov_b64 s[8:9], 0
	v_mov_b64_e32 v[8:9], s[4:5]
	v_readlane_b32 s4, v63, 32
	v_readlane_b32 s5, v63, 33
	v_mov_b64_e32 v[12:13], v[18:19]
	v_mad_u64_u32 v[8:9], s[6:7], s4, v18, v[8:9]
	v_mov_b32_e32 v10, v9
	v_mad_u64_u32 v[10:11], s[6:7], s5, v18, v[10:11]
	s_mul_i32 s6, s5, s78
	s_mul_hi_u32 s7, s4, s78
	v_mov_b32_e32 v9, v10
	s_add_i32 s7, s7, s6
	s_mul_i32 s6, s4, s78
	v_mov_b64_e32 v[14:15], v[0:1]
.LBB31_51:                              ;   Parent Loop BB31_32 Depth=1
                                        ; =>  This Inner Loop Header: Depth=2
	global_load_dwordx2 v[10:11], v[8:9], off
	v_mov_b64_e32 v[42:43], v[12:13]
	v_lshl_add_u64 v[12:13], v[42:43], 0, s[78:79]
	v_lshlrev_b32_e32 v3, 3, v14
	v_cmp_le_i64_e32 vcc, s[56:57], v[12:13]
	v_lshl_add_u64 v[8:9], v[8:9], 0, s[6:7]
	s_waitcnt vmcnt(1)
	ds_write_b64 v3, v[4:5]
	v_mov_b64_e32 v[14:15], v[42:43]
	s_or_b64 s[8:9], vcc, s[8:9]
	s_waitcnt vmcnt(0)
	v_mov_b64_e32 v[4:5], v[10:11]
	s_andn2_b64 exec, exec, s[8:9]
	s_cbranch_execnz .LBB31_51
; %bb.52:                               ;   in Loop: Header=BB31_32 Depth=1
	s_or_b64 exec, exec, s[8:9]
	v_subrev_u32_e32 v3, s78, v12
	v_mov_b64_e32 v[4:5], v[10:11]
.LBB31_53:                              ;   in Loop: Header=BB31_32 Depth=1
	s_or_b64 exec, exec, s[2:3]
	v_lshlrev_b32_e32 v3, 3, v3
	s_waitcnt vmcnt(0)
	ds_write_b64 v3, v[4:5]
.LBB31_54:                              ;   in Loop: Header=BB31_32 Depth=1
	s_or_b64 exec, exec, s[0:1]
	s_waitcnt lgkmcnt(0)
	s_barrier
	s_mov_b64 s[0:1], exec
	v_readlane_b32 s2, v63, 8
	v_readlane_b32 s3, v63, 9
	s_and_b64 s[2:3], s[0:1], s[2:3]
	s_mov_b64 exec, s[2:3]
; %bb.55:                               ;   in Loop: Header=BB31_32 Depth=1
	ds_write_b64 v19, v[64:65] offset:5120
; %bb.56:                               ;   in Loop: Header=BB31_32 Depth=1
	s_or_b64 exec, exec, s[0:1]
	s_waitcnt lgkmcnt(0)
	s_barrier
	s_mov_b64 s[2:3], -1
.LBB31_57:                              ;   in Loop: Header=BB31_32 Depth=1
	s_and_b64 vcc, exec, s[2:3]
	s_cbranch_vccz .LBB31_59
; %bb.58:                               ;   in Loop: Header=BB31_32 Depth=1
	ds_read_b64 v[4:5], v19 offset:5120
	s_waitcnt lgkmcnt(0)
	v_readfirstlane_b32 s84, v4
.LBB31_59:                              ;   in Loop: Header=BB31_32 Depth=1
	s_cmp_lt_i32 s84, 1
	s_mov_b64 s[0:1], -1
                                        ; implicit-def: $vgpr14_vgpr15
                                        ; implicit-def: $vgpr10_vgpr11
	s_cbranch_scc1 .LBB31_69
; %bb.60:                               ;   in Loop: Header=BB31_32 Depth=1
	s_and_b64 vcc, exec, s[0:1]
	s_cbranch_vccnz .LBB31_83
.LBB31_61:                              ;   in Loop: Header=BB31_32 Depth=1
	s_lshl_b32 s2, s71, 6
	s_and_saveexec_b64 s[0:1], s[86:87]
	s_cbranch_execz .LBB31_63
.LBB31_62:                              ;   in Loop: Header=BB31_32 Depth=1
	v_lshl_add_u32 v3, s2, 3, v60
	ds_write_b128 v3, v[8:11]
	ds_write_b128 v3, v[12:15] offset:16
.LBB31_63:                              ;   in Loop: Header=BB31_32 Depth=1
	s_or_b64 exec, exec, s[0:1]
	s_waitcnt lgkmcnt(0)
	s_barrier
	s_and_saveexec_b64 s[0:1], s[90:91]
	s_cbranch_execz .LBB31_101
; %bb.64:                               ;   in Loop: Header=BB31_32 Depth=1
	v_readlane_b32 s4, v63, 20
	v_readlane_b32 s5, v63, 21
	s_andn2_b64 vcc, exec, s[4:5]
	v_mov_b64_e32 v[4:5], 0
	s_cbranch_vccnz .LBB31_100
; %bb.65:                               ;   in Loop: Header=BB31_32 Depth=1
	v_readlane_b32 s4, v63, 25
	v_readlane_b32 s5, v63, 26
	s_andn2_b64 vcc, exec, s[4:5]
	s_cbranch_vccnz .LBB31_96
; %bb.66:                               ;   in Loop: Header=BB31_32 Depth=1
	v_lshl_add_u32 v3, s71, 9, v62
	v_mov_b64_e32 v[4:5], 0
	s_mov_b32 s3, 0
.LBB31_67:                              ;   Parent Loop BB31_32 Depth=1
                                        ; =>  This Inner Loop Header: Depth=2
	ds_read2_b64 v[8:11], v3 offset1:4
	ds_read2_b64 v[12:15], v3 offset0:8 offset1:12
	ds_read2_b64 v[42:45], v3 offset0:16 offset1:20
	;; [unrolled: 1-line block ×3, first 2 shown]
	s_add_i32 s3, s3, 8
	s_waitcnt lgkmcnt(3)
	v_lshl_add_u64 v[4:5], v[8:9], 0, v[4:5]
	v_lshl_add_u64 v[4:5], v[10:11], 0, v[4:5]
	s_waitcnt lgkmcnt(2)
	v_lshl_add_u64 v[4:5], v[12:13], 0, v[4:5]
	v_lshl_add_u64 v[4:5], v[14:15], 0, v[4:5]
	s_waitcnt lgkmcnt(1)
	v_lshl_add_u64 v[4:5], v[42:43], 0, v[4:5]
	v_lshl_add_u64 v[4:5], v[44:45], 0, v[4:5]
	s_waitcnt lgkmcnt(0)
	v_lshl_add_u64 v[4:5], v[46:47], 0, v[4:5]
	v_add_u32_e32 v3, 0x100, v3
	s_cmp_eq_u32 s33, s3
	v_lshl_add_u64 v[4:5], v[48:49], 0, v[4:5]
	s_cbranch_scc0 .LBB31_67
; %bb.68:                               ;   in Loop: Header=BB31_32 Depth=1
	s_mov_b32 s3, s33
	s_branch .LBB31_97
.LBB31_69:                              ;   in Loop: Header=BB31_32 Depth=1
	global_load_ushort v3, v19, s[80:81]
	s_mov_b32 s0, s79
	s_mov_b32 s85, s99
	s_waitcnt vmcnt(0)
	v_readfirstlane_b32 s1, v3
	s_and_b32 s98, s1, 0xffff
	s_lshl_b32 s78, s98, 2
	s_mov_b32 s1, s57
	s_cmp_lg_u64 s[0:1], 0
	s_cbranch_scc0 .LBB31_92
; %bb.70:                               ;   in Loop: Header=BB31_32 Depth=1
	s_add_u32 s0, s78, 0
	s_addc_u32 s1, 0, 0
	s_xor_b64 s[0:1], s[0:1], 0
	v_cvt_f32_u32_e32 v3, s0
	v_cvt_f32_u32_e32 v4, s1
	s_sub_u32 s6, 0, s0
	s_subb_u32 s7, 0, s1
	v_fmac_f32_e32 v3, 0x4f800000, v4
	v_rcp_f32_e32 v3, v3
	s_nop 0
	v_mul_f32_e32 v3, 0x5f7ffffc, v3
	v_mul_f32_e32 v4, 0x2f800000, v3
	v_trunc_f32_e32 v4, v4
	v_fmac_f32_e32 v3, 0xcf800000, v4
	v_cvt_u32_f32_e32 v4, v4
	v_cvt_u32_f32_e32 v3, v3
	v_readfirstlane_b32 s8, v4
	v_readfirstlane_b32 s2, v3
	s_mul_i32 s3, s6, s8
	s_mul_hi_u32 s12, s6, s2
	s_mul_i32 s9, s7, s2
	s_add_i32 s3, s12, s3
	s_mul_i32 s13, s6, s2
	s_add_i32 s3, s3, s9
	s_mul_i32 s12, s2, s3
	s_mul_hi_u32 s14, s2, s13
	s_mul_hi_u32 s9, s2, s3
	s_add_u32 s12, s14, s12
	s_addc_u32 s9, 0, s9
	s_mul_hi_u32 s15, s8, s13
	s_mul_i32 s13, s8, s13
	s_add_u32 s12, s12, s13
	s_mul_hi_u32 s14, s8, s3
	s_addc_u32 s9, s9, s15
	s_addc_u32 s12, s14, 0
	s_mul_i32 s3, s8, s3
	s_add_u32 s3, s9, s3
	s_addc_u32 s9, 0, s12
	s_add_u32 s12, s2, s3
	s_cselect_b64 s[2:3], -1, 0
	s_cmp_lg_u64 s[2:3], 0
	s_addc_u32 s8, s8, s9
	s_mul_i32 s2, s6, s8
	s_mul_hi_u32 s3, s6, s12
	s_add_i32 s2, s3, s2
	s_mul_i32 s7, s7, s12
	s_add_i32 s2, s2, s7
	s_mul_i32 s6, s6, s12
	s_mul_hi_u32 s7, s8, s6
	s_mul_i32 s9, s8, s6
	s_mul_i32 s14, s12, s2
	s_mul_hi_u32 s6, s12, s6
	s_mul_hi_u32 s13, s12, s2
	s_add_u32 s6, s6, s14
	s_addc_u32 s13, 0, s13
	s_add_u32 s6, s6, s9
	s_mul_hi_u32 s3, s8, s2
	s_addc_u32 s6, s13, s7
	s_addc_u32 s3, s3, 0
	s_mul_i32 s2, s8, s2
	s_add_u32 s2, s6, s2
	s_addc_u32 s6, 0, s3
	s_add_u32 s9, s12, s2
	s_cselect_b64 s[2:3], -1, 0
	s_cmp_lg_u64 s[2:3], 0
	s_addc_u32 s8, s8, s6
	s_ashr_i32 s2, s57, 31
	s_add_u32 s6, s56, s2
	s_mov_b32 s3, s2
	s_addc_u32 s7, s57, s2
	s_xor_b64 s[6:7], s[6:7], s[2:3]
	s_mul_i32 s13, s6, s8
	s_mul_hi_u32 s14, s6, s9
	s_mul_hi_u32 s12, s6, s8
	s_add_u32 s13, s14, s13
	s_addc_u32 s12, 0, s12
	s_mul_hi_u32 s15, s7, s9
	s_mul_i32 s9, s7, s9
	s_add_u32 s9, s13, s9
	s_mul_hi_u32 s14, s7, s8
	s_addc_u32 s9, s12, s15
	s_addc_u32 s12, s14, 0
	s_mul_i32 s8, s7, s8
	s_add_u32 s8, s9, s8
	s_addc_u32 s9, 0, s12
	s_mul_i32 s9, s0, s9
	s_mul_hi_u32 s12, s0, s8
	s_add_i32 s9, s12, s9
	s_mul_i32 s12, s1, s8
	s_add_i32 s14, s9, s12
	s_sub_i32 s12, s7, s14
	s_mul_i32 s8, s0, s8
	s_sub_u32 s6, s6, s8
	s_cselect_b64 s[8:9], -1, 0
	s_cmp_lg_u64 s[8:9], 0
	s_subb_u32 s15, s12, s1
	s_sub_u32 s16, s6, s0
	s_cselect_b64 s[12:13], -1, 0
	s_cmp_lg_u64 s[12:13], 0
	s_subb_u32 s17, s15, 0
	s_cmp_ge_u32 s17, s1
	s_cselect_b32 s18, -1, 0
	s_cmp_ge_u32 s16, s0
	s_cselect_b32 s19, -1, 0
	s_cmp_eq_u32 s17, s1
	s_cselect_b32 s18, s19, s18
	s_cmp_lg_u64 s[12:13], 0
	s_subb_u32 s15, s15, s1
	s_sub_u32 s19, s16, s0
	s_cselect_b64 s[12:13], -1, 0
	s_cmp_lg_u64 s[12:13], 0
	s_subb_u32 s12, s15, 0
	s_cmp_lg_u32 s18, 0
	s_cselect_b32 s13, s19, s16
	s_cselect_b32 s12, s12, s17
	s_cmp_lg_u64 s[8:9], 0
	s_subb_u32 s7, s7, s14
	s_cmp_ge_u32 s7, s1
	s_cselect_b32 s8, -1, 0
	s_cmp_ge_u32 s6, s0
	s_cselect_b32 s0, -1, 0
	s_cmp_eq_u32 s7, s1
	s_cselect_b32 s0, s0, s8
	s_cmp_lg_u32 s0, 0
	s_cselect_b32 s1, s12, s7
	s_cselect_b32 s0, s13, s6
	s_xor_b64 s[0:1], s[0:1], s[2:3]
	s_sub_u32 s0, s0, s2
	s_subb_u32 s1, s1, s2
	s_cbranch_execnz .LBB31_72
.LBB31_71:                              ;   in Loop: Header=BB31_32 Depth=1
	v_cvt_f32_u32_e32 v3, s78
	s_sub_i32 s0, 0, s78
	v_rcp_iflag_f32_e32 v3, v3
	s_nop 0
	v_mul_f32_e32 v3, 0x4f7ffffe, v3
	v_cvt_u32_f32_e32 v3, v3
	s_nop 0
	v_readfirstlane_b32 s1, v3
	s_mul_i32 s0, s0, s1
	s_mul_hi_u32 s0, s1, s0
	s_add_i32 s1, s1, s0
	s_mul_hi_u32 s0, s56, s1
	s_mul_i32 s0, s0, s78
	s_sub_i32 s0, s56, s0
	s_sub_i32 s1, s0, s78
	s_cmp_ge_u32 s0, s78
	s_cselect_b32 s0, s1, s0
	s_sub_i32 s1, s0, s78
	s_cmp_ge_u32 s0, s78
	s_cselect_b32 s0, s1, s0
	s_mov_b32 s1, s79
.LBB31_72:                              ;   in Loop: Header=BB31_32 Depth=1
	s_sub_u32 s8, s56, s0
	s_subb_u32 s9, s57, s1
	s_mov_b32 s99, s79
	v_cmp_gt_i64_e32 vcc, s[8:9], v[22:23]
	v_mov_b64_e32 v[8:9], 0
	v_mov_b64_e32 v[10:11], 0
	;; [unrolled: 1-line block ×4, first 2 shown]
	s_and_saveexec_b64 s[88:89], vcc
	s_cbranch_execz .LBB31_76
; %bb.73:                               ;   in Loop: Header=BB31_32 Depth=1
	v_readlane_b32 s6, v63, 34
	v_readlane_b32 s7, v63, 35
	s_mul_i32 s2, s7, s98
	s_mul_hi_u32 s3, s6, s98
	s_mov_b64 s[4:5], s[92:93]
	s_add_i32 s7, s3, s2
	s_mul_i32 s6, s6, s98
	s_mov_b64 s[72:73], 0
	v_mov_b64_e32 v[4:5], v[34:35]
	v_mov_b64_e32 v[42:43], v[30:31]
	;; [unrolled: 1-line block ×4, first 2 shown]
	s_mov_b64 s[86:87], 0
	s_mov_b64 s[92:93], 0
	;; [unrolled: 1-line block ×4, first 2 shown]
	v_mov_b64_e32 v[48:49], v[22:23]
.LBB31_74:                              ;   Parent Loop BB31_32 Depth=1
                                        ; =>  This Inner Loop Header: Depth=2
	v_lshl_add_u64 v[8:9], v[4:5], 0, s[82:83]
	v_lshl_add_u64 v[10:11], v[42:43], 0, s[82:83]
	;; [unrolled: 1-line block ×4, first 2 shown]
	global_load_dwordx2 v[8:9], v[8:9], off
	s_nop 0
	global_load_dwordx2 v[10:11], v[10:11], off
	s_nop 0
	;; [unrolled: 2-line block ×3, first 2 shown]
	global_load_dwordx2 v[14:15], v[14:15], off
	v_mov_b32_e32 v51, v19
	v_mov_b32_e32 v53, v19
	;; [unrolled: 1-line block ×3, first 2 shown]
	v_lshl_add_u64 v[48:49], v[48:49], 0, s[78:79]
	v_cmp_le_i64_e32 vcc, s[8:9], v[48:49]
	v_lshl_add_u64 v[46:47], v[46:47], 0, s[6:7]
	v_lshl_add_u64 v[44:45], v[44:45], 0, s[6:7]
	;; [unrolled: 1-line block ×4, first 2 shown]
	s_waitcnt vmcnt(3)
	v_xor_b32_e32 v9, 0x80000000, v9
	s_waitcnt vmcnt(2)
	v_xor_b32_e32 v11, 0x80000000, v11
	v_and_b32_e32 v68, v8, v38
	v_and_b32_e32 v69, v9, v39
	v_lshrrev_b64 v[8:9], s70, v[8:9]
	s_waitcnt vmcnt(1)
	v_xor_b32_e32 v13, 0x80000000, v13
	v_and_b32_e32 v70, v10, v38
	v_and_b32_e32 v71, v11, v39
	v_lshrrev_b64 v[10:11], s70, v[10:11]
	v_and_b32_e32 v18, 3, v8
	s_waitcnt vmcnt(0)
	v_xor_b32_e32 v15, 0x80000000, v15
	v_and_b32_e32 v72, v12, v38
	v_and_b32_e32 v73, v13, v39
	v_lshrrev_b64 v[12:13], s70, v[12:13]
	v_cmp_eq_u64_e64 s[18:19], v[68:69], v[32:33]
	v_and_b32_e32 v50, 3, v10
	v_cmp_eq_u64_e64 s[2:3], 0, v[18:19]
	v_and_b32_e32 v74, v14, v38
	v_and_b32_e32 v75, v15, v39
	v_lshrrev_b64 v[14:15], s70, v[14:15]
	v_cmp_eq_u64_e64 s[16:17], v[70:71], v[32:33]
	v_and_b32_e32 v52, 3, v12
	v_cmp_eq_u64_e64 s[30:31], 0, v[50:51]
	s_and_b64 s[2:3], s[18:19], s[2:3]
	v_cmp_eq_u64_e64 s[14:15], v[72:73], v[32:33]
	v_and_b32_e32 v54, 3, v14
	v_cmp_eq_u64_e64 s[34:35], 0, v[52:53]
	v_cndmask_b32_e64 v3, 0, 1, s[2:3]
	s_and_b64 s[2:3], s[16:17], s[30:31]
	v_cmp_eq_u64_e64 s[12:13], v[74:75], v[32:33]
	v_cmp_eq_u64_e64 s[36:37], 0, v[54:55]
	v_cndmask_b32_e64 v8, 0, 1, s[2:3]
	s_and_b64 s[2:3], s[14:15], s[34:35]
	v_cndmask_b32_e64 v9, 0, 1, s[2:3]
	s_and_b64 s[2:3], s[12:13], s[36:37]
	v_cndmask_b32_e64 v10, 0, 1, s[2:3]
	v_cmp_ne_u32_e64 s[2:3], 0, v3
	v_cmp_ne_u32_e64 s[30:31], 0, v8
	v_cmp_ne_u32_e64 s[34:35], 0, v9
	v_cmp_ne_u32_e64 s[36:37], 0, v10
	s_bcnt1_i32_b64 s2, s[2:3]
	s_bcnt1_i32_b64 s3, s[30:31]
	s_bcnt1_i32_b64 s30, s[34:35]
	s_bcnt1_i32_b64 s31, s[36:37]
	s_add_u32 s2, s2, s80
	s_addc_u32 s34, 0, s81
	s_add_u32 s2, s2, s3
	s_addc_u32 s3, s34, 0
	s_add_u32 s2, s2, s30
	s_addc_u32 s3, s3, 0
	v_cmp_eq_u64_e64 s[38:39], 1, v[18:19]
	s_add_u32 s80, s2, s31
	v_cmp_eq_u64_e64 s[40:41], 1, v[50:51]
	s_addc_u32 s81, s3, 0
	s_and_b64 s[2:3], s[18:19], s[38:39]
	v_cmp_eq_u64_e64 s[42:43], 1, v[52:53]
	v_cndmask_b32_e64 v3, 0, 1, s[2:3]
	s_and_b64 s[2:3], s[16:17], s[40:41]
	v_cmp_eq_u64_e64 s[44:45], 1, v[54:55]
	v_cndmask_b32_e64 v10, 0, 1, s[2:3]
	s_and_b64 s[2:3], s[14:15], s[42:43]
	v_cndmask_b32_e64 v11, 0, 1, s[2:3]
	s_and_b64 s[2:3], s[12:13], s[44:45]
	v_cndmask_b32_e64 v12, 0, 1, s[2:3]
	v_cmp_ne_u32_e64 s[2:3], 0, v3
	v_cmp_ne_u32_e64 s[30:31], 0, v10
	v_cmp_ne_u32_e64 s[34:35], 0, v11
	v_cmp_ne_u32_e64 s[36:37], 0, v12
	s_bcnt1_i32_b64 s2, s[2:3]
	s_bcnt1_i32_b64 s3, s[30:31]
	s_bcnt1_i32_b64 s30, s[34:35]
	s_bcnt1_i32_b64 s31, s[36:37]
	s_add_u32 s2, s2, s90
	s_addc_u32 s34, 0, s91
	s_add_u32 s2, s2, s3
	s_addc_u32 s3, s34, 0
	s_add_u32 s2, s2, s30
	s_addc_u32 s3, s3, 0
	v_cmp_eq_u64_e64 s[46:47], 2, v[18:19]
	s_add_u32 s90, s2, s31
	v_cmp_eq_u64_e64 s[48:49], 2, v[50:51]
	s_addc_u32 s91, s3, 0
	s_and_b64 s[2:3], s[18:19], s[46:47]
	v_cmp_eq_u64_e64 s[50:51], 2, v[52:53]
	v_cndmask_b32_e64 v3, 0, 1, s[2:3]
	s_and_b64 s[2:3], s[16:17], s[48:49]
	;; [unrolled: 28-line block ×3, first 2 shown]
	v_cmp_eq_u64_e64 s[20:21], 3, v[54:55]
	v_cndmask_b32_e64 v14, 0, 1, s[2:3]
	s_and_b64 s[2:3], s[14:15], s[22:23]
	v_cndmask_b32_e64 v15, 0, 1, s[2:3]
	s_and_b64 s[2:3], s[12:13], s[20:21]
	v_cndmask_b32_e64 v18, 0, 1, s[2:3]
	v_cmp_ne_u32_e64 s[2:3], 0, v3
	v_cmp_ne_u32_e64 s[12:13], 0, v14
	;; [unrolled: 1-line block ×4, first 2 shown]
	s_bcnt1_i32_b64 s2, s[2:3]
	s_bcnt1_i32_b64 s3, s[12:13]
	;; [unrolled: 1-line block ×4, first 2 shown]
	s_add_u32 s2, s2, s86
	s_addc_u32 s14, 0, s87
	s_add_u32 s2, s2, s3
	s_addc_u32 s3, s14, 0
	;; [unrolled: 2-line block ×4, first 2 shown]
	v_mov_b64_e32 v[8:9], s[80:81]
	v_mov_b64_e32 v[10:11], s[90:91]
	v_mov_b64_e32 v[12:13], s[92:93]
	s_or_b64 s[72:73], vcc, s[72:73]
	v_mov_b64_e32 v[14:15], s[86:87]
	s_andn2_b64 exec, exec, s[72:73]
	s_cbranch_execnz .LBB31_74
; %bb.75:                               ;   in Loop: Header=BB31_32 Depth=1
	s_or_b64 exec, exec, s[72:73]
	v_readlane_b32 s86, v63, 36
	v_readlane_b32 s90, v63, 38
	;; [unrolled: 1-line block ×3, first 2 shown]
	s_mov_b64 s[92:93], s[4:5]
	v_readlane_b32 s87, v63, 37
	v_readlane_b32 s91, v63, 39
	v_readlane_b32 s81, v63, 41
.LBB31_76:                              ;   in Loop: Header=BB31_32 Depth=1
	s_or_b64 exec, exec, s[88:89]
	v_lshl_add_u64 v[4:5], s[8:9], 0, v[0:1]
	v_cmp_gt_i64_e32 vcc, s[56:57], v[4:5]
	s_and_saveexec_b64 s[6:7], vcc
	s_cbranch_execz .LBB31_82
; %bb.77:                               ;   in Loop: Header=BB31_32 Depth=1
	v_mad_u64_u32 v[42:43], s[2:3], v4, s62, 0
	v_mul_lo_u32 v3, v5, s62
	v_mul_lo_u32 v18, v4, s63
	v_readlane_b32 s2, v63, 16
	v_add3_u32 v43, v43, v18, v3
	v_readlane_b32 s3, v63, 17
	v_mov_b32_e32 v3, s1
	s_mov_b64 s[8:9], 0
	v_lshl_add_u64 v[42:43], v[42:43], 3, s[2:3]
	global_load_dwordx2 v[44:45], v[42:43], off
	v_lshl_add_u64 v[42:43], v[36:37], 0, s[98:99]
	v_subrev_co_u32_e32 v18, vcc, s0, v42
	v_readlane_b32 s0, v63, 30
	v_readlane_b32 s1, v63, 31
	v_subb_co_u32_e32 v3, vcc, v43, v3, vcc
	v_readlane_b32 s2, v63, 32
	v_mov_b64_e32 v[42:43], s[0:1]
	v_readlane_b32 s3, v63, 33
	v_mad_u64_u32 v[42:43], s[0:1], s2, v18, v[42:43]
	v_mul_lo_u32 v3, s2, v3
	v_mul_lo_u32 v46, s3, v18
	s_mul_i32 s0, s3, s98
	s_mul_hi_u32 s1, s2, s98
	v_add3_u32 v43, v46, v43, v3
	s_add_i32 s1, s1, s0
	s_mul_i32 s0, s2, s98
	s_branch .LBB31_79
.LBB31_78:                              ;   in Loop: Header=BB31_79 Depth=2
	s_or_b64 exec, exec, s[12:13]
	s_waitcnt vmcnt(0)
	v_xor_b32_e32 v45, 0x80000000, v45
	v_and_b32_e32 v49, v45, v39
	v_and_b32_e32 v48, v44, v38
	v_lshrrev_b64 v[44:45], s70, v[44:45]
	s_and_b64 s[2:3], exec, vcc
	v_and_b32_e32 v18, 3, v44
	s_or_b64 s[8:9], s[2:3], s[8:9]
	v_cmp_eq_u64_e32 vcc, v[48:49], v[32:33]
	v_cmp_eq_u64_e64 s[2:3], 0, v[18:19]
	s_and_b64 s[2:3], vcc, s[2:3]
	v_lshl_add_u64 v[42:43], v[42:43], 0, s[0:1]
	v_cndmask_b32_e64 v3, 0, 1, s[2:3]
	v_cmp_ne_u32_e64 s[2:3], 0, v3
	s_bcnt1_i32_b64 s78, s[2:3]
	v_cmp_eq_u64_e64 s[2:3], 1, v[18:19]
	s_and_b64 s[2:3], vcc, s[2:3]
	v_lshl_add_u64 v[8:9], s[78:79], 0, v[8:9]
	v_cndmask_b32_e64 v3, 0, 1, s[2:3]
	v_cmp_ne_u32_e64 s[2:3], 0, v3
	s_bcnt1_i32_b64 s78, s[2:3]
	;; [unrolled: 6-line block ×3, first 2 shown]
	v_cmp_eq_u64_e64 s[2:3], 3, v[18:19]
	s_and_b64 s[2:3], vcc, s[2:3]
	v_lshl_add_u64 v[12:13], s[78:79], 0, v[12:13]
	v_cndmask_b32_e64 v3, 0, 1, s[2:3]
	v_cmp_ne_u32_e32 vcc, 0, v3
	s_bcnt1_i32_b64 s78, vcc
	v_lshl_add_u64 v[14:15], s[78:79], 0, v[14:15]
	v_mov_b64_e32 v[44:45], v[46:47]
	s_andn2_b64 exec, exec, s[8:9]
	s_cbranch_execz .LBB31_81
.LBB31_79:                              ;   Parent Loop BB31_32 Depth=1
                                        ; =>  This Inner Loop Header: Depth=2
	v_lshl_add_u64 v[4:5], v[4:5], 0, s[98:99]
	v_cmp_gt_i64_e64 s[2:3], s[56:57], v[4:5]
	v_cmp_le_i64_e32 vcc, s[56:57], v[4:5]
	v_mov_b64_e32 v[46:47], 0
	s_and_saveexec_b64 s[12:13], s[2:3]
	s_cbranch_execz .LBB31_78
; %bb.80:                               ;   in Loop: Header=BB31_79 Depth=2
	global_load_dwordx2 v[46:47], v[42:43], off
	s_branch .LBB31_78
.LBB31_81:                              ;   in Loop: Header=BB31_32 Depth=1
	s_or_b64 exec, exec, s[8:9]
.LBB31_82:                              ;   in Loop: Header=BB31_32 Depth=1
	s_or_b64 exec, exec, s[6:7]
	s_mov_b32 s99, s85
	v_readlane_b32 s98, v63, 42
	s_branch .LBB31_61
.LBB31_83:                              ;   in Loop: Header=BB31_32 Depth=1
	global_load_ushort v3, v19, s[80:81]
	v_mov_b64_e32 v[8:9], 0
	v_mov_b64_e32 v[10:11], 0
	;; [unrolled: 1-line block ×4, first 2 shown]
	s_waitcnt vmcnt(0)
	v_readfirstlane_b32 s0, v3
	s_and_b32 s85, 0xffff, s0
	s_lshl_b32 s78, s85, 2
	v_cvt_f32_u32_e32 v4, s78
	s_sub_i32 s0, 0, s78
	v_rcp_iflag_f32_e32 v4, v4
	s_nop 0
	v_mul_f32_e32 v4, 0x4f7ffffe, v4
	v_cvt_u32_f32_e32 v4, v4
	s_nop 0
	v_readfirstlane_b32 s1, v4
	s_mul_i32 s0, s0, s1
	s_mul_hi_u32 s0, s1, s0
	s_add_i32 s1, s1, s0
	s_mul_hi_u32 s0, s84, s1
	s_mul_i32 s1, s0, s78
	s_sub_i32 s1, s84, s1
	s_add_i32 s2, s0, 1
	s_sub_i32 s3, s1, s78
	s_cmp_ge_u32 s1, s78
	s_cselect_b32 s0, s2, s0
	s_cselect_b32 s1, s3, s1
	s_add_i32 s2, s0, 1
	s_cmp_ge_u32 s1, s78
	s_cselect_b32 s0, s2, s0
	s_mul_hi_u32 s1, s85, s0
	s_mul_i32 s0, s85, s0
	s_lshl_b64 s[8:9], s[0:1], 2
	v_cmp_gt_u64_e32 vcc, s[8:9], v[22:23]
	s_and_saveexec_b64 s[6:7], vcc
	s_cbranch_execz .LBB31_87
; %bb.84:                               ;   in Loop: Header=BB31_32 Depth=1
	s_lshl_b32 s1, s85, 5
	s_mov_b64 s[72:73], 0
	v_mov_b32_e32 v48, v61
	s_mov_b64 s[80:81], 0
	s_mov_b64 s[86:87], 0
	;; [unrolled: 1-line block ×4, first 2 shown]
	v_mov_b64_e32 v[4:5], v[22:23]
.LBB31_85:                              ;   Parent Loop BB31_32 Depth=1
                                        ; =>  This Inner Loop Header: Depth=2
	ds_read_b128 v[12:15], v48
	ds_read_b128 v[8:11], v48 offset:16
	v_mov_b32_e32 v43, v19
	v_mov_b32_e32 v45, v19
	;; [unrolled: 1-line block ×3, first 2 shown]
	s_waitcnt lgkmcnt(1)
	v_xor_b32_e32 v13, 0x80000000, v13
	v_xor_b32_e32 v15, 0x80000000, v15
	v_and_b32_e32 v50, v12, v38
	v_and_b32_e32 v51, v13, v39
	v_lshrrev_b64 v[12:13], s70, v[12:13]
	s_waitcnt lgkmcnt(0)
	v_xor_b32_e32 v9, 0x80000000, v9
	v_and_b32_e32 v52, v14, v38
	v_and_b32_e32 v53, v15, v39
	v_lshrrev_b64 v[14:15], s70, v[14:15]
	v_and_b32_e32 v18, 3, v12
	v_xor_b32_e32 v11, 0x80000000, v11
	v_and_b32_e32 v54, v8, v38
	v_and_b32_e32 v55, v9, v39
	v_lshrrev_b64 v[8:9], s70, v[8:9]
	v_cmp_eq_u64_e64 s[18:19], v[50:51], v[32:33]
	v_and_b32_e32 v42, 3, v14
	v_cmp_eq_u64_e64 s[2:3], 0, v[18:19]
	v_and_b32_e32 v68, v10, v38
	v_and_b32_e32 v69, v11, v39
	v_lshrrev_b64 v[10:11], s70, v[10:11]
	v_cmp_eq_u64_e64 s[16:17], v[52:53], v[32:33]
	v_and_b32_e32 v44, 3, v8
	v_cmp_eq_u64_e64 s[30:31], 0, v[42:43]
	s_and_b64 s[2:3], s[18:19], s[2:3]
	v_cmp_eq_u64_e64 s[14:15], v[54:55], v[32:33]
	v_and_b32_e32 v46, 3, v10
	v_cmp_eq_u64_e64 s[34:35], 0, v[44:45]
	v_cndmask_b32_e64 v8, 0, 1, s[2:3]
	s_and_b64 s[2:3], s[16:17], s[30:31]
	v_cmp_eq_u64_e64 s[12:13], v[68:69], v[32:33]
	v_cmp_eq_u64_e64 s[36:37], 0, v[46:47]
	v_cndmask_b32_e64 v9, 0, 1, s[2:3]
	s_and_b64 s[2:3], s[14:15], s[34:35]
	v_cndmask_b32_e64 v10, 0, 1, s[2:3]
	s_and_b64 s[2:3], s[12:13], s[36:37]
	v_cndmask_b32_e64 v11, 0, 1, s[2:3]
	v_cmp_ne_u32_e64 s[2:3], 0, v8
	v_cmp_ne_u32_e64 s[30:31], 0, v9
	v_cmp_ne_u32_e64 s[34:35], 0, v10
	v_cmp_ne_u32_e64 s[36:37], 0, v11
	s_bcnt1_i32_b64 s2, s[2:3]
	s_bcnt1_i32_b64 s3, s[30:31]
	s_bcnt1_i32_b64 s30, s[34:35]
	s_bcnt1_i32_b64 s31, s[36:37]
	s_add_u32 s2, s2, s90
	s_addc_u32 s34, 0, s91
	s_add_u32 s2, s2, s3
	s_addc_u32 s3, s34, 0
	s_add_u32 s2, s2, s30
	s_addc_u32 s3, s3, 0
	v_cmp_eq_u64_e64 s[38:39], 1, v[18:19]
	s_add_u32 s90, s2, s31
	v_cmp_eq_u64_e64 s[40:41], 1, v[42:43]
	s_addc_u32 s91, s3, 0
	s_and_b64 s[2:3], s[18:19], s[38:39]
	v_cmp_eq_u64_e64 s[42:43], 1, v[44:45]
	v_cndmask_b32_e64 v10, 0, 1, s[2:3]
	s_and_b64 s[2:3], s[16:17], s[40:41]
	v_cmp_eq_u64_e64 s[44:45], 1, v[46:47]
	v_cndmask_b32_e64 v11, 0, 1, s[2:3]
	s_and_b64 s[2:3], s[14:15], s[42:43]
	v_cndmask_b32_e64 v12, 0, 1, s[2:3]
	s_and_b64 s[2:3], s[12:13], s[44:45]
	v_cndmask_b32_e64 v13, 0, 1, s[2:3]
	v_cmp_ne_u32_e64 s[2:3], 0, v10
	v_cmp_ne_u32_e64 s[30:31], 0, v11
	v_cmp_ne_u32_e64 s[34:35], 0, v12
	v_cmp_ne_u32_e64 s[36:37], 0, v13
	s_bcnt1_i32_b64 s2, s[2:3]
	s_bcnt1_i32_b64 s3, s[30:31]
	s_bcnt1_i32_b64 s30, s[34:35]
	s_bcnt1_i32_b64 s31, s[36:37]
	s_add_u32 s2, s2, s88
	s_addc_u32 s34, 0, s89
	s_add_u32 s2, s2, s3
	s_addc_u32 s3, s34, 0
	s_add_u32 s2, s2, s30
	s_addc_u32 s3, s3, 0
	v_cmp_eq_u64_e64 s[46:47], 2, v[18:19]
	s_add_u32 s88, s2, s31
	v_cmp_eq_u64_e64 s[48:49], 2, v[42:43]
	s_addc_u32 s89, s3, 0
	s_and_b64 s[2:3], s[18:19], s[46:47]
	v_cmp_eq_u64_e64 s[50:51], 2, v[44:45]
	v_cndmask_b32_e64 v12, 0, 1, s[2:3]
	s_and_b64 s[2:3], s[16:17], s[48:49]
	;; [unrolled: 28-line block ×3, first 2 shown]
	v_cmp_eq_u64_e64 s[20:21], 3, v[46:47]
	v_cndmask_b32_e64 v15, 0, 1, s[2:3]
	s_and_b64 s[2:3], s[14:15], s[22:23]
	v_cndmask_b32_e64 v18, 0, 1, s[2:3]
	s_and_b64 s[2:3], s[12:13], s[20:21]
	v_cndmask_b32_e64 v42, 0, 1, s[2:3]
	v_cmp_ne_u32_e64 s[2:3], 0, v14
	v_cmp_ne_u32_e64 s[12:13], 0, v15
	;; [unrolled: 1-line block ×4, first 2 shown]
	s_bcnt1_i32_b64 s2, s[2:3]
	s_bcnt1_i32_b64 s3, s[12:13]
	;; [unrolled: 1-line block ×4, first 2 shown]
	s_add_u32 s2, s2, s80
	s_addc_u32 s14, 0, s81
	s_add_u32 s2, s2, s3
	s_addc_u32 s3, s14, 0
	;; [unrolled: 2-line block ×3, first 2 shown]
	v_lshl_add_u64 v[4:5], v[4:5], 0, s[78:79]
	s_add_u32 s80, s2, s13
	v_cmp_le_u64_e32 vcc, s[8:9], v[4:5]
	s_addc_u32 s81, s3, 0
	v_add_u32_e32 v48, s1, v48
	v_mov_b64_e32 v[8:9], s[90:91]
	v_mov_b64_e32 v[10:11], s[88:89]
	;; [unrolled: 1-line block ×3, first 2 shown]
	s_or_b64 s[72:73], vcc, s[72:73]
	v_mov_b64_e32 v[14:15], s[80:81]
	s_andn2_b64 exec, exec, s[72:73]
	s_cbranch_execnz .LBB31_85
; %bb.86:                               ;   in Loop: Header=BB31_32 Depth=1
	s_or_b64 exec, exec, s[72:73]
	v_readlane_b32 s86, v63, 36
	v_readlane_b32 s90, v63, 38
	v_readlane_b32 s80, v63, 40
	v_readlane_b32 s87, v63, 37
	v_readlane_b32 s91, v63, 39
	v_readlane_b32 s81, v63, 41
.LBB31_87:                              ;   in Loop: Header=BB31_32 Depth=1
	s_or_b64 exec, exec, s[6:7]
	s_and_b32 s6, s84, 0x7fffffff
	s_mov_b32 s7, s79
	v_lshl_add_u64 v[42:43], s[8:9], 0, v[0:1]
	v_and_b32_e32 v4, 0xffff, v3
	v_mov_b32_e32 v5, v19
	v_cmp_gt_u64_e32 vcc, s[6:7], v[42:43]
	s_and_saveexec_b64 s[8:9], vcc
	s_cbranch_execz .LBB31_91
; %bb.88:                               ;   in Loop: Header=BB31_32 Depth=1
	v_lshl_add_u32 v3, s0, 5, v57
	s_lshl_b32 s20, s85, 3
	s_mov_b64 s[0:1], 0
.LBB31_89:                              ;   Parent Loop BB31_32 Depth=1
                                        ; =>  This Inner Loop Header: Depth=2
	ds_read_b64 v[44:45], v3
	v_lshl_add_u64 v[42:43], v[42:43], 0, v[4:5]
	v_cmp_le_u64_e32 vcc, s[6:7], v[42:43]
	v_add_u32_e32 v3, s20, v3
	s_waitcnt lgkmcnt(0)
	v_xor_b32_e32 v45, 0x80000000, v45
	v_and_b32_e32 v46, v44, v38
	v_and_b32_e32 v47, v45, v39
	v_lshrrev_b64 v[44:45], s70, v[44:45]
	v_and_b32_e32 v18, 3, v44
	v_cmp_eq_u64_e64 s[2:3], v[46:47], v[32:33]
	v_cmp_eq_u64_e64 s[12:13], 0, v[18:19]
	;; [unrolled: 1-line block ×3, first 2 shown]
	s_and_b64 s[12:13], s[2:3], s[12:13]
	v_cmp_eq_u64_e64 s[16:17], 2, v[18:19]
	v_cmp_eq_u64_e64 s[18:19], 3, v[18:19]
	v_cndmask_b32_e64 v18, 0, 1, s[12:13]
	s_and_b64 s[12:13], s[2:3], s[14:15]
	v_cndmask_b32_e64 v44, 0, 1, s[12:13]
	s_and_b64 s[12:13], s[2:3], s[16:17]
	s_and_b64 s[2:3], s[2:3], s[18:19]
	v_cndmask_b32_e64 v46, 0, 1, s[2:3]
	v_cmp_ne_u32_e64 s[2:3], 0, v18
	v_cndmask_b32_e64 v45, 0, 1, s[12:13]
	v_cmp_ne_u32_e64 s[12:13], 0, v44
	s_bcnt1_i32_b64 s78, s[2:3]
	v_cmp_ne_u32_e64 s[14:15], 0, v45
	v_lshl_add_u64 v[8:9], s[78:79], 0, v[8:9]
	s_bcnt1_i32_b64 s78, s[12:13]
	v_cmp_ne_u32_e64 s[16:17], 0, v46
	v_lshl_add_u64 v[10:11], s[78:79], 0, v[10:11]
	s_bcnt1_i32_b64 s78, s[14:15]
	v_lshl_add_u64 v[12:13], s[78:79], 0, v[12:13]
	s_bcnt1_i32_b64 s78, s[16:17]
	s_or_b64 s[0:1], vcc, s[0:1]
	v_lshl_add_u64 v[14:15], s[78:79], 0, v[14:15]
	s_andn2_b64 exec, exec, s[0:1]
	s_cbranch_execnz .LBB31_89
; %bb.90:                               ;   in Loop: Header=BB31_32 Depth=1
	s_or_b64 exec, exec, s[0:1]
.LBB31_91:                              ;   in Loop: Header=BB31_32 Depth=1
	s_or_b64 exec, exec, s[8:9]
	s_lshl_b32 s2, s71, 6
	s_and_saveexec_b64 s[0:1], s[86:87]
	s_cbranch_execnz .LBB31_62
	s_branch .LBB31_63
.LBB31_92:                              ;   in Loop: Header=BB31_32 Depth=1
                                        ; implicit-def: $sgpr0_sgpr1
	s_branch .LBB31_71
.LBB31_93:                              ;   in Loop: Header=BB31_32 Depth=1
	s_or_b64 exec, exec, s[6:7]
	s_waitcnt lgkmcnt(0)
	s_barrier
	s_mov_b64 s[2:3], exec
	v_readlane_b32 s6, v63, 8
	v_readlane_b32 s7, v63, 9
	s_and_b64 s[6:7], s[2:3], s[6:7]
	s_mov_b64 exec, s[6:7]
	s_cbranch_execz .LBB31_95
; %bb.94:                               ;   in Loop: Header=BB31_32 Depth=1
	ds_read_b32 v4, v19 offset:5136
	s_waitcnt lgkmcnt(0)
	v_ashrrev_i32_e32 v5, 31, v4
	ds_write_b64 v19, v[4:5] offset:5120
.LBB31_95:                              ;   in Loop: Header=BB31_32 Depth=1
	s_or_b64 exec, exec, s[2:3]
	s_waitcnt lgkmcnt(0)
	s_barrier
	s_mov_b64 s[2:3], -1
	s_and_b64 vcc, exec, s[0:1]
	s_cbranch_vccnz .LBB31_48
	s_branch .LBB31_57
.LBB31_96:                              ;   in Loop: Header=BB31_32 Depth=1
	s_mov_b32 s3, 0
	v_mov_b64_e32 v[4:5], 0
.LBB31_97:                              ;   in Loop: Header=BB31_32 Depth=1
	v_readlane_b32 s4, v63, 28
	v_readlane_b32 s5, v63, 29
	s_andn2_b64 vcc, exec, s[4:5]
	s_cbranch_vccnz .LBB31_100
; %bb.98:                               ;   in Loop: Header=BB31_32 Depth=1
	s_lshl_b32 s6, s71, 9
	s_lshl_b32 s3, s3, 5
	s_add_i32 s6, s6, s3
	v_add_u32_e32 v3, s6, v62
	v_readlane_b32 s3, v63, 27
.LBB31_99:                              ;   Parent Loop BB31_32 Depth=1
                                        ; =>  This Inner Loop Header: Depth=2
	ds_read_b64 v[8:9], v3
	s_add_i32 s3, s3, -1
	v_add_u32_e32 v3, 32, v3
	s_cmp_lg_u32 s3, 0
	s_waitcnt lgkmcnt(0)
	v_lshl_add_u64 v[4:5], v[8:9], 0, v[4:5]
	s_cbranch_scc1 .LBB31_99
.LBB31_100:                             ;   in Loop: Header=BB31_32 Depth=1
	v_add_lshl_u32 v3, s2, v56, 3
	ds_write_b64 v3, v[4:5] offset:3072
.LBB31_101:                             ;   in Loop: Header=BB31_32 Depth=1
	s_or_b64 exec, exec, s[0:1]
	s_lshl_b32 s0, s2, 3
	v_mov_b32_e32 v3, s0
	s_waitcnt lgkmcnt(0)
	s_barrier
	ds_read_b128 v[12:15], v3 offset:3088
	ds_read_b128 v[8:11], v3 offset:3072
	s_lshl_b64 s[14:15], 3, s70
	v_cmp_eq_u64_e64 s[2:3], 1, v[40:41]
	s_not_b64 s[24:25], s[14:15]
	s_waitcnt lgkmcnt(1)
	v_readfirstlane_b32 s22, v12
	s_waitcnt lgkmcnt(0)
	v_cmp_eq_u64_e32 vcc, 1, v[8:9]
	v_readfirstlane_b32 s23, v13
	v_readfirstlane_b32 s12, v14
	;; [unrolled: 1-line block ×3, first 2 shown]
	s_and_b64 s[18:19], vcc, s[2:3]
	s_mov_b64 s[2:3], -1
	s_mov_b64 s[8:9], -1
                                        ; implicit-def: $sgpr6_sgpr7
                                        ; implicit-def: $sgpr0_sgpr1
	s_and_saveexec_b64 s[16:17], s[18:19]
	s_cbranch_execz .LBB31_135
; %bb.102:                              ;   in Loop: Header=BB31_32 Depth=1
	ds_read_b64 v[4:5], v19 offset:5120
	v_readlane_b32 s4, v63, 10
	v_readlane_b32 s5, v63, 11
	s_waitcnt lgkmcnt(0)
	s_barrier
	v_readfirstlane_b32 s20, v4
	v_readfirstlane_b32 s21, v5
	s_and_saveexec_b64 s[0:1], s[4:5]
; %bb.103:                              ;   in Loop: Header=BB31_32 Depth=1
	ds_write_b64 v58, v[66:67]
; %bb.104:                              ;   in Loop: Header=BB31_32 Depth=1
	s_or_b64 exec, exec, s[0:1]
	v_cmp_lt_i64_e64 s[8:9], s[20:21], 1
	v_and_b32_e32 v33, s25, v33
	v_and_b32_e32 v32, s24, v32
	v_or_b32_e32 v39, s15, v39
	v_or_b32_e32 v38, s14, v38
	s_mov_b64 s[0:1], -1
	s_mov_b64 s[6:7], 0
	s_and_b64 vcc, exec, s[8:9]
	s_mov_b64 s[8:9], 0
	s_mov_b64 s[26:27], -1
	s_waitcnt lgkmcnt(0)
	s_barrier
                                        ; implicit-def: $vgpr6_vgpr7
	s_cbranch_vccz .LBB31_120
; %bb.105:                              ;   in Loop: Header=BB31_32 Depth=1
	s_mov_b32 s98, s79
	s_cmp_lg_u64 s[98:99], 0
	s_cbranch_scc0 .LBB31_107
; %bb.106:                              ;   in Loop: Header=BB31_32 Depth=1
	s_add_u32 s8, s76, 0
	s_addc_u32 s9, 0, 0
	s_xor_b64 s[8:9], s[8:9], 0
	v_cvt_f32_u32_e32 v3, s8
	v_cvt_f32_u32_e32 v4, s9
	s_sub_u32 s30, 0, s8
	s_subb_u32 s31, 0, s9
	v_readlane_b32 s4, v63, 23
	v_fmac_f32_e32 v3, 0x4f800000, v4
	v_rcp_f32_e32 v3, v3
	s_nop 0
	v_mul_f32_e32 v3, 0x5f7ffffc, v3
	v_mul_f32_e32 v4, 0x2f800000, v3
	v_trunc_f32_e32 v4, v4
	v_fmac_f32_e32 v3, 0xcf800000, v4
	v_cvt_u32_f32_e32 v4, v4
	v_cvt_u32_f32_e32 v3, v3
	v_readfirstlane_b32 s34, v4
	v_readfirstlane_b32 s26, v3
	s_mul_i32 s27, s30, s34
	s_mul_hi_u32 s36, s30, s26
	s_mul_i32 s35, s31, s26
	s_add_i32 s27, s36, s27
	s_mul_i32 s37, s30, s26
	s_add_i32 s27, s27, s35
	s_mul_i32 s36, s26, s27
	s_mul_hi_u32 s38, s26, s37
	s_mul_hi_u32 s35, s26, s27
	s_add_u32 s36, s38, s36
	s_addc_u32 s35, 0, s35
	s_mul_hi_u32 s39, s34, s37
	s_mul_i32 s37, s34, s37
	s_add_u32 s36, s36, s37
	s_mul_hi_u32 s38, s34, s27
	s_addc_u32 s35, s35, s39
	s_addc_u32 s36, s38, 0
	s_mul_i32 s27, s34, s27
	s_add_u32 s27, s35, s27
	s_addc_u32 s35, 0, s36
	s_add_u32 s36, s26, s27
	s_cselect_b64 s[26:27], -1, 0
	s_cmp_lg_u64 s[26:27], 0
	s_addc_u32 s34, s34, s35
	s_mul_i32 s26, s30, s34
	s_mul_hi_u32 s27, s30, s36
	s_add_i32 s26, s27, s26
	s_mul_i32 s31, s31, s36
	s_add_i32 s26, s26, s31
	s_mul_i32 s30, s30, s36
	s_mul_hi_u32 s31, s34, s30
	s_mul_i32 s35, s34, s30
	s_mul_i32 s38, s36, s26
	s_mul_hi_u32 s30, s36, s30
	s_mul_hi_u32 s37, s36, s26
	s_add_u32 s30, s30, s38
	s_addc_u32 s37, 0, s37
	s_add_u32 s30, s30, s35
	s_mul_hi_u32 s27, s34, s26
	s_addc_u32 s30, s37, s31
	s_addc_u32 s27, s27, 0
	s_mul_i32 s26, s34, s26
	s_add_u32 s26, s30, s26
	s_addc_u32 s30, 0, s27
	s_add_u32 s35, s36, s26
	s_cselect_b64 s[26:27], -1, 0
	s_cmp_lg_u64 s[26:27], 0
	s_addc_u32 s34, s34, s30
	s_ashr_i32 s26, s99, 31
	s_add_u32 s30, s4, s26
	s_mov_b32 s27, s26
	s_addc_u32 s31, s99, s26
	s_xor_b64 s[30:31], s[30:31], s[26:27]
	s_mul_i32 s37, s30, s34
	s_mul_hi_u32 s38, s30, s35
	s_mul_hi_u32 s36, s30, s34
	s_add_u32 s37, s38, s37
	s_addc_u32 s36, 0, s36
	s_mul_hi_u32 s39, s31, s35
	s_mul_i32 s35, s31, s35
	s_add_u32 s35, s37, s35
	s_mul_hi_u32 s38, s31, s34
	s_addc_u32 s35, s36, s39
	s_addc_u32 s36, s38, 0
	s_mul_i32 s34, s31, s34
	s_add_u32 s34, s35, s34
	s_addc_u32 s35, 0, s36
	s_mul_i32 s35, s8, s35
	s_mul_hi_u32 s36, s8, s34
	s_add_i32 s35, s36, s35
	s_mul_i32 s36, s9, s34
	s_add_i32 s38, s35, s36
	s_sub_i32 s36, s31, s38
	s_mul_i32 s34, s8, s34
	s_sub_u32 s30, s30, s34
	s_cselect_b64 s[34:35], -1, 0
	s_cmp_lg_u64 s[34:35], 0
	s_subb_u32 s39, s36, s9
	s_sub_u32 s40, s30, s8
	s_cselect_b64 s[36:37], -1, 0
	s_cmp_lg_u64 s[36:37], 0
	s_subb_u32 s41, s39, 0
	s_cmp_ge_u32 s41, s9
	s_cselect_b32 s42, -1, 0
	s_cmp_ge_u32 s40, s8
	s_cselect_b32 s43, -1, 0
	s_cmp_eq_u32 s41, s9
	s_cselect_b32 s42, s43, s42
	s_cmp_lg_u64 s[36:37], 0
	s_subb_u32 s39, s39, s9
	s_sub_u32 s43, s40, s8
	s_cselect_b64 s[36:37], -1, 0
	s_cmp_lg_u64 s[36:37], 0
	s_subb_u32 s36, s39, 0
	s_cmp_lg_u32 s42, 0
	s_cselect_b32 s37, s43, s40
	s_cselect_b32 s36, s36, s41
	s_cmp_lg_u64 s[34:35], 0
	s_subb_u32 s31, s31, s38
	s_cmp_ge_u32 s31, s9
	s_cselect_b32 s34, -1, 0
	s_cmp_ge_u32 s30, s8
	s_cselect_b32 s8, -1, 0
	s_cmp_eq_u32 s31, s9
	s_cselect_b32 s8, s8, s34
	s_cmp_lg_u32 s8, 0
	s_cselect_b32 s9, s36, s31
	s_cselect_b32 s8, s37, s30
	s_xor_b64 s[8:9], s[8:9], s[26:27]
	s_sub_u32 s8, s8, s26
	s_subb_u32 s9, s9, s26
	s_mov_b64 s[26:27], 0
	s_branch .LBB31_108
.LBB31_107:                             ;   in Loop: Header=BB31_32 Depth=1
                                        ; implicit-def: $sgpr8_sgpr9
.LBB31_108:                             ;   in Loop: Header=BB31_32 Depth=1
	s_andn2_b64 vcc, exec, s[26:27]
	v_readlane_b32 s98, v63, 42
	s_cbranch_vccnz .LBB31_110
; %bb.109:                              ;   in Loop: Header=BB31_32 Depth=1
	v_cvt_f32_u32_e32 v3, s76
	s_sub_i32 s8, 0, s76
	v_readlane_b32 s4, v63, 23
	v_rcp_iflag_f32_e32 v3, v3
	s_nop 0
	v_mul_f32_e32 v3, 0x4f7ffffe, v3
	v_cvt_u32_f32_e32 v3, v3
	s_nop 0
	v_readfirstlane_b32 s9, v3
	s_mul_i32 s8, s8, s9
	s_mul_hi_u32 s8, s9, s8
	s_add_i32 s9, s9, s8
	s_mul_hi_u32 s8, s4, s9
	s_mul_i32 s8, s8, s76
	s_sub_i32 s8, s4, s8
	s_sub_i32 s9, s8, s76
	s_cmp_ge_u32 s8, s76
	s_cselect_b32 s8, s9, s8
	s_sub_i32 s9, s8, s76
	s_cmp_ge_u32 s8, s76
	s_cselect_b32 s78, s9, s8
	s_mov_b64 s[8:9], s[78:79]
.LBB31_110:                             ;   in Loop: Header=BB31_32 Depth=1
	v_readlane_b32 s4, v63, 23
	s_sub_u32 s34, s4, s8
	s_subb_u32 s35, s99, s9
	v_cmp_gt_i64_e32 vcc, s[34:35], v[0:1]
	s_mov_b64 s[26:27], 0
	s_mov_b64 s[8:9], 0
                                        ; implicit-def: $vgpr6_vgpr7
	s_and_saveexec_b64 s[30:31], vcc
	s_cbranch_execz .LBB31_119
; %bb.111:                              ;   in Loop: Header=BB31_32 Depth=1
	v_mov_b64_e32 v[12:13], v[16:17]
	v_mov_b64_e32 v[14:15], v[0:1]
                                        ; implicit-def: $sgpr36_sgpr37
	s_branch .LBB31_114
.LBB31_112:                             ;   in Loop: Header=BB31_114 Depth=2
	s_or_b64 exec, exec, s[38:39]
	s_waitcnt lgkmcnt(0)
	s_barrier
	ds_read_b128 v[4:7], v19 offset:3072
	s_mov_b64 s[38:39], -1
	s_mov_b64 s[40:41], -1
	s_waitcnt lgkmcnt(0)
	s_barrier
	v_cmp_ne_u64_e32 vcc, 0, v[4:5]
	s_cbranch_vccz .LBB31_117
.LBB31_113:                             ;   in Loop: Header=BB31_114 Depth=2
	s_and_b64 s[38:39], exec, s[38:39]
	s_or_b64 s[8:9], s[38:39], s[8:9]
	s_andn2_b64 s[36:37], s[36:37], exec
	s_and_b64 s[38:39], s[40:41], exec
	s_or_b64 s[36:37], s[36:37], s[38:39]
	s_andn2_b64 exec, exec, s[8:9]
	s_cbranch_execz .LBB31_118
.LBB31_114:                             ;   Parent Loop BB31_32 Depth=1
                                        ; =>  This Inner Loop Header: Depth=2
	v_cmp_gt_i64_e32 vcc, s[56:57], v[14:15]
	s_and_saveexec_b64 s[38:39], vcc
	s_cbranch_execz .LBB31_112
; %bb.115:                              ;   in Loop: Header=BB31_114 Depth=2
	global_load_dwordx2 v[4:5], v[12:13], off
	s_waitcnt vmcnt(0)
	v_xor_b32_e32 v3, 0x80000000, v5
	v_and_b32_e32 v7, v3, v39
	v_and_b32_e32 v6, v4, v38
	v_cmp_eq_u64_e32 vcc, v[6:7], v[32:33]
	s_and_b64 exec, exec, vcc
	s_cbranch_execz .LBB31_112
; %bb.116:                              ;   in Loop: Header=BB31_114 Depth=2
	v_mov_b32_e32 v3, v19
	ds_write_b128 v19, v[2:5] offset:3072
	s_branch .LBB31_112
.LBB31_117:                             ;   in Loop: Header=BB31_114 Depth=2
	v_lshl_add_u64 v[14:15], v[14:15], 0, s[76:77]
	v_cmp_le_i64_e32 vcc, s[34:35], v[14:15]
	v_lshl_add_u64 v[12:13], v[12:13], 0, s[92:93]
	s_mov_b64 s[40:41], 0
	s_orn2_b64 s[38:39], vcc, exec
	s_branch .LBB31_113
.LBB31_118:                             ;   in Loop: Header=BB31_32 Depth=1
	s_or_b64 exec, exec, s[8:9]
	s_and_b64 s[8:9], s[36:37], exec
.LBB31_119:                             ;   in Loop: Header=BB31_32 Depth=1
	s_or_b64 exec, exec, s[30:31]
.LBB31_120:                             ;   in Loop: Header=BB31_32 Depth=1
	s_and_b64 vcc, exec, s[26:27]
	s_cbranch_vccz .LBB31_134
; %bb.121:                              ;   in Loop: Header=BB31_32 Depth=1
	v_readlane_b32 s0, v63, 22
	s_add_u32 s30, s20, s0
	v_readlane_b32 s0, v63, 24
	s_addc_u32 s1, s21, s0
	s_mov_b32 s0, s79
	s_cmp_lg_u64 s[0:1], 0
	s_cbranch_scc0 .LBB31_152
; %bb.122:                              ;   in Loop: Header=BB31_32 Depth=1
	s_add_u32 s6, s76, 0
	s_addc_u32 s7, 0, 0
	s_xor_b64 s[6:7], s[6:7], 0
	v_cvt_f32_u32_e32 v3, s6
	v_cvt_f32_u32_e32 v4, s7
	s_sub_u32 s0, 0, s6
	s_subb_u32 s31, 0, s7
	v_fmac_f32_e32 v3, 0x4f800000, v4
	v_rcp_f32_e32 v3, v3
	s_nop 0
	v_mul_f32_e32 v3, 0x5f7ffffc, v3
	v_mul_f32_e32 v4, 0x2f800000, v3
	v_trunc_f32_e32 v4, v4
	v_fmac_f32_e32 v3, 0xcf800000, v4
	v_cvt_u32_f32_e32 v4, v4
	v_cvt_u32_f32_e32 v3, v3
	v_readfirstlane_b32 s34, v4
	v_readfirstlane_b32 s26, v3
	s_mul_i32 s27, s0, s34
	s_mul_hi_u32 s36, s0, s26
	s_mul_i32 s35, s31, s26
	s_add_i32 s27, s36, s27
	s_mul_i32 s37, s0, s26
	s_add_i32 s27, s27, s35
	s_mul_i32 s36, s26, s27
	s_mul_hi_u32 s38, s26, s37
	s_mul_hi_u32 s35, s26, s27
	s_add_u32 s36, s38, s36
	s_addc_u32 s35, 0, s35
	s_mul_hi_u32 s39, s34, s37
	s_mul_i32 s37, s34, s37
	s_add_u32 s36, s36, s37
	s_mul_hi_u32 s38, s34, s27
	s_addc_u32 s35, s35, s39
	s_addc_u32 s36, s38, 0
	s_mul_i32 s27, s34, s27
	s_add_u32 s27, s35, s27
	s_addc_u32 s35, 0, s36
	s_add_u32 s36, s26, s27
	s_cselect_b64 s[26:27], -1, 0
	s_cmp_lg_u64 s[26:27], 0
	s_addc_u32 s34, s34, s35
	s_mul_i32 s26, s0, s34
	s_mul_hi_u32 s27, s0, s36
	s_add_i32 s26, s27, s26
	s_mul_i32 s31, s31, s36
	s_add_i32 s26, s26, s31
	s_mul_i32 s0, s0, s36
	s_mul_hi_u32 s31, s34, s0
	s_mul_i32 s35, s34, s0
	s_mul_i32 s38, s36, s26
	s_mul_hi_u32 s0, s36, s0
	s_mul_hi_u32 s37, s36, s26
	s_add_u32 s0, s0, s38
	s_addc_u32 s37, 0, s37
	s_add_u32 s0, s0, s35
	s_mul_hi_u32 s27, s34, s26
	s_addc_u32 s0, s37, s31
	s_addc_u32 s27, s27, 0
	s_mul_i32 s26, s34, s26
	s_add_u32 s0, s0, s26
	s_addc_u32 s31, 0, s27
	s_add_u32 s0, s36, s0
	s_cselect_b64 s[26:27], -1, 0
	s_cmp_lg_u64 s[26:27], 0
	s_addc_u32 s31, s34, s31
	s_ashr_i32 s26, s1, 31
	s_add_u32 s34, s30, s26
	s_mov_b32 s27, s26
	s_addc_u32 s35, s1, s26
	s_xor_b64 s[34:35], s[34:35], s[26:27]
	s_mul_i32 s37, s34, s31
	s_mul_hi_u32 s38, s34, s0
	s_mul_hi_u32 s36, s34, s31
	s_add_u32 s37, s38, s37
	s_addc_u32 s36, 0, s36
	s_mul_hi_u32 s39, s35, s0
	s_mul_i32 s0, s35, s0
	s_add_u32 s0, s37, s0
	s_mul_hi_u32 s38, s35, s31
	s_addc_u32 s0, s36, s39
	s_addc_u32 s36, s38, 0
	s_mul_i32 s31, s35, s31
	s_add_u32 s0, s0, s31
	s_addc_u32 s31, 0, s36
	s_mul_i32 s31, s6, s31
	s_mul_hi_u32 s36, s6, s0
	s_add_i32 s31, s36, s31
	s_mul_i32 s36, s7, s0
	s_add_i32 s31, s31, s36
	s_sub_i32 s38, s35, s31
	s_mul_i32 s0, s6, s0
	s_sub_u32 s0, s34, s0
	s_cselect_b64 s[36:37], -1, 0
	s_cmp_lg_u64 s[36:37], 0
	s_subb_u32 s34, s38, s7
	s_sub_u32 s40, s0, s6
	s_cselect_b64 s[38:39], -1, 0
	s_cmp_lg_u64 s[38:39], 0
	s_subb_u32 s41, s34, 0
	s_cmp_ge_u32 s41, s7
	s_cselect_b32 s42, -1, 0
	s_cmp_ge_u32 s40, s6
	s_cselect_b32 s43, -1, 0
	s_cmp_eq_u32 s41, s7
	s_cselect_b32 s42, s43, s42
	s_cmp_lg_u64 s[38:39], 0
	s_subb_u32 s34, s34, s7
	s_sub_u32 s43, s40, s6
	s_cselect_b64 s[38:39], -1, 0
	s_cmp_lg_u64 s[38:39], 0
	s_subb_u32 s34, s34, 0
	s_cmp_lg_u32 s42, 0
	s_cselect_b32 s38, s43, s40
	s_cselect_b32 s34, s34, s41
	s_cmp_lg_u64 s[36:37], 0
	s_subb_u32 s31, s35, s31
	s_cmp_ge_u32 s31, s7
	s_cselect_b32 s35, -1, 0
	s_cmp_ge_u32 s0, s6
	s_cselect_b32 s6, -1, 0
	s_cmp_eq_u32 s31, s7
	s_cselect_b32 s6, s6, s35
	s_cmp_lg_u32 s6, 0
	s_cselect_b32 s7, s34, s31
	s_cselect_b32 s6, s38, s0
	s_xor_b64 s[6:7], s[6:7], s[26:27]
	s_sub_u32 s6, s6, s26
	s_subb_u32 s7, s7, s26
	s_cbranch_execnz .LBB31_124
.LBB31_123:                             ;   in Loop: Header=BB31_32 Depth=1
	v_cvt_f32_u32_e32 v3, s76
	s_sub_i32 s0, 0, s76
	v_rcp_iflag_f32_e32 v3, v3
	s_nop 0
	v_mul_f32_e32 v3, 0x4f7ffffe, v3
	v_cvt_u32_f32_e32 v3, v3
	s_nop 0
	v_readfirstlane_b32 s6, v3
	s_mul_i32 s0, s0, s6
	s_mul_hi_u32 s0, s6, s0
	s_add_i32 s6, s6, s0
	s_mul_hi_u32 s0, s30, s6
	s_mul_i32 s0, s0, s76
	s_sub_i32 s0, s30, s0
	s_sub_i32 s6, s0, s76
	s_cmp_ge_u32 s0, s76
	s_cselect_b32 s0, s6, s0
	s_sub_i32 s6, s0, s76
	s_cmp_ge_u32 s0, s76
	s_cselect_b32 s78, s6, s0
	s_mov_b64 s[6:7], s[78:79]
.LBB31_124:                             ;   in Loop: Header=BB31_32 Depth=1
	s_sub_u32 s6, s30, s6
	s_subb_u32 s7, s1, s7
	v_cmp_gt_i64_e32 vcc, s[6:7], v[0:1]
                                        ; implicit-def: $vgpr6_vgpr7
	s_and_saveexec_b64 s[0:1], vcc
	s_cbranch_execz .LBB31_133
; %bb.125:                              ;   in Loop: Header=BB31_32 Depth=1
	s_mov_b64 s[30:31], 0
	v_mov_b32_e32 v14, v57
	v_mov_b64_e32 v[12:13], v[0:1]
                                        ; implicit-def: $sgpr26_sgpr27
	s_branch .LBB31_128
.LBB31_126:                             ;   in Loop: Header=BB31_128 Depth=2
	s_or_b64 exec, exec, s[34:35]
	s_waitcnt lgkmcnt(0)
	s_barrier
	ds_read_b128 v[4:7], v19 offset:3072
	s_mov_b64 s[34:35], -1
	s_mov_b64 s[36:37], -1
	s_waitcnt lgkmcnt(0)
	s_barrier
	v_cmp_ne_u64_e32 vcc, 0, v[4:5]
	s_cbranch_vccz .LBB31_131
.LBB31_127:                             ;   in Loop: Header=BB31_128 Depth=2
	s_and_b64 s[34:35], exec, s[34:35]
	s_or_b64 s[30:31], s[34:35], s[30:31]
	s_andn2_b64 s[26:27], s[26:27], exec
	s_and_b64 s[34:35], s[36:37], exec
	s_or_b64 s[26:27], s[26:27], s[34:35]
	s_andn2_b64 exec, exec, s[30:31]
	s_cbranch_execz .LBB31_132
.LBB31_128:                             ;   Parent Loop BB31_32 Depth=1
                                        ; =>  This Inner Loop Header: Depth=2
	v_cmp_gt_u64_e32 vcc, s[20:21], v[12:13]
	s_and_saveexec_b64 s[34:35], vcc
	s_cbranch_execz .LBB31_126
; %bb.129:                              ;   in Loop: Header=BB31_128 Depth=2
	ds_read_b64 v[4:5], v14
	s_waitcnt lgkmcnt(0)
	v_xor_b32_e32 v3, 0x80000000, v5
	v_and_b32_e32 v7, v3, v39
	v_and_b32_e32 v6, v4, v38
	v_cmp_eq_u64_e32 vcc, v[6:7], v[32:33]
	s_and_b64 exec, exec, vcc
	s_cbranch_execz .LBB31_126
; %bb.130:                              ;   in Loop: Header=BB31_128 Depth=2
	v_mov_b32_e32 v3, v19
	ds_write_b128 v19, v[2:5] offset:3072
	s_branch .LBB31_126
.LBB31_131:                             ;   in Loop: Header=BB31_128 Depth=2
	v_lshl_add_u64 v[12:13], v[12:13], 0, s[76:77]
	v_cmp_le_i64_e32 vcc, s[6:7], v[12:13]
	v_add_u32_e32 v14, s98, v14
	s_mov_b64 s[36:37], 0
	s_orn2_b64 s[34:35], vcc, exec
	s_branch .LBB31_127
.LBB31_132:                             ;   in Loop: Header=BB31_32 Depth=1
	s_or_b64 exec, exec, s[30:31]
	s_andn2_b64 s[6:7], s[8:9], exec
	s_and_b64 s[8:9], s[26:27], exec
	s_or_b64 s[8:9], s[6:7], s[8:9]
.LBB31_133:                             ;   in Loop: Header=BB31_32 Depth=1
	s_or_b64 exec, exec, s[0:1]
	s_mov_b64 s[0:1], 0
	s_mov_b64 s[6:7], -1
.LBB31_134:                             ;   in Loop: Header=BB31_32 Depth=1
	s_orn2_b64 s[8:9], s[8:9], exec
.LBB31_135:                             ;   in Loop: Header=BB31_32 Depth=1
	s_or_b64 exec, exec, s[16:17]
	s_andn2_b64 s[16:17], s[28:29], exec
	s_and_b64 s[6:7], s[6:7], exec
	s_or_b64 s[28:29], s[16:17], s[6:7]
	s_andn2_b64 s[6:7], s[96:97], exec
	s_and_b64 s[0:1], s[0:1], exec
	s_andn2_b64 s[94:95], s[94:95], exec
	s_or_b64 s[96:97], s[6:7], s[0:1]
                                        ; implicit-def: $vgpr12_vgpr13
	s_and_saveexec_b64 s[16:17], s[8:9]
	s_cbranch_execz .LBB31_31
; %bb.136:                              ;   in Loop: Header=BB31_32 Depth=1
	s_xor_b64 s[2:3], s[18:19], -1
	v_mov_b32_e32 v18, 1
	s_mov_b64 s[6:7], 0
	v_mov_b64_e32 v[12:13], 1
	s_and_saveexec_b64 s[0:1], s[2:3]
	s_cbranch_execz .LBB31_145
; %bb.137:                              ;   in Loop: Header=BB31_32 Depth=1
	v_cmp_le_i64_e32 vcc, v[40:41], v[8:9]
	s_and_saveexec_b64 s[2:3], vcc
	s_xor_b64 s[2:3], exec, s[2:3]
	s_cbranch_execz .LBB31_142
; %bb.138:                              ;   in Loop: Header=BB31_32 Depth=1
	ds_read_b64 v[4:5], v19 offset:5120
	v_and_b32_e32 v33, s25, v33
	v_and_b32_e32 v32, s24, v32
	v_or_b32_e32 v39, s15, v39
	v_or_b32_e32 v38, s14, v38
	s_waitcnt lgkmcnt(0)
	v_cmp_ne_u64_e32 vcc, 0, v[4:5]
	s_cbranch_vccnz .LBB31_142
; %bb.139:                              ;   in Loop: Header=BB31_32 Depth=1
	s_mov_b64 s[6:7], exec
	v_readlane_b32 s8, v63, 8
	v_readlane_b32 s9, v63, 9
	s_and_b64 s[8:9], s[6:7], s[8:9]
	s_mov_b64 exec, s[8:9]
; %bb.140:                              ;   in Loop: Header=BB31_32 Depth=1
	ds_write_b64 v19, v[8:9] offset:5128
; %bb.141:                              ;   in Loop: Header=BB31_32 Depth=1
	s_or_b64 exec, exec, s[6:7]
	s_waitcnt lgkmcnt(0)
	s_barrier
.LBB31_142:                             ;   in Loop: Header=BB31_32 Depth=1
	s_or_saveexec_b64 s[2:3], s[2:3]
	s_mov_b64 s[6:7], 0
	v_mov_b32_e32 v18, 8
	s_xor_b64 exec, exec, s[2:3]
; %bb.143:                              ;   in Loop: Header=BB31_32 Depth=1
	v_sub_co_u32_e32 v40, vcc, v40, v8
	s_mov_b64 s[6:7], exec
	s_nop 0
	v_subb_co_u32_e32 v41, vcc, v41, v9, vcc
	v_mov_b32_e32 v18, 0
; %bb.144:                              ;   in Loop: Header=BB31_32 Depth=1
	s_or_b64 exec, exec, s[2:3]
	s_and_b64 s[6:7], s[6:7], exec
	v_mov_b64_e32 v[12:13], v[40:41]
.LBB31_145:                             ;   in Loop: Header=BB31_32 Depth=1
	s_or_b64 exec, exec, s[0:1]
	s_mov_b64 s[18:19], -1
	s_mov_b64 s[0:1], -1
                                        ; implicit-def: $sgpr2_sgpr3
                                        ; implicit-def: $sgpr26_sgpr27
	s_and_saveexec_b64 s[8:9], s[6:7]
	s_xor_b64 s[20:21], exec, s[8:9]
	s_cbranch_execz .LBB31_290
; %bb.146:                              ;   in Loop: Header=BB31_32 Depth=1
	v_cmp_eq_u64_e32 vcc, 1, v[10:11]
	v_cmp_eq_u64_e64 s[2:3], 1, v[12:13]
	s_and_b64 s[34:35], vcc, s[2:3]
                                        ; implicit-def: $sgpr26_sgpr27
                                        ; implicit-def: $sgpr2_sgpr3
	s_and_saveexec_b64 s[30:31], s[34:35]
	s_cbranch_execz .LBB31_181
; %bb.147:                              ;   in Loop: Header=BB31_32 Depth=1
	ds_read_b64 v[4:5], v19 offset:5120
	s_waitcnt lgkmcnt(0)
	s_barrier
	v_readfirstlane_b32 s36, v4
	v_readfirstlane_b32 s37, v5
	s_mov_b64 s[0:1], exec
	v_readlane_b32 s2, v63, 10
	v_readlane_b32 s3, v63, 11
	s_and_b64 s[2:3], s[0:1], s[2:3]
	s_mov_b64 exec, s[2:3]
; %bb.148:                              ;   in Loop: Header=BB31_32 Depth=1
	ds_write_b64 v58, v[66:67]
; %bb.149:                              ;   in Loop: Header=BB31_32 Depth=1
	s_or_b64 exec, exec, s[0:1]
	s_lshl_b64 s[0:1], 1, s70
	v_and_b32_e32 v3, s25, v33
	v_and_b32_e32 v4, s24, v32
	v_or_b32_e32 v33, s1, v3
	v_or_b32_e32 v32, s0, v4
	v_cmp_gt_i64_e64 s[0:1], s[36:37], 0
	v_or_b32_e32 v39, s15, v39
	v_or_b32_e32 v38, s14, v38
	s_mov_b64 s[2:3], -1
	s_mov_b64 s[26:27], 0
	s_and_b64 vcc, exec, s[0:1]
	s_mov_b64 s[0:1], 0
	s_mov_b64 s[6:7], -1
	s_waitcnt lgkmcnt(0)
	s_barrier
                                        ; implicit-def: $vgpr6_vgpr7
	s_cbranch_vccnz .LBB31_166
; %bb.150:                              ;   in Loop: Header=BB31_32 Depth=1
	s_mov_b32 s98, s79
	s_cmp_lg_u64 s[98:99], 0
	s_cbranch_scc0 .LBB31_153
; %bb.151:                              ;   in Loop: Header=BB31_32 Depth=1
	s_add_u32 s0, s76, 0
	s_addc_u32 s1, 0, 0
	s_xor_b64 s[0:1], s[0:1], 0
	v_cvt_f32_u32_e32 v3, s0
	v_cvt_f32_u32_e32 v4, s1
	s_sub_u32 s8, 0, s0
	s_subb_u32 s9, 0, s1
	v_readlane_b32 s4, v63, 23
	v_fmac_f32_e32 v3, 0x4f800000, v4
	v_rcp_f32_e32 v3, v3
	s_nop 0
	v_mul_f32_e32 v3, 0x5f7ffffc, v3
	v_mul_f32_e32 v4, 0x2f800000, v3
	v_trunc_f32_e32 v4, v4
	v_fmac_f32_e32 v3, 0xcf800000, v4
	v_cvt_u32_f32_e32 v4, v4
	v_cvt_u32_f32_e32 v3, v3
	v_readfirstlane_b32 s38, v4
	v_readfirstlane_b32 s6, v3
	s_mul_i32 s7, s8, s38
	s_mul_hi_u32 s40, s8, s6
	s_mul_i32 s39, s9, s6
	s_add_i32 s7, s40, s7
	s_mul_i32 s41, s8, s6
	s_add_i32 s7, s7, s39
	s_mul_i32 s40, s6, s7
	s_mul_hi_u32 s42, s6, s41
	s_mul_hi_u32 s39, s6, s7
	s_add_u32 s40, s42, s40
	s_addc_u32 s39, 0, s39
	s_mul_hi_u32 s43, s38, s41
	s_mul_i32 s41, s38, s41
	s_add_u32 s40, s40, s41
	s_mul_hi_u32 s42, s38, s7
	s_addc_u32 s39, s39, s43
	s_addc_u32 s40, s42, 0
	s_mul_i32 s7, s38, s7
	s_add_u32 s7, s39, s7
	s_addc_u32 s39, 0, s40
	s_add_u32 s40, s6, s7
	s_cselect_b64 s[6:7], -1, 0
	s_cmp_lg_u64 s[6:7], 0
	s_addc_u32 s38, s38, s39
	s_mul_i32 s6, s8, s38
	s_mul_hi_u32 s7, s8, s40
	s_add_i32 s6, s7, s6
	s_mul_i32 s9, s9, s40
	s_add_i32 s6, s6, s9
	s_mul_i32 s8, s8, s40
	s_mul_hi_u32 s9, s38, s8
	s_mul_i32 s39, s38, s8
	s_mul_i32 s42, s40, s6
	s_mul_hi_u32 s8, s40, s8
	s_mul_hi_u32 s41, s40, s6
	s_add_u32 s8, s8, s42
	s_addc_u32 s41, 0, s41
	s_add_u32 s8, s8, s39
	s_mul_hi_u32 s7, s38, s6
	s_addc_u32 s8, s41, s9
	s_addc_u32 s7, s7, 0
	s_mul_i32 s6, s38, s6
	s_add_u32 s6, s8, s6
	s_addc_u32 s8, 0, s7
	s_add_u32 s39, s40, s6
	s_cselect_b64 s[6:7], -1, 0
	s_cmp_lg_u64 s[6:7], 0
	s_addc_u32 s38, s38, s8
	s_ashr_i32 s6, s99, 31
	s_add_u32 s8, s4, s6
	s_mov_b32 s7, s6
	s_addc_u32 s9, s99, s6
	s_xor_b64 s[8:9], s[8:9], s[6:7]
	s_mul_i32 s41, s8, s38
	s_mul_hi_u32 s42, s8, s39
	s_mul_hi_u32 s40, s8, s38
	s_add_u32 s41, s42, s41
	s_addc_u32 s40, 0, s40
	s_mul_hi_u32 s43, s9, s39
	s_mul_i32 s39, s9, s39
	s_add_u32 s39, s41, s39
	s_mul_hi_u32 s42, s9, s38
	s_addc_u32 s39, s40, s43
	s_addc_u32 s40, s42, 0
	s_mul_i32 s38, s9, s38
	s_add_u32 s38, s39, s38
	s_addc_u32 s39, 0, s40
	s_mul_i32 s39, s0, s39
	s_mul_hi_u32 s40, s0, s38
	s_add_i32 s39, s40, s39
	s_mul_i32 s40, s1, s38
	s_add_i32 s42, s39, s40
	s_sub_i32 s40, s9, s42
	s_mul_i32 s38, s0, s38
	s_sub_u32 s8, s8, s38
	s_cselect_b64 s[38:39], -1, 0
	s_cmp_lg_u64 s[38:39], 0
	s_subb_u32 s43, s40, s1
	s_sub_u32 s44, s8, s0
	s_cselect_b64 s[40:41], -1, 0
	s_cmp_lg_u64 s[40:41], 0
	s_subb_u32 s45, s43, 0
	s_cmp_ge_u32 s45, s1
	s_cselect_b32 s46, -1, 0
	s_cmp_ge_u32 s44, s0
	s_cselect_b32 s47, -1, 0
	s_cmp_eq_u32 s45, s1
	s_cselect_b32 s46, s47, s46
	s_cmp_lg_u64 s[40:41], 0
	s_subb_u32 s43, s43, s1
	s_sub_u32 s47, s44, s0
	s_cselect_b64 s[40:41], -1, 0
	s_cmp_lg_u64 s[40:41], 0
	s_subb_u32 s40, s43, 0
	s_cmp_lg_u32 s46, 0
	s_cselect_b32 s41, s47, s44
	s_cselect_b32 s40, s40, s45
	s_cmp_lg_u64 s[38:39], 0
	s_subb_u32 s9, s9, s42
	s_cmp_ge_u32 s9, s1
	s_cselect_b32 s38, -1, 0
	s_cmp_ge_u32 s8, s0
	s_cselect_b32 s0, -1, 0
	s_cmp_eq_u32 s9, s1
	s_cselect_b32 s0, s0, s38
	s_cmp_lg_u32 s0, 0
	s_cselect_b32 s1, s40, s9
	s_cselect_b32 s0, s41, s8
	s_xor_b64 s[0:1], s[0:1], s[6:7]
	s_sub_u32 s0, s0, s6
	s_subb_u32 s1, s1, s6
	s_mov_b64 s[6:7], 0
	s_branch .LBB31_154
.LBB31_152:                             ;   in Loop: Header=BB31_32 Depth=1
                                        ; implicit-def: $sgpr6_sgpr7
	s_branch .LBB31_123
.LBB31_153:                             ;   in Loop: Header=BB31_32 Depth=1
                                        ; implicit-def: $sgpr0_sgpr1
.LBB31_154:                             ;   in Loop: Header=BB31_32 Depth=1
	s_andn2_b64 vcc, exec, s[6:7]
	v_readlane_b32 s98, v63, 42
	s_cbranch_vccnz .LBB31_156
; %bb.155:                              ;   in Loop: Header=BB31_32 Depth=1
	v_cvt_f32_u32_e32 v3, s76
	s_sub_i32 s0, 0, s76
	v_readlane_b32 s4, v63, 23
	v_rcp_iflag_f32_e32 v3, v3
	s_nop 0
	v_mul_f32_e32 v3, 0x4f7ffffe, v3
	v_cvt_u32_f32_e32 v3, v3
	s_nop 0
	v_readfirstlane_b32 s1, v3
	s_mul_i32 s0, s0, s1
	s_mul_hi_u32 s0, s1, s0
	s_add_i32 s1, s1, s0
	s_mul_hi_u32 s0, s4, s1
	s_mul_i32 s0, s0, s76
	s_sub_i32 s0, s4, s0
	s_sub_i32 s1, s0, s76
	s_cmp_ge_u32 s0, s76
	s_cselect_b32 s0, s1, s0
	s_sub_i32 s1, s0, s76
	s_cmp_ge_u32 s0, s76
	s_cselect_b32 s78, s1, s0
	s_mov_b64 s[0:1], s[78:79]
.LBB31_156:                             ;   in Loop: Header=BB31_32 Depth=1
	v_readlane_b32 s4, v63, 23
	s_sub_u32 s38, s4, s0
	s_subb_u32 s39, s99, s1
	v_cmp_gt_i64_e32 vcc, s[38:39], v[0:1]
	s_mov_b64 s[6:7], 0
	s_mov_b64 s[0:1], 0
                                        ; implicit-def: $vgpr6_vgpr7
	s_and_saveexec_b64 s[8:9], vcc
	s_cbranch_execz .LBB31_165
; %bb.157:                              ;   in Loop: Header=BB31_32 Depth=1
	v_mov_b64_e32 v[8:9], v[16:17]
	v_mov_b64_e32 v[14:15], v[0:1]
                                        ; implicit-def: $sgpr40_sgpr41
	s_branch .LBB31_160
.LBB31_158:                             ;   in Loop: Header=BB31_160 Depth=2
	s_or_b64 exec, exec, s[42:43]
	s_waitcnt lgkmcnt(0)
	s_barrier
	ds_read_b128 v[4:7], v19 offset:3072
	s_mov_b64 s[42:43], -1
	s_mov_b64 s[44:45], -1
	s_waitcnt lgkmcnt(0)
	s_barrier
	v_cmp_ne_u64_e32 vcc, 0, v[4:5]
	s_cbranch_vccz .LBB31_163
.LBB31_159:                             ;   in Loop: Header=BB31_160 Depth=2
	s_and_b64 s[42:43], exec, s[42:43]
	s_or_b64 s[0:1], s[42:43], s[0:1]
	s_andn2_b64 s[40:41], s[40:41], exec
	s_and_b64 s[42:43], s[44:45], exec
	s_or_b64 s[40:41], s[40:41], s[42:43]
	s_andn2_b64 exec, exec, s[0:1]
	s_cbranch_execz .LBB31_164
.LBB31_160:                             ;   Parent Loop BB31_32 Depth=1
                                        ; =>  This Inner Loop Header: Depth=2
	v_cmp_gt_i64_e32 vcc, s[56:57], v[14:15]
	s_and_saveexec_b64 s[42:43], vcc
	s_cbranch_execz .LBB31_158
; %bb.161:                              ;   in Loop: Header=BB31_160 Depth=2
	global_load_dwordx2 v[4:5], v[8:9], off
	s_waitcnt vmcnt(0)
	v_xor_b32_e32 v3, 0x80000000, v5
	v_and_b32_e32 v7, v3, v39
	v_and_b32_e32 v6, v4, v38
	v_cmp_eq_u64_e32 vcc, v[6:7], v[32:33]
	s_and_b64 exec, exec, vcc
	s_cbranch_execz .LBB31_158
; %bb.162:                              ;   in Loop: Header=BB31_160 Depth=2
	v_mov_b32_e32 v3, v19
	ds_write_b128 v19, v[2:5] offset:3072
	s_branch .LBB31_158
.LBB31_163:                             ;   in Loop: Header=BB31_160 Depth=2
	v_lshl_add_u64 v[14:15], v[14:15], 0, s[76:77]
	v_cmp_le_i64_e32 vcc, s[38:39], v[14:15]
	v_lshl_add_u64 v[8:9], v[8:9], 0, s[92:93]
	s_mov_b64 s[44:45], 0
	s_orn2_b64 s[42:43], vcc, exec
	s_branch .LBB31_159
.LBB31_164:                             ;   in Loop: Header=BB31_32 Depth=1
	s_or_b64 exec, exec, s[0:1]
	s_and_b64 s[0:1], s[40:41], exec
.LBB31_165:                             ;   in Loop: Header=BB31_32 Depth=1
	s_or_b64 exec, exec, s[8:9]
.LBB31_166:                             ;   in Loop: Header=BB31_32 Depth=1
	s_and_b64 vcc, exec, s[6:7]
	s_cbranch_vccz .LBB31_180
; %bb.167:                              ;   in Loop: Header=BB31_32 Depth=1
	v_readlane_b32 s2, v63, 22
	s_add_u32 s26, s36, s2
	v_readlane_b32 s2, v63, 24
	s_addc_u32 s3, s37, s2
	s_mov_b32 s2, s79
	s_cmp_lg_u64 s[2:3], 0
	s_cbranch_scc0 .LBB31_199
; %bb.168:                              ;   in Loop: Header=BB31_32 Depth=1
	s_add_u32 s6, s76, 0
	s_addc_u32 s7, 0, 0
	s_xor_b64 s[6:7], s[6:7], 0
	v_cvt_f32_u32_e32 v3, s6
	v_cvt_f32_u32_e32 v4, s7
	s_sub_u32 s2, 0, s6
	s_subb_u32 s27, 0, s7
	v_fmac_f32_e32 v3, 0x4f800000, v4
	v_rcp_f32_e32 v3, v3
	s_nop 0
	v_mul_f32_e32 v3, 0x5f7ffffc, v3
	v_mul_f32_e32 v4, 0x2f800000, v3
	v_trunc_f32_e32 v4, v4
	v_fmac_f32_e32 v3, 0xcf800000, v4
	v_cvt_u32_f32_e32 v4, v4
	v_cvt_u32_f32_e32 v3, v3
	v_readfirstlane_b32 s38, v4
	v_readfirstlane_b32 s8, v3
	s_mul_i32 s9, s2, s38
	s_mul_hi_u32 s40, s2, s8
	s_mul_i32 s39, s27, s8
	s_add_i32 s9, s40, s9
	s_mul_i32 s41, s2, s8
	s_add_i32 s9, s9, s39
	s_mul_i32 s40, s8, s9
	s_mul_hi_u32 s42, s8, s41
	s_mul_hi_u32 s39, s8, s9
	s_add_u32 s40, s42, s40
	s_addc_u32 s39, 0, s39
	s_mul_hi_u32 s43, s38, s41
	s_mul_i32 s41, s38, s41
	s_add_u32 s40, s40, s41
	s_mul_hi_u32 s42, s38, s9
	s_addc_u32 s39, s39, s43
	s_addc_u32 s40, s42, 0
	s_mul_i32 s9, s38, s9
	s_add_u32 s9, s39, s9
	s_addc_u32 s39, 0, s40
	s_add_u32 s40, s8, s9
	s_cselect_b64 s[8:9], -1, 0
	s_cmp_lg_u64 s[8:9], 0
	s_addc_u32 s38, s38, s39
	s_mul_i32 s8, s2, s38
	s_mul_hi_u32 s9, s2, s40
	s_add_i32 s8, s9, s8
	s_mul_i32 s27, s27, s40
	s_add_i32 s8, s8, s27
	s_mul_i32 s2, s2, s40
	s_mul_hi_u32 s27, s38, s2
	s_mul_i32 s39, s38, s2
	s_mul_i32 s42, s40, s8
	s_mul_hi_u32 s2, s40, s2
	s_mul_hi_u32 s41, s40, s8
	s_add_u32 s2, s2, s42
	s_addc_u32 s41, 0, s41
	s_add_u32 s2, s2, s39
	s_mul_hi_u32 s9, s38, s8
	s_addc_u32 s2, s41, s27
	s_addc_u32 s9, s9, 0
	s_mul_i32 s8, s38, s8
	s_add_u32 s2, s2, s8
	s_addc_u32 s27, 0, s9
	s_add_u32 s2, s40, s2
	s_cselect_b64 s[8:9], -1, 0
	s_cmp_lg_u64 s[8:9], 0
	s_addc_u32 s27, s38, s27
	s_ashr_i32 s8, s3, 31
	s_add_u32 s38, s26, s8
	s_mov_b32 s9, s8
	s_addc_u32 s39, s3, s8
	s_xor_b64 s[38:39], s[38:39], s[8:9]
	s_mul_i32 s41, s38, s27
	s_mul_hi_u32 s42, s38, s2
	s_mul_hi_u32 s40, s38, s27
	s_add_u32 s41, s42, s41
	s_addc_u32 s40, 0, s40
	s_mul_hi_u32 s43, s39, s2
	s_mul_i32 s2, s39, s2
	s_add_u32 s2, s41, s2
	s_mul_hi_u32 s42, s39, s27
	s_addc_u32 s2, s40, s43
	s_addc_u32 s40, s42, 0
	s_mul_i32 s27, s39, s27
	s_add_u32 s2, s2, s27
	s_addc_u32 s27, 0, s40
	s_mul_i32 s27, s6, s27
	s_mul_hi_u32 s40, s6, s2
	s_add_i32 s27, s40, s27
	s_mul_i32 s40, s7, s2
	s_add_i32 s27, s27, s40
	s_sub_i32 s42, s39, s27
	s_mul_i32 s2, s6, s2
	s_sub_u32 s2, s38, s2
	s_cselect_b64 s[40:41], -1, 0
	s_cmp_lg_u64 s[40:41], 0
	s_subb_u32 s38, s42, s7
	s_sub_u32 s44, s2, s6
	s_cselect_b64 s[42:43], -1, 0
	s_cmp_lg_u64 s[42:43], 0
	s_subb_u32 s45, s38, 0
	s_cmp_ge_u32 s45, s7
	s_cselect_b32 s46, -1, 0
	s_cmp_ge_u32 s44, s6
	s_cselect_b32 s47, -1, 0
	s_cmp_eq_u32 s45, s7
	s_cselect_b32 s46, s47, s46
	s_cmp_lg_u64 s[42:43], 0
	s_subb_u32 s38, s38, s7
	s_sub_u32 s47, s44, s6
	s_cselect_b64 s[42:43], -1, 0
	s_cmp_lg_u64 s[42:43], 0
	s_subb_u32 s38, s38, 0
	s_cmp_lg_u32 s46, 0
	s_cselect_b32 s42, s47, s44
	s_cselect_b32 s38, s38, s45
	s_cmp_lg_u64 s[40:41], 0
	s_subb_u32 s27, s39, s27
	s_cmp_ge_u32 s27, s7
	s_cselect_b32 s39, -1, 0
	s_cmp_ge_u32 s2, s6
	s_cselect_b32 s6, -1, 0
	s_cmp_eq_u32 s27, s7
	s_cselect_b32 s6, s6, s39
	s_cmp_lg_u32 s6, 0
	s_cselect_b32 s7, s38, s27
	s_cselect_b32 s6, s42, s2
	s_xor_b64 s[6:7], s[6:7], s[8:9]
	s_sub_u32 s6, s6, s8
	s_subb_u32 s7, s7, s8
	s_cbranch_execnz .LBB31_170
.LBB31_169:                             ;   in Loop: Header=BB31_32 Depth=1
	v_cvt_f32_u32_e32 v3, s76
	s_sub_i32 s2, 0, s76
	v_rcp_iflag_f32_e32 v3, v3
	s_nop 0
	v_mul_f32_e32 v3, 0x4f7ffffe, v3
	v_cvt_u32_f32_e32 v3, v3
	s_nop 0
	v_readfirstlane_b32 s6, v3
	s_mul_i32 s2, s2, s6
	s_mul_hi_u32 s2, s6, s2
	s_add_i32 s6, s6, s2
	s_mul_hi_u32 s2, s26, s6
	s_mul_i32 s2, s2, s76
	s_sub_i32 s2, s26, s2
	s_sub_i32 s6, s2, s76
	s_cmp_ge_u32 s2, s76
	s_cselect_b32 s2, s6, s2
	s_sub_i32 s6, s2, s76
	s_cmp_ge_u32 s2, s76
	s_cselect_b32 s78, s6, s2
	s_mov_b64 s[6:7], s[78:79]
.LBB31_170:                             ;   in Loop: Header=BB31_32 Depth=1
	s_sub_u32 s6, s26, s6
	s_subb_u32 s7, s3, s7
	v_cmp_gt_i64_e32 vcc, s[6:7], v[0:1]
                                        ; implicit-def: $vgpr6_vgpr7
	s_and_saveexec_b64 s[2:3], vcc
	s_cbranch_execz .LBB31_179
; %bb.171:                              ;   in Loop: Header=BB31_32 Depth=1
	s_mov_b64 s[8:9], 0
	v_mov_b32_e32 v14, v57
	v_mov_b64_e32 v[8:9], v[0:1]
                                        ; implicit-def: $sgpr26_sgpr27
	s_branch .LBB31_174
.LBB31_172:                             ;   in Loop: Header=BB31_174 Depth=2
	s_or_b64 exec, exec, s[38:39]
	s_waitcnt lgkmcnt(0)
	s_barrier
	ds_read_b128 v[4:7], v19 offset:3072
	s_mov_b64 s[38:39], -1
	s_mov_b64 s[40:41], -1
	s_waitcnt lgkmcnt(0)
	s_barrier
	v_cmp_eq_u64_e32 vcc, 0, v[4:5]
	s_cbranch_vccnz .LBB31_177
.LBB31_173:                             ;   in Loop: Header=BB31_174 Depth=2
	s_and_b64 s[38:39], exec, s[38:39]
	s_or_b64 s[8:9], s[38:39], s[8:9]
	s_andn2_b64 s[26:27], s[26:27], exec
	s_and_b64 s[38:39], s[40:41], exec
	s_or_b64 s[26:27], s[26:27], s[38:39]
	s_andn2_b64 exec, exec, s[8:9]
	s_cbranch_execz .LBB31_178
.LBB31_174:                             ;   Parent Loop BB31_32 Depth=1
                                        ; =>  This Inner Loop Header: Depth=2
	v_cmp_gt_u64_e32 vcc, s[36:37], v[8:9]
	s_and_saveexec_b64 s[38:39], vcc
	s_cbranch_execz .LBB31_172
; %bb.175:                              ;   in Loop: Header=BB31_174 Depth=2
	ds_read_b64 v[4:5], v14
	s_waitcnt lgkmcnt(0)
	v_xor_b32_e32 v3, 0x80000000, v5
	v_and_b32_e32 v7, v3, v39
	v_and_b32_e32 v6, v4, v38
	v_cmp_eq_u64_e32 vcc, v[6:7], v[32:33]
	s_and_b64 exec, exec, vcc
	s_cbranch_execz .LBB31_172
; %bb.176:                              ;   in Loop: Header=BB31_174 Depth=2
	v_mov_b32_e32 v3, v19
	ds_write_b128 v19, v[2:5] offset:3072
	s_branch .LBB31_172
.LBB31_177:                             ;   in Loop: Header=BB31_174 Depth=2
	v_lshl_add_u64 v[8:9], v[8:9], 0, s[76:77]
	v_cmp_le_i64_e32 vcc, s[6:7], v[8:9]
	v_add_u32_e32 v14, s98, v14
	s_mov_b64 s[40:41], 0
	s_orn2_b64 s[38:39], vcc, exec
	s_branch .LBB31_173
.LBB31_178:                             ;   in Loop: Header=BB31_32 Depth=1
	s_or_b64 exec, exec, s[8:9]
	s_andn2_b64 s[0:1], s[0:1], exec
	s_and_b64 s[6:7], s[26:27], exec
	s_or_b64 s[0:1], s[0:1], s[6:7]
.LBB31_179:                             ;   in Loop: Header=BB31_32 Depth=1
	s_or_b64 exec, exec, s[2:3]
	s_mov_b64 s[2:3], 0
	s_mov_b64 s[26:27], -1
.LBB31_180:                             ;   in Loop: Header=BB31_32 Depth=1
	s_orn2_b64 s[0:1], s[0:1], exec
.LBB31_181:                             ;   in Loop: Header=BB31_32 Depth=1
	s_or_b64 exec, exec, s[30:31]
	s_mov_b64 s[6:7], 0
	s_and_saveexec_b64 s[30:31], s[0:1]
	s_cbranch_execz .LBB31_289
; %bb.182:                              ;   in Loop: Header=BB31_32 Depth=1
	s_xor_b64 s[8:9], s[34:35], -1
	v_mov_b32_e32 v18, 1
	v_mov_b64_e32 v[8:9], 1
	s_and_saveexec_b64 s[0:1], s[8:9]
	s_cbranch_execz .LBB31_192
; %bb.183:                              ;   in Loop: Header=BB31_32 Depth=1
	v_cmp_le_i64_e32 vcc, v[12:13], v[10:11]
	s_and_saveexec_b64 s[6:7], vcc
	s_xor_b64 s[6:7], exec, s[6:7]
	s_cbranch_execz .LBB31_189
; %bb.184:                              ;   in Loop: Header=BB31_32 Depth=1
	ds_read_b64 v[4:5], v19 offset:5120
	s_lshl_b64 s[8:9], 1, s70
	v_and_b32_e32 v3, s25, v33
	v_and_b32_e32 v8, s24, v32
	v_or_b32_e32 v33, s9, v3
	s_waitcnt lgkmcnt(0)
	v_cmp_ne_u64_e32 vcc, 0, v[4:5]
	v_or_b32_e32 v32, s8, v8
	v_or_b32_e32 v39, s15, v39
	;; [unrolled: 1-line block ×3, first 2 shown]
	s_cbranch_vccnz .LBB31_188
; %bb.185:                              ;   in Loop: Header=BB31_32 Depth=1
	s_mov_b64 s[8:9], exec
	v_readlane_b32 s34, v63, 8
	v_readlane_b32 s35, v63, 9
	s_and_b64 s[34:35], s[8:9], s[34:35]
	s_mov_b64 exec, s[34:35]
; %bb.186:                              ;   in Loop: Header=BB31_32 Depth=1
	ds_write_b64 v19, v[10:11] offset:5128
; %bb.187:                              ;   in Loop: Header=BB31_32 Depth=1
	s_or_b64 exec, exec, s[8:9]
	s_waitcnt lgkmcnt(0)
	s_barrier
.LBB31_188:                             ;   in Loop: Header=BB31_32 Depth=1
                                        ; implicit-def: $vgpr8_vgpr9_vgpr10_vgpr11
.LBB31_189:                             ;   in Loop: Header=BB31_32 Depth=1
	s_or_saveexec_b64 s[6:7], s[6:7]
	s_mov_b64 s[8:9], 0
	v_mov_b32_e32 v18, 8
	s_xor_b64 exec, exec, s[6:7]
; %bb.190:                              ;   in Loop: Header=BB31_32 Depth=1
	v_sub_co_u32_e32 v12, vcc, v12, v10
	s_mov_b64 s[8:9], exec
	s_nop 0
	v_subb_co_u32_e32 v13, vcc, v13, v11, vcc
	v_mov_b32_e32 v18, 0
; %bb.191:                              ;   in Loop: Header=BB31_32 Depth=1
	s_or_b64 exec, exec, s[6:7]
	s_and_b64 s[6:7], s[8:9], exec
	v_mov_b64_e32 v[8:9], v[12:13]
.LBB31_192:                             ;   in Loop: Header=BB31_32 Depth=1
	s_or_b64 exec, exec, s[0:1]
	s_mov_b64 s[0:1], -1
                                        ; implicit-def: $sgpr36_sgpr37
                                        ; implicit-def: $sgpr38_sgpr39
	s_and_saveexec_b64 s[34:35], s[6:7]
	s_cbranch_execz .LBB31_288
; %bb.193:                              ;   in Loop: Header=BB31_32 Depth=1
	s_cmp_eq_u64 s[22:23], 1
	s_cselect_b64 s[0:1], -1, 0
	v_cmp_eq_u64_e32 vcc, 1, v[8:9]
	s_and_b64 s[42:43], s[0:1], vcc
	s_mov_b64 s[0:1], -1
                                        ; implicit-def: $sgpr38_sgpr39
                                        ; implicit-def: $sgpr36_sgpr37
	s_and_saveexec_b64 s[40:41], s[42:43]
	s_cbranch_execz .LBB31_228
; %bb.194:                              ;   in Loop: Header=BB31_32 Depth=1
	ds_read_b64 v[4:5], v19 offset:5120
	v_readlane_b32 s4, v63, 10
	v_readlane_b32 s5, v63, 11
	s_waitcnt lgkmcnt(0)
	s_barrier
	v_readfirstlane_b32 s44, v4
	v_readfirstlane_b32 s45, v5
	s_and_saveexec_b64 s[0:1], s[4:5]
; %bb.195:                              ;   in Loop: Header=BB31_32 Depth=1
	ds_write_b64 v58, v[66:67]
; %bb.196:                              ;   in Loop: Header=BB31_32 Depth=1
	s_or_b64 exec, exec, s[0:1]
	s_lshl_b64 s[0:1], 2, s70
	v_and_b32_e32 v3, s25, v33
	v_and_b32_e32 v4, s24, v32
	v_or_b32_e32 v33, s1, v3
	v_or_b32_e32 v32, s0, v4
	v_cmp_gt_i64_e64 s[0:1], s[44:45], 0
	v_or_b32_e32 v39, s15, v39
	v_or_b32_e32 v38, s14, v38
	s_mov_b64 s[36:37], -1
	s_mov_b64 s[38:39], 0
	s_and_b64 vcc, exec, s[0:1]
	s_mov_b64 s[0:1], 0
	s_mov_b64 s[6:7], -1
	s_waitcnt lgkmcnt(0)
	s_barrier
                                        ; implicit-def: $vgpr6_vgpr7
	s_cbranch_vccnz .LBB31_213
; %bb.197:                              ;   in Loop: Header=BB31_32 Depth=1
	s_mov_b32 s98, s79
	s_cmp_lg_u64 s[98:99], 0
	s_cbranch_scc0 .LBB31_200
; %bb.198:                              ;   in Loop: Header=BB31_32 Depth=1
	s_add_u32 s0, s76, 0
	s_addc_u32 s1, 0, 0
	s_xor_b64 s[0:1], s[0:1], 0
	v_cvt_f32_u32_e32 v3, s0
	v_cvt_f32_u32_e32 v4, s1
	s_sub_u32 s8, 0, s0
	s_subb_u32 s9, 0, s1
	v_readlane_b32 s4, v63, 23
	v_fmac_f32_e32 v3, 0x4f800000, v4
	v_rcp_f32_e32 v3, v3
	s_nop 0
	v_mul_f32_e32 v3, 0x5f7ffffc, v3
	v_mul_f32_e32 v4, 0x2f800000, v3
	v_trunc_f32_e32 v4, v4
	v_fmac_f32_e32 v3, 0xcf800000, v4
	v_cvt_u32_f32_e32 v4, v4
	v_cvt_u32_f32_e32 v3, v3
	v_readfirstlane_b32 s46, v4
	v_readfirstlane_b32 s6, v3
	s_mul_i32 s7, s8, s46
	s_mul_hi_u32 s48, s8, s6
	s_mul_i32 s47, s9, s6
	s_add_i32 s7, s48, s7
	s_mul_i32 s49, s8, s6
	s_add_i32 s7, s7, s47
	s_mul_i32 s48, s6, s7
	s_mul_hi_u32 s50, s6, s49
	s_mul_hi_u32 s47, s6, s7
	s_add_u32 s48, s50, s48
	s_addc_u32 s47, 0, s47
	s_mul_hi_u32 s51, s46, s49
	s_mul_i32 s49, s46, s49
	s_add_u32 s48, s48, s49
	s_mul_hi_u32 s50, s46, s7
	s_addc_u32 s47, s47, s51
	s_addc_u32 s48, s50, 0
	s_mul_i32 s7, s46, s7
	s_add_u32 s7, s47, s7
	s_addc_u32 s47, 0, s48
	s_add_u32 s48, s6, s7
	s_cselect_b64 s[6:7], -1, 0
	s_cmp_lg_u64 s[6:7], 0
	s_addc_u32 s46, s46, s47
	s_mul_i32 s6, s8, s46
	s_mul_hi_u32 s7, s8, s48
	s_add_i32 s6, s7, s6
	s_mul_i32 s9, s9, s48
	s_add_i32 s6, s6, s9
	s_mul_i32 s8, s8, s48
	s_mul_hi_u32 s9, s46, s8
	s_mul_i32 s47, s46, s8
	s_mul_i32 s50, s48, s6
	s_mul_hi_u32 s8, s48, s8
	s_mul_hi_u32 s49, s48, s6
	s_add_u32 s8, s8, s50
	s_addc_u32 s49, 0, s49
	s_add_u32 s8, s8, s47
	s_mul_hi_u32 s7, s46, s6
	s_addc_u32 s8, s49, s9
	s_addc_u32 s7, s7, 0
	s_mul_i32 s6, s46, s6
	s_add_u32 s6, s8, s6
	s_addc_u32 s8, 0, s7
	s_add_u32 s47, s48, s6
	s_cselect_b64 s[6:7], -1, 0
	s_cmp_lg_u64 s[6:7], 0
	s_addc_u32 s46, s46, s8
	s_ashr_i32 s6, s99, 31
	s_add_u32 s8, s4, s6
	s_mov_b32 s7, s6
	s_addc_u32 s9, s99, s6
	s_xor_b64 s[8:9], s[8:9], s[6:7]
	s_mul_i32 s49, s8, s46
	s_mul_hi_u32 s50, s8, s47
	s_mul_hi_u32 s48, s8, s46
	s_add_u32 s49, s50, s49
	s_addc_u32 s48, 0, s48
	s_mul_hi_u32 s51, s9, s47
	s_mul_i32 s47, s9, s47
	s_add_u32 s47, s49, s47
	s_mul_hi_u32 s50, s9, s46
	s_addc_u32 s47, s48, s51
	s_addc_u32 s48, s50, 0
	s_mul_i32 s46, s9, s46
	s_add_u32 s46, s47, s46
	s_addc_u32 s47, 0, s48
	s_mul_i32 s47, s0, s47
	s_mul_hi_u32 s48, s0, s46
	s_add_i32 s47, s48, s47
	s_mul_i32 s48, s1, s46
	s_add_i32 s50, s47, s48
	s_sub_i32 s48, s9, s50
	s_mul_i32 s46, s0, s46
	s_sub_u32 s8, s8, s46
	s_cselect_b64 s[46:47], -1, 0
	s_cmp_lg_u64 s[46:47], 0
	s_subb_u32 s51, s48, s1
	s_sub_u32 s52, s8, s0
	s_cselect_b64 s[48:49], -1, 0
	s_cmp_lg_u64 s[48:49], 0
	s_subb_u32 s53, s51, 0
	s_cmp_ge_u32 s53, s1
	s_cselect_b32 s72, -1, 0
	s_cmp_ge_u32 s52, s0
	s_cselect_b32 s73, -1, 0
	s_cmp_eq_u32 s53, s1
	s_cselect_b32 s72, s73, s72
	s_cmp_lg_u64 s[48:49], 0
	s_subb_u32 s51, s51, s1
	s_sub_u32 s73, s52, s0
	s_cselect_b64 s[48:49], -1, 0
	s_cmp_lg_u64 s[48:49], 0
	s_subb_u32 s48, s51, 0
	s_cmp_lg_u32 s72, 0
	s_cselect_b32 s49, s73, s52
	s_cselect_b32 s48, s48, s53
	s_cmp_lg_u64 s[46:47], 0
	s_subb_u32 s9, s9, s50
	s_cmp_ge_u32 s9, s1
	s_cselect_b32 s46, -1, 0
	s_cmp_ge_u32 s8, s0
	s_cselect_b32 s0, -1, 0
	s_cmp_eq_u32 s9, s1
	s_cselect_b32 s0, s0, s46
	s_cmp_lg_u32 s0, 0
	s_cselect_b32 s1, s48, s9
	s_cselect_b32 s0, s49, s8
	s_xor_b64 s[0:1], s[0:1], s[6:7]
	s_sub_u32 s0, s0, s6
	s_subb_u32 s1, s1, s6
	s_mov_b64 s[6:7], 0
	s_branch .LBB31_201
.LBB31_199:                             ;   in Loop: Header=BB31_32 Depth=1
                                        ; implicit-def: $sgpr6_sgpr7
	s_branch .LBB31_169
.LBB31_200:                             ;   in Loop: Header=BB31_32 Depth=1
                                        ; implicit-def: $sgpr0_sgpr1
.LBB31_201:                             ;   in Loop: Header=BB31_32 Depth=1
	s_andn2_b64 vcc, exec, s[6:7]
	v_readlane_b32 s98, v63, 42
	s_cbranch_vccnz .LBB31_203
; %bb.202:                              ;   in Loop: Header=BB31_32 Depth=1
	v_cvt_f32_u32_e32 v3, s76
	s_sub_i32 s0, 0, s76
	v_readlane_b32 s4, v63, 23
	v_rcp_iflag_f32_e32 v3, v3
	s_nop 0
	v_mul_f32_e32 v3, 0x4f7ffffe, v3
	v_cvt_u32_f32_e32 v3, v3
	s_nop 0
	v_readfirstlane_b32 s1, v3
	s_mul_i32 s0, s0, s1
	s_mul_hi_u32 s0, s1, s0
	s_add_i32 s1, s1, s0
	s_mul_hi_u32 s0, s4, s1
	s_mul_i32 s0, s0, s76
	s_sub_i32 s0, s4, s0
	s_sub_i32 s1, s0, s76
	s_cmp_ge_u32 s0, s76
	s_cselect_b32 s0, s1, s0
	s_sub_i32 s1, s0, s76
	s_cmp_ge_u32 s0, s76
	s_cselect_b32 s78, s1, s0
	s_mov_b64 s[0:1], s[78:79]
.LBB31_203:                             ;   in Loop: Header=BB31_32 Depth=1
	v_readlane_b32 s4, v63, 23
	s_sub_u32 s46, s4, s0
	s_subb_u32 s47, s99, s1
	v_cmp_gt_i64_e32 vcc, s[46:47], v[0:1]
	s_mov_b64 s[6:7], 0
	s_mov_b64 s[0:1], 0
                                        ; implicit-def: $vgpr6_vgpr7
	s_and_saveexec_b64 s[8:9], vcc
	s_cbranch_execz .LBB31_212
; %bb.204:                              ;   in Loop: Header=BB31_32 Depth=1
	v_mov_b64_e32 v[10:11], v[16:17]
	v_mov_b64_e32 v[12:13], v[0:1]
                                        ; implicit-def: $sgpr48_sgpr49
	s_branch .LBB31_207
.LBB31_205:                             ;   in Loop: Header=BB31_207 Depth=2
	s_or_b64 exec, exec, s[50:51]
	s_waitcnt lgkmcnt(0)
	s_barrier
	ds_read_b128 v[4:7], v19 offset:3072
	s_mov_b64 s[50:51], -1
	s_mov_b64 s[52:53], -1
	s_waitcnt lgkmcnt(0)
	s_barrier
	v_cmp_ne_u64_e32 vcc, 0, v[4:5]
	s_cbranch_vccz .LBB31_210
.LBB31_206:                             ;   in Loop: Header=BB31_207 Depth=2
	s_and_b64 s[50:51], exec, s[50:51]
	s_or_b64 s[0:1], s[50:51], s[0:1]
	s_andn2_b64 s[48:49], s[48:49], exec
	s_and_b64 s[50:51], s[52:53], exec
	s_or_b64 s[48:49], s[48:49], s[50:51]
	s_andn2_b64 exec, exec, s[0:1]
	s_cbranch_execz .LBB31_211
.LBB31_207:                             ;   Parent Loop BB31_32 Depth=1
                                        ; =>  This Inner Loop Header: Depth=2
	v_cmp_gt_i64_e32 vcc, s[56:57], v[12:13]
	s_and_saveexec_b64 s[50:51], vcc
	s_cbranch_execz .LBB31_205
; %bb.208:                              ;   in Loop: Header=BB31_207 Depth=2
	global_load_dwordx2 v[4:5], v[10:11], off
	s_waitcnt vmcnt(0)
	v_xor_b32_e32 v3, 0x80000000, v5
	v_and_b32_e32 v7, v3, v39
	v_and_b32_e32 v6, v4, v38
	v_cmp_eq_u64_e32 vcc, v[6:7], v[32:33]
	s_and_b64 exec, exec, vcc
	s_cbranch_execz .LBB31_205
; %bb.209:                              ;   in Loop: Header=BB31_207 Depth=2
	v_mov_b32_e32 v3, v19
	ds_write_b128 v19, v[2:5] offset:3072
	s_branch .LBB31_205
.LBB31_210:                             ;   in Loop: Header=BB31_207 Depth=2
	v_lshl_add_u64 v[12:13], v[12:13], 0, s[76:77]
	v_cmp_le_i64_e32 vcc, s[46:47], v[12:13]
	v_lshl_add_u64 v[10:11], v[10:11], 0, s[92:93]
	s_mov_b64 s[52:53], 0
	s_orn2_b64 s[50:51], vcc, exec
	s_branch .LBB31_206
.LBB31_211:                             ;   in Loop: Header=BB31_32 Depth=1
	s_or_b64 exec, exec, s[0:1]
	s_and_b64 s[0:1], s[48:49], exec
.LBB31_212:                             ;   in Loop: Header=BB31_32 Depth=1
	s_or_b64 exec, exec, s[8:9]
.LBB31_213:                             ;   in Loop: Header=BB31_32 Depth=1
	s_and_b64 vcc, exec, s[6:7]
	s_cbranch_vccz .LBB31_227
; %bb.214:                              ;   in Loop: Header=BB31_32 Depth=1
	v_readlane_b32 s4, v63, 22
	s_add_u32 s38, s44, s4
	v_readlane_b32 s4, v63, 24
	s_addc_u32 s7, s45, s4
	s_mov_b32 s6, s79
	s_cmp_lg_u64 s[6:7], 0
	s_cbranch_scc0 .LBB31_245
; %bb.215:                              ;   in Loop: Header=BB31_32 Depth=1
	s_add_u32 s8, s76, 0
	s_addc_u32 s9, 0, 0
	s_xor_b64 s[8:9], s[8:9], 0
	v_cvt_f32_u32_e32 v3, s8
	v_cvt_f32_u32_e32 v4, s9
	s_sub_u32 s6, 0, s8
	s_subb_u32 s39, 0, s9
	v_fmac_f32_e32 v3, 0x4f800000, v4
	v_rcp_f32_e32 v3, v3
	s_nop 0
	v_mul_f32_e32 v3, 0x5f7ffffc, v3
	v_mul_f32_e32 v4, 0x2f800000, v3
	v_trunc_f32_e32 v4, v4
	v_fmac_f32_e32 v3, 0xcf800000, v4
	v_cvt_u32_f32_e32 v4, v4
	v_cvt_u32_f32_e32 v3, v3
	v_readfirstlane_b32 s46, v4
	v_readfirstlane_b32 s36, v3
	s_mul_i32 s37, s6, s46
	s_mul_hi_u32 s48, s6, s36
	s_mul_i32 s47, s39, s36
	s_add_i32 s37, s48, s37
	s_mul_i32 s49, s6, s36
	s_add_i32 s37, s37, s47
	s_mul_i32 s48, s36, s37
	s_mul_hi_u32 s50, s36, s49
	s_mul_hi_u32 s47, s36, s37
	s_add_u32 s48, s50, s48
	s_addc_u32 s47, 0, s47
	s_mul_hi_u32 s51, s46, s49
	s_mul_i32 s49, s46, s49
	s_add_u32 s48, s48, s49
	s_mul_hi_u32 s50, s46, s37
	s_addc_u32 s47, s47, s51
	s_addc_u32 s48, s50, 0
	s_mul_i32 s37, s46, s37
	s_add_u32 s37, s47, s37
	s_addc_u32 s47, 0, s48
	s_add_u32 s48, s36, s37
	s_cselect_b64 s[36:37], -1, 0
	s_cmp_lg_u64 s[36:37], 0
	s_addc_u32 s46, s46, s47
	s_mul_i32 s36, s6, s46
	s_mul_hi_u32 s37, s6, s48
	s_add_i32 s36, s37, s36
	s_mul_i32 s39, s39, s48
	s_add_i32 s36, s36, s39
	s_mul_i32 s6, s6, s48
	s_mul_hi_u32 s39, s46, s6
	s_mul_i32 s47, s46, s6
	s_mul_i32 s50, s48, s36
	s_mul_hi_u32 s6, s48, s6
	s_mul_hi_u32 s49, s48, s36
	s_add_u32 s6, s6, s50
	s_addc_u32 s49, 0, s49
	s_add_u32 s6, s6, s47
	s_mul_hi_u32 s37, s46, s36
	s_addc_u32 s6, s49, s39
	s_addc_u32 s37, s37, 0
	s_mul_i32 s36, s46, s36
	s_add_u32 s6, s6, s36
	s_addc_u32 s39, 0, s37
	s_add_u32 s6, s48, s6
	s_cselect_b64 s[36:37], -1, 0
	s_cmp_lg_u64 s[36:37], 0
	s_addc_u32 s39, s46, s39
	s_ashr_i32 s36, s7, 31
	s_add_u32 s46, s38, s36
	s_mov_b32 s37, s36
	s_addc_u32 s47, s7, s36
	s_xor_b64 s[46:47], s[46:47], s[36:37]
	s_mul_i32 s49, s46, s39
	s_mul_hi_u32 s50, s46, s6
	s_mul_hi_u32 s48, s46, s39
	s_add_u32 s49, s50, s49
	s_addc_u32 s48, 0, s48
	s_mul_hi_u32 s51, s47, s6
	s_mul_i32 s6, s47, s6
	s_add_u32 s6, s49, s6
	s_mul_hi_u32 s50, s47, s39
	s_addc_u32 s6, s48, s51
	s_addc_u32 s48, s50, 0
	s_mul_i32 s39, s47, s39
	s_add_u32 s6, s6, s39
	s_addc_u32 s39, 0, s48
	s_mul_i32 s39, s8, s39
	s_mul_hi_u32 s48, s8, s6
	s_add_i32 s39, s48, s39
	s_mul_i32 s48, s9, s6
	s_add_i32 s39, s39, s48
	s_sub_i32 s50, s47, s39
	s_mul_i32 s6, s8, s6
	s_sub_u32 s6, s46, s6
	s_cselect_b64 s[48:49], -1, 0
	s_cmp_lg_u64 s[48:49], 0
	s_subb_u32 s46, s50, s9
	s_sub_u32 s52, s6, s8
	s_cselect_b64 s[50:51], -1, 0
	s_cmp_lg_u64 s[50:51], 0
	s_subb_u32 s53, s46, 0
	s_cmp_ge_u32 s53, s9
	s_cselect_b32 s72, -1, 0
	s_cmp_ge_u32 s52, s8
	s_cselect_b32 s73, -1, 0
	s_cmp_eq_u32 s53, s9
	s_cselect_b32 s72, s73, s72
	s_cmp_lg_u64 s[50:51], 0
	s_subb_u32 s46, s46, s9
	s_sub_u32 s73, s52, s8
	s_cselect_b64 s[50:51], -1, 0
	s_cmp_lg_u64 s[50:51], 0
	s_subb_u32 s46, s46, 0
	s_cmp_lg_u32 s72, 0
	s_cselect_b32 s50, s73, s52
	s_cselect_b32 s46, s46, s53
	s_cmp_lg_u64 s[48:49], 0
	s_subb_u32 s39, s47, s39
	s_cmp_ge_u32 s39, s9
	s_cselect_b32 s47, -1, 0
	s_cmp_ge_u32 s6, s8
	s_cselect_b32 s8, -1, 0
	s_cmp_eq_u32 s39, s9
	s_cselect_b32 s8, s8, s47
	s_cmp_lg_u32 s8, 0
	s_cselect_b32 s9, s46, s39
	s_cselect_b32 s8, s50, s6
	s_xor_b64 s[8:9], s[8:9], s[36:37]
	s_sub_u32 s8, s8, s36
	s_subb_u32 s9, s9, s36
	s_cbranch_execnz .LBB31_217
.LBB31_216:                             ;   in Loop: Header=BB31_32 Depth=1
	v_cvt_f32_u32_e32 v3, s76
	s_sub_i32 s6, 0, s76
	v_rcp_iflag_f32_e32 v3, v3
	s_nop 0
	v_mul_f32_e32 v3, 0x4f7ffffe, v3
	v_cvt_u32_f32_e32 v3, v3
	s_nop 0
	v_readfirstlane_b32 s8, v3
	s_mul_i32 s6, s6, s8
	s_mul_hi_u32 s6, s8, s6
	s_add_i32 s8, s8, s6
	s_mul_hi_u32 s6, s38, s8
	s_mul_i32 s6, s6, s76
	s_sub_i32 s6, s38, s6
	s_sub_i32 s8, s6, s76
	s_cmp_ge_u32 s6, s76
	s_cselect_b32 s6, s8, s6
	s_sub_i32 s8, s6, s76
	s_cmp_ge_u32 s6, s76
	s_cselect_b32 s78, s8, s6
	s_mov_b64 s[8:9], s[78:79]
.LBB31_217:                             ;   in Loop: Header=BB31_32 Depth=1
	s_sub_u32 s8, s38, s8
	s_subb_u32 s9, s7, s9
	v_cmp_gt_i64_e32 vcc, s[8:9], v[0:1]
                                        ; implicit-def: $vgpr6_vgpr7
	s_and_saveexec_b64 s[6:7], vcc
	s_cbranch_execz .LBB31_226
; %bb.218:                              ;   in Loop: Header=BB31_32 Depth=1
	s_mov_b64 s[36:37], 0
	v_mov_b32_e32 v12, v57
	v_mov_b64_e32 v[10:11], v[0:1]
                                        ; implicit-def: $sgpr38_sgpr39
	s_branch .LBB31_221
.LBB31_219:                             ;   in Loop: Header=BB31_221 Depth=2
	s_or_b64 exec, exec, s[46:47]
	s_waitcnt lgkmcnt(0)
	s_barrier
	ds_read_b128 v[4:7], v19 offset:3072
	s_mov_b64 s[46:47], -1
	s_mov_b64 s[48:49], -1
	s_waitcnt lgkmcnt(0)
	s_barrier
	v_cmp_eq_u64_e32 vcc, 0, v[4:5]
	s_cbranch_vccnz .LBB31_224
.LBB31_220:                             ;   in Loop: Header=BB31_221 Depth=2
	s_and_b64 s[46:47], exec, s[46:47]
	s_or_b64 s[36:37], s[46:47], s[36:37]
	s_andn2_b64 s[38:39], s[38:39], exec
	s_and_b64 s[46:47], s[48:49], exec
	s_or_b64 s[38:39], s[38:39], s[46:47]
	s_andn2_b64 exec, exec, s[36:37]
	s_cbranch_execz .LBB31_225
.LBB31_221:                             ;   Parent Loop BB31_32 Depth=1
                                        ; =>  This Inner Loop Header: Depth=2
	v_cmp_gt_u64_e32 vcc, s[44:45], v[10:11]
	s_and_saveexec_b64 s[46:47], vcc
	s_cbranch_execz .LBB31_219
; %bb.222:                              ;   in Loop: Header=BB31_221 Depth=2
	ds_read_b64 v[4:5], v12
	s_waitcnt lgkmcnt(0)
	v_xor_b32_e32 v3, 0x80000000, v5
	v_and_b32_e32 v7, v3, v39
	v_and_b32_e32 v6, v4, v38
	v_cmp_eq_u64_e32 vcc, v[6:7], v[32:33]
	s_and_b64 exec, exec, vcc
	s_cbranch_execz .LBB31_219
; %bb.223:                              ;   in Loop: Header=BB31_221 Depth=2
	v_mov_b32_e32 v3, v19
	ds_write_b128 v19, v[2:5] offset:3072
	s_branch .LBB31_219
.LBB31_224:                             ;   in Loop: Header=BB31_221 Depth=2
	v_lshl_add_u64 v[10:11], v[10:11], 0, s[76:77]
	v_cmp_le_i64_e32 vcc, s[8:9], v[10:11]
	v_add_u32_e32 v12, s98, v12
	s_mov_b64 s[48:49], 0
	s_orn2_b64 s[46:47], vcc, exec
	s_branch .LBB31_220
.LBB31_225:                             ;   in Loop: Header=BB31_32 Depth=1
	s_or_b64 exec, exec, s[36:37]
	s_andn2_b64 s[0:1], s[0:1], exec
	s_and_b64 s[8:9], s[38:39], exec
	s_or_b64 s[0:1], s[0:1], s[8:9]
.LBB31_226:                             ;   in Loop: Header=BB31_32 Depth=1
	s_or_b64 exec, exec, s[6:7]
	s_mov_b64 s[36:37], 0
	s_mov_b64 s[38:39], -1
.LBB31_227:                             ;   in Loop: Header=BB31_32 Depth=1
	s_orn2_b64 s[0:1], s[0:1], exec
.LBB31_228:                             ;   in Loop: Header=BB31_32 Depth=1
	s_or_b64 exec, exec, s[40:41]
	s_mov_b64 s[6:7], 0
	s_and_saveexec_b64 s[40:41], s[0:1]
	s_cbranch_execz .LBB31_287
; %bb.229:                              ;   in Loop: Header=BB31_32 Depth=1
	s_xor_b64 s[8:9], s[42:43], -1
	v_mov_b32_e32 v18, 1
	v_mov_b64_e32 v[10:11], 1
	s_and_saveexec_b64 s[0:1], s[8:9]
	s_cbranch_execz .LBB31_238
; %bb.230:                              ;   in Loop: Header=BB31_32 Depth=1
	v_cmp_ge_i64_e32 vcc, s[22:23], v[8:9]
	s_and_saveexec_b64 s[6:7], vcc
	s_xor_b64 s[6:7], exec, s[6:7]
	s_cbranch_execz .LBB31_235
; %bb.231:                              ;   in Loop: Header=BB31_32 Depth=1
	ds_read_b64 v[4:5], v19 offset:5120
	s_lshl_b64 s[8:9], 2, s70
	v_and_b32_e32 v3, s25, v33
	v_and_b32_e32 v10, s24, v32
	v_or_b32_e32 v33, s9, v3
	s_waitcnt lgkmcnt(0)
	v_cmp_ne_u64_e32 vcc, 0, v[4:5]
	v_or_b32_e32 v32, s8, v10
	v_or_b32_e32 v39, s15, v39
	;; [unrolled: 1-line block ×3, first 2 shown]
	s_cbranch_vccnz .LBB31_235
; %bb.232:                              ;   in Loop: Header=BB31_32 Depth=1
	s_mov_b64 s[8:9], exec
	v_readlane_b32 s24, v63, 8
	v_readlane_b32 s25, v63, 9
	s_and_b64 s[24:25], s[8:9], s[24:25]
	s_mov_b64 exec, s[24:25]
; %bb.233:                              ;   in Loop: Header=BB31_32 Depth=1
	v_mov_b64_e32 v[4:5], s[22:23]
	ds_write_b64 v19, v[4:5] offset:5128
; %bb.234:                              ;   in Loop: Header=BB31_32 Depth=1
	s_or_b64 exec, exec, s[8:9]
	s_waitcnt lgkmcnt(0)
	s_barrier
.LBB31_235:                             ;   in Loop: Header=BB31_32 Depth=1
	s_or_saveexec_b64 s[6:7], s[6:7]
	s_mov_b64 s[8:9], 0
	v_mov_b32_e32 v18, 8
	s_xor_b64 exec, exec, s[6:7]
; %bb.236:                              ;   in Loop: Header=BB31_32 Depth=1
	v_mov_b32_e32 v3, s23
	v_subrev_co_u32_e32 v8, vcc, s22, v8
	s_mov_b64 s[8:9], exec
	s_nop 0
	v_subb_co_u32_e32 v9, vcc, v9, v3, vcc
	v_mov_b32_e32 v18, 0
; %bb.237:                              ;   in Loop: Header=BB31_32 Depth=1
	s_or_b64 exec, exec, s[6:7]
	s_and_b64 s[6:7], s[8:9], exec
	v_mov_b64_e32 v[10:11], v[8:9]
.LBB31_238:                             ;   in Loop: Header=BB31_32 Depth=1
	s_or_b64 exec, exec, s[0:1]
	s_mov_b64 s[0:1], -1
                                        ; implicit-def: $sgpr48_sgpr49
                                        ; implicit-def: $sgpr46_sgpr47
	s_and_saveexec_b64 s[22:23], s[6:7]
	s_cbranch_execz .LBB31_286
; %bb.239:                              ;   in Loop: Header=BB31_32 Depth=1
	s_cmp_eq_u64 s[12:13], 1
	s_cselect_b64 s[0:1], -1, 0
	v_cmp_eq_u64_e32 vcc, 1, v[10:11]
	s_and_b64 s[24:25], s[0:1], vcc
	s_mov_b64 s[6:7], -1
                                        ; implicit-def: $sgpr48_sgpr49
                                        ; implicit-def: $sgpr46_sgpr47
	s_and_saveexec_b64 s[42:43], s[24:25]
	s_cbranch_execz .LBB31_274
; %bb.240:                              ;   in Loop: Header=BB31_32 Depth=1
	ds_read_b64 v[4:5], v19 offset:5120
	v_readlane_b32 s4, v63, 10
	v_readlane_b32 s5, v63, 11
	s_waitcnt lgkmcnt(0)
	s_barrier
	v_readfirstlane_b32 s44, v4
	v_readfirstlane_b32 s45, v5
	s_and_saveexec_b64 s[0:1], s[4:5]
; %bb.241:                              ;   in Loop: Header=BB31_32 Depth=1
	ds_write_b64 v58, v[66:67]
; %bb.242:                              ;   in Loop: Header=BB31_32 Depth=1
	s_or_b64 exec, exec, s[0:1]
	v_cmp_gt_i64_e64 s[0:1], s[44:45], 0
	v_or_b32_e32 v33, s15, v33
	v_or_b32_e32 v32, s14, v32
	;; [unrolled: 1-line block ×4, first 2 shown]
	s_mov_b64 s[46:47], -1
	s_mov_b64 s[48:49], 0
	s_and_b64 vcc, exec, s[0:1]
	s_mov_b64 s[0:1], 0
	s_waitcnt lgkmcnt(0)
	s_barrier
                                        ; implicit-def: $vgpr6_vgpr7
	s_cbranch_vccnz .LBB31_259
; %bb.243:                              ;   in Loop: Header=BB31_32 Depth=1
	s_mov_b32 s98, s79
	s_cmp_lg_u64 s[98:99], 0
	s_cbranch_scc0 .LBB31_246
; %bb.244:                              ;   in Loop: Header=BB31_32 Depth=1
	s_add_u32 s0, s76, 0
	s_addc_u32 s1, 0, 0
	s_xor_b64 s[0:1], s[0:1], 0
	v_cvt_f32_u32_e32 v3, s0
	v_cvt_f32_u32_e32 v4, s1
	s_sub_u32 s8, 0, s0
	s_subb_u32 s9, 0, s1
	v_readlane_b32 s4, v63, 23
	v_fmac_f32_e32 v3, 0x4f800000, v4
	v_rcp_f32_e32 v3, v3
	s_nop 0
	v_mul_f32_e32 v3, 0x5f7ffffc, v3
	v_mul_f32_e32 v4, 0x2f800000, v3
	v_trunc_f32_e32 v4, v4
	v_fmac_f32_e32 v3, 0xcf800000, v4
	v_cvt_u32_f32_e32 v4, v4
	v_cvt_u32_f32_e32 v3, v3
	v_readfirstlane_b32 s50, v4
	v_readfirstlane_b32 s6, v3
	s_mul_i32 s7, s8, s50
	s_mul_hi_u32 s52, s8, s6
	s_mul_i32 s51, s9, s6
	s_add_i32 s7, s52, s7
	s_mul_i32 s53, s8, s6
	s_add_i32 s7, s7, s51
	s_mul_i32 s52, s6, s7
	s_mul_hi_u32 s72, s6, s53
	s_mul_hi_u32 s51, s6, s7
	s_add_u32 s52, s72, s52
	s_addc_u32 s51, 0, s51
	s_mul_hi_u32 s73, s50, s53
	s_mul_i32 s53, s50, s53
	s_add_u32 s52, s52, s53
	s_mul_hi_u32 s72, s50, s7
	s_addc_u32 s51, s51, s73
	s_addc_u32 s52, s72, 0
	s_mul_i32 s7, s50, s7
	s_add_u32 s7, s51, s7
	s_addc_u32 s51, 0, s52
	s_add_u32 s52, s6, s7
	s_cselect_b64 s[6:7], -1, 0
	s_cmp_lg_u64 s[6:7], 0
	s_addc_u32 s50, s50, s51
	s_mul_i32 s6, s8, s50
	s_mul_hi_u32 s7, s8, s52
	s_add_i32 s6, s7, s6
	s_mul_i32 s9, s9, s52
	s_add_i32 s6, s6, s9
	s_mul_i32 s8, s8, s52
	s_mul_hi_u32 s9, s50, s8
	s_mul_i32 s51, s50, s8
	s_mul_i32 s72, s52, s6
	s_mul_hi_u32 s8, s52, s8
	s_mul_hi_u32 s53, s52, s6
	s_add_u32 s8, s8, s72
	s_addc_u32 s53, 0, s53
	s_add_u32 s8, s8, s51
	s_mul_hi_u32 s7, s50, s6
	s_addc_u32 s8, s53, s9
	s_addc_u32 s7, s7, 0
	s_mul_i32 s6, s50, s6
	s_add_u32 s6, s8, s6
	s_addc_u32 s8, 0, s7
	s_add_u32 s51, s52, s6
	s_cselect_b64 s[6:7], -1, 0
	s_cmp_lg_u64 s[6:7], 0
	s_addc_u32 s50, s50, s8
	s_ashr_i32 s6, s99, 31
	s_add_u32 s8, s4, s6
	s_mov_b32 s7, s6
	s_addc_u32 s9, s99, s6
	s_xor_b64 s[8:9], s[8:9], s[6:7]
	s_mul_i32 s53, s8, s50
	s_mul_hi_u32 s72, s8, s51
	s_mul_hi_u32 s52, s8, s50
	s_add_u32 s53, s72, s53
	s_addc_u32 s52, 0, s52
	s_mul_hi_u32 s73, s9, s51
	s_mul_i32 s51, s9, s51
	s_add_u32 s51, s53, s51
	s_mul_hi_u32 s72, s9, s50
	s_addc_u32 s51, s52, s73
	s_addc_u32 s52, s72, 0
	s_mul_i32 s50, s9, s50
	s_add_u32 s50, s51, s50
	s_addc_u32 s51, 0, s52
	s_mul_i32 s51, s0, s51
	s_mul_hi_u32 s52, s0, s50
	s_add_i32 s51, s52, s51
	s_mul_i32 s52, s1, s50
	s_add_i32 s72, s51, s52
	s_sub_i32 s52, s9, s72
	s_mul_i32 s50, s0, s50
	s_sub_u32 s8, s8, s50
	s_cselect_b64 s[50:51], -1, 0
	s_cmp_lg_u64 s[50:51], 0
	s_subb_u32 s73, s52, s1
	s_sub_u32 s78, s8, s0
	s_cselect_b64 s[52:53], -1, 0
	s_cmp_lg_u64 s[52:53], 0
	s_subb_u32 s80, s73, 0
	s_cmp_ge_u32 s80, s1
	s_cselect_b32 s81, -1, 0
	s_cmp_ge_u32 s78, s0
	s_cselect_b32 s84, -1, 0
	s_cmp_eq_u32 s80, s1
	s_cselect_b32 s81, s84, s81
	s_cmp_lg_u64 s[52:53], 0
	s_subb_u32 s73, s73, s1
	s_sub_u32 s84, s78, s0
	s_cselect_b64 s[52:53], -1, 0
	s_cmp_lg_u64 s[52:53], 0
	s_subb_u32 s52, s73, 0
	s_cmp_lg_u32 s81, 0
	s_cselect_b32 s53, s84, s78
	s_cselect_b32 s52, s52, s80
	s_cmp_lg_u64 s[50:51], 0
	s_subb_u32 s9, s9, s72
	s_cmp_ge_u32 s9, s1
	s_cselect_b32 s50, -1, 0
	s_cmp_ge_u32 s8, s0
	s_cselect_b32 s0, -1, 0
	s_cmp_eq_u32 s9, s1
	s_cselect_b32 s0, s0, s50
	s_cmp_lg_u32 s0, 0
	s_cselect_b32 s1, s52, s9
	s_cselect_b32 s0, s53, s8
	s_xor_b64 s[0:1], s[0:1], s[6:7]
	s_sub_u32 s0, s0, s6
	s_subb_u32 s1, s1, s6
	s_mov_b64 s[6:7], 0
	s_branch .LBB31_247
.LBB31_245:                             ;   in Loop: Header=BB31_32 Depth=1
                                        ; implicit-def: $sgpr8_sgpr9
	s_branch .LBB31_216
.LBB31_246:                             ;   in Loop: Header=BB31_32 Depth=1
                                        ; implicit-def: $sgpr0_sgpr1
.LBB31_247:                             ;   in Loop: Header=BB31_32 Depth=1
	s_andn2_b64 vcc, exec, s[6:7]
	v_readlane_b32 s98, v63, 42
	s_cbranch_vccnz .LBB31_249
; %bb.248:                              ;   in Loop: Header=BB31_32 Depth=1
	v_cvt_f32_u32_e32 v3, s76
	s_sub_i32 s0, 0, s76
	v_readlane_b32 s4, v63, 23
	v_rcp_iflag_f32_e32 v3, v3
	s_nop 0
	v_mul_f32_e32 v3, 0x4f7ffffe, v3
	v_cvt_u32_f32_e32 v3, v3
	s_nop 0
	v_readfirstlane_b32 s1, v3
	s_mul_i32 s0, s0, s1
	s_mul_hi_u32 s0, s1, s0
	s_add_i32 s1, s1, s0
	s_mul_hi_u32 s0, s4, s1
	s_mul_i32 s0, s0, s76
	s_sub_i32 s0, s4, s0
	s_sub_i32 s1, s0, s76
	s_cmp_ge_u32 s0, s76
	s_cselect_b32 s0, s1, s0
	s_sub_i32 s1, s0, s76
	s_cmp_ge_u32 s0, s76
	s_cselect_b32 s78, s1, s0
	s_mov_b64 s[0:1], s[78:79]
.LBB31_249:                             ;   in Loop: Header=BB31_32 Depth=1
	v_readlane_b32 s4, v63, 23
	s_sub_u32 s50, s4, s0
	s_subb_u32 s51, s99, s1
	v_cmp_gt_i64_e32 vcc, s[50:51], v[0:1]
	s_mov_b64 s[6:7], 0
	s_mov_b64 s[0:1], 0
                                        ; implicit-def: $vgpr6_vgpr7
	s_and_saveexec_b64 s[8:9], vcc
	s_cbranch_execz .LBB31_258
; %bb.250:                              ;   in Loop: Header=BB31_32 Depth=1
	v_mov_b64_e32 v[8:9], v[16:17]
	v_mov_b64_e32 v[12:13], v[0:1]
                                        ; implicit-def: $sgpr52_sgpr53
	s_branch .LBB31_253
.LBB31_251:                             ;   in Loop: Header=BB31_253 Depth=2
	s_or_b64 exec, exec, s[72:73]
	s_waitcnt lgkmcnt(0)
	s_barrier
	ds_read_b128 v[4:7], v19 offset:3072
	s_mov_b64 s[72:73], -1
	s_mov_b64 s[80:81], -1
	s_waitcnt lgkmcnt(0)
	s_barrier
	v_cmp_ne_u64_e32 vcc, 0, v[4:5]
	s_cbranch_vccz .LBB31_256
.LBB31_252:                             ;   in Loop: Header=BB31_253 Depth=2
	s_and_b64 s[72:73], exec, s[72:73]
	s_or_b64 s[0:1], s[72:73], s[0:1]
	s_andn2_b64 s[52:53], s[52:53], exec
	s_and_b64 s[72:73], s[80:81], exec
	s_or_b64 s[52:53], s[52:53], s[72:73]
	s_andn2_b64 exec, exec, s[0:1]
	s_cbranch_execz .LBB31_257
.LBB31_253:                             ;   Parent Loop BB31_32 Depth=1
                                        ; =>  This Inner Loop Header: Depth=2
	v_cmp_gt_i64_e32 vcc, s[56:57], v[12:13]
	s_and_saveexec_b64 s[72:73], vcc
	s_cbranch_execz .LBB31_251
; %bb.254:                              ;   in Loop: Header=BB31_253 Depth=2
	global_load_dwordx2 v[4:5], v[8:9], off
	s_waitcnt vmcnt(0)
	v_xor_b32_e32 v3, 0x80000000, v5
	v_and_b32_e32 v7, v3, v39
	v_and_b32_e32 v6, v4, v38
	v_cmp_eq_u64_e32 vcc, v[6:7], v[32:33]
	s_and_b64 exec, exec, vcc
	s_cbranch_execz .LBB31_251
; %bb.255:                              ;   in Loop: Header=BB31_253 Depth=2
	v_mov_b32_e32 v3, v19
	ds_write_b128 v19, v[2:5] offset:3072
	s_branch .LBB31_251
.LBB31_256:                             ;   in Loop: Header=BB31_253 Depth=2
	v_lshl_add_u64 v[12:13], v[12:13], 0, s[76:77]
	v_cmp_le_i64_e32 vcc, s[50:51], v[12:13]
	v_lshl_add_u64 v[8:9], v[8:9], 0, s[92:93]
	s_mov_b64 s[80:81], 0
	s_orn2_b64 s[72:73], vcc, exec
	s_branch .LBB31_252
.LBB31_257:                             ;   in Loop: Header=BB31_32 Depth=1
	s_or_b64 exec, exec, s[0:1]
	s_and_b64 s[0:1], s[52:53], exec
.LBB31_258:                             ;   in Loop: Header=BB31_32 Depth=1
	s_or_b64 exec, exec, s[8:9]
	v_readlane_b32 s80, v63, 40
	v_readlane_b32 s81, v63, 41
.LBB31_259:                             ;   in Loop: Header=BB31_32 Depth=1
	s_and_b64 vcc, exec, s[6:7]
	s_cbranch_vccz .LBB31_273
; %bb.260:                              ;   in Loop: Header=BB31_32 Depth=1
	v_readlane_b32 s4, v63, 22
	s_add_u32 s48, s44, s4
	v_readlane_b32 s4, v63, 24
	s_addc_u32 s7, s45, s4
	s_mov_b32 s6, s79
	s_cmp_lg_u64 s[6:7], 0
	s_cbranch_scc0 .LBB31_293
; %bb.261:                              ;   in Loop: Header=BB31_32 Depth=1
	s_add_u32 s8, s76, 0
	s_addc_u32 s9, 0, 0
	s_xor_b64 s[8:9], s[8:9], 0
	v_cvt_f32_u32_e32 v3, s8
	v_cvt_f32_u32_e32 v4, s9
	s_sub_u32 s6, 0, s8
	s_subb_u32 s49, 0, s9
	v_fmac_f32_e32 v3, 0x4f800000, v4
	v_rcp_f32_e32 v3, v3
	s_nop 0
	v_mul_f32_e32 v3, 0x5f7ffffc, v3
	v_mul_f32_e32 v4, 0x2f800000, v3
	v_trunc_f32_e32 v4, v4
	v_fmac_f32_e32 v3, 0xcf800000, v4
	v_cvt_u32_f32_e32 v4, v4
	v_cvt_u32_f32_e32 v3, v3
	v_readfirstlane_b32 s50, v4
	v_readfirstlane_b32 s46, v3
	s_mul_i32 s47, s6, s50
	s_mul_hi_u32 s52, s6, s46
	s_mul_i32 s51, s49, s46
	s_add_i32 s47, s52, s47
	s_mul_i32 s53, s6, s46
	s_add_i32 s47, s47, s51
	s_mul_i32 s52, s46, s47
	s_mul_hi_u32 s72, s46, s53
	s_mul_hi_u32 s51, s46, s47
	s_add_u32 s52, s72, s52
	s_addc_u32 s51, 0, s51
	s_mul_hi_u32 s73, s50, s53
	s_mul_i32 s53, s50, s53
	s_add_u32 s52, s52, s53
	s_mul_hi_u32 s72, s50, s47
	s_addc_u32 s51, s51, s73
	s_addc_u32 s52, s72, 0
	s_mul_i32 s47, s50, s47
	s_add_u32 s47, s51, s47
	s_addc_u32 s51, 0, s52
	s_add_u32 s52, s46, s47
	s_cselect_b64 s[46:47], -1, 0
	s_cmp_lg_u64 s[46:47], 0
	s_addc_u32 s50, s50, s51
	s_mul_i32 s46, s6, s50
	s_mul_hi_u32 s47, s6, s52
	s_add_i32 s46, s47, s46
	s_mul_i32 s49, s49, s52
	s_add_i32 s46, s46, s49
	s_mul_i32 s6, s6, s52
	s_mul_hi_u32 s49, s50, s6
	s_mul_i32 s51, s50, s6
	s_mul_i32 s72, s52, s46
	s_mul_hi_u32 s6, s52, s6
	s_mul_hi_u32 s53, s52, s46
	s_add_u32 s6, s6, s72
	s_addc_u32 s53, 0, s53
	s_add_u32 s6, s6, s51
	s_mul_hi_u32 s47, s50, s46
	s_addc_u32 s6, s53, s49
	s_addc_u32 s47, s47, 0
	s_mul_i32 s46, s50, s46
	s_add_u32 s6, s6, s46
	s_addc_u32 s49, 0, s47
	s_add_u32 s6, s52, s6
	s_cselect_b64 s[46:47], -1, 0
	s_cmp_lg_u64 s[46:47], 0
	s_addc_u32 s49, s50, s49
	s_ashr_i32 s46, s7, 31
	s_add_u32 s50, s48, s46
	s_mov_b32 s47, s46
	s_addc_u32 s51, s7, s46
	s_xor_b64 s[50:51], s[50:51], s[46:47]
	s_mul_i32 s53, s50, s49
	s_mul_hi_u32 s72, s50, s6
	s_mul_hi_u32 s52, s50, s49
	s_add_u32 s53, s72, s53
	s_addc_u32 s52, 0, s52
	s_mul_hi_u32 s73, s51, s6
	s_mul_i32 s6, s51, s6
	s_add_u32 s6, s53, s6
	s_mul_hi_u32 s72, s51, s49
	s_addc_u32 s6, s52, s73
	s_addc_u32 s52, s72, 0
	s_mul_i32 s49, s51, s49
	s_add_u32 s6, s6, s49
	s_addc_u32 s49, 0, s52
	s_mul_i32 s49, s8, s49
	s_mul_hi_u32 s52, s8, s6
	s_add_i32 s49, s52, s49
	s_mul_i32 s52, s9, s6
	s_add_i32 s49, s49, s52
	s_sub_i32 s72, s51, s49
	s_mul_i32 s6, s8, s6
	s_sub_u32 s6, s50, s6
	s_cselect_b64 s[52:53], -1, 0
	s_cmp_lg_u64 s[52:53], 0
	s_subb_u32 s50, s72, s9
	s_sub_u32 s78, s6, s8
	s_cselect_b64 s[72:73], -1, 0
	s_cmp_lg_u64 s[72:73], 0
	s_subb_u32 s80, s50, 0
	s_cmp_ge_u32 s80, s9
	s_cselect_b32 s81, -1, 0
	s_cmp_ge_u32 s78, s8
	s_cselect_b32 s84, -1, 0
	s_cmp_eq_u32 s80, s9
	s_cselect_b32 s81, s84, s81
	s_cmp_lg_u64 s[72:73], 0
	s_subb_u32 s50, s50, s9
	s_sub_u32 s84, s78, s8
	s_cselect_b64 s[72:73], -1, 0
	s_cmp_lg_u64 s[72:73], 0
	s_subb_u32 s50, s50, 0
	s_cmp_lg_u32 s81, 0
	s_cselect_b32 s72, s84, s78
	s_cselect_b32 s50, s50, s80
	s_cmp_lg_u64 s[52:53], 0
	s_subb_u32 s49, s51, s49
	s_cmp_ge_u32 s49, s9
	s_cselect_b32 s51, -1, 0
	s_cmp_ge_u32 s6, s8
	s_cselect_b32 s8, -1, 0
	s_cmp_eq_u32 s49, s9
	s_cselect_b32 s8, s8, s51
	s_cmp_lg_u32 s8, 0
	s_cselect_b32 s9, s50, s49
	s_cselect_b32 s8, s72, s6
	s_xor_b64 s[8:9], s[8:9], s[46:47]
	v_readlane_b32 s80, v63, 40
	s_sub_u32 s8, s8, s46
	v_readlane_b32 s81, v63, 41
	s_subb_u32 s9, s9, s46
	s_cbranch_execnz .LBB31_263
.LBB31_262:                             ;   in Loop: Header=BB31_32 Depth=1
	v_cvt_f32_u32_e32 v3, s76
	s_sub_i32 s6, 0, s76
	v_rcp_iflag_f32_e32 v3, v3
	s_nop 0
	v_mul_f32_e32 v3, 0x4f7ffffe, v3
	v_cvt_u32_f32_e32 v3, v3
	s_nop 0
	v_readfirstlane_b32 s8, v3
	s_mul_i32 s6, s6, s8
	s_mul_hi_u32 s6, s8, s6
	s_add_i32 s8, s8, s6
	s_mul_hi_u32 s6, s48, s8
	s_mul_i32 s6, s6, s76
	s_sub_i32 s6, s48, s6
	s_sub_i32 s8, s6, s76
	s_cmp_ge_u32 s6, s76
	s_cselect_b32 s6, s8, s6
	s_sub_i32 s8, s6, s76
	s_cmp_ge_u32 s6, s76
	s_cselect_b32 s78, s8, s6
	s_mov_b64 s[8:9], s[78:79]
.LBB31_263:                             ;   in Loop: Header=BB31_32 Depth=1
	s_sub_u32 s8, s48, s8
	s_subb_u32 s9, s7, s9
	v_cmp_gt_i64_e32 vcc, s[8:9], v[0:1]
                                        ; implicit-def: $vgpr6_vgpr7
	s_and_saveexec_b64 s[6:7], vcc
	s_cbranch_execz .LBB31_272
; %bb.264:                              ;   in Loop: Header=BB31_32 Depth=1
	s_mov_b64 s[46:47], 0
	v_mov_b32_e32 v12, v57
	v_mov_b64_e32 v[8:9], v[0:1]
                                        ; implicit-def: $sgpr48_sgpr49
	s_branch .LBB31_267
.LBB31_265:                             ;   in Loop: Header=BB31_267 Depth=2
	s_or_b64 exec, exec, s[50:51]
	s_waitcnt lgkmcnt(0)
	s_barrier
	ds_read_b128 v[4:7], v19 offset:3072
	s_mov_b64 s[50:51], -1
	s_mov_b64 s[52:53], -1
	s_waitcnt lgkmcnt(0)
	s_barrier
	v_cmp_eq_u64_e32 vcc, 0, v[4:5]
	s_cbranch_vccnz .LBB31_270
.LBB31_266:                             ;   in Loop: Header=BB31_267 Depth=2
	s_and_b64 s[50:51], exec, s[50:51]
	s_or_b64 s[46:47], s[50:51], s[46:47]
	s_andn2_b64 s[48:49], s[48:49], exec
	s_and_b64 s[50:51], s[52:53], exec
	s_or_b64 s[48:49], s[48:49], s[50:51]
	s_andn2_b64 exec, exec, s[46:47]
	s_cbranch_execz .LBB31_271
.LBB31_267:                             ;   Parent Loop BB31_32 Depth=1
                                        ; =>  This Inner Loop Header: Depth=2
	v_cmp_gt_u64_e32 vcc, s[44:45], v[8:9]
	s_and_saveexec_b64 s[50:51], vcc
	s_cbranch_execz .LBB31_265
; %bb.268:                              ;   in Loop: Header=BB31_267 Depth=2
	ds_read_b64 v[4:5], v12
	s_waitcnt lgkmcnt(0)
	v_xor_b32_e32 v3, 0x80000000, v5
	v_and_b32_e32 v7, v3, v39
	v_and_b32_e32 v6, v4, v38
	v_cmp_eq_u64_e32 vcc, v[6:7], v[32:33]
	s_and_b64 exec, exec, vcc
	s_cbranch_execz .LBB31_265
; %bb.269:                              ;   in Loop: Header=BB31_267 Depth=2
	v_mov_b32_e32 v3, v19
	ds_write_b128 v19, v[2:5] offset:3072
	s_branch .LBB31_265
.LBB31_270:                             ;   in Loop: Header=BB31_267 Depth=2
	v_lshl_add_u64 v[8:9], v[8:9], 0, s[76:77]
	v_cmp_le_i64_e32 vcc, s[8:9], v[8:9]
	v_add_u32_e32 v12, s98, v12
	s_mov_b64 s[52:53], 0
	s_orn2_b64 s[50:51], vcc, exec
	s_branch .LBB31_266
.LBB31_271:                             ;   in Loop: Header=BB31_32 Depth=1
	s_or_b64 exec, exec, s[46:47]
	s_andn2_b64 s[0:1], s[0:1], exec
	s_and_b64 s[8:9], s[48:49], exec
	s_or_b64 s[0:1], s[0:1], s[8:9]
.LBB31_272:                             ;   in Loop: Header=BB31_32 Depth=1
	s_or_b64 exec, exec, s[6:7]
	s_mov_b64 s[46:47], 0
	s_mov_b64 s[48:49], -1
.LBB31_273:                             ;   in Loop: Header=BB31_32 Depth=1
	s_orn2_b64 s[6:7], s[0:1], exec
.LBB31_274:                             ;   in Loop: Header=BB31_32 Depth=1
	s_or_b64 exec, exec, s[42:43]
	s_mov_b64 s[8:9], 0
	s_and_saveexec_b64 s[0:1], s[6:7]
	s_cbranch_execz .LBB31_285
; %bb.275:                              ;   in Loop: Header=BB31_32 Depth=1
	s_xor_b64 s[8:9], s[24:25], -1
	v_mov_b64_e32 v[4:5], 1
	v_mov_b32_e32 v18, 1
	s_and_saveexec_b64 s[6:7], s[8:9]
	s_cbranch_execz .LBB31_284
; %bb.276:                              ;   in Loop: Header=BB31_32 Depth=1
	v_cmp_ge_i64_e32 vcc, s[12:13], v[10:11]
	s_and_saveexec_b64 s[8:9], vcc
	s_xor_b64 s[8:9], exec, s[8:9]
	s_cbranch_execz .LBB31_281
; %bb.277:                              ;   in Loop: Header=BB31_32 Depth=1
	ds_read_b64 v[4:5], v19 offset:5120
	v_or_b32_e32 v33, s15, v33
	v_or_b32_e32 v32, s14, v32
	;; [unrolled: 1-line block ×4, first 2 shown]
	s_waitcnt lgkmcnt(0)
	v_cmp_ne_u64_e32 vcc, 0, v[4:5]
	s_cbranch_vccnz .LBB31_281
; %bb.278:                              ;   in Loop: Header=BB31_32 Depth=1
	s_mov_b64 s[14:15], exec
	v_readlane_b32 s24, v63, 8
	v_readlane_b32 s25, v63, 9
	s_and_b64 s[24:25], s[14:15], s[24:25]
	s_mov_b64 exec, s[24:25]
; %bb.279:                              ;   in Loop: Header=BB31_32 Depth=1
	v_mov_b64_e32 v[4:5], s[12:13]
	ds_write_b64 v19, v[4:5] offset:5128
; %bb.280:                              ;   in Loop: Header=BB31_32 Depth=1
	s_or_b64 exec, exec, s[14:15]
	s_waitcnt lgkmcnt(0)
	s_barrier
.LBB31_281:                             ;   in Loop: Header=BB31_32 Depth=1
	s_andn2_saveexec_b64 s[8:9], s[8:9]
; %bb.282:                              ;   in Loop: Header=BB31_32 Depth=1
	v_mov_b32_e32 v3, s13
	v_subrev_co_u32_e32 v10, vcc, s12, v10
	s_nop 1
	v_subb_co_u32_e32 v11, vcc, v11, v3, vcc
; %bb.283:                              ;   in Loop: Header=BB31_32 Depth=1
	s_or_b64 exec, exec, s[8:9]
	v_mov_b32_e32 v18, 8
	v_mov_b64_e32 v[4:5], v[10:11]
.LBB31_284:                             ;   in Loop: Header=BB31_32 Depth=1
	s_or_b64 exec, exec, s[6:7]
	s_mov_b64 s[8:9], exec
	v_mov_b64_e32 v[10:11], v[4:5]
.LBB31_285:                             ;   in Loop: Header=BB31_32 Depth=1
	s_or_b64 exec, exec, s[0:1]
	s_orn2_b64 s[0:1], s[8:9], exec
.LBB31_286:                             ;   in Loop: Header=BB31_32 Depth=1
	s_or_b64 exec, exec, s[22:23]
	s_andn2_b64 s[6:7], s[38:39], exec
	s_and_b64 s[8:9], s[48:49], exec
	s_or_b64 s[38:39], s[6:7], s[8:9]
	s_andn2_b64 s[6:7], s[36:37], exec
	s_and_b64 s[8:9], s[46:47], exec
	s_or_b64 s[36:37], s[6:7], s[8:9]
	s_and_b64 s[6:7], s[0:1], exec
	v_mov_b64_e32 v[8:9], v[10:11]
.LBB31_287:                             ;   in Loop: Header=BB31_32 Depth=1
	s_or_b64 exec, exec, s[40:41]
	s_orn2_b64 s[0:1], s[6:7], exec
.LBB31_288:                             ;   in Loop: Header=BB31_32 Depth=1
	s_or_b64 exec, exec, s[34:35]
	s_andn2_b64 s[6:7], s[26:27], exec
	s_and_b64 s[8:9], s[38:39], exec
	s_or_b64 s[26:27], s[6:7], s[8:9]
	s_andn2_b64 s[2:3], s[2:3], exec
	s_and_b64 s[6:7], s[36:37], exec
	s_or_b64 s[2:3], s[2:3], s[6:7]
	s_and_b64 s[6:7], s[0:1], exec
	v_mov_b64_e32 v[12:13], v[8:9]
.LBB31_289:                             ;   in Loop: Header=BB31_32 Depth=1
	s_or_b64 exec, exec, s[30:31]
	s_orn2_b64 s[0:1], s[6:7], exec
.LBB31_290:                             ;   in Loop: Header=BB31_32 Depth=1
	s_or_b64 exec, exec, s[20:21]
	s_mov_b64 s[6:7], 0
	s_and_saveexec_b64 s[8:9], s[0:1]
	s_xor_b64 s[0:1], exec, s[8:9]
	s_cbranch_execz .LBB31_30
; %bb.291:                              ;   in Loop: Header=BB31_32 Depth=1
	v_and_b32_e32 v3, 7, v18
	v_cmp_eq_u32_e32 vcc, 0, v3
	s_mov_b64 s[8:9], -1
	s_mov_b64 s[6:7], -1
	s_and_saveexec_b64 s[12:13], vcc
	s_cbranch_execz .LBB31_29
; %bb.292:                              ;   in Loop: Header=BB31_32 Depth=1
	s_xor_b32 s71, s71, 1
	s_add_i32 s14, s70, -2
	s_cmp_eq_u32 s70, 0
	s_cselect_b64 s[8:9], -1, 0
	s_xor_b64 s[6:7], exec, -1
	s_orn2_b64 s[8:9], s[8:9], exec
	s_mov_b32 s70, s14
	s_branch .LBB31_29
.LBB31_293:                             ;   in Loop: Header=BB31_32 Depth=1
                                        ; implicit-def: $sgpr8_sgpr9
	s_branch .LBB31_262
.LBB31_294:
	s_or_b64 exec, exec, s[66:67]
	s_xor_b64 s[6:7], s[10:11], -1
	s_xor_b64 s[0:1], s[58:59], -1
	;; [unrolled: 1-line block ×3, first 2 shown]
	s_mov_b64 s[2:3], 0
	s_and_saveexec_b64 s[8:9], s[0:1]
	s_xor_b64 s[0:1], exec, s[8:9]
	s_cbranch_execnz .LBB31_299
; %bb.295:
	s_andn2_saveexec_b64 s[0:1], s[0:1]
	s_cbranch_execnz .LBB31_321
.LBB31_296:
	s_or_b64 exec, exec, s[0:1]
	s_and_saveexec_b64 s[0:1], s[2:3]
.LBB31_297:
	; divergent unreachable
.LBB31_298:
	s_endpgm
.LBB31_299:
	s_and_saveexec_b64 s[2:3], s[6:7]
	s_xor_b64 s[2:3], exec, s[2:3]
	s_cbranch_execz .LBB31_319
; %bb.300:
	s_and_saveexec_b64 s[6:7], s[4:5]
	s_xor_b64 s[4:5], exec, s[6:7]
; %bb.301:
	v_xor_b32_e32 v33, 0x80000000, v33
	v_mov_b64_e32 v[6:7], v[32:33]
; %bb.302:
	s_or_b64 exec, exec, s[4:5]
	s_mov_b64 s[4:5], exec
	v_readlane_b32 s6, v63, 8
	v_readlane_b32 s7, v63, 9
	s_and_b64 s[6:7], s[4:5], s[6:7]
	s_mov_b64 exec, s[6:7]
; %bb.303:
	v_mov_b32_e32 v2, 0
	v_mov_b32_e32 v3, s56
	ds_write_b32 v2, v3 offset:5140
; %bb.304:
	s_or_b64 exec, exec, s[4:5]
	s_waitcnt lgkmcnt(0)
	s_barrier
	s_mov_b64 s[4:5], exec
	v_readlane_b32 s6, v63, 18
	v_readlane_b32 s7, v63, 19
	s_and_b64 s[6:7], s[4:5], s[6:7]
	s_mov_b64 exec, s[6:7]
	s_cbranch_execz .LBB31_316
; %bb.305:
	v_mov_b32_e32 v2, 0
	ds_read_b32 v4, v2 offset:5140
	s_mov_b64 s[6:7], 0
                                        ; implicit-def: $sgpr8_sgpr9
                                        ; implicit-def: $sgpr10_sgpr11
                                        ; implicit-def: $sgpr12_sgpr13
	s_waitcnt lgkmcnt(0)
	v_ashrrev_i32_e32 v5, 31, v4
	s_branch .LBB31_308
.LBB31_306:                             ;   in Loop: Header=BB31_308 Depth=1
	s_or_b64 exec, exec, s[20:21]
	s_andn2_b64 s[12:13], s[12:13], exec
	s_and_b64 s[18:19], s[18:19], exec
	s_andn2_b64 s[10:11], s[10:11], exec
	s_and_b64 s[16:17], s[16:17], exec
	s_or_b64 s[12:13], s[12:13], s[18:19]
	s_or_b64 s[10:11], s[10:11], s[16:17]
.LBB31_307:                             ;   in Loop: Header=BB31_308 Depth=1
	s_or_b64 exec, exec, s[14:15]
	s_and_b64 s[14:15], exec, s[10:11]
	s_or_b64 s[6:7], s[14:15], s[6:7]
	s_andn2_b64 s[8:9], s[8:9], exec
	s_and_b64 s[14:15], s[12:13], exec
	s_or_b64 s[8:9], s[8:9], s[14:15]
	s_andn2_b64 exec, exec, s[6:7]
	s_cbranch_execz .LBB31_311
.LBB31_308:                             ; =>This Inner Loop Header: Depth=1
	v_mov_b64_e32 v[2:3], v[0:1]
	v_cmp_lt_i64_e32 vcc, v[2:3], v[4:5]
	s_or_b64 s[12:13], s[12:13], exec
	s_or_b64 s[10:11], s[10:11], exec
                                        ; implicit-def: $vgpr0_vgpr1
	s_and_saveexec_b64 s[14:15], vcc
	s_cbranch_execz .LBB31_307
; %bb.309:                              ;   in Loop: Header=BB31_308 Depth=1
	global_load_dwordx2 v[0:1], v[16:17], off
	s_mov_b64 s[16:17], -1
	s_mov_b64 s[18:19], 0
	s_waitcnt vmcnt(0)
	v_cmp_ne_u64_e32 vcc, v[0:1], v[6:7]
                                        ; implicit-def: $vgpr0_vgpr1
	s_and_saveexec_b64 s[20:21], vcc
	s_cbranch_execz .LBB31_306
; %bb.310:                              ;   in Loop: Header=BB31_308 Depth=1
	v_lshl_add_u64 v[0:1], v[2:3], 0, s[76:77]
	v_cmp_le_i64_e32 vcc, s[56:57], v[0:1]
	s_mov_b64 s[18:19], exec
	v_lshl_add_u64 v[16:17], v[16:17], 0, s[92:93]
	s_orn2_b64 s[16:17], vcc, exec
	s_branch .LBB31_306
.LBB31_311:
	s_or_b64 exec, exec, s[6:7]
	s_xor_b64 s[6:7], s[8:9], -1
	s_and_saveexec_b64 s[8:9], s[6:7]
	s_xor_b64 s[8:9], exec, s[8:9]
	s_cbranch_execz .LBB31_316
; %bb.312:
	s_mov_b64 s[6:7], exec
	s_brev_b32 s8, -2
.LBB31_313:                             ; =>This Inner Loop Header: Depth=1
	s_ff1_i32_b64 s9, s[6:7]
	v_readlane_b32 s12, v2, s9
	s_lshl_b64 s[10:11], 1, s9
	s_min_i32 s8, s8, s12
	s_andn2_b64 s[6:7], s[6:7], s[10:11]
	s_cmp_lg_u64 s[6:7], 0
	s_cbranch_scc1 .LBB31_313
; %bb.314:
	v_mbcnt_lo_u32_b32 v0, exec_lo, 0
	v_mbcnt_hi_u32_b32 v0, exec_hi, v0
	v_cmp_eq_u32_e32 vcc, 0, v0
	s_and_saveexec_b64 s[6:7], vcc
	s_xor_b64 s[6:7], exec, s[6:7]
; %bb.315:
	v_mov_b32_e32 v0, 0
	v_mov_b32_e32 v1, s8
	ds_min_i32 v0, v1 offset:5140
.LBB31_316:
	s_or_b64 exec, exec, s[4:5]
	s_waitcnt lgkmcnt(0)
	s_barrier
	s_mov_b64 s[4:5], exec
	v_readlane_b32 s6, v63, 8
	v_readlane_b32 s7, v63, 9
	s_and_b64 s[6:7], s[4:5], s[6:7]
	s_mov_b64 exec, s[6:7]
	s_cbranch_execz .LBB31_318
; %bb.317:
	v_readlane_b32 s8, v63, 0
	v_readlane_b32 s9, v63, 1
	s_mul_i32 s6, s8, s61
	s_mul_hi_u32 s7, s8, s60
	s_add_i32 s6, s7, s6
	s_mul_i32 s7, s9, s60
	v_readlane_b32 s10, v63, 2
	s_add_i32 s7, s6, s7
	s_mul_i32 s6, s8, s60
	v_readlane_b32 s11, v63, 3
	s_mul_i32 s8, s10, s69
	s_mul_hi_u32 s9, s10, s68
	s_add_i32 s8, s9, s8
	s_mul_i32 s9, s11, s68
	s_add_i32 s9, s8, s9
	s_mul_i32 s8, s10, s68
	s_lshl_b64 s[6:7], s[6:7], 3
	v_readlane_b32 s10, v63, 4
	v_readlane_b32 s11, v63, 5
	s_add_u32 s10, s10, s6
	s_addc_u32 s11, s11, s7
	s_lshl_b64 s[6:7], s[54:55], 3
	v_mov_b32_e32 v2, 0
	s_add_u32 s6, s10, s6
	ds_read_b32 v0, v2 offset:5140
	s_addc_u32 s7, s11, s7
	s_lshl_b64 s[8:9], s[8:9], 3
	v_readlane_b32 s10, v63, 6
	v_readlane_b32 s11, v63, 7
	s_add_u32 s10, s10, s8
	s_addc_u32 s11, s11, s9
	s_lshl_b64 s[8:9], s[64:65], 3
	s_add_u32 s8, s10, s8
	s_addc_u32 s9, s11, s9
	s_waitcnt lgkmcnt(0)
	v_ashrrev_i32_e32 v1, 31, v0
	global_store_dwordx2 v2, v[0:1], s[8:9]
	global_store_dwordx2 v2, v[6:7], s[6:7]
.LBB31_318:
	s_or_b64 exec, exec, s[4:5]
.LBB31_319:
	s_or_saveexec_b64 s[2:3], s[2:3]
	s_mov_b64 s[4:5], 0
	s_xor_b64 exec, exec, s[2:3]
	s_cbranch_execnz .LBB31_322
.LBB31_320:
	s_or_b64 exec, exec, s[2:3]
	s_and_b64 s[2:3], s[4:5], exec
	s_andn2_saveexec_b64 s[0:1], s[0:1]
	s_cbranch_execz .LBB31_296
.LBB31_321:
	s_or_b64 s[2:3], s[2:3], exec
	s_trap 2
	s_or_b64 exec, exec, s[0:1]
	s_and_saveexec_b64 s[0:1], s[2:3]
	s_cbranch_execnz .LBB31_297
	s_branch .LBB31_298
.LBB31_322:
	s_mov_b64 s[4:5], exec
	s_trap 2
	s_branch .LBB31_320
	.section	.rodata,"a",@progbits
	.p2align	6, 0x0
	.amdhsa_kernel _ZN2at6native12_GLOBAL__N_114gatherKthValueIllLin1EEEvNS_4cuda6detail10TensorInfoIKT_T0_EES8_S8_S8_S8_NS5_IS6_S8_EENS5_IlS8_EE
		.amdhsa_group_segment_fixed_size 5144
		.amdhsa_private_segment_fixed_size 0
		.amdhsa_kernarg_size 1536
		.amdhsa_user_sgpr_count 2
		.amdhsa_user_sgpr_dispatch_ptr 0
		.amdhsa_user_sgpr_queue_ptr 0
		.amdhsa_user_sgpr_kernarg_segment_ptr 1
		.amdhsa_user_sgpr_dispatch_id 0
		.amdhsa_user_sgpr_kernarg_preload_length 0
		.amdhsa_user_sgpr_kernarg_preload_offset 0
		.amdhsa_user_sgpr_private_segment_size 0
		.amdhsa_uses_dynamic_stack 0
		.amdhsa_enable_private_segment 0
		.amdhsa_system_sgpr_workgroup_id_x 1
		.amdhsa_system_sgpr_workgroup_id_y 1
		.amdhsa_system_sgpr_workgroup_id_z 1
		.amdhsa_system_sgpr_workgroup_info 0
		.amdhsa_system_vgpr_workitem_id 0
		.amdhsa_next_free_vgpr 76
		.amdhsa_next_free_sgpr 100
		.amdhsa_accum_offset 76
		.amdhsa_reserve_vcc 1
		.amdhsa_float_round_mode_32 0
		.amdhsa_float_round_mode_16_64 0
		.amdhsa_float_denorm_mode_32 3
		.amdhsa_float_denorm_mode_16_64 3
		.amdhsa_dx10_clamp 1
		.amdhsa_ieee_mode 1
		.amdhsa_fp16_overflow 0
		.amdhsa_tg_split 0
		.amdhsa_exception_fp_ieee_invalid_op 0
		.amdhsa_exception_fp_denorm_src 0
		.amdhsa_exception_fp_ieee_div_zero 0
		.amdhsa_exception_fp_ieee_overflow 0
		.amdhsa_exception_fp_ieee_underflow 0
		.amdhsa_exception_fp_ieee_inexact 0
		.amdhsa_exception_int_div_zero 0
	.end_amdhsa_kernel
	.section	.text._ZN2at6native12_GLOBAL__N_114gatherKthValueIllLin1EEEvNS_4cuda6detail10TensorInfoIKT_T0_EES8_S8_S8_S8_NS5_IS6_S8_EENS5_IlS8_EE,"axG",@progbits,_ZN2at6native12_GLOBAL__N_114gatherKthValueIllLin1EEEvNS_4cuda6detail10TensorInfoIKT_T0_EES8_S8_S8_S8_NS5_IS6_S8_EENS5_IlS8_EE,comdat
.Lfunc_end31:
	.size	_ZN2at6native12_GLOBAL__N_114gatherKthValueIllLin1EEEvNS_4cuda6detail10TensorInfoIKT_T0_EES8_S8_S8_S8_NS5_IS6_S8_EENS5_IlS8_EE, .Lfunc_end31-_ZN2at6native12_GLOBAL__N_114gatherKthValueIllLin1EEEvNS_4cuda6detail10TensorInfoIKT_T0_EES8_S8_S8_S8_NS5_IS6_S8_EENS5_IlS8_EE
                                        ; -- End function
	.set _ZN2at6native12_GLOBAL__N_114gatherKthValueIllLin1EEEvNS_4cuda6detail10TensorInfoIKT_T0_EES8_S8_S8_S8_NS5_IS6_S8_EENS5_IlS8_EE.num_vgpr, 76
	.set _ZN2at6native12_GLOBAL__N_114gatherKthValueIllLin1EEEvNS_4cuda6detail10TensorInfoIKT_T0_EES8_S8_S8_S8_NS5_IS6_S8_EENS5_IlS8_EE.num_agpr, 0
	.set _ZN2at6native12_GLOBAL__N_114gatherKthValueIllLin1EEEvNS_4cuda6detail10TensorInfoIKT_T0_EES8_S8_S8_S8_NS5_IS6_S8_EENS5_IlS8_EE.numbered_sgpr, 100
	.set _ZN2at6native12_GLOBAL__N_114gatherKthValueIllLin1EEEvNS_4cuda6detail10TensorInfoIKT_T0_EES8_S8_S8_S8_NS5_IS6_S8_EENS5_IlS8_EE.num_named_barrier, 0
	.set _ZN2at6native12_GLOBAL__N_114gatherKthValueIllLin1EEEvNS_4cuda6detail10TensorInfoIKT_T0_EES8_S8_S8_S8_NS5_IS6_S8_EENS5_IlS8_EE.private_seg_size, 0
	.set _ZN2at6native12_GLOBAL__N_114gatherKthValueIllLin1EEEvNS_4cuda6detail10TensorInfoIKT_T0_EES8_S8_S8_S8_NS5_IS6_S8_EENS5_IlS8_EE.uses_vcc, 1
	.set _ZN2at6native12_GLOBAL__N_114gatherKthValueIllLin1EEEvNS_4cuda6detail10TensorInfoIKT_T0_EES8_S8_S8_S8_NS5_IS6_S8_EENS5_IlS8_EE.uses_flat_scratch, 0
	.set _ZN2at6native12_GLOBAL__N_114gatherKthValueIllLin1EEEvNS_4cuda6detail10TensorInfoIKT_T0_EES8_S8_S8_S8_NS5_IS6_S8_EENS5_IlS8_EE.has_dyn_sized_stack, 0
	.set _ZN2at6native12_GLOBAL__N_114gatherKthValueIllLin1EEEvNS_4cuda6detail10TensorInfoIKT_T0_EES8_S8_S8_S8_NS5_IS6_S8_EENS5_IlS8_EE.has_recursion, 0
	.set _ZN2at6native12_GLOBAL__N_114gatherKthValueIllLin1EEEvNS_4cuda6detail10TensorInfoIKT_T0_EES8_S8_S8_S8_NS5_IS6_S8_EENS5_IlS8_EE.has_indirect_call, 0
	.section	.AMDGPU.csdata,"",@progbits
; Kernel info:
; codeLenInByte = 18720
; TotalNumSgprs: 106
; NumVgprs: 76
; NumAgprs: 0
; TotalNumVgprs: 76
; ScratchSize: 0
; MemoryBound: 0
; FloatMode: 240
; IeeeMode: 1
; LDSByteSize: 5144 bytes/workgroup (compile time only)
; SGPRBlocks: 13
; VGPRBlocks: 9
; NumSGPRsForWavesPerEU: 106
; NumVGPRsForWavesPerEU: 76
; AccumOffset: 76
; Occupancy: 6
; WaveLimiterHint : 1
; COMPUTE_PGM_RSRC2:SCRATCH_EN: 0
; COMPUTE_PGM_RSRC2:USER_SGPR: 2
; COMPUTE_PGM_RSRC2:TRAP_HANDLER: 0
; COMPUTE_PGM_RSRC2:TGID_X_EN: 1
; COMPUTE_PGM_RSRC2:TGID_Y_EN: 1
; COMPUTE_PGM_RSRC2:TGID_Z_EN: 1
; COMPUTE_PGM_RSRC2:TIDIG_COMP_CNT: 0
; COMPUTE_PGM_RSRC3_GFX90A:ACCUM_OFFSET: 18
; COMPUTE_PGM_RSRC3_GFX90A:TG_SPLIT: 0
	.section	.text._ZN2at6native12_GLOBAL__N_114gatherKthValueIsiLi1EEEvNS_4cuda6detail10TensorInfoIKT_T0_EES8_S8_S8_S8_NS5_IS6_S8_EENS5_IlS8_EE,"axG",@progbits,_ZN2at6native12_GLOBAL__N_114gatherKthValueIsiLi1EEEvNS_4cuda6detail10TensorInfoIKT_T0_EES8_S8_S8_S8_NS5_IS6_S8_EENS5_IlS8_EE,comdat
	.globl	_ZN2at6native12_GLOBAL__N_114gatherKthValueIsiLi1EEEvNS_4cuda6detail10TensorInfoIKT_T0_EES8_S8_S8_S8_NS5_IS6_S8_EENS5_IlS8_EE ; -- Begin function _ZN2at6native12_GLOBAL__N_114gatherKthValueIsiLi1EEEvNS_4cuda6detail10TensorInfoIKT_T0_EES8_S8_S8_S8_NS5_IS6_S8_EENS5_IlS8_EE
	.p2align	8
	.type	_ZN2at6native12_GLOBAL__N_114gatherKthValueIsiLi1EEEvNS_4cuda6detail10TensorInfoIKT_T0_EES8_S8_S8_S8_NS5_IS6_S8_EENS5_IlS8_EE,@function
_ZN2at6native12_GLOBAL__N_114gatherKthValueIsiLi1EEEvNS_4cuda6detail10TensorInfoIKT_T0_EES8_S8_S8_S8_NS5_IS6_S8_EENS5_IlS8_EE: ; @_ZN2at6native12_GLOBAL__N_114gatherKthValueIsiLi1EEEvNS_4cuda6detail10TensorInfoIKT_T0_EES8_S8_S8_S8_NS5_IS6_S8_EENS5_IlS8_EE
; %bb.0:
	s_load_dwordx2 s[12:13], s[0:1], 0x298
	s_load_dwordx4 s[60:63], s[0:1], 0xd8
	s_add_u32 s10, s0, 0x298
	s_addc_u32 s11, s1, 0
	s_waitcnt lgkmcnt(0)
	s_mul_i32 s4, s13, s4
	s_add_i32 s3, s4, s3
	s_mul_i32 s3, s3, s12
	s_add_i32 s13, s3, s2
	s_cmp_ge_i32 s13, s62
	s_cbranch_scc1 .LBB32_237
; %bb.1:
	s_load_dwordx2 s[4:5], s[0:1], 0x1c0
                                        ; implicit-def: $vgpr52 : SGPR spill to VGPR lane
	v_cmp_eq_u32_e64 s[18:19], 0, v0
	s_waitcnt lgkmcnt(0)
	v_writelane_b32 v52, s4, 0
	s_nop 1
	v_writelane_b32 v52, s5, 1
	s_load_dwordx2 s[4:5], s[0:1], 0xe8
	s_waitcnt lgkmcnt(0)
	v_writelane_b32 v52, s4, 2
	s_nop 1
	v_writelane_b32 v52, s5, 3
	s_load_dword s3, s[0:1], 0x6c
	s_load_dwordx2 s[4:5], s[0:1], 0x0
	s_and_saveexec_b64 s[6:7], s[18:19]
; %bb.2:
	v_mov_b32_e32 v2, 0
	v_mov_b32_e32 v3, s60
	;; [unrolled: 1-line block ×3, first 2 shown]
	ds_write_b96 v2, v[2:4] offset:4096
; %bb.3:
	s_or_b64 exec, exec, s[6:7]
	s_load_dword s6, s[0:1], 0x22c
                                        ; kill: killed $sgpr0 killed $sgpr1
	s_waitcnt lgkmcnt(0)
	s_barrier
	v_mbcnt_lo_u32_b32 v1, -1, 0
	v_writelane_b32 v52, s6, 4
	s_load_dword s6, s[0:1], 0x154
	s_mul_i32 s0, s3, s13
	s_load_dword s3, s[10:11], 0xc
	s_ashr_i32 s1, s0, 31
	s_lshl_b64 s[0:1], s[0:1], 1
	s_add_u32 s68, s4, s0
	s_addc_u32 s69, s5, s1
	s_waitcnt lgkmcnt(0)
	s_and_b32 s62, s3, 0xffff
	v_mbcnt_hi_u32_b32 v20, -1, v1
	v_cmp_gt_u32_e32 vcc, 64, v0
	v_cmp_gt_i32_e64 s[4:5], 4, v20
	s_add_i32 s71, s62, -1
	v_writelane_b32 v52, s6, 5
	s_lshl_b32 s33, s62, 2
	s_and_b64 s[72:73], vcc, s[4:5]
	s_add_i32 s9, s71, s60
	v_writelane_b32 v52, s13, 6
	s_cmpk_gt_i32 s60, 0x600
	v_cmp_gt_u32_e64 s[6:7], s60, v0
	s_cselect_b64 s[74:75], -1, 0
	s_cmp_gt_u32 s62, 63
	v_writelane_b32 v52, s6, 7
	s_cselect_b64 s[76:77], -1, 0
	s_cmp_lt_u32 s2, s12
	v_writelane_b32 v52, s7, 8
	v_cmp_gt_i32_e64 s[6:7], s60, v0
	s_cselect_b32 s2, 12, 18
	v_lshlrev_b64 v[2:3], v20, -1
	v_writelane_b32 v52, s6, 9
	v_not_b32_e32 v12, v2
	v_lshrrev_b32_e32 v2, 2, v0
	v_writelane_b32 v52, s7, 10
	s_add_u32 s6, s10, s2
	s_addc_u32 s7, s11, 0
	v_writelane_b32 v52, s6, 11
	v_and_b32_e32 v2, 0xf0, v2
	v_or_b32_e32 v23, 0xc00, v2
	v_writelane_b32 v52, s7, 12
	s_bfe_u32 s6, s3, 0xa0006
	s_add_i32 s2, s6, -2
	s_lshr_b32 s3, s2, 1
	s_add_i32 s3, s3, 1
	s_cmpk_gt_u32 s62, 0x7f
	v_cvt_f32_u32_e32 v2, s33
	s_cselect_b64 s[10:11], -1, 0
	s_and_b32 s7, s6, 0x3fe
	s_and_b32 s8, s3, 7
	v_writelane_b32 v52, s10, 13
	s_cmp_gt_u32 s2, 13
	v_rcp_iflag_f32_e32 v2, v2
	v_writelane_b32 v52, s11, 14
	s_cselect_b64 s[10:11], -1, 0
	v_writelane_b32 v52, s10, 15
	s_and_b32 s2, s3, -8
	s_cmp_lg_u32 s8, 0
	v_writelane_b32 v52, s11, 16
	v_writelane_b32 v52, s2, 17
	;; [unrolled: 1-line block ×3, first 2 shown]
	s_cselect_b64 s[2:3], -1, 0
	v_writelane_b32 v52, s2, 19
	v_mul_f32_e32 v2, 0x4f7ffffe, v2
	v_cvt_u32_f32_e32 v2, v2
	v_writelane_b32 v52, s3, 20
	v_writelane_b32 v52, s6, 21
	s_cmp_lg_u32 s7, s6
	v_writelane_b32 v52, s7, 22
	s_cselect_b64 s[2:3], -1, 0
	v_writelane_b32 v52, s2, 23
	v_not_b32_e32 v1, v3
	v_cvt_f32_u32_e32 v3, s62
	v_writelane_b32 v52, s3, 24
	s_sub_i32 s2, 0, s33
	v_readfirstlane_b32 s3, v2
	s_mul_i32 s2, s2, s3
	s_mul_hi_u32 s2, s3, s2
	s_add_i32 s6, s3, s2
	s_mul_hi_u32 s2, s60, s6
	s_mul_i32 s2, s2, s33
	s_sub_i32 s2, s60, s2
	s_sub_i32 s3, s2, s33
	s_cmp_ge_u32 s2, s33
	s_cselect_b32 s2, s3, s2
	s_sub_i32 s3, s2, s33
	s_cmp_ge_u32 s2, s33
	s_cselect_b32 s2, s3, s2
	s_sub_i32 s7, s60, s2
	v_rcp_iflag_f32_e32 v5, v3
	v_add_u32_e32 v24, s7, v0
	v_mul_lo_u32 v2, v24, s63
	v_ashrrev_i32_e32 v3, 31, v2
	v_lshl_add_u64 v[14:15], v[2:3], 1, s[68:69]
	v_mul_f32_e32 v2, 0x4f7ffffe, v5
	v_cvt_u32_f32_e32 v2, v2
	s_sub_i32 s8, 0, s62
	s_abs_i32 s16, s9
	s_ashr_i32 s3, s9, 31
	v_readfirstlane_b32 s17, v2
	s_mul_i32 s8, s8, s17
	s_mul_hi_u32 s8, s17, s8
	s_add_i32 s8, s17, s8
	s_mul_hi_u32 s17, s16, s8
	s_mul_i32 s17, s17, s62
	s_sub_i32 s16, s16, s17
	s_sub_i32 s17, s16, s62
	s_cmp_ge_u32 s16, s62
	s_cselect_b32 s16, s17, s16
	s_sub_i32 s17, s16, s62
	s_cmp_ge_u32 s16, s62
	s_cselect_b32 s16, s17, s16
	v_lshlrev_b32_e32 v13, 2, v0
	s_xor_b32 s16, s16, s3
	s_sub_i32 s3, s3, s16
	v_mul_lo_u32 v2, s63, v13
	s_add_i32 s9, s9, s3
	v_add_u32_e32 v25, s63, v2
	v_or_b32_e32 v2, 2, v13
	v_cmp_gt_i32_e64 s[16:17], s9, v0
	v_mul_lo_u32 v26, s63, v2
	v_or_b32_e32 v2, 3, v13
	s_add_i32 s3, s62, s60
	v_mov_b32_e32 v9, 0
	v_writelane_b32 v52, s16, 25
	v_mul_lo_u32 v27, s63, v2
	v_add_u32_e32 v2, s3, v0
	s_mov_b32 s20, 0
	s_mov_b32 s21, 1
	v_lshlrev_b32_e32 v21, 1, v0
	v_mul_lo_u32 v6, s63, v0
	v_mov_b32_e32 v7, v9
	v_lshlrev_b32_e32 v4, 2, v20
	v_writelane_b32 v52, s17, 26
	s_mul_i32 s70, s63, s62
	v_subrev_u32_e32 v2, s2, v2
	v_cmp_eq_u32_e64 s[0:1], 0, v20
	v_cmp_gt_u32_e64 s[4:5], 2, v0
	v_add_u32_e32 v22, 0xc00, v21
	v_lshl_add_u64 v[10:11], v[6:7], 1, s[68:69]
	v_and_b32_e32 v7, 0x100, v4
	v_cmp_gt_i32_e64 s[10:11], s7, v13
	v_cmp_gt_u32_e64 s[12:13], s60, v24
	v_cmp_gt_i32_e64 s[14:15], s60, v24
	s_lshl_b32 s80, s70, 2
	v_lshlrev_b32_e32 v28, 2, v6
	v_mul_lo_u32 v29, s63, v2
	v_lshlrev_b32_e32 v31, 3, v0
	s_lshl_b32 s81, s62, 3
	s_lshl_b32 s78, s62, 1
	v_or_b32_e32 v32, 0xc00, v4
	s_mov_b64 s[88:89], 0
	v_mov_b32_e32 v34, 14
	v_mov_b32_e32 v38, s61
	s_mov_b32 s61, 0x8000
	v_mov_b32_e32 v39, s60
	v_mov_b32_e32 v33, 0xc00
	;; [unrolled: 1-line block ×4, first 2 shown]
	v_writelane_b32 v52, s20, 27
	s_mov_b32 s79, s20
	v_mov_b32_e32 v30, 0
	v_mov_b32_e32 v36, 0
                                        ; implicit-def: $sgpr90_sgpr91
                                        ; implicit-def: $sgpr94_sgpr95
                                        ; implicit-def: $sgpr92_sgpr93
                                        ; implicit-def: $sgpr98_sgpr99
                                        ; implicit-def: $sgpr64_sgpr65
                                        ; implicit-def: $sgpr96_sgpr97
	v_writelane_b32 v52, s21, 28
	s_branch .LBB32_7
.LBB32_4:                               ;   in Loop: Header=BB32_7 Depth=1
	s_or_b64 exec, exec, s[30:31]
	s_and_b64 s[30:31], s[28:29], exec
	s_andn2_b64 s[26:27], s[26:27], exec
	s_andn2_b64 s[24:25], s[24:25], exec
	s_orn2_b64 s[20:21], s[20:21], exec
.LBB32_5:                               ;   in Loop: Header=BB32_7 Depth=1
	s_or_b64 exec, exec, s[22:23]
	s_andn2_b64 s[16:17], s[96:97], exec
	s_and_b64 s[22:23], s[30:31], exec
	s_or_b64 s[96:97], s[16:17], s[22:23]
	s_andn2_b64 s[16:17], s[64:65], exec
	s_and_b64 s[22:23], s[26:27], exec
	s_or_b64 s[64:65], s[16:17], s[22:23]
	;; [unrolled: 3-line block ×3, first 2 shown]
	s_orn2_b64 s[20:21], s[20:21], exec
.LBB32_6:                               ;   in Loop: Header=BB32_7 Depth=1
	s_or_b64 exec, exec, s[2:3]
	s_and_b64 s[2:3], exec, s[20:21]
	s_or_b64 s[88:89], s[2:3], s[88:89]
	s_andn2_b64 s[2:3], s[92:93], exec
	s_and_b64 s[16:17], s[96:97], exec
	s_or_b64 s[92:93], s[2:3], s[16:17]
	s_andn2_b64 s[2:3], s[94:95], exec
	s_and_b64 s[16:17], s[64:65], exec
	;; [unrolled: 3-line block ×3, first 2 shown]
	s_or_b64 s[90:91], s[2:3], s[16:17]
	s_mov_b32 s79, s34
	v_mov_b32_e32 v38, v16
	s_andn2_b64 exec, exec, s[88:89]
	s_cbranch_execz .LBB32_233
.LBB32_7:                               ; =>This Loop Header: Depth=1
                                        ;     Child Loop BB32_12 Depth 2
                                        ;     Child Loop BB32_27 Depth 2
                                        ;     Child Loop BB32_59 Depth 2
                                        ;     Child Loop BB32_63 Depth 2
                                        ;     Child Loop BB32_48 Depth 2
                                        ;     Child Loop BB32_53 Depth 2
                                        ;     Child Loop BB32_43 Depth 2
                                        ;     Child Loop BB32_72 Depth 2
                                        ;     Child Loop BB32_75 Depth 2
                                        ;     Child Loop BB32_85 Depth 2
                                        ;     Child Loop BB32_96 Depth 2
                                        ;     Child Loop BB32_122 Depth 2
                                        ;     Child Loop BB32_133 Depth 2
                                        ;     Child Loop BB32_159 Depth 2
                                        ;     Child Loop BB32_170 Depth 2
                                        ;     Child Loop BB32_196 Depth 2
                                        ;     Child Loop BB32_207 Depth 2
	ds_read_b64 v[2:3], v9 offset:4096
	s_waitcnt lgkmcnt(0)
	v_readfirstlane_b32 s16, v2
	s_cmp_gt_i32 s16, 0
	s_cbranch_scc1 .LBB32_34
; %bb.8:                                ;   in Loop: Header=BB32_7 Depth=1
	s_and_b64 vcc, exec, s[74:75]
	s_cbranch_vccz .LBB32_20
; %bb.9:                                ;   in Loop: Header=BB32_7 Depth=1
	s_movk_i32 s2, 0x601
	v_cmp_gt_i32_e32 vcc, s2, v3
	s_mov_b64 s[20:21], 0
	s_mov_b64 s[2:3], 0
	s_cbranch_vccz .LBB32_21
; %bb.10:                               ;   in Loop: Header=BB32_7 Depth=1
	v_readlane_b32 s2, v52, 11
	v_readlane_b32 s3, v52, 12
	s_nop 4
	global_load_ushort v2, v9, s[2:3]
	global_load_ushort v4, v[10:11], off
	s_mov_b64 s[22:23], 0
	s_waitcnt vmcnt(1)
	v_add_u32_e32 v5, v0, v2
	v_mul_lo_u32 v3, s63, v2
	v_mul_lo_u32 v8, s63, v5
	v_mov_b32_e32 v5, v0
	s_branch .LBB32_12
.LBB32_11:                              ;   in Loop: Header=BB32_12 Depth=2
	s_or_b64 exec, exec, s[2:3]
	v_cmp_le_i32_e32 vcc, s60, v5
	v_add_u32_e32 v8, v8, v3
	s_or_b64 s[22:23], vcc, s[22:23]
	v_mov_b32_e32 v4, v16
	s_andn2_b64 exec, exec, s[22:23]
	s_cbranch_execz .LBB32_66
.LBB32_12:                              ;   Parent Loop BB32_7 Depth=1
                                        ; =>  This Inner Loop Header: Depth=2
	v_add_u32_e32 v5, v5, v2
	v_cmp_gt_u32_e32 vcc, s60, v5
	s_waitcnt lgkmcnt(0)
	v_mov_b32_e32 v17, 0
	v_mov_b32_e32 v16, 0
	s_and_saveexec_b64 s[2:3], vcc
	s_cbranch_execz .LBB32_14
; %bb.13:                               ;   in Loop: Header=BB32_12 Depth=2
	v_lshl_add_u64 v[18:19], v[8:9], 1, s[68:69]
	global_load_ushort v16, v[18:19], off
.LBB32_14:                              ;   in Loop: Header=BB32_12 Depth=2
	s_or_b64 exec, exec, s[2:3]
	s_waitcnt vmcnt(0)
	v_add_u32_sdwa v18, sext(v4), s61 dst_sel:DWORD dst_unused:UNUSED_PAD src0_sel:WORD_0 src1_sel:DWORD
	v_and_b32_e32 v18, v18, v36
	v_cmp_eq_u32_e32 vcc, v18, v30
	s_cmp_lg_u64 vcc, 0
	s_cselect_b64 s[2:3], -1, 0
	s_and_b64 s[2:3], s[0:1], s[2:3]
	s_and_saveexec_b64 s[24:25], s[2:3]
	s_cbranch_execz .LBB32_18
; %bb.15:                               ;   in Loop: Header=BB32_12 Depth=2
	s_mov_b64 s[28:29], exec
	v_mbcnt_lo_u32_b32 v17, s28, 0
	v_mbcnt_hi_u32_b32 v17, s29, v17
	s_bcnt1_i32_b64 s17, vcc
	v_cmp_eq_u32_e64 s[2:3], 0, v17
                                        ; implicit-def: $vgpr18
	s_and_saveexec_b64 s[26:27], s[2:3]
; %bb.16:                               ;   in Loop: Header=BB32_12 Depth=2
	s_bcnt1_i32_b64 s2, s[28:29]
	s_mul_i32 s2, s17, s2
	v_mov_b32_e32 v18, s2
	ds_add_rtn_u32 v18, v9, v18 offset:4104
; %bb.17:                               ;   in Loop: Header=BB32_12 Depth=2
	s_or_b64 exec, exec, s[26:27]
	s_waitcnt lgkmcnt(0)
	v_readfirstlane_b32 s2, v18
	s_nop 1
	v_mov_b32_e32 v18, s2
	v_mad_u32_u24 v17, s17, v17, v18
.LBB32_18:                              ;   in Loop: Header=BB32_12 Depth=2
	s_or_b64 exec, exec, s[24:25]
	ds_bpermute_b32 v17, v7, v17
	s_and_saveexec_b64 s[2:3], vcc
	s_cbranch_execz .LBB32_11
; %bb.19:                               ;   in Loop: Header=BB32_12 Depth=2
	v_and_b32_e32 v19, vcc_lo, v12
	v_and_b32_e32 v18, vcc_hi, v1
	v_bcnt_u32_b32 v19, v19, 0
	v_bcnt_u32_b32 v18, v18, v19
	v_lshlrev_b32_e32 v18, 1, v18
	s_waitcnt lgkmcnt(0)
	v_lshl_add_u32 v17, v17, 1, v18
	ds_write_b16 v17, v4
	s_branch .LBB32_11
.LBB32_20:                              ;   in Loop: Header=BB32_7 Depth=1
	s_mov_b64 s[20:21], -1
	s_mov_b64 s[2:3], 0
.LBB32_21:                              ;   in Loop: Header=BB32_7 Depth=1
	s_and_b64 vcc, exec, s[20:21]
	s_cbranch_vccz .LBB32_32
.LBB32_22:                              ;   in Loop: Header=BB32_7 Depth=1
	v_mov_b32_e32 v2, 0
	s_mov_b64 s[2:3], exec
	v_readlane_b32 s20, v52, 7
	v_readlane_b32 s21, v52, 8
	s_and_b64 s[20:21], s[2:3], s[20:21]
	s_mov_b64 exec, s[20:21]
	s_cbranch_execz .LBB32_24
; %bb.23:                               ;   in Loop: Header=BB32_7 Depth=1
	global_load_ushort v2, v[10:11], off
.LBB32_24:                              ;   in Loop: Header=BB32_7 Depth=1
	s_or_b64 exec, exec, s[2:3]
	s_mov_b64 s[2:3], exec
	v_readlane_b32 s20, v52, 9
	v_readlane_b32 s21, v52, 10
	s_and_b64 s[20:21], s[2:3], s[20:21]
	s_mov_b64 exec, s[20:21]
	s_cbranch_execz .LBB32_29
; %bb.25:                               ;   in Loop: Header=BB32_7 Depth=1
	v_readlane_b32 s20, v52, 11
	v_readlane_b32 s21, v52, 12
	v_mov_b32_e32 v4, v21
	v_mov_b32_e32 v17, v0
	s_nop 2
	global_load_ushort v3, v9, s[20:21]
	s_mov_b64 s[20:21], 0
	s_waitcnt vmcnt(0)
	v_add_u32_e32 v8, v0, v3
	v_lshlrev_b32_e32 v5, 1, v3
	v_mul_lo_u32 v16, s63, v3
	v_mul_lo_u32 v8, s63, v8
	s_branch .LBB32_27
.LBB32_26:                              ;   in Loop: Header=BB32_27 Depth=2
	s_or_b64 exec, exec, s[22:23]
	v_cmp_le_i32_e32 vcc, s60, v17
	ds_write_b16 v4, v2
	v_add_u32_e32 v4, v4, v5
	v_add_u32_e32 v8, v8, v16
	s_or_b64 s[20:21], vcc, s[20:21]
	s_waitcnt vmcnt(0)
	v_mov_b32_e32 v2, v18
	s_andn2_b64 exec, exec, s[20:21]
	s_cbranch_execz .LBB32_29
.LBB32_27:                              ;   Parent Loop BB32_7 Depth=1
                                        ; =>  This Inner Loop Header: Depth=2
	v_add_u32_e32 v17, v17, v3
	v_cmp_gt_u32_e32 vcc, s60, v17
	v_mov_b32_e32 v18, 0
	s_and_saveexec_b64 s[22:23], vcc
	s_cbranch_execz .LBB32_26
; %bb.28:                               ;   in Loop: Header=BB32_27 Depth=2
	v_lshl_add_u64 v[18:19], v[8:9], 1, s[68:69]
	global_load_ushort v18, v[18:19], off
	s_branch .LBB32_26
.LBB32_29:                              ;   in Loop: Header=BB32_7 Depth=1
	s_or_b64 exec, exec, s[2:3]
	s_waitcnt lgkmcnt(0)
	s_barrier
	s_and_saveexec_b64 s[2:3], s[18:19]
; %bb.30:                               ;   in Loop: Header=BB32_7 Depth=1
	ds_write_b32 v9, v39 offset:4096
; %bb.31:                               ;   in Loop: Header=BB32_7 Depth=1
	s_or_b64 exec, exec, s[2:3]
	s_mov_b64 s[2:3], -1
	s_waitcnt lgkmcnt(0)
	s_barrier
.LBB32_32:                              ;   in Loop: Header=BB32_7 Depth=1
	s_and_b64 vcc, exec, s[2:3]
	s_cbranch_vccz .LBB32_34
; %bb.33:                               ;   in Loop: Header=BB32_7 Depth=1
	s_waitcnt vmcnt(0)
	ds_read_b32 v2, v9 offset:4096
	s_waitcnt lgkmcnt(0)
	v_readfirstlane_b32 s16, v2
.LBB32_34:                              ;   in Loop: Header=BB32_7 Depth=1
	s_cmp_lt_i32 s16, 1
	s_mov_b64 s[2:3], -1
                                        ; implicit-def: $vgpr4_vgpr5
	s_cbranch_scc1 .LBB32_44
; %bb.35:                               ;   in Loop: Header=BB32_7 Depth=1
	s_and_b64 vcc, exec, s[2:3]
	s_cbranch_vccnz .LBB32_57
.LBB32_36:                              ;   in Loop: Header=BB32_7 Depth=1
	s_lshl_b32 s16, s79, 6
	s_and_saveexec_b64 s[2:3], s[0:1]
	s_cbranch_execz .LBB32_38
.LBB32_37:                              ;   in Loop: Header=BB32_7 Depth=1
	v_lshl_add_u32 v8, s16, 2, v23
	s_waitcnt vmcnt(0)
	ds_write_b128 v8, v[2:5]
.LBB32_38:                              ;   in Loop: Header=BB32_7 Depth=1
	s_or_b64 exec, exec, s[2:3]
	s_waitcnt lgkmcnt(0)
	s_barrier
	s_and_saveexec_b64 s[2:3], s[72:73]
	s_cbranch_execz .LBB32_77
; %bb.39:                               ;   in Loop: Header=BB32_7 Depth=1
	v_add_u32_e32 v4, s16, v20
	s_andn2_b64 vcc, exec, s[76:77]
	s_waitcnt vmcnt(0)
	v_mov_b32_e32 v2, 0
	s_cbranch_vccnz .LBB32_76
; %bb.40:                               ;   in Loop: Header=BB32_7 Depth=1
	v_readlane_b32 s20, v52, 13
	v_readlane_b32 s21, v52, 14
	s_andn2_b64 vcc, exec, s[20:21]
	s_cbranch_vccnz .LBB32_69
; %bb.41:                               ;   in Loop: Header=BB32_7 Depth=1
	v_readlane_b32 s20, v52, 15
	v_readlane_b32 s21, v52, 16
	s_andn2_b64 vcc, exec, s[20:21]
	v_lshl_add_u32 v5, v4, 2, v33
	s_cbranch_vccnz .LBB32_70
; %bb.42:                               ;   in Loop: Header=BB32_7 Depth=1
	s_mov_b32 s21, 1
	s_mov_b32 s20, 0
	v_mov_b32_e32 v2, 0
	v_mov_b32_e32 v3, 0
	v_readlane_b32 s17, v52, 17
.LBB32_43:                              ;   Parent Loop BB32_7 Depth=1
                                        ; =>  This Inner Loop Header: Depth=2
	v_lshl_add_u32 v8, s20, 4, v5
	v_lshl_add_u32 v50, s21, 4, v5
	ds_read2_b32 v[16:17], v8 offset1:8
	ds_read2_b32 v[18:19], v50 offset1:8
	ds_read2_b32 v[40:41], v8 offset0:16 offset1:24
	ds_read2_b32 v[42:43], v50 offset0:16 offset1:24
	;; [unrolled: 1-line block ×6, first 2 shown]
	s_waitcnt lgkmcnt(7)
	v_add3_u32 v2, v16, v2, v17
	s_waitcnt lgkmcnt(6)
	v_add3_u32 v3, v18, v3, v19
	;; [unrolled: 2-line block ×3, first 2 shown]
	v_add3_u32 v2, v40, v2, v41
	s_add_i32 s21, s21, 16
	s_add_i32 s20, s20, 16
	s_add_i32 s17, s17, -8
	s_waitcnt lgkmcnt(3)
	v_add3_u32 v2, v44, v2, v45
	s_waitcnt lgkmcnt(2)
	v_add3_u32 v3, v46, v3, v47
	s_cmp_lg_u32 s17, 0
	s_waitcnt lgkmcnt(0)
	v_add3_u32 v3, v50, v3, v51
	v_add3_u32 v2, v48, v2, v49
	s_cbranch_scc1 .LBB32_43
	s_branch .LBB32_71
.LBB32_44:                              ;   in Loop: Header=BB32_7 Depth=1
	v_mov_b32_e32 v8, v9
	v_mov_b64_e32 v[4:5], v[8:9]
	s_waitcnt vmcnt(0)
	v_mov_b64_e32 v[2:3], v[8:9]
	s_and_saveexec_b64 s[66:67], s[10:11]
	s_cbranch_execnz .LBB32_47
; %bb.45:                               ;   in Loop: Header=BB32_7 Depth=1
	s_or_b64 exec, exec, s[66:67]
	v_mov_b32_e32 v18, 0
	s_and_saveexec_b64 s[2:3], s[12:13]
	s_cbranch_execnz .LBB32_50
.LBB32_46:                              ;   in Loop: Header=BB32_7 Depth=1
	s_or_b64 exec, exec, s[2:3]
	s_and_saveexec_b64 s[20:21], s[14:15]
	s_cbranch_execnz .LBB32_51
	s_branch .LBB32_56
.LBB32_47:                              ;   in Loop: Header=BB32_7 Depth=1
	s_mov_b32 s17, 0
	s_mov_b64 s[82:83], 0
	v_mov_b32_e32 v8, v13
	s_mov_b32 s84, 0
	s_mov_b32 s85, s17
	;; [unrolled: 1-line block ×4, first 2 shown]
.LBB32_48:                              ;   Parent Loop BB32_7 Depth=1
                                        ; =>  This Inner Loop Header: Depth=2
	v_add_u32_e32 v2, s17, v28
	v_add_u32_e32 v4, s17, v25
	;; [unrolled: 1-line block ×4, first 2 shown]
	v_ashrrev_i32_e32 v3, 31, v2
	v_ashrrev_i32_e32 v5, 31, v4
	;; [unrolled: 1-line block ×4, first 2 shown]
	v_lshl_add_u64 v[2:3], v[2:3], 1, s[68:69]
	v_lshl_add_u64 v[4:5], v[4:5], 1, s[68:69]
	;; [unrolled: 1-line block ×4, first 2 shown]
	global_load_sshort v2, v[2:3], off
	s_nop 0
	global_load_sshort v3, v[4:5], off
	s_nop 0
	global_load_sshort v4, v[16:17], off
	global_load_sshort v5, v[18:19], off
	v_add_u32_e32 v8, s33, v8
	s_add_i32 s17, s17, s80
	v_cmp_le_i32_e32 vcc, s7, v8
	s_waitcnt vmcnt(3)
	v_add_u32_e32 v2, 0x8000, v2
	s_waitcnt vmcnt(2)
	v_add_u32_e32 v3, 0x8000, v3
	v_and_b32_e32 v16, v2, v36
	v_bfe_u32 v2, v2, v34, 2
	s_waitcnt vmcnt(1)
	v_add_u32_e32 v4, 0x8000, v4
	v_and_b32_e32 v17, v3, v36
	v_bfe_u32 v3, v3, v34, 2
	v_cmp_eq_u32_e64 s[2:3], v16, v30
	v_cmp_eq_u32_e64 s[26:27], 0, v2
	s_waitcnt vmcnt(0)
	v_add_u32_e32 v5, 0x8000, v5
	v_and_b32_e32 v18, v4, v36
	v_bfe_u32 v4, v4, v34, 2
	v_cmp_eq_u32_e64 s[20:21], v17, v30
	v_cmp_eq_u32_e64 s[28:29], 0, v3
	s_and_b64 s[26:27], s[2:3], s[26:27]
	v_and_b32_e32 v19, v5, v36
	v_bfe_u32 v5, v5, v34, 2
	v_cmp_eq_u32_e64 s[22:23], v18, v30
	v_cmp_eq_u32_e64 s[30:31], 0, v4
	;; [unrolled: 1-line block ×5, first 2 shown]
	v_cndmask_b32_e64 v2, 0, 1, s[26:27]
	s_and_b64 s[26:27], s[20:21], s[28:29]
	v_cmp_eq_u32_e64 s[24:25], v19, v30
	v_cmp_eq_u32_e64 s[34:35], 0, v5
	;; [unrolled: 1-line block ×5, first 2 shown]
	v_cndmask_b32_e64 v3, 0, 1, s[26:27]
	s_and_b64 s[26:27], s[22:23], s[30:31]
	v_cmp_eq_u32_e64 s[40:41], 1, v4
	v_cmp_eq_u32_e64 s[48:49], 2, v4
	;; [unrolled: 1-line block ×3, first 2 shown]
	v_cndmask_b32_e64 v4, 0, 1, s[26:27]
	s_and_b64 s[26:27], s[24:25], s[34:35]
	v_cmp_eq_u32_e64 s[42:43], 1, v5
	v_cmp_eq_u32_e64 s[50:51], 2, v5
	;; [unrolled: 1-line block ×3, first 2 shown]
	v_cndmask_b32_e64 v5, 0, 1, s[26:27]
	s_and_b64 s[26:27], s[2:3], s[36:37]
	v_cndmask_b32_e64 v16, 0, 1, s[26:27]
	s_and_b64 s[26:27], s[20:21], s[38:39]
	;; [unrolled: 2-line block ×5, first 2 shown]
	s_and_b64 s[2:3], s[2:3], s[52:53]
	v_cndmask_b32_e64 v40, 0, 1, s[26:27]
	s_and_b64 s[26:27], s[20:21], s[46:47]
	v_cndmask_b32_e64 v44, 0, 1, s[2:3]
	;; [unrolled: 2-line block ×7, first 2 shown]
	v_cndmask_b32_e64 v47, 0, 1, s[2:3]
	v_cmp_ne_u32_e64 s[2:3], 0, v2
	v_cmp_ne_u32_e64 s[20:21], 0, v3
	;; [unrolled: 1-line block ×11, first 2 shown]
	s_bcnt1_i32_b64 s2, s[2:3]
	s_bcnt1_i32_b64 s3, s[20:21]
	s_bcnt1_i32_b64 s20, s[22:23]
	s_bcnt1_i32_b64 s21, s[24:25]
	s_bcnt1_i32_b64 s22, s[26:27]
	s_bcnt1_i32_b64 s24, s[30:31]
	s_bcnt1_i32_b64 s26, s[36:37]
	s_bcnt1_i32_b64 s30, s[44:45]
	v_cmp_ne_u32_e64 s[34:35], 0, v19
	v_cmp_ne_u32_e64 s[40:41], 0, v42
	;; [unrolled: 1-line block ×3, first 2 shown]
	s_bcnt1_i32_b64 s23, s[28:29]
	s_bcnt1_i32_b64 s27, s[38:39]
	;; [unrolled: 1-line block ×3, first 2 shown]
	s_add_i32 s2, s84, s2
	s_add_i32 s22, s85, s22
	;; [unrolled: 1-line block ×4, first 2 shown]
	v_cmp_ne_u32_e64 s[42:43], 0, v43
	v_cmp_ne_u32_e64 s[50:51], 0, v47
	s_bcnt1_i32_b64 s25, s[34:35]
	s_bcnt1_i32_b64 s28, s[40:41]
	;; [unrolled: 1-line block ×3, first 2 shown]
	s_add_i32 s22, s22, s23
	s_add_i32 s2, s2, s3
	;; [unrolled: 1-line block ×4, first 2 shown]
	s_bcnt1_i32_b64 s29, s[42:43]
	s_bcnt1_i32_b64 s35, s[50:51]
	s_add_i32 s2, s2, s20
	s_add_i32 s20, s22, s24
	;; [unrolled: 1-line block ×8, first 2 shown]
	s_or_b64 s[82:83], vcc, s[82:83]
	v_mov_b64_e32 v[2:3], s[84:85]
	v_mov_b64_e32 v[4:5], s[86:87]
	s_andn2_b64 exec, exec, s[82:83]
	s_cbranch_execnz .LBB32_48
; %bb.49:                               ;   in Loop: Header=BB32_7 Depth=1
	s_or_b64 exec, exec, s[82:83]
	s_or_b64 exec, exec, s[66:67]
	v_mov_b32_e32 v18, 0
	s_and_saveexec_b64 s[2:3], s[12:13]
	s_cbranch_execz .LBB32_46
.LBB32_50:                              ;   in Loop: Header=BB32_7 Depth=1
	global_load_ushort v18, v[14:15], off
	s_or_b64 exec, exec, s[2:3]
	s_and_saveexec_b64 s[20:21], s[14:15]
	s_cbranch_execz .LBB32_56
.LBB32_51:                              ;   in Loop: Header=BB32_7 Depth=1
	s_mov_b64 s[22:23], 0
	v_mov_b32_e32 v16, v29
	v_mov_b32_e32 v8, v24
	s_branch .LBB32_53
.LBB32_52:                              ;   in Loop: Header=BB32_53 Depth=2
	s_or_b64 exec, exec, s[2:3]
	s_waitcnt vmcnt(0)
	v_add_u32_sdwa v18, sext(v18), s61 dst_sel:DWORD dst_unused:UNUSED_PAD src0_sel:WORD_0 src1_sel:DWORD
	v_and_b32_e32 v19, v18, v36
	v_bfe_u32 v18, v18, v34, 2
	v_cmp_eq_u32_e32 vcc, v19, v30
	v_cmp_eq_u32_e64 s[2:3], 0, v18
	s_and_b64 s[2:3], vcc, s[2:3]
	v_add_u32_e32 v16, s70, v16
	v_cndmask_b32_e64 v19, 0, 1, s[2:3]
	v_cmp_ne_u32_e64 s[2:3], 0, v19
	s_bcnt1_i32_b64 s17, s[2:3]
	v_cmp_eq_u32_e64 s[2:3], 1, v18
	s_and_b64 s[2:3], vcc, s[2:3]
	v_add_u32_e32 v2, s17, v2
	v_cndmask_b32_e64 v19, 0, 1, s[2:3]
	v_cmp_ne_u32_e64 s[2:3], 0, v19
	s_bcnt1_i32_b64 s2, s[2:3]
	s_nop 0
	v_add_u32_e32 v3, s2, v3
	v_cmp_eq_u32_e64 s[2:3], 2, v18
	s_and_b64 s[2:3], vcc, s[2:3]
	s_nop 0
	v_cndmask_b32_e64 v19, 0, 1, s[2:3]
	v_cmp_ne_u32_e64 s[2:3], 0, v19
	s_bcnt1_i32_b64 s17, s[2:3]
	v_cmp_eq_u32_e64 s[2:3], 3, v18
	s_and_b64 s[2:3], vcc, s[2:3]
	v_add_u32_e32 v4, s17, v4
	v_cndmask_b32_e64 v18, 0, 1, s[2:3]
	v_cmp_ne_u32_e32 vcc, 0, v18
	s_bcnt1_i32_b64 s2, vcc
	v_cmp_le_i32_e32 vcc, s60, v8
	v_add_u32_e32 v5, s2, v5
	s_or_b64 s[22:23], vcc, s[22:23]
	v_mov_b32_e32 v18, v17
	s_andn2_b64 exec, exec, s[22:23]
	s_cbranch_execz .LBB32_55
.LBB32_53:                              ;   Parent Loop BB32_7 Depth=1
                                        ; =>  This Inner Loop Header: Depth=2
	v_add_u32_e32 v8, s62, v8
	v_cmp_gt_u32_e32 vcc, s60, v8
	v_mov_b32_e32 v17, 0
	s_and_saveexec_b64 s[2:3], vcc
	s_cbranch_execz .LBB32_52
; %bb.54:                               ;   in Loop: Header=BB32_53 Depth=2
	v_ashrrev_i32_e32 v17, 31, v16
	v_lshl_add_u64 v[40:41], v[16:17], 1, s[68:69]
	global_load_ushort v17, v[40:41], off
	s_branch .LBB32_52
.LBB32_55:                              ;   in Loop: Header=BB32_7 Depth=1
	s_or_b64 exec, exec, s[22:23]
.LBB32_56:                              ;   in Loop: Header=BB32_7 Depth=1
	s_or_b64 exec, exec, s[20:21]
	s_branch .LBB32_36
.LBB32_57:                              ;   in Loop: Header=BB32_7 Depth=1
	s_mul_hi_u32 s2, s16, s6
	s_mul_i32 s2, s2, s33
	s_sub_i32 s2, s16, s2
	s_sub_i32 s3, s2, s33
	s_cmp_ge_u32 s2, s33
	s_cselect_b32 s2, s3, s2
	s_sub_i32 s3, s2, s33
	s_cmp_ge_u32 s2, s33
	s_cselect_b32 s2, s3, s2
	s_sub_i32 s17, s16, s2
	v_mov_b32_e32 v8, v9
	v_cmp_gt_u32_e32 vcc, s17, v13
	v_mov_b64_e32 v[4:5], v[8:9]
	s_waitcnt vmcnt(0)
	v_mov_b64_e32 v[2:3], v[8:9]
	s_and_saveexec_b64 s[66:67], vcc
	s_cbranch_execz .LBB32_61
; %bb.58:                               ;   in Loop: Header=BB32_7 Depth=1
	s_mov_b32 s84, 0
	s_mov_b64 s[82:83], 0
	v_mov_b32_e32 v8, v31
	v_mov_b32_e32 v16, v13
	s_mov_b32 s85, s84
	s_mov_b32 s86, s84
	;; [unrolled: 1-line block ×3, first 2 shown]
.LBB32_59:                              ;   Parent Loop BB32_7 Depth=1
                                        ; =>  This Inner Loop Header: Depth=2
	ds_read_b64 v[2:3], v8
	v_add_u32_e32 v16, s33, v16
	v_cmp_le_i32_e32 vcc, s17, v16
	v_add_u32_e32 v8, s81, v8
	s_waitcnt lgkmcnt(0)
	v_add_u32_sdwa v4, sext(v2), s61 dst_sel:DWORD dst_unused:UNUSED_PAD src0_sel:WORD_0 src1_sel:DWORD
	v_add_u32_sdwa v2, sext(v2), s61 dst_sel:DWORD dst_unused:UNUSED_PAD src0_sel:WORD_1 src1_sel:DWORD
	v_and_b32_e32 v17, v4, v36
	v_bfe_u32 v4, v4, v34, 2
	v_add_u32_sdwa v5, sext(v3), s61 dst_sel:DWORD dst_unused:UNUSED_PAD src0_sel:WORD_0 src1_sel:DWORD
	v_and_b32_e32 v18, v2, v36
	v_bfe_u32 v2, v2, v34, 2
	v_cmp_eq_u32_e64 s[2:3], v17, v30
	v_cmp_eq_u32_e64 s[26:27], 0, v4
	v_add_u32_sdwa v3, sext(v3), s61 dst_sel:DWORD dst_unused:UNUSED_PAD src0_sel:WORD_1 src1_sel:DWORD
	v_and_b32_e32 v19, v5, v36
	v_bfe_u32 v5, v5, v34, 2
	v_cmp_eq_u32_e64 s[20:21], v18, v30
	v_cmp_eq_u32_e64 s[28:29], 0, v2
	s_and_b64 s[26:27], s[2:3], s[26:27]
	v_and_b32_e32 v40, v3, v36
	v_bfe_u32 v3, v3, v34, 2
	v_cmp_eq_u32_e64 s[22:23], v19, v30
	v_cmp_eq_u32_e64 s[30:31], 0, v5
	v_cmp_eq_u32_e64 s[38:39], 1, v2
	v_cmp_eq_u32_e64 s[46:47], 2, v2
	v_cmp_eq_u32_e64 s[54:55], 3, v2
	v_cndmask_b32_e64 v2, 0, 1, s[26:27]
	s_and_b64 s[26:27], s[20:21], s[28:29]
	v_cmp_eq_u32_e64 s[24:25], v40, v30
	v_cmp_eq_u32_e64 s[34:35], 0, v3
	;; [unrolled: 1-line block ×5, first 2 shown]
	v_cndmask_b32_e64 v3, 0, 1, s[26:27]
	s_and_b64 s[26:27], s[22:23], s[30:31]
	v_cmp_eq_u32_e64 s[36:37], 1, v4
	v_cmp_eq_u32_e64 s[44:45], 2, v4
	;; [unrolled: 1-line block ×3, first 2 shown]
	v_cndmask_b32_e64 v4, 0, 1, s[26:27]
	s_and_b64 s[26:27], s[24:25], s[34:35]
	v_cmp_eq_u32_e64 s[40:41], 1, v5
	v_cmp_eq_u32_e64 s[48:49], 2, v5
	;; [unrolled: 1-line block ×3, first 2 shown]
	v_cndmask_b32_e64 v5, 0, 1, s[26:27]
	s_and_b64 s[26:27], s[2:3], s[36:37]
	v_cndmask_b32_e64 v17, 0, 1, s[26:27]
	s_and_b64 s[26:27], s[20:21], s[38:39]
	;; [unrolled: 2-line block ×5, first 2 shown]
	s_and_b64 s[2:3], s[2:3], s[52:53]
	v_cndmask_b32_e64 v41, 0, 1, s[26:27]
	s_and_b64 s[26:27], s[20:21], s[46:47]
	v_cndmask_b32_e64 v45, 0, 1, s[2:3]
	;; [unrolled: 2-line block ×7, first 2 shown]
	v_cndmask_b32_e64 v48, 0, 1, s[2:3]
	v_cmp_ne_u32_e64 s[2:3], 0, v2
	v_cmp_ne_u32_e64 s[20:21], 0, v3
	;; [unrolled: 1-line block ×11, first 2 shown]
	s_bcnt1_i32_b64 s2, s[2:3]
	s_bcnt1_i32_b64 s3, s[20:21]
	;; [unrolled: 1-line block ×8, first 2 shown]
	v_cmp_ne_u32_e64 s[34:35], 0, v40
	v_cmp_ne_u32_e64 s[40:41], 0, v43
	;; [unrolled: 1-line block ×3, first 2 shown]
	s_bcnt1_i32_b64 s23, s[28:29]
	s_bcnt1_i32_b64 s27, s[38:39]
	;; [unrolled: 1-line block ×3, first 2 shown]
	s_add_i32 s2, s84, s2
	s_add_i32 s22, s85, s22
	;; [unrolled: 1-line block ×4, first 2 shown]
	v_cmp_ne_u32_e64 s[42:43], 0, v44
	v_cmp_ne_u32_e64 s[50:51], 0, v48
	s_bcnt1_i32_b64 s25, s[34:35]
	s_bcnt1_i32_b64 s28, s[40:41]
	;; [unrolled: 1-line block ×3, first 2 shown]
	s_add_i32 s22, s22, s23
	s_add_i32 s2, s2, s3
	s_add_i32 s3, s30, s31
	s_add_i32 s23, s26, s27
	s_bcnt1_i32_b64 s29, s[42:43]
	s_bcnt1_i32_b64 s35, s[50:51]
	s_add_i32 s2, s2, s20
	s_add_i32 s20, s22, s24
	;; [unrolled: 1-line block ×8, first 2 shown]
	s_or_b64 s[82:83], vcc, s[82:83]
	v_mov_b64_e32 v[2:3], s[84:85]
	v_mov_b64_e32 v[4:5], s[86:87]
	s_andn2_b64 exec, exec, s[82:83]
	s_cbranch_execnz .LBB32_59
; %bb.60:                               ;   in Loop: Header=BB32_7 Depth=1
	s_or_b64 exec, exec, s[82:83]
.LBB32_61:                              ;   in Loop: Header=BB32_7 Depth=1
	s_or_b64 exec, exec, s[66:67]
	v_add_u32_e32 v8, s17, v0
	v_cmp_gt_i32_e32 vcc, s16, v8
	s_and_saveexec_b64 s[28:29], vcc
	s_cbranch_execz .LBB32_65
; %bb.62:                               ;   in Loop: Header=BB32_7 Depth=1
	v_lshlrev_b32_e32 v16, 1, v8
	s_mov_b64 s[30:31], 0
.LBB32_63:                              ;   Parent Loop BB32_7 Depth=1
                                        ; =>  This Inner Loop Header: Depth=2
	ds_read_i16 v17, v16
	v_add_u32_e32 v8, s62, v8
	v_cmp_le_i32_e32 vcc, s16, v8
	v_add_u32_e32 v16, s78, v16
	s_waitcnt lgkmcnt(0)
	v_add_u32_e32 v17, 0x8000, v17
	v_and_b32_e32 v18, v17, v36
	v_bfe_u32 v17, v17, v34, 2
	v_cmp_eq_u32_e64 s[2:3], v18, v30
	v_cmp_eq_u32_e64 s[20:21], 0, v17
	;; [unrolled: 1-line block ×3, first 2 shown]
	s_and_b64 s[20:21], s[2:3], s[20:21]
	v_cmp_eq_u32_e64 s[24:25], 2, v17
	v_cmp_eq_u32_e64 s[26:27], 3, v17
	v_cndmask_b32_e64 v17, 0, 1, s[20:21]
	s_and_b64 s[20:21], s[2:3], s[22:23]
	v_cndmask_b32_e64 v18, 0, 1, s[20:21]
	s_and_b64 s[20:21], s[2:3], s[24:25]
	s_and_b64 s[2:3], s[2:3], s[26:27]
	v_cndmask_b32_e64 v19, 0, 1, s[20:21]
	v_cndmask_b32_e64 v40, 0, 1, s[2:3]
	v_cmp_ne_u32_e64 s[2:3], 0, v17
	v_cmp_ne_u32_e64 s[20:21], 0, v18
	;; [unrolled: 1-line block ×4, first 2 shown]
	s_bcnt1_i32_b64 s2, s[2:3]
	s_bcnt1_i32_b64 s3, s[20:21]
	;; [unrolled: 1-line block ×4, first 2 shown]
	v_add_u32_e32 v3, s3, v3
	v_add_u32_e32 v2, s2, v2
	;; [unrolled: 1-line block ×3, first 2 shown]
	s_or_b64 s[30:31], vcc, s[30:31]
	v_add_u32_e32 v4, s17, v4
	s_andn2_b64 exec, exec, s[30:31]
	s_cbranch_execnz .LBB32_63
; %bb.64:                               ;   in Loop: Header=BB32_7 Depth=1
	s_or_b64 exec, exec, s[30:31]
.LBB32_65:                              ;   in Loop: Header=BB32_7 Depth=1
	s_or_b64 exec, exec, s[28:29]
	s_lshl_b32 s16, s79, 6
	s_and_saveexec_b64 s[2:3], s[0:1]
	s_cbranch_execnz .LBB32_37
	s_branch .LBB32_38
.LBB32_66:                              ;   in Loop: Header=BB32_7 Depth=1
	s_or_b64 exec, exec, s[22:23]
	s_waitcnt lgkmcnt(0)
	s_barrier
	s_and_saveexec_b64 s[2:3], s[18:19]
	s_cbranch_execz .LBB32_68
; %bb.67:                               ;   in Loop: Header=BB32_7 Depth=1
	ds_read_b32 v2, v9 offset:4104
	s_waitcnt lgkmcnt(0)
	ds_write_b32 v9, v2 offset:4096
.LBB32_68:                              ;   in Loop: Header=BB32_7 Depth=1
	s_or_b64 exec, exec, s[2:3]
	s_waitcnt lgkmcnt(0)
	s_barrier
	s_mov_b64 s[2:3], -1
	s_and_b64 vcc, exec, s[20:21]
	s_cbranch_vccnz .LBB32_22
	s_branch .LBB32_32
.LBB32_69:                              ;   in Loop: Header=BB32_7 Depth=1
	v_mov_b32_e32 v2, 0
	s_mov_b32 s17, 0
	s_cbranch_execnz .LBB32_74
	s_branch .LBB32_76
.LBB32_70:                              ;   in Loop: Header=BB32_7 Depth=1
	v_mov_b32_e32 v8, v9
	v_readlane_b32 s20, v52, 27
	v_mov_b64_e32 v[2:3], v[8:9]
	v_readlane_b32 s21, v52, 28
.LBB32_71:                              ;   in Loop: Header=BB32_7 Depth=1
	v_readlane_b32 s22, v52, 19
	v_readlane_b32 s23, v52, 20
	s_andn2_b64 vcc, exec, s[22:23]
	v_readlane_b32 s17, v52, 18
	s_cbranch_vccnz .LBB32_73
.LBB32_72:                              ;   Parent Loop BB32_7 Depth=1
                                        ; =>  This Inner Loop Header: Depth=2
	v_lshl_add_u32 v8, s20, 4, v5
	v_lshl_add_u32 v16, s21, 4, v5
	ds_read_b32 v16, v16
	ds_read_b32 v8, v8
	s_add_i32 s21, s21, 2
	s_add_i32 s20, s20, 2
	s_add_i32 s17, s17, -1
	s_cmp_lg_u32 s17, 0
	s_waitcnt lgkmcnt(1)
	v_add_u32_e32 v3, v16, v3
	s_waitcnt lgkmcnt(0)
	v_add_u32_e32 v2, v8, v2
	s_cbranch_scc1 .LBB32_72
.LBB32_73:                              ;   in Loop: Header=BB32_7 Depth=1
	v_readlane_b32 s20, v52, 23
	v_add_u32_e32 v2, v2, v3
	v_readlane_b32 s17, v52, 22
	v_readlane_b32 s21, v52, 24
	s_and_b64 vcc, exec, s[20:21]
	s_cbranch_vccz .LBB32_76
.LBB32_74:                              ;   in Loop: Header=BB32_7 Depth=1
	s_lshl_b32 s20, s79, 8
	s_lshl_b32 s21, s17, 4
	s_add_i32 s20, s20, s21
	v_add_u32_e32 v3, s20, v32
	v_readlane_b32 s20, v52, 21
	s_sub_i32 s17, s20, s17
.LBB32_75:                              ;   Parent Loop BB32_7 Depth=1
                                        ; =>  This Inner Loop Header: Depth=2
	ds_read_b32 v5, v3
	s_add_i32 s17, s17, -1
	v_add_u32_e32 v3, 16, v3
	s_cmp_eq_u32 s17, 0
	s_waitcnt lgkmcnt(0)
	v_add_u32_e32 v2, v5, v2
	s_cbranch_scc0 .LBB32_75
.LBB32_76:                              ;   in Loop: Header=BB32_7 Depth=1
	v_lshlrev_b32_e32 v3, 2, v4
	ds_write_b32 v3, v2 offset:3072
.LBB32_77:                              ;   in Loop: Header=BB32_7 Depth=1
	s_or_b64 exec, exec, s[2:3]
	s_lshl_b32 s2, s16, 2
	s_waitcnt vmcnt(0)
	v_mov_b32_e32 v2, s2
	s_waitcnt lgkmcnt(0)
	s_barrier
	ds_read_b128 v[2:5], v2 offset:3072
	v_cmp_eq_u32_e32 vcc, 1, v38
	s_mov_b64 s[20:21], -1
	s_mov_b64 s[28:29], -1
                                        ; implicit-def: $sgpr26_sgpr27
                                        ; implicit-def: $sgpr24_sgpr25
	s_waitcnt lgkmcnt(0)
	v_readfirstlane_b32 s17, v2
	s_cmp_eq_u32 s17, 1
	v_readfirstlane_b32 s54, v4
	v_lshlrev_b32_e64 v4, v34, 3
	s_cselect_b64 s[2:3], -1, 0
	v_readfirstlane_b32 s16, v3
	v_readfirstlane_b32 s82, v5
	v_not_b32_e32 v8, v4
	s_and_b64 s[22:23], s[2:3], vcc
	s_and_saveexec_b64 s[2:3], s[22:23]
	s_cbranch_execz .LBB32_103
; %bb.78:                               ;   in Loop: Header=BB32_7 Depth=1
	ds_read_b32 v2, v9 offset:4096
	s_waitcnt lgkmcnt(0)
	s_barrier
	v_readfirstlane_b32 s42, v2
	s_and_saveexec_b64 s[24:25], s[4:5]
; %bb.79:                               ;   in Loop: Header=BB32_7 Depth=1
	ds_write_b16 v22, v9
; %bb.80:                               ;   in Loop: Header=BB32_7 Depth=1
	s_or_b64 exec, exec, s[24:25]
	v_and_b32_e32 v30, v30, v8
	v_or_b32_e32 v36, v36, v4
	s_mov_b64 s[24:25], -1
	s_mov_b64 s[26:27], 0
	s_cmp_lt_i32 s42, 1
	s_mov_b64 s[28:29], 0
	s_mov_b64 s[30:31], -1
	s_waitcnt lgkmcnt(0)
	s_barrier
                                        ; implicit-def: $vgpr37
	s_cbranch_scc0 .LBB32_91
; %bb.81:                               ;   in Loop: Header=BB32_7 Depth=1
	s_mov_b64 s[30:31], 0
                                        ; implicit-def: $vgpr37
	s_mov_b64 s[34:35], exec
	v_readlane_b32 s36, v52, 25
	v_readlane_b32 s37, v52, 26
	s_and_b64 s[36:37], s[34:35], s[36:37]
	s_mov_b64 exec, s[36:37]
	s_cbranch_execz .LBB32_90
; %bb.82:                               ;   in Loop: Header=BB32_7 Depth=1
	v_mov_b32_e32 v2, v6
	v_mov_b32_e32 v5, v0
                                        ; implicit-def: $sgpr36_sgpr37
	s_branch .LBB32_85
.LBB32_83:                              ;   in Loop: Header=BB32_85 Depth=2
	s_or_b64 exec, exec, s[38:39]
	s_waitcnt lgkmcnt(0)
	s_barrier
	ds_read_b32 v3, v9 offset:3072
	s_mov_b64 s[38:39], -1
	s_waitcnt lgkmcnt(0)
	s_barrier
	v_cmp_ne_u32_sdwa s[40:41], v3, v9 src0_sel:WORD_0 src1_sel:DWORD
	s_and_b64 vcc, exec, s[40:41]
	s_mov_b64 s[40:41], -1
	s_cbranch_vccz .LBB32_88
.LBB32_84:                              ;   in Loop: Header=BB32_85 Depth=2
	s_and_b64 s[38:39], exec, s[38:39]
	s_or_b64 s[28:29], s[38:39], s[28:29]
	s_andn2_b64 s[36:37], s[36:37], exec
	s_and_b64 s[38:39], s[40:41], exec
	s_or_b64 s[36:37], s[36:37], s[38:39]
	s_andn2_b64 exec, exec, s[28:29]
	s_cbranch_execz .LBB32_89
.LBB32_85:                              ;   Parent Loop BB32_7 Depth=1
                                        ; =>  This Inner Loop Header: Depth=2
	v_cmp_gt_i32_e32 vcc, s60, v5
	s_and_saveexec_b64 s[38:39], vcc
	s_cbranch_execz .LBB32_83
; %bb.86:                               ;   in Loop: Header=BB32_85 Depth=2
	v_ashrrev_i32_e32 v3, 31, v2
	v_lshl_add_u64 v[16:17], v[2:3], 1, s[68:69]
	global_load_ushort v3, v[16:17], off
	s_waitcnt vmcnt(0)
	v_add_u32_sdwa v16, sext(v3), s61 dst_sel:DWORD dst_unused:UNUSED_PAD src0_sel:WORD_0 src1_sel:DWORD
	v_and_b32_e32 v16, v16, v36
	v_cmp_eq_u32_e32 vcc, v16, v30
	s_and_b64 exec, exec, vcc
	s_cbranch_execz .LBB32_83
; %bb.87:                               ;   in Loop: Header=BB32_85 Depth=2
	v_perm_b32 v3, v3, 1, v35
	ds_write_b32 v9, v3 offset:3072
	s_branch .LBB32_83
.LBB32_88:                              ;   in Loop: Header=BB32_85 Depth=2
	v_add_u32_e32 v5, s62, v5
	v_cmp_le_i32_e32 vcc, s9, v5
	v_add_u32_e32 v2, s70, v2
	s_mov_b64 s[40:41], 0
	s_orn2_b64 s[38:39], vcc, exec
	s_branch .LBB32_84
.LBB32_89:                              ;   in Loop: Header=BB32_7 Depth=1
	s_or_b64 exec, exec, s[28:29]
	v_lshrrev_b32_e32 v37, 16, v3
	s_and_b64 s[28:29], s[36:37], exec
.LBB32_90:                              ;   in Loop: Header=BB32_7 Depth=1
	s_or_b64 exec, exec, s[34:35]
.LBB32_91:                              ;   in Loop: Header=BB32_7 Depth=1
	s_and_b64 vcc, exec, s[30:31]
	s_cbranch_vccz .LBB32_102
; %bb.92:                               ;   in Loop: Header=BB32_7 Depth=1
	s_add_i32 s38, s42, s71
	s_abs_i32 s25, s38
	s_mul_hi_u32 s26, s25, s8
	s_mul_i32 s26, s26, s62
	s_sub_i32 s25, s25, s26
	s_ashr_i32 s24, s38, 31
	s_sub_i32 s26, s25, s62
	s_cmp_ge_u32 s25, s62
	s_cselect_b32 s25, s26, s25
	s_sub_i32 s26, s25, s62
	s_cmp_ge_u32 s25, s62
	s_cselect_b32 s25, s26, s25
	s_xor_b32 s25, s25, s24
	s_sub_i32 s24, s24, s25
	s_add_i32 s38, s38, s24
	v_cmp_gt_i32_e32 vcc, s38, v0
                                        ; implicit-def: $vgpr37
	s_and_saveexec_b64 s[24:25], vcc
	s_cbranch_execz .LBB32_101
; %bb.93:                               ;   in Loop: Header=BB32_7 Depth=1
	s_mov_b64 s[26:27], 0
	v_mov_b32_e32 v2, v21
	v_mov_b32_e32 v3, v0
                                        ; implicit-def: $sgpr30_sgpr31
	s_branch .LBB32_96
.LBB32_94:                              ;   in Loop: Header=BB32_96 Depth=2
	s_or_b64 exec, exec, s[34:35]
	s_waitcnt lgkmcnt(0)
	s_barrier
	ds_read_b32 v5, v9 offset:3072
	s_mov_b64 s[34:35], -1
	s_waitcnt lgkmcnt(0)
	s_barrier
	v_cmp_ne_u32_sdwa s[36:37], v5, v9 src0_sel:WORD_0 src1_sel:DWORD
	s_and_b64 vcc, exec, s[36:37]
	s_mov_b64 s[36:37], -1
	s_cbranch_vccz .LBB32_99
.LBB32_95:                              ;   in Loop: Header=BB32_96 Depth=2
	s_and_b64 s[34:35], exec, s[34:35]
	s_or_b64 s[26:27], s[34:35], s[26:27]
	s_andn2_b64 s[30:31], s[30:31], exec
	s_and_b64 s[34:35], s[36:37], exec
	s_or_b64 s[30:31], s[30:31], s[34:35]
	s_andn2_b64 exec, exec, s[26:27]
	s_cbranch_execz .LBB32_100
.LBB32_96:                              ;   Parent Loop BB32_7 Depth=1
                                        ; =>  This Inner Loop Header: Depth=2
	v_cmp_gt_i32_e32 vcc, s42, v3
	s_and_saveexec_b64 s[34:35], vcc
	s_cbranch_execz .LBB32_94
; %bb.97:                               ;   in Loop: Header=BB32_96 Depth=2
	ds_read_u16 v5, v2
	s_waitcnt lgkmcnt(0)
	v_add_u32_sdwa v16, sext(v5), s61 dst_sel:DWORD dst_unused:UNUSED_PAD src0_sel:WORD_0 src1_sel:DWORD
	v_and_b32_e32 v16, v16, v36
	v_cmp_eq_u32_e32 vcc, v16, v30
	s_and_b64 exec, exec, vcc
	s_cbranch_execz .LBB32_94
; %bb.98:                               ;   in Loop: Header=BB32_96 Depth=2
	v_perm_b32 v5, v5, 1, v35
	ds_write_b32 v9, v5 offset:3072
	s_branch .LBB32_94
.LBB32_99:                              ;   in Loop: Header=BB32_96 Depth=2
	v_add_u32_e32 v3, s62, v3
	v_cmp_le_i32_e32 vcc, s38, v3
	v_add_u32_e32 v2, s78, v2
	s_mov_b64 s[36:37], 0
	s_orn2_b64 s[34:35], vcc, exec
	s_branch .LBB32_95
.LBB32_100:                             ;   in Loop: Header=BB32_7 Depth=1
	s_or_b64 exec, exec, s[26:27]
	s_andn2_b64 s[26:27], s[28:29], exec
	s_and_b64 s[28:29], s[30:31], exec
	v_lshrrev_b32_e32 v37, 16, v5
	s_or_b64 s[28:29], s[26:27], s[28:29]
.LBB32_101:                             ;   in Loop: Header=BB32_7 Depth=1
	s_or_b64 exec, exec, s[24:25]
	s_mov_b64 s[24:25], 0
	s_mov_b64 s[26:27], -1
.LBB32_102:                             ;   in Loop: Header=BB32_7 Depth=1
	s_orn2_b64 s[28:29], s[28:29], exec
.LBB32_103:                             ;   in Loop: Header=BB32_7 Depth=1
	s_or_b64 exec, exec, s[2:3]
	s_andn2_b64 s[2:3], s[64:65], exec
	s_and_b64 s[26:27], s[26:27], exec
	s_or_b64 s[64:65], s[2:3], s[26:27]
	s_andn2_b64 s[2:3], s[98:99], exec
	s_and_b64 s[24:25], s[24:25], exec
	v_readfirstlane_b32 s34, v0
	s_andn2_b64 s[96:97], s[96:97], exec
	s_or_b64 s[98:99], s[2:3], s[24:25]
                                        ; implicit-def: $vgpr16
	s_and_saveexec_b64 s[2:3], s[28:29]
	s_cbranch_execz .LBB32_6
; %bb.104:                              ;   in Loop: Header=BB32_7 Depth=1
	s_xor_b64 s[24:25], s[22:23], -1
	s_mov_b64 s[22:23], 0
	v_mov_b32_e32 v16, 1
	v_mov_b32_e32 v5, 1
	s_and_saveexec_b64 s[20:21], s[24:25]
	s_cbranch_execz .LBB32_113
; %bb.105:                              ;   in Loop: Header=BB32_7 Depth=1
	v_cmp_ge_i32_e32 vcc, s17, v38
	s_and_saveexec_b64 s[22:23], vcc
	s_xor_b64 s[22:23], exec, s[22:23]
	s_cbranch_execz .LBB32_110
; %bb.106:                              ;   in Loop: Header=BB32_7 Depth=1
	ds_read_b32 v2, v9 offset:4096
	v_and_b32_e32 v30, v30, v8
	v_or_b32_e32 v36, v36, v4
	s_waitcnt lgkmcnt(0)
	v_cmp_ne_u32_e32 vcc, 0, v2
	s_cbranch_vccnz .LBB32_110
; %bb.107:                              ;   in Loop: Header=BB32_7 Depth=1
	s_and_saveexec_b64 s[24:25], s[18:19]
; %bb.108:                              ;   in Loop: Header=BB32_7 Depth=1
	v_mov_b32_e32 v2, s17
	ds_write_b32 v9, v2 offset:4100
; %bb.109:                              ;   in Loop: Header=BB32_7 Depth=1
	s_or_b64 exec, exec, s[24:25]
	s_waitcnt lgkmcnt(0)
	s_barrier
.LBB32_110:                             ;   in Loop: Header=BB32_7 Depth=1
	s_or_saveexec_b64 s[22:23], s[22:23]
	s_mov_b64 s[24:25], 0
	v_mov_b32_e32 v5, 8
	s_xor_b64 exec, exec, s[22:23]
; %bb.111:                              ;   in Loop: Header=BB32_7 Depth=1
	s_mov_b64 s[24:25], exec
	v_subrev_u32_e32 v38, s17, v38
	v_mov_b32_e32 v5, 0
; %bb.112:                              ;   in Loop: Header=BB32_7 Depth=1
	s_or_b64 exec, exec, s[22:23]
	s_and_b64 s[22:23], s[24:25], exec
	v_mov_b32_e32 v16, v38
.LBB32_113:                             ;   in Loop: Header=BB32_7 Depth=1
	s_or_b64 exec, exec, s[20:21]
	s_mov_b64 s[20:21], -1
	s_mov_b64 s[28:29], -1
                                        ; implicit-def: $sgpr24_sgpr25
                                        ; implicit-def: $sgpr26_sgpr27
	s_and_saveexec_b64 s[30:31], s[22:23]
	s_xor_b64 s[22:23], exec, s[30:31]
	s_cbranch_execz .LBB32_230
; %bb.114:                              ;   in Loop: Header=BB32_7 Depth=1
	s_cmp_eq_u32 s16, 1
	s_cselect_b64 s[24:25], -1, 0
	v_cmp_eq_u32_e32 vcc, 1, v16
	s_and_b64 s[30:31], s[24:25], vcc
	s_mov_b64 s[34:35], -1
                                        ; implicit-def: $sgpr26_sgpr27
                                        ; implicit-def: $sgpr24_sgpr25
	s_and_saveexec_b64 s[28:29], s[30:31]
	s_cbranch_execz .LBB32_140
; %bb.115:                              ;   in Loop: Header=BB32_7 Depth=1
	ds_read_b32 v2, v9 offset:4096
	s_waitcnt lgkmcnt(0)
	s_barrier
	v_readfirstlane_b32 s17, v2
	s_and_saveexec_b64 s[24:25], s[4:5]
; %bb.116:                              ;   in Loop: Header=BB32_7 Depth=1
	ds_write_b16 v22, v9
; %bb.117:                              ;   in Loop: Header=BB32_7 Depth=1
	s_or_b64 exec, exec, s[24:25]
	v_and_b32_e32 v2, v30, v8
	v_lshl_or_b32 v30, 1, v34, v2
	v_or_b32_e32 v36, v36, v4
	s_mov_b64 s[24:25], -1
	s_mov_b64 s[26:27], 0
	s_cmp_gt_i32 s17, 0
	s_mov_b64 s[34:35], 0
	s_mov_b64 s[36:37], -1
	s_waitcnt lgkmcnt(0)
	s_barrier
                                        ; implicit-def: $vgpr37
	s_cbranch_scc1 .LBB32_128
; %bb.118:                              ;   in Loop: Header=BB32_7 Depth=1
	s_mov_b64 s[36:37], 0
                                        ; implicit-def: $vgpr37
	s_mov_b64 s[38:39], exec
	v_readlane_b32 s40, v52, 25
	v_readlane_b32 s41, v52, 26
	s_and_b64 s[40:41], s[38:39], s[40:41]
	s_mov_b64 exec, s[40:41]
	s_cbranch_execz .LBB32_127
; %bb.119:                              ;   in Loop: Header=BB32_7 Depth=1
	v_mov_b32_e32 v2, v6
	v_mov_b32_e32 v17, v0
                                        ; implicit-def: $sgpr40_sgpr41
	s_branch .LBB32_122
.LBB32_120:                             ;   in Loop: Header=BB32_122 Depth=2
	s_or_b64 exec, exec, s[42:43]
	s_waitcnt lgkmcnt(0)
	s_barrier
	ds_read_b32 v3, v9 offset:3072
	s_mov_b64 s[42:43], -1
	s_waitcnt lgkmcnt(0)
	s_barrier
	v_cmp_ne_u32_sdwa s[44:45], v3, v9 src0_sel:WORD_0 src1_sel:DWORD
	s_and_b64 vcc, exec, s[44:45]
	s_mov_b64 s[44:45], -1
	s_cbranch_vccz .LBB32_125
.LBB32_121:                             ;   in Loop: Header=BB32_122 Depth=2
	s_and_b64 s[42:43], exec, s[42:43]
	s_or_b64 s[34:35], s[42:43], s[34:35]
	s_andn2_b64 s[40:41], s[40:41], exec
	s_and_b64 s[42:43], s[44:45], exec
	s_or_b64 s[40:41], s[40:41], s[42:43]
	s_andn2_b64 exec, exec, s[34:35]
	s_cbranch_execz .LBB32_126
.LBB32_122:                             ;   Parent Loop BB32_7 Depth=1
                                        ; =>  This Inner Loop Header: Depth=2
	v_cmp_gt_i32_e32 vcc, s60, v17
	s_and_saveexec_b64 s[42:43], vcc
	s_cbranch_execz .LBB32_120
; %bb.123:                              ;   in Loop: Header=BB32_122 Depth=2
	v_ashrrev_i32_e32 v3, 31, v2
	v_lshl_add_u64 v[18:19], v[2:3], 1, s[68:69]
	global_load_ushort v3, v[18:19], off
	s_waitcnt vmcnt(0)
	v_add_u32_sdwa v18, sext(v3), s61 dst_sel:DWORD dst_unused:UNUSED_PAD src0_sel:WORD_0 src1_sel:DWORD
	v_and_b32_e32 v18, v18, v36
	v_cmp_eq_u32_e32 vcc, v18, v30
	s_and_b64 exec, exec, vcc
	s_cbranch_execz .LBB32_120
; %bb.124:                              ;   in Loop: Header=BB32_122 Depth=2
	v_perm_b32 v3, v3, 1, v35
	ds_write_b32 v9, v3 offset:3072
	s_branch .LBB32_120
.LBB32_125:                             ;   in Loop: Header=BB32_122 Depth=2
	v_add_u32_e32 v17, s62, v17
	v_cmp_le_i32_e32 vcc, s9, v17
	v_add_u32_e32 v2, s70, v2
	s_mov_b64 s[44:45], 0
	s_orn2_b64 s[42:43], vcc, exec
	s_branch .LBB32_121
.LBB32_126:                             ;   in Loop: Header=BB32_7 Depth=1
	s_or_b64 exec, exec, s[34:35]
	v_lshrrev_b32_e32 v37, 16, v3
	s_and_b64 s[34:35], s[40:41], exec
.LBB32_127:                             ;   in Loop: Header=BB32_7 Depth=1
	s_or_b64 exec, exec, s[38:39]
.LBB32_128:                             ;   in Loop: Header=BB32_7 Depth=1
	s_and_b64 vcc, exec, s[36:37]
	s_cbranch_vccz .LBB32_139
; %bb.129:                              ;   in Loop: Header=BB32_7 Depth=1
	s_add_i32 s42, s17, s71
	s_abs_i32 s25, s42
	s_mul_hi_u32 s26, s25, s8
	s_mul_i32 s26, s26, s62
	s_sub_i32 s25, s25, s26
	s_ashr_i32 s24, s42, 31
	s_sub_i32 s26, s25, s62
	s_cmp_ge_u32 s25, s62
	s_cselect_b32 s25, s26, s25
	s_sub_i32 s26, s25, s62
	s_cmp_ge_u32 s25, s62
	s_cselect_b32 s25, s26, s25
	s_xor_b32 s25, s25, s24
	s_sub_i32 s24, s24, s25
	s_add_i32 s42, s42, s24
	v_cmp_gt_i32_e32 vcc, s42, v0
                                        ; implicit-def: $vgpr37
	s_and_saveexec_b64 s[24:25], vcc
	s_cbranch_execz .LBB32_138
; %bb.130:                              ;   in Loop: Header=BB32_7 Depth=1
	s_mov_b64 s[26:27], 0
	v_mov_b32_e32 v2, v21
	v_mov_b32_e32 v3, v0
                                        ; implicit-def: $sgpr36_sgpr37
	s_branch .LBB32_133
.LBB32_131:                             ;   in Loop: Header=BB32_133 Depth=2
	s_or_b64 exec, exec, s[38:39]
	s_waitcnt lgkmcnt(0)
	s_barrier
	ds_read_b32 v17, v9 offset:3072
	s_mov_b64 s[38:39], -1
	s_waitcnt lgkmcnt(0)
	s_barrier
	v_cmp_eq_u32_sdwa s[40:41], v17, v9 src0_sel:WORD_0 src1_sel:DWORD
	s_and_b64 vcc, exec, s[40:41]
	s_mov_b64 s[40:41], -1
	s_cbranch_vccnz .LBB32_136
.LBB32_132:                             ;   in Loop: Header=BB32_133 Depth=2
	s_and_b64 s[38:39], exec, s[38:39]
	s_or_b64 s[26:27], s[38:39], s[26:27]
	s_andn2_b64 s[36:37], s[36:37], exec
	s_and_b64 s[38:39], s[40:41], exec
	s_or_b64 s[36:37], s[36:37], s[38:39]
	s_andn2_b64 exec, exec, s[26:27]
	s_cbranch_execz .LBB32_137
.LBB32_133:                             ;   Parent Loop BB32_7 Depth=1
                                        ; =>  This Inner Loop Header: Depth=2
	v_cmp_gt_i32_e32 vcc, s17, v3
	s_and_saveexec_b64 s[38:39], vcc
	s_cbranch_execz .LBB32_131
; %bb.134:                              ;   in Loop: Header=BB32_133 Depth=2
	ds_read_u16 v17, v2
	s_waitcnt lgkmcnt(0)
	v_add_u32_sdwa v18, sext(v17), s61 dst_sel:DWORD dst_unused:UNUSED_PAD src0_sel:WORD_0 src1_sel:DWORD
	v_and_b32_e32 v18, v18, v36
	v_cmp_eq_u32_e32 vcc, v18, v30
	s_and_b64 exec, exec, vcc
	s_cbranch_execz .LBB32_131
; %bb.135:                              ;   in Loop: Header=BB32_133 Depth=2
	v_perm_b32 v17, v17, 1, v35
	ds_write_b32 v9, v17 offset:3072
	s_branch .LBB32_131
.LBB32_136:                             ;   in Loop: Header=BB32_133 Depth=2
	v_add_u32_e32 v3, s62, v3
	v_cmp_le_i32_e32 vcc, s42, v3
	v_add_u32_e32 v2, s78, v2
	s_mov_b64 s[40:41], 0
	s_orn2_b64 s[38:39], vcc, exec
	s_branch .LBB32_132
.LBB32_137:                             ;   in Loop: Header=BB32_7 Depth=1
	s_or_b64 exec, exec, s[26:27]
	s_andn2_b64 s[26:27], s[34:35], exec
	s_and_b64 s[34:35], s[36:37], exec
	v_lshrrev_b32_e32 v37, 16, v17
	s_or_b64 s[34:35], s[26:27], s[34:35]
.LBB32_138:                             ;   in Loop: Header=BB32_7 Depth=1
	s_or_b64 exec, exec, s[24:25]
	s_mov_b64 s[24:25], 0
	s_mov_b64 s[26:27], -1
.LBB32_139:                             ;   in Loop: Header=BB32_7 Depth=1
	s_orn2_b64 s[34:35], s[34:35], exec
.LBB32_140:                             ;   in Loop: Header=BB32_7 Depth=1
	s_or_b64 exec, exec, s[28:29]
	s_mov_b64 s[36:37], 0
	s_and_saveexec_b64 s[28:29], s[34:35]
	s_cbranch_execz .LBB32_229
; %bb.141:                              ;   in Loop: Header=BB32_7 Depth=1
	s_xor_b64 s[34:35], s[30:31], -1
	s_mov_b64 s[40:41], 0
	v_mov_b32_e32 v17, 1
	v_mov_b32_e32 v5, 1
	s_and_saveexec_b64 s[30:31], s[34:35]
	s_cbranch_execz .LBB32_150
; %bb.142:                              ;   in Loop: Header=BB32_7 Depth=1
	v_cmp_ge_i32_e32 vcc, s16, v16
	s_and_saveexec_b64 s[34:35], vcc
	s_xor_b64 s[34:35], exec, s[34:35]
	s_cbranch_execz .LBB32_147
; %bb.143:                              ;   in Loop: Header=BB32_7 Depth=1
	ds_read_b32 v2, v9 offset:4096
	v_and_b32_e32 v3, v30, v8
	v_lshl_or_b32 v30, 1, v34, v3
	v_or_b32_e32 v36, v36, v4
	s_waitcnt lgkmcnt(0)
	v_cmp_ne_u32_e32 vcc, 0, v2
	s_cbranch_vccnz .LBB32_147
; %bb.144:                              ;   in Loop: Header=BB32_7 Depth=1
	s_and_saveexec_b64 s[36:37], s[18:19]
; %bb.145:                              ;   in Loop: Header=BB32_7 Depth=1
	v_mov_b32_e32 v2, s16
	ds_write_b32 v9, v2 offset:4100
; %bb.146:                              ;   in Loop: Header=BB32_7 Depth=1
	s_or_b64 exec, exec, s[36:37]
	s_waitcnt lgkmcnt(0)
	s_barrier
.LBB32_147:                             ;   in Loop: Header=BB32_7 Depth=1
	s_or_saveexec_b64 s[34:35], s[34:35]
	s_mov_b64 s[36:37], 0
	v_mov_b32_e32 v5, 8
	s_xor_b64 exec, exec, s[34:35]
; %bb.148:                              ;   in Loop: Header=BB32_7 Depth=1
	s_mov_b64 s[36:37], exec
	v_subrev_u32_e32 v16, s16, v16
	v_mov_b32_e32 v5, 0
; %bb.149:                              ;   in Loop: Header=BB32_7 Depth=1
	s_or_b64 exec, exec, s[34:35]
	s_and_b64 s[40:41], s[36:37], exec
	v_mov_b32_e32 v17, v16
.LBB32_150:                             ;   in Loop: Header=BB32_7 Depth=1
	s_or_b64 exec, exec, s[30:31]
	s_mov_b64 s[38:39], -1
                                        ; implicit-def: $sgpr34_sgpr35
                                        ; implicit-def: $sgpr36_sgpr37
	s_and_saveexec_b64 s[30:31], s[40:41]
	s_cbranch_execz .LBB32_228
; %bb.151:                              ;   in Loop: Header=BB32_7 Depth=1
	s_cmp_eq_u32 s54, 1
	s_cselect_b64 s[16:17], -1, 0
	v_cmp_eq_u32_e32 vcc, 1, v17
	s_and_b64 s[40:41], s[16:17], vcc
	s_mov_b64 s[42:43], -1
                                        ; implicit-def: $sgpr36_sgpr37
                                        ; implicit-def: $sgpr34_sgpr35
	s_and_saveexec_b64 s[38:39], s[40:41]
	s_cbranch_execz .LBB32_177
; %bb.152:                              ;   in Loop: Header=BB32_7 Depth=1
	ds_read_b32 v2, v9 offset:4096
	s_waitcnt lgkmcnt(0)
	s_barrier
	v_readfirstlane_b32 s16, v2
	s_and_saveexec_b64 s[34:35], s[4:5]
; %bb.153:                              ;   in Loop: Header=BB32_7 Depth=1
	ds_write_b16 v22, v9
; %bb.154:                              ;   in Loop: Header=BB32_7 Depth=1
	s_or_b64 exec, exec, s[34:35]
	v_and_b32_e32 v2, v30, v8
	v_lshl_or_b32 v30, 2, v34, v2
	v_or_b32_e32 v36, v36, v4
	s_mov_b64 s[34:35], -1
	s_mov_b64 s[36:37], 0
	s_cmp_gt_i32 s16, 0
	s_mov_b64 s[42:43], 0
	s_mov_b64 s[44:45], -1
	s_waitcnt lgkmcnt(0)
	s_barrier
                                        ; implicit-def: $vgpr37
	s_cbranch_scc1 .LBB32_165
; %bb.155:                              ;   in Loop: Header=BB32_7 Depth=1
	s_mov_b64 s[44:45], 0
                                        ; implicit-def: $vgpr37
	s_mov_b64 s[46:47], exec
	v_readlane_b32 s48, v52, 25
	v_readlane_b32 s49, v52, 26
	s_and_b64 s[48:49], s[46:47], s[48:49]
	s_mov_b64 exec, s[48:49]
	s_cbranch_execz .LBB32_164
; %bb.156:                              ;   in Loop: Header=BB32_7 Depth=1
	v_mov_b32_e32 v2, v6
	v_mov_b32_e32 v16, v0
                                        ; implicit-def: $sgpr48_sgpr49
	s_branch .LBB32_159
.LBB32_157:                             ;   in Loop: Header=BB32_159 Depth=2
	s_or_b64 exec, exec, s[50:51]
	s_waitcnt lgkmcnt(0)
	s_barrier
	ds_read_b32 v3, v9 offset:3072
	s_mov_b64 s[50:51], -1
	s_waitcnt lgkmcnt(0)
	s_barrier
	v_cmp_ne_u32_sdwa s[52:53], v3, v9 src0_sel:WORD_0 src1_sel:DWORD
	s_and_b64 vcc, exec, s[52:53]
	s_mov_b64 s[52:53], -1
	s_cbranch_vccz .LBB32_162
.LBB32_158:                             ;   in Loop: Header=BB32_159 Depth=2
	s_and_b64 s[50:51], exec, s[50:51]
	s_or_b64 s[42:43], s[50:51], s[42:43]
	s_andn2_b64 s[48:49], s[48:49], exec
	s_and_b64 s[50:51], s[52:53], exec
	s_or_b64 s[48:49], s[48:49], s[50:51]
	s_andn2_b64 exec, exec, s[42:43]
	s_cbranch_execz .LBB32_163
.LBB32_159:                             ;   Parent Loop BB32_7 Depth=1
                                        ; =>  This Inner Loop Header: Depth=2
	v_cmp_gt_i32_e32 vcc, s60, v16
	s_and_saveexec_b64 s[50:51], vcc
	s_cbranch_execz .LBB32_157
; %bb.160:                              ;   in Loop: Header=BB32_159 Depth=2
	v_ashrrev_i32_e32 v3, 31, v2
	v_lshl_add_u64 v[18:19], v[2:3], 1, s[68:69]
	global_load_ushort v3, v[18:19], off
	s_waitcnt vmcnt(0)
	v_add_u32_sdwa v18, sext(v3), s61 dst_sel:DWORD dst_unused:UNUSED_PAD src0_sel:WORD_0 src1_sel:DWORD
	v_and_b32_e32 v18, v18, v36
	v_cmp_eq_u32_e32 vcc, v18, v30
	s_and_b64 exec, exec, vcc
	s_cbranch_execz .LBB32_157
; %bb.161:                              ;   in Loop: Header=BB32_159 Depth=2
	v_perm_b32 v3, v3, 1, v35
	ds_write_b32 v9, v3 offset:3072
	s_branch .LBB32_157
.LBB32_162:                             ;   in Loop: Header=BB32_159 Depth=2
	v_add_u32_e32 v16, s62, v16
	v_cmp_le_i32_e32 vcc, s9, v16
	v_add_u32_e32 v2, s70, v2
	s_mov_b64 s[52:53], 0
	s_orn2_b64 s[50:51], vcc, exec
	s_branch .LBB32_158
.LBB32_163:                             ;   in Loop: Header=BB32_7 Depth=1
	s_or_b64 exec, exec, s[42:43]
	v_lshrrev_b32_e32 v37, 16, v3
	s_and_b64 s[42:43], s[48:49], exec
.LBB32_164:                             ;   in Loop: Header=BB32_7 Depth=1
	s_or_b64 exec, exec, s[46:47]
.LBB32_165:                             ;   in Loop: Header=BB32_7 Depth=1
	s_and_b64 vcc, exec, s[44:45]
	s_cbranch_vccz .LBB32_176
; %bb.166:                              ;   in Loop: Header=BB32_7 Depth=1
	s_add_i32 s17, s16, s71
	s_abs_i32 s35, s17
	s_mul_hi_u32 s36, s35, s8
	s_mul_i32 s36, s36, s62
	s_sub_i32 s35, s35, s36
	s_ashr_i32 s34, s17, 31
	s_sub_i32 s36, s35, s62
	s_cmp_ge_u32 s35, s62
	s_cselect_b32 s35, s36, s35
	s_sub_i32 s36, s35, s62
	s_cmp_ge_u32 s35, s62
	s_cselect_b32 s35, s36, s35
	s_xor_b32 s35, s35, s34
	s_sub_i32 s34, s34, s35
	s_add_i32 s17, s17, s34
	v_cmp_gt_i32_e32 vcc, s17, v0
                                        ; implicit-def: $vgpr37
	s_and_saveexec_b64 s[34:35], vcc
	s_cbranch_execz .LBB32_175
; %bb.167:                              ;   in Loop: Header=BB32_7 Depth=1
	s_mov_b64 s[36:37], 0
	v_mov_b32_e32 v2, v21
	v_mov_b32_e32 v3, v0
                                        ; implicit-def: $sgpr44_sgpr45
	s_branch .LBB32_170
.LBB32_168:                             ;   in Loop: Header=BB32_170 Depth=2
	s_or_b64 exec, exec, s[46:47]
	s_waitcnt lgkmcnt(0)
	s_barrier
	ds_read_b32 v16, v9 offset:3072
	s_mov_b64 s[46:47], -1
	s_waitcnt lgkmcnt(0)
	s_barrier
	v_cmp_eq_u32_sdwa s[48:49], v16, v9 src0_sel:WORD_0 src1_sel:DWORD
	s_and_b64 vcc, exec, s[48:49]
	s_mov_b64 s[48:49], -1
	s_cbranch_vccnz .LBB32_173
.LBB32_169:                             ;   in Loop: Header=BB32_170 Depth=2
	s_and_b64 s[46:47], exec, s[46:47]
	s_or_b64 s[36:37], s[46:47], s[36:37]
	s_andn2_b64 s[44:45], s[44:45], exec
	s_and_b64 s[46:47], s[48:49], exec
	s_or_b64 s[44:45], s[44:45], s[46:47]
	s_andn2_b64 exec, exec, s[36:37]
	s_cbranch_execz .LBB32_174
.LBB32_170:                             ;   Parent Loop BB32_7 Depth=1
                                        ; =>  This Inner Loop Header: Depth=2
	v_cmp_gt_i32_e32 vcc, s16, v3
	s_and_saveexec_b64 s[46:47], vcc
	s_cbranch_execz .LBB32_168
; %bb.171:                              ;   in Loop: Header=BB32_170 Depth=2
	ds_read_u16 v16, v2
	s_waitcnt lgkmcnt(0)
	v_add_u32_sdwa v18, sext(v16), s61 dst_sel:DWORD dst_unused:UNUSED_PAD src0_sel:WORD_0 src1_sel:DWORD
	v_and_b32_e32 v18, v18, v36
	v_cmp_eq_u32_e32 vcc, v18, v30
	s_and_b64 exec, exec, vcc
	s_cbranch_execz .LBB32_168
; %bb.172:                              ;   in Loop: Header=BB32_170 Depth=2
	v_perm_b32 v16, v16, 1, v35
	ds_write_b32 v9, v16 offset:3072
	s_branch .LBB32_168
.LBB32_173:                             ;   in Loop: Header=BB32_170 Depth=2
	v_add_u32_e32 v3, s62, v3
	v_cmp_le_i32_e32 vcc, s17, v3
	v_add_u32_e32 v2, s78, v2
	s_mov_b64 s[48:49], 0
	s_orn2_b64 s[46:47], vcc, exec
	s_branch .LBB32_169
.LBB32_174:                             ;   in Loop: Header=BB32_7 Depth=1
	s_or_b64 exec, exec, s[36:37]
	s_andn2_b64 s[16:17], s[42:43], exec
	s_and_b64 s[36:37], s[44:45], exec
	v_lshrrev_b32_e32 v37, 16, v16
	s_or_b64 s[42:43], s[16:17], s[36:37]
.LBB32_175:                             ;   in Loop: Header=BB32_7 Depth=1
	s_or_b64 exec, exec, s[34:35]
	s_mov_b64 s[34:35], 0
	s_mov_b64 s[36:37], -1
.LBB32_176:                             ;   in Loop: Header=BB32_7 Depth=1
	s_orn2_b64 s[42:43], s[42:43], exec
.LBB32_177:                             ;   in Loop: Header=BB32_7 Depth=1
	s_or_b64 exec, exec, s[38:39]
	s_mov_b64 s[44:45], 0
	s_and_saveexec_b64 s[38:39], s[42:43]
	s_cbranch_execz .LBB32_227
; %bb.178:                              ;   in Loop: Header=BB32_7 Depth=1
	s_xor_b64 s[16:17], s[40:41], -1
	s_mov_b64 s[48:49], 0
	v_mov_b32_e32 v16, 1
	v_mov_b32_e32 v5, 1
	s_and_saveexec_b64 s[40:41], s[16:17]
	s_cbranch_execz .LBB32_187
; %bb.179:                              ;   in Loop: Header=BB32_7 Depth=1
	v_cmp_ge_i32_e32 vcc, s54, v17
	s_and_saveexec_b64 s[16:17], vcc
	s_xor_b64 s[42:43], exec, s[16:17]
	s_cbranch_execz .LBB32_184
; %bb.180:                              ;   in Loop: Header=BB32_7 Depth=1
	ds_read_b32 v2, v9 offset:4096
	v_and_b32_e32 v3, v30, v8
	v_lshl_or_b32 v30, 2, v34, v3
	v_or_b32_e32 v36, v36, v4
	s_waitcnt lgkmcnt(0)
	v_cmp_ne_u32_e32 vcc, 0, v2
	s_cbranch_vccnz .LBB32_184
; %bb.181:                              ;   in Loop: Header=BB32_7 Depth=1
	s_and_saveexec_b64 s[44:45], s[18:19]
; %bb.182:                              ;   in Loop: Header=BB32_7 Depth=1
	v_mov_b32_e32 v2, s54
	ds_write_b32 v9, v2 offset:4100
; %bb.183:                              ;   in Loop: Header=BB32_7 Depth=1
	s_or_b64 exec, exec, s[44:45]
	s_waitcnt lgkmcnt(0)
	s_barrier
.LBB32_184:                             ;   in Loop: Header=BB32_7 Depth=1
	s_or_saveexec_b64 s[42:43], s[42:43]
	s_mov_b64 s[44:45], 0
	v_mov_b32_e32 v5, 8
	s_xor_b64 exec, exec, s[42:43]
; %bb.185:                              ;   in Loop: Header=BB32_7 Depth=1
	s_mov_b64 s[44:45], exec
	v_subrev_u32_e32 v17, s54, v17
	v_mov_b32_e32 v5, 0
; %bb.186:                              ;   in Loop: Header=BB32_7 Depth=1
	s_or_b64 exec, exec, s[42:43]
	s_and_b64 s[48:49], s[44:45], exec
	v_mov_b32_e32 v16, v17
.LBB32_187:                             ;   in Loop: Header=BB32_7 Depth=1
	s_or_b64 exec, exec, s[40:41]
	s_mov_b64 s[42:43], -1
                                        ; implicit-def: $sgpr46_sgpr47
                                        ; implicit-def: $sgpr44_sgpr45
	s_and_saveexec_b64 s[40:41], s[48:49]
	s_cbranch_execz .LBB32_226
; %bb.188:                              ;   in Loop: Header=BB32_7 Depth=1
	s_cmp_eq_u32 s82, 1
	s_cselect_b64 s[16:17], -1, 0
	v_cmp_eq_u32_e32 vcc, 1, v16
	s_and_b64 s[42:43], s[16:17], vcc
	s_mov_b64 s[50:51], -1
                                        ; implicit-def: $sgpr46_sgpr47
                                        ; implicit-def: $sgpr44_sgpr45
	s_and_saveexec_b64 s[48:49], s[42:43]
	s_cbranch_execz .LBB32_214
; %bb.189:                              ;   in Loop: Header=BB32_7 Depth=1
	ds_read_b32 v2, v9 offset:4096
	s_waitcnt lgkmcnt(0)
	s_barrier
	v_readfirstlane_b32 s16, v2
	s_and_saveexec_b64 s[44:45], s[4:5]
; %bb.190:                              ;   in Loop: Header=BB32_7 Depth=1
	ds_write_b16 v22, v9
; %bb.191:                              ;   in Loop: Header=BB32_7 Depth=1
	s_or_b64 exec, exec, s[44:45]
	v_or_b32_e32 v30, v30, v4
	v_or_b32_e32 v36, v36, v4
	s_mov_b64 s[44:45], -1
	s_mov_b64 s[46:47], 0
	s_cmp_gt_i32 s16, 0
	s_mov_b64 s[50:51], 0
	s_mov_b64 s[52:53], -1
	s_waitcnt lgkmcnt(0)
	s_barrier
                                        ; implicit-def: $vgpr37
	s_cbranch_scc1 .LBB32_202
; %bb.192:                              ;   in Loop: Header=BB32_7 Depth=1
	s_mov_b64 s[52:53], 0
                                        ; implicit-def: $vgpr37
	s_mov_b64 s[54:55], exec
	v_readlane_b32 s56, v52, 25
	v_readlane_b32 s57, v52, 26
	s_and_b64 s[56:57], s[54:55], s[56:57]
	s_mov_b64 exec, s[56:57]
	s_cbranch_execz .LBB32_201
; %bb.193:                              ;   in Loop: Header=BB32_7 Depth=1
	v_mov_b32_e32 v2, v6
	v_mov_b32_e32 v8, v0
                                        ; implicit-def: $sgpr56_sgpr57
	s_branch .LBB32_196
.LBB32_194:                             ;   in Loop: Header=BB32_196 Depth=2
	s_or_b64 exec, exec, s[58:59]
	s_waitcnt lgkmcnt(0)
	s_barrier
	ds_read_b32 v3, v9 offset:3072
	s_mov_b64 s[58:59], -1
	s_waitcnt lgkmcnt(0)
	s_barrier
	v_cmp_ne_u32_sdwa s[66:67], v3, v9 src0_sel:WORD_0 src1_sel:DWORD
	s_and_b64 vcc, exec, s[66:67]
	s_mov_b64 s[66:67], -1
	s_cbranch_vccz .LBB32_199
.LBB32_195:                             ;   in Loop: Header=BB32_196 Depth=2
	s_and_b64 s[58:59], exec, s[58:59]
	s_or_b64 s[50:51], s[58:59], s[50:51]
	s_andn2_b64 s[56:57], s[56:57], exec
	s_and_b64 s[58:59], s[66:67], exec
	s_or_b64 s[56:57], s[56:57], s[58:59]
	s_andn2_b64 exec, exec, s[50:51]
	s_cbranch_execz .LBB32_200
.LBB32_196:                             ;   Parent Loop BB32_7 Depth=1
                                        ; =>  This Inner Loop Header: Depth=2
	v_cmp_gt_i32_e32 vcc, s60, v8
	s_and_saveexec_b64 s[58:59], vcc
	s_cbranch_execz .LBB32_194
; %bb.197:                              ;   in Loop: Header=BB32_196 Depth=2
	v_ashrrev_i32_e32 v3, 31, v2
	v_lshl_add_u64 v[18:19], v[2:3], 1, s[68:69]
	global_load_ushort v3, v[18:19], off
	s_waitcnt vmcnt(0)
	v_add_u32_sdwa v17, sext(v3), s61 dst_sel:DWORD dst_unused:UNUSED_PAD src0_sel:WORD_0 src1_sel:DWORD
	v_and_b32_e32 v17, v17, v36
	v_cmp_eq_u32_e32 vcc, v17, v30
	s_and_b64 exec, exec, vcc
	s_cbranch_execz .LBB32_194
; %bb.198:                              ;   in Loop: Header=BB32_196 Depth=2
	v_perm_b32 v3, v3, 1, v35
	ds_write_b32 v9, v3 offset:3072
	s_branch .LBB32_194
.LBB32_199:                             ;   in Loop: Header=BB32_196 Depth=2
	v_add_u32_e32 v8, s62, v8
	v_cmp_le_i32_e32 vcc, s9, v8
	v_add_u32_e32 v2, s70, v2
	s_mov_b64 s[66:67], 0
	s_orn2_b64 s[58:59], vcc, exec
	s_branch .LBB32_195
.LBB32_200:                             ;   in Loop: Header=BB32_7 Depth=1
	s_or_b64 exec, exec, s[50:51]
	v_lshrrev_b32_e32 v37, 16, v3
	s_and_b64 s[50:51], s[56:57], exec
.LBB32_201:                             ;   in Loop: Header=BB32_7 Depth=1
	s_or_b64 exec, exec, s[54:55]
.LBB32_202:                             ;   in Loop: Header=BB32_7 Depth=1
	s_and_b64 vcc, exec, s[52:53]
	s_cbranch_vccz .LBB32_213
; %bb.203:                              ;   in Loop: Header=BB32_7 Depth=1
	s_add_i32 s17, s16, s71
	s_abs_i32 s45, s17
	s_mul_hi_u32 s46, s45, s8
	s_mul_i32 s46, s46, s62
	s_sub_i32 s45, s45, s46
	s_ashr_i32 s44, s17, 31
	s_sub_i32 s46, s45, s62
	s_cmp_ge_u32 s45, s62
	s_cselect_b32 s45, s46, s45
	s_sub_i32 s46, s45, s62
	s_cmp_ge_u32 s45, s62
	s_cselect_b32 s45, s46, s45
	s_xor_b32 s45, s45, s44
	s_sub_i32 s44, s44, s45
	s_add_i32 s17, s17, s44
	v_cmp_gt_i32_e32 vcc, s17, v0
                                        ; implicit-def: $vgpr37
	s_and_saveexec_b64 s[44:45], vcc
	s_cbranch_execz .LBB32_212
; %bb.204:                              ;   in Loop: Header=BB32_7 Depth=1
	s_mov_b64 s[46:47], 0
	v_mov_b32_e32 v2, v21
	v_mov_b32_e32 v3, v0
                                        ; implicit-def: $sgpr52_sgpr53
	s_branch .LBB32_207
.LBB32_205:                             ;   in Loop: Header=BB32_207 Depth=2
	s_or_b64 exec, exec, s[54:55]
	s_waitcnt lgkmcnt(0)
	s_barrier
	ds_read_b32 v8, v9 offset:3072
	s_mov_b64 s[54:55], -1
	s_waitcnt lgkmcnt(0)
	s_barrier
	v_cmp_eq_u32_sdwa s[56:57], v8, v9 src0_sel:WORD_0 src1_sel:DWORD
	s_and_b64 vcc, exec, s[56:57]
	s_mov_b64 s[56:57], -1
	s_cbranch_vccnz .LBB32_210
.LBB32_206:                             ;   in Loop: Header=BB32_207 Depth=2
	s_and_b64 s[54:55], exec, s[54:55]
	s_or_b64 s[46:47], s[54:55], s[46:47]
	s_andn2_b64 s[52:53], s[52:53], exec
	s_and_b64 s[54:55], s[56:57], exec
	s_or_b64 s[52:53], s[52:53], s[54:55]
	s_andn2_b64 exec, exec, s[46:47]
	s_cbranch_execz .LBB32_211
.LBB32_207:                             ;   Parent Loop BB32_7 Depth=1
                                        ; =>  This Inner Loop Header: Depth=2
	v_cmp_gt_i32_e32 vcc, s16, v3
	s_and_saveexec_b64 s[54:55], vcc
	s_cbranch_execz .LBB32_205
; %bb.208:                              ;   in Loop: Header=BB32_207 Depth=2
	ds_read_u16 v8, v2
	s_waitcnt lgkmcnt(0)
	v_add_u32_sdwa v17, sext(v8), s61 dst_sel:DWORD dst_unused:UNUSED_PAD src0_sel:WORD_0 src1_sel:DWORD
	v_and_b32_e32 v17, v17, v36
	v_cmp_eq_u32_e32 vcc, v17, v30
	s_and_b64 exec, exec, vcc
	s_cbranch_execz .LBB32_205
; %bb.209:                              ;   in Loop: Header=BB32_207 Depth=2
	v_perm_b32 v8, v8, 1, v35
	ds_write_b32 v9, v8 offset:3072
	s_branch .LBB32_205
.LBB32_210:                             ;   in Loop: Header=BB32_207 Depth=2
	v_add_u32_e32 v3, s62, v3
	v_cmp_le_i32_e32 vcc, s17, v3
	v_add_u32_e32 v2, s78, v2
	s_mov_b64 s[56:57], 0
	s_orn2_b64 s[54:55], vcc, exec
	s_branch .LBB32_206
.LBB32_211:                             ;   in Loop: Header=BB32_7 Depth=1
	s_or_b64 exec, exec, s[46:47]
	s_andn2_b64 s[16:17], s[50:51], exec
	s_and_b64 s[46:47], s[52:53], exec
	v_lshrrev_b32_e32 v37, 16, v8
	s_or_b64 s[50:51], s[16:17], s[46:47]
.LBB32_212:                             ;   in Loop: Header=BB32_7 Depth=1
	s_or_b64 exec, exec, s[44:45]
	s_mov_b64 s[44:45], 0
	s_mov_b64 s[46:47], -1
.LBB32_213:                             ;   in Loop: Header=BB32_7 Depth=1
	s_orn2_b64 s[50:51], s[50:51], exec
.LBB32_214:                             ;   in Loop: Header=BB32_7 Depth=1
	s_or_b64 exec, exec, s[48:49]
	s_mov_b64 s[52:53], 0
	s_and_saveexec_b64 s[48:49], s[50:51]
	s_cbranch_execz .LBB32_225
; %bb.215:                              ;   in Loop: Header=BB32_7 Depth=1
	s_xor_b64 s[16:17], s[42:43], -1
	v_mov_b32_e32 v5, 1
	v_mov_b32_e32 v2, 1
	s_and_saveexec_b64 s[42:43], s[16:17]
	s_cbranch_execz .LBB32_224
; %bb.216:                              ;   in Loop: Header=BB32_7 Depth=1
	v_cmp_ge_i32_e32 vcc, s82, v16
	s_and_saveexec_b64 s[16:17], vcc
	s_xor_b64 s[50:51], exec, s[16:17]
	s_cbranch_execz .LBB32_221
; %bb.217:                              ;   in Loop: Header=BB32_7 Depth=1
	ds_read_b32 v2, v9 offset:4096
	v_or_b32_e32 v30, v30, v4
	v_or_b32_e32 v36, v36, v4
	s_waitcnt lgkmcnt(0)
	v_cmp_ne_u32_e32 vcc, 0, v2
	s_cbranch_vccnz .LBB32_221
; %bb.218:                              ;   in Loop: Header=BB32_7 Depth=1
	s_and_saveexec_b64 s[52:53], s[18:19]
; %bb.219:                              ;   in Loop: Header=BB32_7 Depth=1
	v_mov_b32_e32 v2, s82
	ds_write_b32 v9, v2 offset:4100
; %bb.220:                              ;   in Loop: Header=BB32_7 Depth=1
	s_or_b64 exec, exec, s[52:53]
	s_waitcnt lgkmcnt(0)
	s_barrier
.LBB32_221:                             ;   in Loop: Header=BB32_7 Depth=1
	s_andn2_saveexec_b64 s[50:51], s[50:51]
; %bb.222:                              ;   in Loop: Header=BB32_7 Depth=1
	v_subrev_u32_e32 v16, s82, v16
; %bb.223:                              ;   in Loop: Header=BB32_7 Depth=1
	s_or_b64 exec, exec, s[50:51]
	v_mov_b32_e32 v5, 8
	v_mov_b32_e32 v2, v16
.LBB32_224:                             ;   in Loop: Header=BB32_7 Depth=1
	s_or_b64 exec, exec, s[42:43]
	s_mov_b64 s[52:53], exec
	v_mov_b32_e32 v16, v2
.LBB32_225:                             ;   in Loop: Header=BB32_7 Depth=1
	s_or_b64 exec, exec, s[48:49]
	s_orn2_b64 s[42:43], s[52:53], exec
.LBB32_226:                             ;   in Loop: Header=BB32_7 Depth=1
	s_or_b64 exec, exec, s[40:41]
	s_andn2_b64 s[16:17], s[36:37], exec
	s_and_b64 s[36:37], s[46:47], exec
	s_or_b64 s[36:37], s[16:17], s[36:37]
	s_andn2_b64 s[16:17], s[34:35], exec
	s_and_b64 s[34:35], s[44:45], exec
	s_or_b64 s[34:35], s[16:17], s[34:35]
	s_and_b64 s[44:45], s[42:43], exec
	v_mov_b32_e32 v17, v16
.LBB32_227:                             ;   in Loop: Header=BB32_7 Depth=1
	s_or_b64 exec, exec, s[38:39]
	s_orn2_b64 s[38:39], s[44:45], exec
.LBB32_228:                             ;   in Loop: Header=BB32_7 Depth=1
	s_or_b64 exec, exec, s[30:31]
	s_andn2_b64 s[16:17], s[26:27], exec
	s_and_b64 s[26:27], s[36:37], exec
	s_or_b64 s[26:27], s[16:17], s[26:27]
	s_andn2_b64 s[16:17], s[24:25], exec
	s_and_b64 s[24:25], s[34:35], exec
	s_or_b64 s[24:25], s[16:17], s[24:25]
	s_and_b64 s[36:37], s[38:39], exec
	v_mov_b32_e32 v16, v17
.LBB32_229:                             ;   in Loop: Header=BB32_7 Depth=1
	s_or_b64 exec, exec, s[28:29]
	s_orn2_b64 s[28:29], s[36:37], exec
.LBB32_230:                             ;   in Loop: Header=BB32_7 Depth=1
	s_or_b64 exec, exec, s[22:23]
	s_mov_b64 s[30:31], 0
                                        ; implicit-def: $sgpr34
	s_and_saveexec_b64 s[16:17], s[28:29]
	s_xor_b64 s[22:23], exec, s[16:17]
	s_cbranch_execz .LBB32_5
; %bb.231:                              ;   in Loop: Header=BB32_7 Depth=1
	v_and_b32_e32 v2, 7, v5
	v_cmp_eq_u32_e32 vcc, 0, v2
	s_mov_b64 s[20:21], -1
	s_mov_b64 s[28:29], -1
                                        ; implicit-def: $sgpr34
	s_and_saveexec_b64 s[30:31], vcc
	s_cbranch_execz .LBB32_4
; %bb.232:                              ;   in Loop: Header=BB32_7 Depth=1
	v_add_u32_e32 v2, -2, v34
	v_cmp_eq_u32_e32 vcc, 0, v34
	s_xor_b32 s34, s79, 1
	s_xor_b64 s[28:29], exec, -1
	s_orn2_b64 s[20:21], vcc, exec
	v_mov_b32_e32 v34, v2
	s_branch .LBB32_4
.LBB32_233:
	s_or_b64 exec, exec, s[88:89]
	s_xor_b64 s[6:7], s[94:95], -1
	s_xor_b64 s[0:1], s[90:91], -1
	;; [unrolled: 1-line block ×3, first 2 shown]
	s_mov_b64 s[2:3], 0
	s_and_saveexec_b64 s[8:9], s[0:1]
	s_xor_b64 s[0:1], exec, s[8:9]
	s_cbranch_execnz .LBB32_238
; %bb.234:
	s_andn2_saveexec_b64 s[0:1], s[0:1]
	s_cbranch_execnz .LBB32_258
.LBB32_235:
	s_or_b64 exec, exec, s[0:1]
	s_and_saveexec_b64 s[0:1], s[2:3]
.LBB32_236:
	; divergent unreachable
.LBB32_237:
	s_endpgm
.LBB32_238:
	s_and_saveexec_b64 s[2:3], s[6:7]
	s_xor_b64 s[2:3], exec, s[2:3]
	s_cbranch_execz .LBB32_256
; %bb.239:
	s_and_saveexec_b64 s[6:7], s[4:5]
	s_xor_b64 s[4:5], exec, s[6:7]
; %bb.240:
	v_xor_b32_e32 v37, 0xffff8000, v30
; %bb.241:
	s_or_b64 exec, exec, s[4:5]
	s_and_saveexec_b64 s[4:5], s[18:19]
	v_readlane_b32 s20, v52, 6
; %bb.242:
	v_mov_b32_e32 v1, 0
	v_mov_b32_e32 v2, s60
	ds_write_b32 v1, v2 offset:4108
; %bb.243:
	s_or_b64 exec, exec, s[4:5]
	v_mov_b32_e32 v1, 0
	s_waitcnt lgkmcnt(0)
	s_barrier
	ds_read_b32 v1, v1 offset:4108
	s_waitcnt lgkmcnt(0)
	v_min_i32_e32 v2, s60, v1
	v_cmp_lt_i32_e32 vcc, v0, v2
	s_and_saveexec_b64 s[4:5], vcc
	s_cbranch_execz .LBB32_253
; %bb.244:
	s_mov_b64 s[6:7], 0
                                        ; implicit-def: $sgpr8_sgpr9
                                        ; implicit-def: $sgpr12_sgpr13
                                        ; implicit-def: $sgpr10_sgpr11
	s_branch .LBB32_246
.LBB32_245:                             ;   in Loop: Header=BB32_246 Depth=1
	s_or_b64 exec, exec, s[14:15]
	s_and_b64 s[14:15], exec, s[12:13]
	s_or_b64 s[6:7], s[14:15], s[6:7]
	s_andn2_b64 s[8:9], s[8:9], exec
	s_and_b64 s[14:15], s[10:11], exec
	s_or_b64 s[8:9], s[8:9], s[14:15]
	s_andn2_b64 exec, exec, s[6:7]
	s_cbranch_execz .LBB32_248
.LBB32_246:                             ; =>This Inner Loop Header: Depth=1
	v_ashrrev_i32_e32 v7, 31, v6
	v_lshl_add_u64 v[4:5], v[6:7], 1, s[68:69]
	global_load_ushort v3, v[4:5], off
	v_mov_b32_e32 v1, v0
	s_or_b64 s[10:11], s[10:11], exec
	s_or_b64 s[12:13], s[12:13], exec
                                        ; implicit-def: $vgpr0
	s_waitcnt vmcnt(0)
	v_cmp_ne_u16_e32 vcc, v3, v37
	s_and_saveexec_b64 s[14:15], vcc
	s_cbranch_execz .LBB32_245
; %bb.247:                              ;   in Loop: Header=BB32_246 Depth=1
	v_add_u32_e32 v0, s62, v1
	v_cmp_ge_i32_e32 vcc, v0, v2
	s_andn2_b64 s[12:13], s[12:13], exec
	s_and_b64 s[16:17], vcc, exec
	v_add_u32_e32 v6, s70, v6
	s_andn2_b64 s[10:11], s[10:11], exec
	s_or_b64 s[12:13], s[12:13], s[16:17]
	s_branch .LBB32_245
.LBB32_248:
	s_or_b64 exec, exec, s[6:7]
	s_and_saveexec_b64 s[6:7], s[8:9]
	s_xor_b64 s[6:7], exec, s[6:7]
	s_cbranch_execz .LBB32_253
; %bb.249:
	s_mov_b64 s[6:7], exec
	s_brev_b32 s8, -2
.LBB32_250:                             ; =>This Inner Loop Header: Depth=1
	s_ff1_i32_b64 s9, s[6:7]
	v_readlane_b32 s12, v1, s9
	s_lshl_b64 s[10:11], 1, s9
	s_min_i32 s8, s8, s12
	s_andn2_b64 s[6:7], s[6:7], s[10:11]
	s_cmp_lg_u64 s[6:7], 0
	s_cbranch_scc1 .LBB32_250
; %bb.251:
	v_mbcnt_lo_u32_b32 v0, exec_lo, 0
	v_mbcnt_hi_u32_b32 v0, exec_hi, v0
	v_cmp_eq_u32_e32 vcc, 0, v0
	s_and_saveexec_b64 s[6:7], vcc
	s_xor_b64 s[6:7], exec, s[6:7]
; %bb.252:
	v_mov_b32_e32 v0, 0
	v_mov_b32_e32 v1, s8
	ds_min_i32 v0, v1 offset:4108
.LBB32_253:
	s_or_b64 exec, exec, s[4:5]
	s_waitcnt lgkmcnt(0)
	s_barrier
	s_and_saveexec_b64 s[4:5], s[18:19]
	s_cbranch_execz .LBB32_255
; %bb.254:
	v_readlane_b32 s6, v52, 5
	s_mul_i32 s6, s6, s20
	v_readlane_b32 s7, v52, 4
	s_mul_i32 s8, s7, s20
	s_ashr_i32 s7, s6, 31
	v_mov_b32_e32 v2, 0
	s_lshl_b64 s[6:7], s[6:7], 1
	v_readlane_b32 s10, v52, 2
	ds_read_b32 v0, v2 offset:4108
	v_readlane_b32 s11, v52, 3
	s_add_u32 s6, s10, s6
	s_addc_u32 s7, s11, s7
	s_ashr_i32 s9, s8, 31
	s_lshl_b64 s[8:9], s[8:9], 3
	v_readlane_b32 s10, v52, 0
	v_readlane_b32 s11, v52, 1
	s_add_u32 s8, s10, s8
	s_addc_u32 s9, s11, s9
	s_waitcnt lgkmcnt(0)
	v_ashrrev_i32_e32 v1, 31, v0
	global_store_dwordx2 v2, v[0:1], s[8:9]
	global_store_short v2, v37, s[6:7]
.LBB32_255:
	s_or_b64 exec, exec, s[4:5]
.LBB32_256:
	s_or_saveexec_b64 s[2:3], s[2:3]
	s_mov_b64 s[4:5], 0
	s_xor_b64 exec, exec, s[2:3]
	s_cbranch_execnz .LBB32_259
.LBB32_257:
	s_or_b64 exec, exec, s[2:3]
	s_and_b64 s[2:3], s[4:5], exec
	s_andn2_saveexec_b64 s[0:1], s[0:1]
	s_cbranch_execz .LBB32_235
.LBB32_258:
	s_or_b64 s[2:3], s[2:3], exec
	s_trap 2
	s_or_b64 exec, exec, s[0:1]
	s_and_saveexec_b64 s[0:1], s[2:3]
	s_cbranch_execnz .LBB32_236
	s_branch .LBB32_237
.LBB32_259:
	s_mov_b64 s[4:5], exec
	s_trap 2
	s_branch .LBB32_257
	.section	.rodata,"a",@progbits
	.p2align	6, 0x0
	.amdhsa_kernel _ZN2at6native12_GLOBAL__N_114gatherKthValueIsiLi1EEEvNS_4cuda6detail10TensorInfoIKT_T0_EES8_S8_S8_S8_NS5_IS6_S8_EENS5_IlS8_EE
		.amdhsa_group_segment_fixed_size 4112
		.amdhsa_private_segment_fixed_size 0
		.amdhsa_kernarg_size 920
		.amdhsa_user_sgpr_count 2
		.amdhsa_user_sgpr_dispatch_ptr 0
		.amdhsa_user_sgpr_queue_ptr 0
		.amdhsa_user_sgpr_kernarg_segment_ptr 1
		.amdhsa_user_sgpr_dispatch_id 0
		.amdhsa_user_sgpr_kernarg_preload_length 0
		.amdhsa_user_sgpr_kernarg_preload_offset 0
		.amdhsa_user_sgpr_private_segment_size 0
		.amdhsa_uses_dynamic_stack 0
		.amdhsa_enable_private_segment 0
		.amdhsa_system_sgpr_workgroup_id_x 1
		.amdhsa_system_sgpr_workgroup_id_y 1
		.amdhsa_system_sgpr_workgroup_id_z 1
		.amdhsa_system_sgpr_workgroup_info 0
		.amdhsa_system_vgpr_workitem_id 0
		.amdhsa_next_free_vgpr 53
		.amdhsa_next_free_sgpr 100
		.amdhsa_accum_offset 56
		.amdhsa_reserve_vcc 1
		.amdhsa_float_round_mode_32 0
		.amdhsa_float_round_mode_16_64 0
		.amdhsa_float_denorm_mode_32 3
		.amdhsa_float_denorm_mode_16_64 3
		.amdhsa_dx10_clamp 1
		.amdhsa_ieee_mode 1
		.amdhsa_fp16_overflow 0
		.amdhsa_tg_split 0
		.amdhsa_exception_fp_ieee_invalid_op 0
		.amdhsa_exception_fp_denorm_src 0
		.amdhsa_exception_fp_ieee_div_zero 0
		.amdhsa_exception_fp_ieee_overflow 0
		.amdhsa_exception_fp_ieee_underflow 0
		.amdhsa_exception_fp_ieee_inexact 0
		.amdhsa_exception_int_div_zero 0
	.end_amdhsa_kernel
	.section	.text._ZN2at6native12_GLOBAL__N_114gatherKthValueIsiLi1EEEvNS_4cuda6detail10TensorInfoIKT_T0_EES8_S8_S8_S8_NS5_IS6_S8_EENS5_IlS8_EE,"axG",@progbits,_ZN2at6native12_GLOBAL__N_114gatherKthValueIsiLi1EEEvNS_4cuda6detail10TensorInfoIKT_T0_EES8_S8_S8_S8_NS5_IS6_S8_EENS5_IlS8_EE,comdat
.Lfunc_end32:
	.size	_ZN2at6native12_GLOBAL__N_114gatherKthValueIsiLi1EEEvNS_4cuda6detail10TensorInfoIKT_T0_EES8_S8_S8_S8_NS5_IS6_S8_EENS5_IlS8_EE, .Lfunc_end32-_ZN2at6native12_GLOBAL__N_114gatherKthValueIsiLi1EEEvNS_4cuda6detail10TensorInfoIKT_T0_EES8_S8_S8_S8_NS5_IS6_S8_EENS5_IlS8_EE
                                        ; -- End function
	.set _ZN2at6native12_GLOBAL__N_114gatherKthValueIsiLi1EEEvNS_4cuda6detail10TensorInfoIKT_T0_EES8_S8_S8_S8_NS5_IS6_S8_EENS5_IlS8_EE.num_vgpr, 53
	.set _ZN2at6native12_GLOBAL__N_114gatherKthValueIsiLi1EEEvNS_4cuda6detail10TensorInfoIKT_T0_EES8_S8_S8_S8_NS5_IS6_S8_EENS5_IlS8_EE.num_agpr, 0
	.set _ZN2at6native12_GLOBAL__N_114gatherKthValueIsiLi1EEEvNS_4cuda6detail10TensorInfoIKT_T0_EES8_S8_S8_S8_NS5_IS6_S8_EENS5_IlS8_EE.numbered_sgpr, 100
	.set _ZN2at6native12_GLOBAL__N_114gatherKthValueIsiLi1EEEvNS_4cuda6detail10TensorInfoIKT_T0_EES8_S8_S8_S8_NS5_IS6_S8_EENS5_IlS8_EE.num_named_barrier, 0
	.set _ZN2at6native12_GLOBAL__N_114gatherKthValueIsiLi1EEEvNS_4cuda6detail10TensorInfoIKT_T0_EES8_S8_S8_S8_NS5_IS6_S8_EENS5_IlS8_EE.private_seg_size, 0
	.set _ZN2at6native12_GLOBAL__N_114gatherKthValueIsiLi1EEEvNS_4cuda6detail10TensorInfoIKT_T0_EES8_S8_S8_S8_NS5_IS6_S8_EENS5_IlS8_EE.uses_vcc, 1
	.set _ZN2at6native12_GLOBAL__N_114gatherKthValueIsiLi1EEEvNS_4cuda6detail10TensorInfoIKT_T0_EES8_S8_S8_S8_NS5_IS6_S8_EENS5_IlS8_EE.uses_flat_scratch, 0
	.set _ZN2at6native12_GLOBAL__N_114gatherKthValueIsiLi1EEEvNS_4cuda6detail10TensorInfoIKT_T0_EES8_S8_S8_S8_NS5_IS6_S8_EENS5_IlS8_EE.has_dyn_sized_stack, 0
	.set _ZN2at6native12_GLOBAL__N_114gatherKthValueIsiLi1EEEvNS_4cuda6detail10TensorInfoIKT_T0_EES8_S8_S8_S8_NS5_IS6_S8_EENS5_IlS8_EE.has_recursion, 0
	.set _ZN2at6native12_GLOBAL__N_114gatherKthValueIsiLi1EEEvNS_4cuda6detail10TensorInfoIKT_T0_EES8_S8_S8_S8_NS5_IS6_S8_EENS5_IlS8_EE.has_indirect_call, 0
	.section	.AMDGPU.csdata,"",@progbits
; Kernel info:
; codeLenInByte = 9108
; TotalNumSgprs: 106
; NumVgprs: 53
; NumAgprs: 0
; TotalNumVgprs: 53
; ScratchSize: 0
; MemoryBound: 0
; FloatMode: 240
; IeeeMode: 1
; LDSByteSize: 4112 bytes/workgroup (compile time only)
; SGPRBlocks: 13
; VGPRBlocks: 6
; NumSGPRsForWavesPerEU: 106
; NumVGPRsForWavesPerEU: 53
; AccumOffset: 56
; Occupancy: 7
; WaveLimiterHint : 1
; COMPUTE_PGM_RSRC2:SCRATCH_EN: 0
; COMPUTE_PGM_RSRC2:USER_SGPR: 2
; COMPUTE_PGM_RSRC2:TRAP_HANDLER: 0
; COMPUTE_PGM_RSRC2:TGID_X_EN: 1
; COMPUTE_PGM_RSRC2:TGID_Y_EN: 1
; COMPUTE_PGM_RSRC2:TGID_Z_EN: 1
; COMPUTE_PGM_RSRC2:TIDIG_COMP_CNT: 0
; COMPUTE_PGM_RSRC3_GFX90A:ACCUM_OFFSET: 13
; COMPUTE_PGM_RSRC3_GFX90A:TG_SPLIT: 0
	.section	.text._ZN2at6native12_GLOBAL__N_114gatherKthValueIsiLi2EEEvNS_4cuda6detail10TensorInfoIKT_T0_EES8_S8_S8_S8_NS5_IS6_S8_EENS5_IlS8_EE,"axG",@progbits,_ZN2at6native12_GLOBAL__N_114gatherKthValueIsiLi2EEEvNS_4cuda6detail10TensorInfoIKT_T0_EES8_S8_S8_S8_NS5_IS6_S8_EENS5_IlS8_EE,comdat
	.globl	_ZN2at6native12_GLOBAL__N_114gatherKthValueIsiLi2EEEvNS_4cuda6detail10TensorInfoIKT_T0_EES8_S8_S8_S8_NS5_IS6_S8_EENS5_IlS8_EE ; -- Begin function _ZN2at6native12_GLOBAL__N_114gatherKthValueIsiLi2EEEvNS_4cuda6detail10TensorInfoIKT_T0_EES8_S8_S8_S8_NS5_IS6_S8_EENS5_IlS8_EE
	.p2align	8
	.type	_ZN2at6native12_GLOBAL__N_114gatherKthValueIsiLi2EEEvNS_4cuda6detail10TensorInfoIKT_T0_EES8_S8_S8_S8_NS5_IS6_S8_EENS5_IlS8_EE,@function
_ZN2at6native12_GLOBAL__N_114gatherKthValueIsiLi2EEEvNS_4cuda6detail10TensorInfoIKT_T0_EES8_S8_S8_S8_NS5_IS6_S8_EENS5_IlS8_EE: ; @_ZN2at6native12_GLOBAL__N_114gatherKthValueIsiLi2EEEvNS_4cuda6detail10TensorInfoIKT_T0_EES8_S8_S8_S8_NS5_IS6_S8_EENS5_IlS8_EE
; %bb.0:
	s_load_dwordx2 s[12:13], s[0:1], 0x298
	s_load_dwordx4 s[60:63], s[0:1], 0xd8
	s_add_u32 s10, s0, 0x298
	s_addc_u32 s11, s1, 0
	s_waitcnt lgkmcnt(0)
	s_mul_i32 s4, s13, s4
	s_add_i32 s3, s4, s3
	s_mul_i32 s3, s3, s12
	s_add_i32 s18, s3, s2
	s_cmp_ge_i32 s18, s62
	s_cbranch_scc1 .LBB33_237
; %bb.1:
	s_load_dword s3, s[0:1], 0xc
	s_load_dwordx2 s[4:5], s[0:1], 0xe8
                                        ; implicit-def: $vgpr52 : SGPR spill to VGPR lane
                                        ; kill: killed $sgpr0 killed $sgpr1
	s_abs_i32 s21, s18
	s_ashr_i32 s20, s18, 31
	s_load_dword s22, s[0:1], 0xf4
	s_waitcnt lgkmcnt(0)
	s_abs_i32 s13, s3
	v_writelane_b32 v52, s4, 0
	v_cvt_f32_u32_e32 v1, s13
	s_ashr_i32 s14, s3, 31
	v_writelane_b32 v52, s5, 1
	s_load_dwordx2 s[6:7], s[0:1], 0x6c
	s_load_dwordx2 s[4:5], s[0:1], 0x0
	;; [unrolled: 1-line block ×3, first 2 shown]
	v_rcp_iflag_f32_e32 v1, v1
	s_waitcnt lgkmcnt(0)
	v_writelane_b32 v52, s8, 2
	s_nop 1
	v_writelane_b32 v52, s9, 3
	s_load_dword s19, s[0:1], 0x1cc
	s_load_dwordx2 s[8:9], s[0:1], 0x1c0
	v_mul_f32_e32 v1, 0x4f7ffffe, v1
	v_cvt_u32_f32_e32 v1, v1
	s_waitcnt lgkmcnt(0)
	v_writelane_b32 v52, s8, 4
	s_nop 1
	v_writelane_b32 v52, s9, 5
	s_load_dwordx2 s[8:9], s[0:1], 0x154
	v_readfirstlane_b32 s1, v1
	s_sub_i32 s0, 0, s13
	s_mul_i32 s0, s0, s1
	s_mul_hi_u32 s0, s1, s0
	s_waitcnt lgkmcnt(0)
	v_writelane_b32 v52, s8, 6
	s_add_i32 s1, s1, s0
	s_mul_hi_u32 s15, s21, s1
	v_writelane_b32 v52, s9, 7
	s_abs_i32 s9, s22
	v_cvt_f32_u32_e32 v2, s9
	s_abs_i32 s8, s19
	s_sub_i32 s0, 0, s9
	v_writelane_b32 v52, s9, 8
	v_rcp_iflag_f32_e32 v1, v2
	v_cvt_f32_u32_e32 v2, s8
	v_mul_f32_e32 v1, 0x4f7ffffe, v1
	v_cvt_u32_f32_e32 v1, v1
	v_rcp_iflag_f32_e32 v2, v2
	v_readfirstlane_b32 s1, v1
	v_mul_f32_e32 v1, 0x4f7ffffe, v2
	s_mul_i32 s0, s0, s1
	v_cvt_u32_f32_e32 v1, v1
	s_mul_hi_u32 s0, s1, s0
	s_add_i32 s1, s1, s0
	s_mul_hi_u32 s0, s21, s1
	v_writelane_b32 v52, s0, 9
	s_sub_i32 s0, 0, s8
	v_readfirstlane_b32 s1, v1
	s_mul_i32 s0, s0, s1
	s_mul_hi_u32 s0, s1, s0
	s_add_i32 s1, s1, s0
	v_writelane_b32 v52, s8, 10
	s_mul_hi_u32 s0, s21, s1
	v_writelane_b32 v52, s0, 11
	v_cmp_eq_u32_e64 s[0:1], 0, v0
	s_and_saveexec_b64 s[8:9], s[0:1]
; %bb.2:
	v_mov_b32_e32 v2, 0
	v_mov_b32_e32 v3, s60
	v_mov_b32_e32 v4, v2
	ds_write_b96 v2, v[2:4] offset:4096
; %bb.3:
	s_or_b64 exec, exec, s[8:9]
	v_writelane_b32 v52, s22, 12
	s_ashr_i32 s8, s22, 31
	v_writelane_b32 v52, s8, 13
	s_mul_i32 s9, s15, s13
	v_writelane_b32 v52, s19, 14
	s_ashr_i32 s8, s19, 31
	s_sub_i32 s9, s21, s9
	v_writelane_b32 v52, s8, 15
	s_xor_b32 s8, s20, s14
	s_add_i32 s14, s15, 1
	s_sub_i32 s16, s9, s13
	s_cmp_ge_u32 s9, s13
	s_cselect_b32 s14, s14, s15
	s_cselect_b32 s9, s16, s9
	s_add_i32 s15, s14, 1
	s_cmp_ge_u32 s9, s13
	s_cselect_b32 s9, s15, s14
	s_xor_b32 s9, s9, s8
	s_sub_i32 s8, s9, s8
	s_mul_i32 s3, s8, s3
	s_sub_i32 s3, s18, s3
	s_mul_i32 s3, s3, s7
	s_mul_i32 s6, s8, s6
	s_add_i32 s6, s6, s3
	s_waitcnt lgkmcnt(0)
	s_barrier
	s_load_dword s3, s[10:11], 0xc
	s_ashr_i32 s7, s6, 31
	s_lshl_b64 s[6:7], s[6:7], 1
	s_add_u32 s72, s4, s6
	v_mbcnt_lo_u32_b32 v1, -1, 0
	s_addc_u32 s73, s5, s7
	s_waitcnt lgkmcnt(0)
	s_and_b32 s62, s3, 0xffff
	v_mbcnt_hi_u32_b32 v20, -1, v1
	v_writelane_b32 v52, s20, 16
	v_cmp_gt_u32_e32 vcc, 64, v0
	v_cmp_gt_i32_e64 s[4:5], 4, v20
	s_add_i32 s33, s62, -1
	v_writelane_b32 v52, s21, 17
	s_lshl_b32 s74, s62, 2
	s_and_b64 s[76:77], vcc, s[4:5]
	s_add_i32 s9, s33, s60
	v_writelane_b32 v52, s18, 18
	s_cmpk_gt_i32 s60, 0x600
	v_cmp_gt_u32_e64 s[6:7], s60, v0
	s_cselect_b64 s[78:79], -1, 0
	s_cmp_gt_u32 s62, 63
	v_writelane_b32 v52, s6, 19
	s_cselect_b64 s[80:81], -1, 0
	s_cmp_lt_u32 s2, s12
	v_writelane_b32 v52, s7, 20
	v_cmp_gt_i32_e64 s[6:7], s60, v0
	s_cselect_b32 s2, 12, 18
	v_lshlrev_b64 v[2:3], v20, -1
	v_writelane_b32 v52, s6, 21
	v_not_b32_e32 v12, v2
	v_lshrrev_b32_e32 v2, 2, v0
	v_writelane_b32 v52, s7, 22
	s_add_u32 s6, s10, s2
	s_addc_u32 s7, s11, 0
	v_writelane_b32 v52, s6, 23
	v_and_b32_e32 v2, 0xf0, v2
	v_or_b32_e32 v23, 0xc00, v2
	v_writelane_b32 v52, s7, 24
	s_bfe_u32 s6, s3, 0xa0006
	s_add_i32 s2, s6, -2
	s_lshr_b32 s3, s2, 1
	s_add_i32 s3, s3, 1
	s_cmpk_gt_u32 s62, 0x7f
	v_cvt_f32_u32_e32 v2, s74
	s_cselect_b64 s[10:11], -1, 0
	s_and_b32 s7, s6, 0x3fe
	s_and_b32 s8, s3, 7
	v_writelane_b32 v52, s10, 25
	s_cmp_gt_u32 s2, 13
	v_rcp_iflag_f32_e32 v2, v2
	v_writelane_b32 v52, s11, 26
	s_cselect_b64 s[10:11], -1, 0
	v_writelane_b32 v52, s10, 27
	s_and_b32 s2, s3, -8
	s_cmp_lg_u32 s8, 0
	v_writelane_b32 v52, s11, 28
	v_writelane_b32 v52, s2, 29
	;; [unrolled: 1-line block ×3, first 2 shown]
	s_cselect_b64 s[2:3], -1, 0
	v_writelane_b32 v52, s2, 31
	v_mul_f32_e32 v2, 0x4f7ffffe, v2
	v_cvt_u32_f32_e32 v2, v2
	v_writelane_b32 v52, s3, 32
	v_writelane_b32 v52, s6, 33
	s_cmp_lg_u32 s7, s6
	v_writelane_b32 v52, s7, 34
	s_cselect_b64 s[2:3], -1, 0
	v_writelane_b32 v52, s2, 35
	v_not_b32_e32 v1, v3
	v_cvt_f32_u32_e32 v3, s62
	v_writelane_b32 v52, s3, 36
	s_sub_i32 s2, 0, s74
	v_readfirstlane_b32 s3, v2
	s_mul_i32 s2, s2, s3
	s_mul_hi_u32 s2, s3, s2
	s_add_i32 s6, s3, s2
	s_mul_hi_u32 s2, s60, s6
	s_mul_i32 s2, s2, s74
	s_sub_i32 s2, s60, s2
	s_sub_i32 s3, s2, s74
	s_cmp_ge_u32 s2, s74
	s_cselect_b32 s2, s3, s2
	s_sub_i32 s3, s2, s74
	s_cmp_ge_u32 s2, s74
	s_cselect_b32 s2, s3, s2
	s_sub_i32 s7, s60, s2
	v_rcp_iflag_f32_e32 v5, v3
	v_add_u32_e32 v24, s7, v0
	v_mul_lo_u32 v2, v24, s63
	v_ashrrev_i32_e32 v3, 31, v2
	v_lshl_add_u64 v[14:15], v[2:3], 1, s[72:73]
	v_mul_f32_e32 v2, 0x4f7ffffe, v5
	v_cvt_u32_f32_e32 v2, v2
	s_sub_i32 s8, 0, s62
	s_abs_i32 s16, s9
	s_ashr_i32 s3, s9, 31
	v_readfirstlane_b32 s17, v2
	s_mul_i32 s8, s8, s17
	s_mul_hi_u32 s8, s17, s8
	s_add_i32 s8, s17, s8
	s_mul_hi_u32 s17, s16, s8
	s_mul_i32 s17, s17, s62
	s_sub_i32 s16, s16, s17
	s_sub_i32 s17, s16, s62
	s_cmp_ge_u32 s16, s62
	s_cselect_b32 s16, s17, s16
	s_sub_i32 s17, s16, s62
	s_cmp_ge_u32 s16, s62
	s_cselect_b32 s16, s17, s16
	v_lshlrev_b32_e32 v13, 2, v0
	s_xor_b32 s16, s16, s3
	s_sub_i32 s3, s3, s16
	v_mul_lo_u32 v2, s63, v13
	s_add_i32 s9, s9, s3
	v_add_u32_e32 v25, s63, v2
	v_or_b32_e32 v2, 2, v13
	v_cmp_gt_i32_e64 s[16:17], s9, v0
	v_mul_lo_u32 v26, s63, v2
	v_or_b32_e32 v2, 3, v13
	s_add_i32 s3, s62, s60
	v_mov_b32_e32 v9, 0
	v_writelane_b32 v52, s16, 37
	v_mul_lo_u32 v27, s63, v2
	v_add_u32_e32 v2, s3, v0
	s_mov_b32 s20, 0
	s_mov_b32 s21, 1
	v_lshlrev_b32_e32 v21, 1, v0
	v_mul_lo_u32 v6, s63, v0
	v_mov_b32_e32 v7, v9
	v_lshlrev_b32_e32 v4, 2, v20
	v_writelane_b32 v52, s17, 38
	s_mul_i32 s75, s63, s62
	v_subrev_u32_e32 v2, s2, v2
	v_cmp_eq_u32_e64 s[18:19], 0, v20
	v_cmp_gt_u32_e64 s[4:5], 2, v0
	v_add_u32_e32 v22, 0xc00, v21
	v_lshl_add_u64 v[10:11], v[6:7], 1, s[72:73]
	v_and_b32_e32 v7, 0x100, v4
	v_cmp_gt_i32_e64 s[10:11], s7, v13
	v_cmp_gt_u32_e64 s[12:13], s60, v24
	v_cmp_gt_i32_e64 s[14:15], s60, v24
	s_lshl_b32 s84, s75, 2
	v_lshlrev_b32_e32 v28, 2, v6
	v_mul_lo_u32 v30, s63, v2
	v_lshlrev_b32_e32 v31, 3, v0
	s_lshl_b32 s85, s62, 3
	s_lshl_b32 s82, s62, 1
	v_or_b32_e32 v32, 0xc00, v4
	s_mov_b64 s[92:93], 0
	v_mov_b32_e32 v34, 14
	v_mov_b32_e32 v38, s61
	s_mov_b32 s61, 0x8000
	v_mov_b32_e32 v39, s60
	v_mov_b32_e32 v33, 0xc00
	;; [unrolled: 1-line block ×6, first 2 shown]
	v_writelane_b32 v52, s20, 39
	s_mov_b32 s83, s20
                                        ; implicit-def: $sgpr94_sgpr95
                                        ; implicit-def: $sgpr98_sgpr99
                                        ; implicit-def: $sgpr96_sgpr97
                                        ; implicit-def: $sgpr64_sgpr65
                                        ; implicit-def: $sgpr66_sgpr67
                                        ; implicit-def: $sgpr68_sgpr69
	s_nop 0
	v_writelane_b32 v52, s21, 40
	s_branch .LBB33_7
.LBB33_4:                               ;   in Loop: Header=BB33_7 Depth=1
	s_or_b64 exec, exec, s[30:31]
	s_and_b64 s[30:31], s[28:29], exec
	s_andn2_b64 s[26:27], s[26:27], exec
	s_andn2_b64 s[24:25], s[24:25], exec
	s_orn2_b64 s[20:21], s[20:21], exec
.LBB33_5:                               ;   in Loop: Header=BB33_7 Depth=1
	s_or_b64 exec, exec, s[22:23]
	s_andn2_b64 s[16:17], s[68:69], exec
	s_and_b64 s[22:23], s[30:31], exec
	s_or_b64 s[68:69], s[16:17], s[22:23]
	s_andn2_b64 s[16:17], s[66:67], exec
	s_and_b64 s[22:23], s[26:27], exec
	s_or_b64 s[66:67], s[16:17], s[22:23]
	;; [unrolled: 3-line block ×3, first 2 shown]
	s_orn2_b64 s[20:21], s[20:21], exec
.LBB33_6:                               ;   in Loop: Header=BB33_7 Depth=1
	s_or_b64 exec, exec, s[2:3]
	s_and_b64 s[2:3], exec, s[20:21]
	s_or_b64 s[92:93], s[2:3], s[92:93]
	s_andn2_b64 s[2:3], s[96:97], exec
	s_and_b64 s[16:17], s[68:69], exec
	s_or_b64 s[96:97], s[2:3], s[16:17]
	s_andn2_b64 s[2:3], s[98:99], exec
	s_and_b64 s[16:17], s[66:67], exec
	;; [unrolled: 3-line block ×3, first 2 shown]
	s_or_b64 s[94:95], s[2:3], s[16:17]
	s_mov_b32 s83, s34
	v_mov_b32_e32 v38, v16
	s_andn2_b64 exec, exec, s[92:93]
	s_cbranch_execz .LBB33_233
.LBB33_7:                               ; =>This Loop Header: Depth=1
                                        ;     Child Loop BB33_12 Depth 2
                                        ;     Child Loop BB33_27 Depth 2
	;; [unrolled: 1-line block ×17, first 2 shown]
	ds_read_b64 v[2:3], v9 offset:4096
	s_waitcnt lgkmcnt(0)
	v_readfirstlane_b32 s16, v2
	s_cmp_gt_i32 s16, 0
	s_cbranch_scc1 .LBB33_34
; %bb.8:                                ;   in Loop: Header=BB33_7 Depth=1
	s_and_b64 vcc, exec, s[78:79]
	s_cbranch_vccz .LBB33_20
; %bb.9:                                ;   in Loop: Header=BB33_7 Depth=1
	s_movk_i32 s2, 0x601
	v_cmp_gt_i32_e32 vcc, s2, v3
	s_mov_b64 s[20:21], 0
	s_mov_b64 s[2:3], 0
	s_cbranch_vccz .LBB33_21
; %bb.10:                               ;   in Loop: Header=BB33_7 Depth=1
	v_readlane_b32 s2, v52, 23
	v_readlane_b32 s3, v52, 24
	s_nop 4
	global_load_ushort v2, v9, s[2:3]
	global_load_ushort v4, v[10:11], off
	s_mov_b64 s[22:23], 0
	s_waitcnt vmcnt(1)
	v_add_u32_e32 v5, v0, v2
	v_mul_lo_u32 v3, s63, v2
	v_mul_lo_u32 v8, s63, v5
	v_mov_b32_e32 v5, v0
	s_branch .LBB33_12
.LBB33_11:                              ;   in Loop: Header=BB33_12 Depth=2
	s_or_b64 exec, exec, s[2:3]
	v_cmp_le_i32_e32 vcc, s60, v5
	v_add_u32_e32 v8, v8, v3
	s_or_b64 s[22:23], vcc, s[22:23]
	v_mov_b32_e32 v4, v16
	s_andn2_b64 exec, exec, s[22:23]
	s_cbranch_execz .LBB33_66
.LBB33_12:                              ;   Parent Loop BB33_7 Depth=1
                                        ; =>  This Inner Loop Header: Depth=2
	v_add_u32_e32 v5, v5, v2
	v_cmp_gt_u32_e32 vcc, s60, v5
	s_waitcnt lgkmcnt(0)
	v_mov_b32_e32 v17, 0
	v_mov_b32_e32 v16, 0
	s_and_saveexec_b64 s[2:3], vcc
	s_cbranch_execz .LBB33_14
; %bb.13:                               ;   in Loop: Header=BB33_12 Depth=2
	v_lshl_add_u64 v[18:19], v[8:9], 1, s[72:73]
	global_load_ushort v16, v[18:19], off
.LBB33_14:                              ;   in Loop: Header=BB33_12 Depth=2
	s_or_b64 exec, exec, s[2:3]
	s_waitcnt vmcnt(0)
	v_add_u32_sdwa v18, sext(v4), s61 dst_sel:DWORD dst_unused:UNUSED_PAD src0_sel:WORD_0 src1_sel:DWORD
	v_and_b32_e32 v18, v18, v36
	v_cmp_eq_u32_e32 vcc, v18, v29
	s_cmp_lg_u64 vcc, 0
	s_cselect_b64 s[2:3], -1, 0
	s_and_b64 s[2:3], s[18:19], s[2:3]
	s_and_saveexec_b64 s[24:25], s[2:3]
	s_cbranch_execz .LBB33_18
; %bb.15:                               ;   in Loop: Header=BB33_12 Depth=2
	s_mov_b64 s[28:29], exec
	v_mbcnt_lo_u32_b32 v17, s28, 0
	v_mbcnt_hi_u32_b32 v17, s29, v17
	s_bcnt1_i32_b64 s17, vcc
	v_cmp_eq_u32_e64 s[2:3], 0, v17
                                        ; implicit-def: $vgpr18
	s_and_saveexec_b64 s[26:27], s[2:3]
; %bb.16:                               ;   in Loop: Header=BB33_12 Depth=2
	s_bcnt1_i32_b64 s2, s[28:29]
	s_mul_i32 s2, s17, s2
	v_mov_b32_e32 v18, s2
	ds_add_rtn_u32 v18, v9, v18 offset:4104
; %bb.17:                               ;   in Loop: Header=BB33_12 Depth=2
	s_or_b64 exec, exec, s[26:27]
	s_waitcnt lgkmcnt(0)
	v_readfirstlane_b32 s2, v18
	s_nop 1
	v_mov_b32_e32 v18, s2
	v_mad_u32_u24 v17, s17, v17, v18
.LBB33_18:                              ;   in Loop: Header=BB33_12 Depth=2
	s_or_b64 exec, exec, s[24:25]
	ds_bpermute_b32 v17, v7, v17
	s_and_saveexec_b64 s[2:3], vcc
	s_cbranch_execz .LBB33_11
; %bb.19:                               ;   in Loop: Header=BB33_12 Depth=2
	v_and_b32_e32 v19, vcc_lo, v12
	v_and_b32_e32 v18, vcc_hi, v1
	v_bcnt_u32_b32 v19, v19, 0
	v_bcnt_u32_b32 v18, v18, v19
	v_lshlrev_b32_e32 v18, 1, v18
	s_waitcnt lgkmcnt(0)
	v_lshl_add_u32 v17, v17, 1, v18
	ds_write_b16 v17, v4
	s_branch .LBB33_11
.LBB33_20:                              ;   in Loop: Header=BB33_7 Depth=1
	s_mov_b64 s[20:21], -1
	s_mov_b64 s[2:3], 0
.LBB33_21:                              ;   in Loop: Header=BB33_7 Depth=1
	s_and_b64 vcc, exec, s[20:21]
	s_cbranch_vccz .LBB33_32
.LBB33_22:                              ;   in Loop: Header=BB33_7 Depth=1
	v_mov_b32_e32 v2, 0
	s_mov_b64 s[2:3], exec
	v_readlane_b32 s20, v52, 19
	v_readlane_b32 s21, v52, 20
	s_and_b64 s[20:21], s[2:3], s[20:21]
	s_mov_b64 exec, s[20:21]
	s_cbranch_execz .LBB33_24
; %bb.23:                               ;   in Loop: Header=BB33_7 Depth=1
	global_load_ushort v2, v[10:11], off
.LBB33_24:                              ;   in Loop: Header=BB33_7 Depth=1
	s_or_b64 exec, exec, s[2:3]
	s_mov_b64 s[2:3], exec
	v_readlane_b32 s20, v52, 21
	v_readlane_b32 s21, v52, 22
	s_and_b64 s[20:21], s[2:3], s[20:21]
	s_mov_b64 exec, s[20:21]
	s_cbranch_execz .LBB33_29
; %bb.25:                               ;   in Loop: Header=BB33_7 Depth=1
	v_readlane_b32 s20, v52, 23
	v_readlane_b32 s21, v52, 24
	v_mov_b32_e32 v4, v21
	v_mov_b32_e32 v17, v0
	s_nop 2
	global_load_ushort v3, v9, s[20:21]
	s_mov_b64 s[20:21], 0
	s_waitcnt vmcnt(0)
	v_add_u32_e32 v8, v0, v3
	v_lshlrev_b32_e32 v5, 1, v3
	v_mul_lo_u32 v16, s63, v3
	v_mul_lo_u32 v8, s63, v8
	s_branch .LBB33_27
.LBB33_26:                              ;   in Loop: Header=BB33_27 Depth=2
	s_or_b64 exec, exec, s[22:23]
	v_cmp_le_i32_e32 vcc, s60, v17
	ds_write_b16 v4, v2
	v_add_u32_e32 v4, v4, v5
	v_add_u32_e32 v8, v8, v16
	s_or_b64 s[20:21], vcc, s[20:21]
	s_waitcnt vmcnt(0)
	v_mov_b32_e32 v2, v18
	s_andn2_b64 exec, exec, s[20:21]
	s_cbranch_execz .LBB33_29
.LBB33_27:                              ;   Parent Loop BB33_7 Depth=1
                                        ; =>  This Inner Loop Header: Depth=2
	v_add_u32_e32 v17, v17, v3
	v_cmp_gt_u32_e32 vcc, s60, v17
	v_mov_b32_e32 v18, 0
	s_and_saveexec_b64 s[22:23], vcc
	s_cbranch_execz .LBB33_26
; %bb.28:                               ;   in Loop: Header=BB33_27 Depth=2
	v_lshl_add_u64 v[18:19], v[8:9], 1, s[72:73]
	global_load_ushort v18, v[18:19], off
	s_branch .LBB33_26
.LBB33_29:                              ;   in Loop: Header=BB33_7 Depth=1
	s_or_b64 exec, exec, s[2:3]
	s_waitcnt lgkmcnt(0)
	s_barrier
	s_and_saveexec_b64 s[2:3], s[0:1]
; %bb.30:                               ;   in Loop: Header=BB33_7 Depth=1
	ds_write_b32 v9, v39 offset:4096
; %bb.31:                               ;   in Loop: Header=BB33_7 Depth=1
	s_or_b64 exec, exec, s[2:3]
	s_mov_b64 s[2:3], -1
	s_waitcnt lgkmcnt(0)
	s_barrier
.LBB33_32:                              ;   in Loop: Header=BB33_7 Depth=1
	s_and_b64 vcc, exec, s[2:3]
	s_cbranch_vccz .LBB33_34
; %bb.33:                               ;   in Loop: Header=BB33_7 Depth=1
	s_waitcnt vmcnt(0)
	ds_read_b32 v2, v9 offset:4096
	s_waitcnt lgkmcnt(0)
	v_readfirstlane_b32 s16, v2
.LBB33_34:                              ;   in Loop: Header=BB33_7 Depth=1
	s_cmp_lt_i32 s16, 1
	s_mov_b64 s[2:3], -1
                                        ; implicit-def: $vgpr4_vgpr5
	s_cbranch_scc1 .LBB33_44
; %bb.35:                               ;   in Loop: Header=BB33_7 Depth=1
	s_and_b64 vcc, exec, s[2:3]
	s_cbranch_vccnz .LBB33_57
.LBB33_36:                              ;   in Loop: Header=BB33_7 Depth=1
	s_lshl_b32 s16, s83, 6
	s_and_saveexec_b64 s[2:3], s[18:19]
	s_cbranch_execz .LBB33_38
.LBB33_37:                              ;   in Loop: Header=BB33_7 Depth=1
	v_lshl_add_u32 v8, s16, 2, v23
	s_waitcnt vmcnt(0)
	ds_write_b128 v8, v[2:5]
.LBB33_38:                              ;   in Loop: Header=BB33_7 Depth=1
	s_or_b64 exec, exec, s[2:3]
	s_waitcnt lgkmcnt(0)
	s_barrier
	s_and_saveexec_b64 s[2:3], s[76:77]
	s_cbranch_execz .LBB33_77
; %bb.39:                               ;   in Loop: Header=BB33_7 Depth=1
	v_add_u32_e32 v4, s16, v20
	s_andn2_b64 vcc, exec, s[80:81]
	s_waitcnt vmcnt(0)
	v_mov_b32_e32 v2, 0
	s_cbranch_vccnz .LBB33_76
; %bb.40:                               ;   in Loop: Header=BB33_7 Depth=1
	v_readlane_b32 s20, v52, 25
	v_readlane_b32 s21, v52, 26
	s_andn2_b64 vcc, exec, s[20:21]
	s_cbranch_vccnz .LBB33_69
; %bb.41:                               ;   in Loop: Header=BB33_7 Depth=1
	v_readlane_b32 s20, v52, 27
	v_readlane_b32 s21, v52, 28
	s_andn2_b64 vcc, exec, s[20:21]
	v_lshl_add_u32 v5, v4, 2, v33
	s_cbranch_vccnz .LBB33_70
; %bb.42:                               ;   in Loop: Header=BB33_7 Depth=1
	s_mov_b32 s21, 1
	s_mov_b32 s20, 0
	v_mov_b32_e32 v2, 0
	v_mov_b32_e32 v3, 0
	v_readlane_b32 s17, v52, 29
.LBB33_43:                              ;   Parent Loop BB33_7 Depth=1
                                        ; =>  This Inner Loop Header: Depth=2
	v_lshl_add_u32 v8, s20, 4, v5
	v_lshl_add_u32 v50, s21, 4, v5
	ds_read2_b32 v[16:17], v8 offset1:8
	ds_read2_b32 v[18:19], v50 offset1:8
	ds_read2_b32 v[40:41], v8 offset0:16 offset1:24
	ds_read2_b32 v[42:43], v50 offset0:16 offset1:24
	;; [unrolled: 1-line block ×6, first 2 shown]
	s_waitcnt lgkmcnt(7)
	v_add3_u32 v2, v16, v2, v17
	s_waitcnt lgkmcnt(6)
	v_add3_u32 v3, v18, v3, v19
	;; [unrolled: 2-line block ×3, first 2 shown]
	v_add3_u32 v2, v40, v2, v41
	s_add_i32 s21, s21, 16
	s_add_i32 s20, s20, 16
	s_add_i32 s17, s17, -8
	s_waitcnt lgkmcnt(3)
	v_add3_u32 v2, v44, v2, v45
	s_waitcnt lgkmcnt(2)
	v_add3_u32 v3, v46, v3, v47
	s_cmp_lg_u32 s17, 0
	s_waitcnt lgkmcnt(0)
	v_add3_u32 v3, v50, v3, v51
	v_add3_u32 v2, v48, v2, v49
	s_cbranch_scc1 .LBB33_43
	s_branch .LBB33_71
.LBB33_44:                              ;   in Loop: Header=BB33_7 Depth=1
	v_mov_b32_e32 v8, v9
	v_mov_b64_e32 v[4:5], v[8:9]
	s_waitcnt vmcnt(0)
	v_mov_b64_e32 v[2:3], v[8:9]
	s_and_saveexec_b64 s[70:71], s[10:11]
	s_cbranch_execnz .LBB33_47
; %bb.45:                               ;   in Loop: Header=BB33_7 Depth=1
	s_or_b64 exec, exec, s[70:71]
	v_mov_b32_e32 v18, 0
	s_and_saveexec_b64 s[2:3], s[12:13]
	s_cbranch_execnz .LBB33_50
.LBB33_46:                              ;   in Loop: Header=BB33_7 Depth=1
	s_or_b64 exec, exec, s[2:3]
	s_and_saveexec_b64 s[20:21], s[14:15]
	s_cbranch_execnz .LBB33_51
	s_branch .LBB33_56
.LBB33_47:                              ;   in Loop: Header=BB33_7 Depth=1
	s_mov_b32 s17, 0
	s_mov_b64 s[86:87], 0
	v_mov_b32_e32 v8, v13
	s_mov_b32 s88, 0
	s_mov_b32 s89, s17
	;; [unrolled: 1-line block ×4, first 2 shown]
.LBB33_48:                              ;   Parent Loop BB33_7 Depth=1
                                        ; =>  This Inner Loop Header: Depth=2
	v_add_u32_e32 v2, s17, v28
	v_add_u32_e32 v4, s17, v25
	;; [unrolled: 1-line block ×4, first 2 shown]
	v_ashrrev_i32_e32 v3, 31, v2
	v_ashrrev_i32_e32 v5, 31, v4
	;; [unrolled: 1-line block ×4, first 2 shown]
	v_lshl_add_u64 v[2:3], v[2:3], 1, s[72:73]
	v_lshl_add_u64 v[4:5], v[4:5], 1, s[72:73]
	;; [unrolled: 1-line block ×4, first 2 shown]
	global_load_sshort v2, v[2:3], off
	s_nop 0
	global_load_sshort v3, v[4:5], off
	s_nop 0
	global_load_sshort v4, v[16:17], off
	global_load_sshort v5, v[18:19], off
	v_add_u32_e32 v8, s74, v8
	s_add_i32 s17, s17, s84
	v_cmp_le_i32_e32 vcc, s7, v8
	s_waitcnt vmcnt(3)
	v_add_u32_e32 v2, 0x8000, v2
	s_waitcnt vmcnt(2)
	v_add_u32_e32 v3, 0x8000, v3
	v_and_b32_e32 v16, v2, v36
	v_bfe_u32 v2, v2, v34, 2
	s_waitcnt vmcnt(1)
	v_add_u32_e32 v4, 0x8000, v4
	v_and_b32_e32 v17, v3, v36
	v_bfe_u32 v3, v3, v34, 2
	v_cmp_eq_u32_e64 s[2:3], v16, v29
	v_cmp_eq_u32_e64 s[26:27], 0, v2
	s_waitcnt vmcnt(0)
	v_add_u32_e32 v5, 0x8000, v5
	v_and_b32_e32 v18, v4, v36
	v_bfe_u32 v4, v4, v34, 2
	v_cmp_eq_u32_e64 s[20:21], v17, v29
	v_cmp_eq_u32_e64 s[28:29], 0, v3
	s_and_b64 s[26:27], s[2:3], s[26:27]
	v_and_b32_e32 v19, v5, v36
	v_bfe_u32 v5, v5, v34, 2
	v_cmp_eq_u32_e64 s[22:23], v18, v29
	v_cmp_eq_u32_e64 s[30:31], 0, v4
	;; [unrolled: 1-line block ×5, first 2 shown]
	v_cndmask_b32_e64 v2, 0, 1, s[26:27]
	s_and_b64 s[26:27], s[20:21], s[28:29]
	v_cmp_eq_u32_e64 s[24:25], v19, v29
	v_cmp_eq_u32_e64 s[34:35], 0, v5
	;; [unrolled: 1-line block ×5, first 2 shown]
	v_cndmask_b32_e64 v3, 0, 1, s[26:27]
	s_and_b64 s[26:27], s[22:23], s[30:31]
	v_cmp_eq_u32_e64 s[40:41], 1, v4
	v_cmp_eq_u32_e64 s[48:49], 2, v4
	;; [unrolled: 1-line block ×3, first 2 shown]
	v_cndmask_b32_e64 v4, 0, 1, s[26:27]
	s_and_b64 s[26:27], s[24:25], s[34:35]
	v_cmp_eq_u32_e64 s[42:43], 1, v5
	v_cmp_eq_u32_e64 s[50:51], 2, v5
	;; [unrolled: 1-line block ×3, first 2 shown]
	v_cndmask_b32_e64 v5, 0, 1, s[26:27]
	s_and_b64 s[26:27], s[2:3], s[36:37]
	v_cndmask_b32_e64 v16, 0, 1, s[26:27]
	s_and_b64 s[26:27], s[20:21], s[38:39]
	;; [unrolled: 2-line block ×5, first 2 shown]
	s_and_b64 s[2:3], s[2:3], s[52:53]
	v_cndmask_b32_e64 v40, 0, 1, s[26:27]
	s_and_b64 s[26:27], s[20:21], s[46:47]
	v_cndmask_b32_e64 v44, 0, 1, s[2:3]
	;; [unrolled: 2-line block ×7, first 2 shown]
	v_cndmask_b32_e64 v47, 0, 1, s[2:3]
	v_cmp_ne_u32_e64 s[2:3], 0, v2
	v_cmp_ne_u32_e64 s[20:21], 0, v3
	;; [unrolled: 1-line block ×11, first 2 shown]
	s_bcnt1_i32_b64 s2, s[2:3]
	s_bcnt1_i32_b64 s3, s[20:21]
	;; [unrolled: 1-line block ×8, first 2 shown]
	v_cmp_ne_u32_e64 s[34:35], 0, v19
	v_cmp_ne_u32_e64 s[40:41], 0, v42
	v_cmp_ne_u32_e64 s[48:49], 0, v46
	s_bcnt1_i32_b64 s23, s[28:29]
	s_bcnt1_i32_b64 s27, s[38:39]
	;; [unrolled: 1-line block ×3, first 2 shown]
	s_add_i32 s2, s88, s2
	s_add_i32 s22, s89, s22
	;; [unrolled: 1-line block ×4, first 2 shown]
	v_cmp_ne_u32_e64 s[42:43], 0, v43
	v_cmp_ne_u32_e64 s[50:51], 0, v47
	s_bcnt1_i32_b64 s25, s[34:35]
	s_bcnt1_i32_b64 s28, s[40:41]
	;; [unrolled: 1-line block ×3, first 2 shown]
	s_add_i32 s22, s22, s23
	s_add_i32 s2, s2, s3
	;; [unrolled: 1-line block ×4, first 2 shown]
	s_bcnt1_i32_b64 s29, s[42:43]
	s_bcnt1_i32_b64 s35, s[50:51]
	s_add_i32 s2, s2, s20
	s_add_i32 s20, s22, s24
	;; [unrolled: 1-line block ×8, first 2 shown]
	s_or_b64 s[86:87], vcc, s[86:87]
	v_mov_b64_e32 v[2:3], s[88:89]
	v_mov_b64_e32 v[4:5], s[90:91]
	s_andn2_b64 exec, exec, s[86:87]
	s_cbranch_execnz .LBB33_48
; %bb.49:                               ;   in Loop: Header=BB33_7 Depth=1
	s_or_b64 exec, exec, s[86:87]
	s_or_b64 exec, exec, s[70:71]
	v_mov_b32_e32 v18, 0
	s_and_saveexec_b64 s[2:3], s[12:13]
	s_cbranch_execz .LBB33_46
.LBB33_50:                              ;   in Loop: Header=BB33_7 Depth=1
	global_load_ushort v18, v[14:15], off
	s_or_b64 exec, exec, s[2:3]
	s_and_saveexec_b64 s[20:21], s[14:15]
	s_cbranch_execz .LBB33_56
.LBB33_51:                              ;   in Loop: Header=BB33_7 Depth=1
	s_mov_b64 s[22:23], 0
	v_mov_b32_e32 v16, v30
	v_mov_b32_e32 v8, v24
	s_branch .LBB33_53
.LBB33_52:                              ;   in Loop: Header=BB33_53 Depth=2
	s_or_b64 exec, exec, s[2:3]
	s_waitcnt vmcnt(0)
	v_add_u32_sdwa v18, sext(v18), s61 dst_sel:DWORD dst_unused:UNUSED_PAD src0_sel:WORD_0 src1_sel:DWORD
	v_and_b32_e32 v19, v18, v36
	v_bfe_u32 v18, v18, v34, 2
	v_cmp_eq_u32_e32 vcc, v19, v29
	v_cmp_eq_u32_e64 s[2:3], 0, v18
	s_and_b64 s[2:3], vcc, s[2:3]
	v_add_u32_e32 v16, s75, v16
	v_cndmask_b32_e64 v19, 0, 1, s[2:3]
	v_cmp_ne_u32_e64 s[2:3], 0, v19
	s_bcnt1_i32_b64 s17, s[2:3]
	v_cmp_eq_u32_e64 s[2:3], 1, v18
	s_and_b64 s[2:3], vcc, s[2:3]
	v_add_u32_e32 v2, s17, v2
	v_cndmask_b32_e64 v19, 0, 1, s[2:3]
	v_cmp_ne_u32_e64 s[2:3], 0, v19
	s_bcnt1_i32_b64 s2, s[2:3]
	s_nop 0
	v_add_u32_e32 v3, s2, v3
	v_cmp_eq_u32_e64 s[2:3], 2, v18
	s_and_b64 s[2:3], vcc, s[2:3]
	s_nop 0
	v_cndmask_b32_e64 v19, 0, 1, s[2:3]
	v_cmp_ne_u32_e64 s[2:3], 0, v19
	s_bcnt1_i32_b64 s17, s[2:3]
	v_cmp_eq_u32_e64 s[2:3], 3, v18
	s_and_b64 s[2:3], vcc, s[2:3]
	v_add_u32_e32 v4, s17, v4
	v_cndmask_b32_e64 v18, 0, 1, s[2:3]
	v_cmp_ne_u32_e32 vcc, 0, v18
	s_bcnt1_i32_b64 s2, vcc
	v_cmp_le_i32_e32 vcc, s60, v8
	v_add_u32_e32 v5, s2, v5
	s_or_b64 s[22:23], vcc, s[22:23]
	v_mov_b32_e32 v18, v17
	s_andn2_b64 exec, exec, s[22:23]
	s_cbranch_execz .LBB33_55
.LBB33_53:                              ;   Parent Loop BB33_7 Depth=1
                                        ; =>  This Inner Loop Header: Depth=2
	v_add_u32_e32 v8, s62, v8
	v_cmp_gt_u32_e32 vcc, s60, v8
	v_mov_b32_e32 v17, 0
	s_and_saveexec_b64 s[2:3], vcc
	s_cbranch_execz .LBB33_52
; %bb.54:                               ;   in Loop: Header=BB33_53 Depth=2
	v_ashrrev_i32_e32 v17, 31, v16
	v_lshl_add_u64 v[40:41], v[16:17], 1, s[72:73]
	global_load_ushort v17, v[40:41], off
	s_branch .LBB33_52
.LBB33_55:                              ;   in Loop: Header=BB33_7 Depth=1
	s_or_b64 exec, exec, s[22:23]
.LBB33_56:                              ;   in Loop: Header=BB33_7 Depth=1
	s_or_b64 exec, exec, s[20:21]
	s_branch .LBB33_36
.LBB33_57:                              ;   in Loop: Header=BB33_7 Depth=1
	s_mul_hi_u32 s2, s16, s6
	s_mul_i32 s2, s2, s74
	s_sub_i32 s2, s16, s2
	s_sub_i32 s3, s2, s74
	s_cmp_ge_u32 s2, s74
	s_cselect_b32 s2, s3, s2
	s_sub_i32 s3, s2, s74
	s_cmp_ge_u32 s2, s74
	s_cselect_b32 s2, s3, s2
	s_sub_i32 s17, s16, s2
	v_mov_b32_e32 v8, v9
	v_cmp_gt_u32_e32 vcc, s17, v13
	v_mov_b64_e32 v[4:5], v[8:9]
	s_waitcnt vmcnt(0)
	v_mov_b64_e32 v[2:3], v[8:9]
	s_and_saveexec_b64 s[70:71], vcc
	s_cbranch_execz .LBB33_61
; %bb.58:                               ;   in Loop: Header=BB33_7 Depth=1
	s_mov_b32 s88, 0
	s_mov_b64 s[86:87], 0
	v_mov_b32_e32 v8, v31
	v_mov_b32_e32 v16, v13
	s_mov_b32 s89, s88
	s_mov_b32 s90, s88
	;; [unrolled: 1-line block ×3, first 2 shown]
.LBB33_59:                              ;   Parent Loop BB33_7 Depth=1
                                        ; =>  This Inner Loop Header: Depth=2
	ds_read_b64 v[2:3], v8
	v_add_u32_e32 v16, s74, v16
	v_cmp_le_i32_e32 vcc, s17, v16
	v_add_u32_e32 v8, s85, v8
	s_waitcnt lgkmcnt(0)
	v_add_u32_sdwa v4, sext(v2), s61 dst_sel:DWORD dst_unused:UNUSED_PAD src0_sel:WORD_0 src1_sel:DWORD
	v_add_u32_sdwa v2, sext(v2), s61 dst_sel:DWORD dst_unused:UNUSED_PAD src0_sel:WORD_1 src1_sel:DWORD
	v_and_b32_e32 v17, v4, v36
	v_bfe_u32 v4, v4, v34, 2
	v_add_u32_sdwa v5, sext(v3), s61 dst_sel:DWORD dst_unused:UNUSED_PAD src0_sel:WORD_0 src1_sel:DWORD
	v_and_b32_e32 v18, v2, v36
	v_bfe_u32 v2, v2, v34, 2
	v_cmp_eq_u32_e64 s[2:3], v17, v29
	v_cmp_eq_u32_e64 s[26:27], 0, v4
	v_add_u32_sdwa v3, sext(v3), s61 dst_sel:DWORD dst_unused:UNUSED_PAD src0_sel:WORD_1 src1_sel:DWORD
	v_and_b32_e32 v19, v5, v36
	v_bfe_u32 v5, v5, v34, 2
	v_cmp_eq_u32_e64 s[20:21], v18, v29
	v_cmp_eq_u32_e64 s[28:29], 0, v2
	s_and_b64 s[26:27], s[2:3], s[26:27]
	v_and_b32_e32 v40, v3, v36
	v_bfe_u32 v3, v3, v34, 2
	v_cmp_eq_u32_e64 s[22:23], v19, v29
	v_cmp_eq_u32_e64 s[30:31], 0, v5
	;; [unrolled: 1-line block ×5, first 2 shown]
	v_cndmask_b32_e64 v2, 0, 1, s[26:27]
	s_and_b64 s[26:27], s[20:21], s[28:29]
	v_cmp_eq_u32_e64 s[24:25], v40, v29
	v_cmp_eq_u32_e64 s[34:35], 0, v3
	;; [unrolled: 1-line block ×5, first 2 shown]
	v_cndmask_b32_e64 v3, 0, 1, s[26:27]
	s_and_b64 s[26:27], s[22:23], s[30:31]
	v_cmp_eq_u32_e64 s[36:37], 1, v4
	v_cmp_eq_u32_e64 s[44:45], 2, v4
	v_cmp_eq_u32_e64 s[52:53], 3, v4
	v_cndmask_b32_e64 v4, 0, 1, s[26:27]
	s_and_b64 s[26:27], s[24:25], s[34:35]
	v_cmp_eq_u32_e64 s[40:41], 1, v5
	v_cmp_eq_u32_e64 s[48:49], 2, v5
	;; [unrolled: 1-line block ×3, first 2 shown]
	v_cndmask_b32_e64 v5, 0, 1, s[26:27]
	s_and_b64 s[26:27], s[2:3], s[36:37]
	v_cndmask_b32_e64 v17, 0, 1, s[26:27]
	s_and_b64 s[26:27], s[20:21], s[38:39]
	;; [unrolled: 2-line block ×5, first 2 shown]
	s_and_b64 s[2:3], s[2:3], s[52:53]
	v_cndmask_b32_e64 v41, 0, 1, s[26:27]
	s_and_b64 s[26:27], s[20:21], s[46:47]
	v_cndmask_b32_e64 v45, 0, 1, s[2:3]
	;; [unrolled: 2-line block ×7, first 2 shown]
	v_cndmask_b32_e64 v48, 0, 1, s[2:3]
	v_cmp_ne_u32_e64 s[2:3], 0, v2
	v_cmp_ne_u32_e64 s[20:21], 0, v3
	;; [unrolled: 1-line block ×11, first 2 shown]
	s_bcnt1_i32_b64 s2, s[2:3]
	s_bcnt1_i32_b64 s3, s[20:21]
	;; [unrolled: 1-line block ×8, first 2 shown]
	v_cmp_ne_u32_e64 s[34:35], 0, v40
	v_cmp_ne_u32_e64 s[40:41], 0, v43
	;; [unrolled: 1-line block ×3, first 2 shown]
	s_bcnt1_i32_b64 s23, s[28:29]
	s_bcnt1_i32_b64 s27, s[38:39]
	;; [unrolled: 1-line block ×3, first 2 shown]
	s_add_i32 s2, s88, s2
	s_add_i32 s22, s89, s22
	s_add_i32 s26, s90, s26
	s_add_i32 s30, s91, s30
	v_cmp_ne_u32_e64 s[42:43], 0, v44
	v_cmp_ne_u32_e64 s[50:51], 0, v48
	s_bcnt1_i32_b64 s25, s[34:35]
	s_bcnt1_i32_b64 s28, s[40:41]
	;; [unrolled: 1-line block ×3, first 2 shown]
	s_add_i32 s22, s22, s23
	s_add_i32 s2, s2, s3
	;; [unrolled: 1-line block ×4, first 2 shown]
	s_bcnt1_i32_b64 s29, s[42:43]
	s_bcnt1_i32_b64 s35, s[50:51]
	s_add_i32 s2, s2, s20
	s_add_i32 s20, s22, s24
	s_add_i32 s22, s23, s28
	s_add_i32 s3, s3, s34
	s_add_i32 s89, s20, s25
	s_add_i32 s88, s2, s21
	s_add_i32 s91, s3, s35
	s_add_i32 s90, s22, s29
	s_or_b64 s[86:87], vcc, s[86:87]
	v_mov_b64_e32 v[2:3], s[88:89]
	v_mov_b64_e32 v[4:5], s[90:91]
	s_andn2_b64 exec, exec, s[86:87]
	s_cbranch_execnz .LBB33_59
; %bb.60:                               ;   in Loop: Header=BB33_7 Depth=1
	s_or_b64 exec, exec, s[86:87]
.LBB33_61:                              ;   in Loop: Header=BB33_7 Depth=1
	s_or_b64 exec, exec, s[70:71]
	v_add_u32_e32 v8, s17, v0
	v_cmp_gt_i32_e32 vcc, s16, v8
	s_and_saveexec_b64 s[28:29], vcc
	s_cbranch_execz .LBB33_65
; %bb.62:                               ;   in Loop: Header=BB33_7 Depth=1
	v_lshlrev_b32_e32 v16, 1, v8
	s_mov_b64 s[30:31], 0
.LBB33_63:                              ;   Parent Loop BB33_7 Depth=1
                                        ; =>  This Inner Loop Header: Depth=2
	ds_read_i16 v17, v16
	v_add_u32_e32 v8, s62, v8
	v_cmp_le_i32_e32 vcc, s16, v8
	v_add_u32_e32 v16, s82, v16
	s_waitcnt lgkmcnt(0)
	v_add_u32_e32 v17, 0x8000, v17
	v_and_b32_e32 v18, v17, v36
	v_bfe_u32 v17, v17, v34, 2
	v_cmp_eq_u32_e64 s[2:3], v18, v29
	v_cmp_eq_u32_e64 s[20:21], 0, v17
	;; [unrolled: 1-line block ×3, first 2 shown]
	s_and_b64 s[20:21], s[2:3], s[20:21]
	v_cmp_eq_u32_e64 s[24:25], 2, v17
	v_cmp_eq_u32_e64 s[26:27], 3, v17
	v_cndmask_b32_e64 v17, 0, 1, s[20:21]
	s_and_b64 s[20:21], s[2:3], s[22:23]
	v_cndmask_b32_e64 v18, 0, 1, s[20:21]
	s_and_b64 s[20:21], s[2:3], s[24:25]
	s_and_b64 s[2:3], s[2:3], s[26:27]
	v_cndmask_b32_e64 v19, 0, 1, s[20:21]
	v_cndmask_b32_e64 v40, 0, 1, s[2:3]
	v_cmp_ne_u32_e64 s[2:3], 0, v17
	v_cmp_ne_u32_e64 s[20:21], 0, v18
	v_cmp_ne_u32_e64 s[22:23], 0, v19
	v_cmp_ne_u32_e64 s[24:25], 0, v40
	s_bcnt1_i32_b64 s2, s[2:3]
	s_bcnt1_i32_b64 s3, s[20:21]
	;; [unrolled: 1-line block ×4, first 2 shown]
	v_add_u32_e32 v3, s3, v3
	v_add_u32_e32 v2, s2, v2
	;; [unrolled: 1-line block ×3, first 2 shown]
	s_or_b64 s[30:31], vcc, s[30:31]
	v_add_u32_e32 v4, s17, v4
	s_andn2_b64 exec, exec, s[30:31]
	s_cbranch_execnz .LBB33_63
; %bb.64:                               ;   in Loop: Header=BB33_7 Depth=1
	s_or_b64 exec, exec, s[30:31]
.LBB33_65:                              ;   in Loop: Header=BB33_7 Depth=1
	s_or_b64 exec, exec, s[28:29]
	s_lshl_b32 s16, s83, 6
	s_and_saveexec_b64 s[2:3], s[18:19]
	s_cbranch_execnz .LBB33_37
	s_branch .LBB33_38
.LBB33_66:                              ;   in Loop: Header=BB33_7 Depth=1
	s_or_b64 exec, exec, s[22:23]
	s_waitcnt lgkmcnt(0)
	s_barrier
	s_and_saveexec_b64 s[2:3], s[0:1]
	s_cbranch_execz .LBB33_68
; %bb.67:                               ;   in Loop: Header=BB33_7 Depth=1
	ds_read_b32 v2, v9 offset:4104
	s_waitcnt lgkmcnt(0)
	ds_write_b32 v9, v2 offset:4096
.LBB33_68:                              ;   in Loop: Header=BB33_7 Depth=1
	s_or_b64 exec, exec, s[2:3]
	s_waitcnt lgkmcnt(0)
	s_barrier
	s_mov_b64 s[2:3], -1
	s_and_b64 vcc, exec, s[20:21]
	s_cbranch_vccnz .LBB33_22
	s_branch .LBB33_32
.LBB33_69:                              ;   in Loop: Header=BB33_7 Depth=1
	v_mov_b32_e32 v2, 0
	s_mov_b32 s17, 0
	s_cbranch_execnz .LBB33_74
	s_branch .LBB33_76
.LBB33_70:                              ;   in Loop: Header=BB33_7 Depth=1
	v_mov_b32_e32 v8, v9
	v_readlane_b32 s20, v52, 39
	v_mov_b64_e32 v[2:3], v[8:9]
	v_readlane_b32 s21, v52, 40
.LBB33_71:                              ;   in Loop: Header=BB33_7 Depth=1
	v_readlane_b32 s22, v52, 31
	v_readlane_b32 s23, v52, 32
	s_andn2_b64 vcc, exec, s[22:23]
	v_readlane_b32 s17, v52, 30
	s_cbranch_vccnz .LBB33_73
.LBB33_72:                              ;   Parent Loop BB33_7 Depth=1
                                        ; =>  This Inner Loop Header: Depth=2
	v_lshl_add_u32 v8, s20, 4, v5
	v_lshl_add_u32 v16, s21, 4, v5
	ds_read_b32 v16, v16
	ds_read_b32 v8, v8
	s_add_i32 s21, s21, 2
	s_add_i32 s20, s20, 2
	s_add_i32 s17, s17, -1
	s_cmp_lg_u32 s17, 0
	s_waitcnt lgkmcnt(1)
	v_add_u32_e32 v3, v16, v3
	s_waitcnt lgkmcnt(0)
	v_add_u32_e32 v2, v8, v2
	s_cbranch_scc1 .LBB33_72
.LBB33_73:                              ;   in Loop: Header=BB33_7 Depth=1
	v_readlane_b32 s20, v52, 35
	v_add_u32_e32 v2, v2, v3
	v_readlane_b32 s17, v52, 34
	v_readlane_b32 s21, v52, 36
	s_and_b64 vcc, exec, s[20:21]
	s_cbranch_vccz .LBB33_76
.LBB33_74:                              ;   in Loop: Header=BB33_7 Depth=1
	s_lshl_b32 s20, s83, 8
	s_lshl_b32 s21, s17, 4
	s_add_i32 s20, s20, s21
	v_add_u32_e32 v3, s20, v32
	v_readlane_b32 s20, v52, 33
	s_sub_i32 s17, s20, s17
.LBB33_75:                              ;   Parent Loop BB33_7 Depth=1
                                        ; =>  This Inner Loop Header: Depth=2
	ds_read_b32 v5, v3
	s_add_i32 s17, s17, -1
	v_add_u32_e32 v3, 16, v3
	s_cmp_eq_u32 s17, 0
	s_waitcnt lgkmcnt(0)
	v_add_u32_e32 v2, v5, v2
	s_cbranch_scc0 .LBB33_75
.LBB33_76:                              ;   in Loop: Header=BB33_7 Depth=1
	v_lshlrev_b32_e32 v3, 2, v4
	ds_write_b32 v3, v2 offset:3072
.LBB33_77:                              ;   in Loop: Header=BB33_7 Depth=1
	s_or_b64 exec, exec, s[2:3]
	s_lshl_b32 s2, s16, 2
	s_waitcnt vmcnt(0)
	v_mov_b32_e32 v2, s2
	s_waitcnt lgkmcnt(0)
	s_barrier
	ds_read_b128 v[2:5], v2 offset:3072
	v_cmp_eq_u32_e32 vcc, 1, v38
	s_mov_b64 s[20:21], -1
	s_mov_b64 s[28:29], -1
                                        ; implicit-def: $sgpr26_sgpr27
                                        ; implicit-def: $sgpr24_sgpr25
	s_waitcnt lgkmcnt(0)
	v_readfirstlane_b32 s17, v2
	s_cmp_eq_u32 s17, 1
	v_readfirstlane_b32 s54, v4
	v_lshlrev_b32_e64 v4, v34, 3
	s_cselect_b64 s[2:3], -1, 0
	v_readfirstlane_b32 s16, v3
	v_readfirstlane_b32 s86, v5
	v_not_b32_e32 v8, v4
	s_and_b64 s[22:23], s[2:3], vcc
	s_and_saveexec_b64 s[2:3], s[22:23]
	s_cbranch_execz .LBB33_103
; %bb.78:                               ;   in Loop: Header=BB33_7 Depth=1
	ds_read_b32 v2, v9 offset:4096
	s_waitcnt lgkmcnt(0)
	s_barrier
	v_readfirstlane_b32 s42, v2
	s_and_saveexec_b64 s[24:25], s[4:5]
; %bb.79:                               ;   in Loop: Header=BB33_7 Depth=1
	ds_write_b16 v22, v9
; %bb.80:                               ;   in Loop: Header=BB33_7 Depth=1
	s_or_b64 exec, exec, s[24:25]
	v_and_b32_e32 v29, v29, v8
	v_or_b32_e32 v36, v36, v4
	s_mov_b64 s[24:25], -1
	s_mov_b64 s[26:27], 0
	s_cmp_lt_i32 s42, 1
	s_mov_b64 s[28:29], 0
	s_mov_b64 s[30:31], -1
	s_waitcnt lgkmcnt(0)
	s_barrier
                                        ; implicit-def: $vgpr37
	s_cbranch_scc0 .LBB33_91
; %bb.81:                               ;   in Loop: Header=BB33_7 Depth=1
	s_mov_b64 s[30:31], 0
                                        ; implicit-def: $vgpr37
	s_mov_b64 s[34:35], exec
	v_readlane_b32 s36, v52, 37
	v_readlane_b32 s37, v52, 38
	s_and_b64 s[36:37], s[34:35], s[36:37]
	s_mov_b64 exec, s[36:37]
	s_cbranch_execz .LBB33_90
; %bb.82:                               ;   in Loop: Header=BB33_7 Depth=1
	v_mov_b32_e32 v2, v6
	v_mov_b32_e32 v5, v0
                                        ; implicit-def: $sgpr36_sgpr37
	s_branch .LBB33_85
.LBB33_83:                              ;   in Loop: Header=BB33_85 Depth=2
	s_or_b64 exec, exec, s[38:39]
	s_waitcnt lgkmcnt(0)
	s_barrier
	ds_read_b32 v3, v9 offset:3072
	s_mov_b64 s[38:39], -1
	s_waitcnt lgkmcnt(0)
	s_barrier
	v_cmp_ne_u32_sdwa s[40:41], v3, v9 src0_sel:WORD_0 src1_sel:DWORD
	s_and_b64 vcc, exec, s[40:41]
	s_mov_b64 s[40:41], -1
	s_cbranch_vccz .LBB33_88
.LBB33_84:                              ;   in Loop: Header=BB33_85 Depth=2
	s_and_b64 s[38:39], exec, s[38:39]
	s_or_b64 s[28:29], s[38:39], s[28:29]
	s_andn2_b64 s[36:37], s[36:37], exec
	s_and_b64 s[38:39], s[40:41], exec
	s_or_b64 s[36:37], s[36:37], s[38:39]
	s_andn2_b64 exec, exec, s[28:29]
	s_cbranch_execz .LBB33_89
.LBB33_85:                              ;   Parent Loop BB33_7 Depth=1
                                        ; =>  This Inner Loop Header: Depth=2
	v_cmp_gt_i32_e32 vcc, s60, v5
	s_and_saveexec_b64 s[38:39], vcc
	s_cbranch_execz .LBB33_83
; %bb.86:                               ;   in Loop: Header=BB33_85 Depth=2
	v_ashrrev_i32_e32 v3, 31, v2
	v_lshl_add_u64 v[16:17], v[2:3], 1, s[72:73]
	global_load_ushort v3, v[16:17], off
	s_waitcnt vmcnt(0)
	v_add_u32_sdwa v16, sext(v3), s61 dst_sel:DWORD dst_unused:UNUSED_PAD src0_sel:WORD_0 src1_sel:DWORD
	v_and_b32_e32 v16, v16, v36
	v_cmp_eq_u32_e32 vcc, v16, v29
	s_and_b64 exec, exec, vcc
	s_cbranch_execz .LBB33_83
; %bb.87:                               ;   in Loop: Header=BB33_85 Depth=2
	v_perm_b32 v3, v3, 1, v35
	ds_write_b32 v9, v3 offset:3072
	s_branch .LBB33_83
.LBB33_88:                              ;   in Loop: Header=BB33_85 Depth=2
	v_add_u32_e32 v5, s62, v5
	v_cmp_le_i32_e32 vcc, s9, v5
	v_add_u32_e32 v2, s75, v2
	s_mov_b64 s[40:41], 0
	s_orn2_b64 s[38:39], vcc, exec
	s_branch .LBB33_84
.LBB33_89:                              ;   in Loop: Header=BB33_7 Depth=1
	s_or_b64 exec, exec, s[28:29]
	v_lshrrev_b32_e32 v37, 16, v3
	s_and_b64 s[28:29], s[36:37], exec
.LBB33_90:                              ;   in Loop: Header=BB33_7 Depth=1
	s_or_b64 exec, exec, s[34:35]
.LBB33_91:                              ;   in Loop: Header=BB33_7 Depth=1
	s_and_b64 vcc, exec, s[30:31]
	s_cbranch_vccz .LBB33_102
; %bb.92:                               ;   in Loop: Header=BB33_7 Depth=1
	s_add_i32 s38, s42, s33
	s_abs_i32 s25, s38
	s_mul_hi_u32 s26, s25, s8
	s_mul_i32 s26, s26, s62
	s_sub_i32 s25, s25, s26
	s_ashr_i32 s24, s38, 31
	s_sub_i32 s26, s25, s62
	s_cmp_ge_u32 s25, s62
	s_cselect_b32 s25, s26, s25
	s_sub_i32 s26, s25, s62
	s_cmp_ge_u32 s25, s62
	s_cselect_b32 s25, s26, s25
	s_xor_b32 s25, s25, s24
	s_sub_i32 s24, s24, s25
	s_add_i32 s38, s38, s24
	v_cmp_gt_i32_e32 vcc, s38, v0
                                        ; implicit-def: $vgpr37
	s_and_saveexec_b64 s[24:25], vcc
	s_cbranch_execz .LBB33_101
; %bb.93:                               ;   in Loop: Header=BB33_7 Depth=1
	s_mov_b64 s[26:27], 0
	v_mov_b32_e32 v2, v21
	v_mov_b32_e32 v3, v0
                                        ; implicit-def: $sgpr30_sgpr31
	s_branch .LBB33_96
.LBB33_94:                              ;   in Loop: Header=BB33_96 Depth=2
	s_or_b64 exec, exec, s[34:35]
	s_waitcnt lgkmcnt(0)
	s_barrier
	ds_read_b32 v5, v9 offset:3072
	s_mov_b64 s[34:35], -1
	s_waitcnt lgkmcnt(0)
	s_barrier
	v_cmp_ne_u32_sdwa s[36:37], v5, v9 src0_sel:WORD_0 src1_sel:DWORD
	s_and_b64 vcc, exec, s[36:37]
	s_mov_b64 s[36:37], -1
	s_cbranch_vccz .LBB33_99
.LBB33_95:                              ;   in Loop: Header=BB33_96 Depth=2
	s_and_b64 s[34:35], exec, s[34:35]
	s_or_b64 s[26:27], s[34:35], s[26:27]
	s_andn2_b64 s[30:31], s[30:31], exec
	s_and_b64 s[34:35], s[36:37], exec
	s_or_b64 s[30:31], s[30:31], s[34:35]
	s_andn2_b64 exec, exec, s[26:27]
	s_cbranch_execz .LBB33_100
.LBB33_96:                              ;   Parent Loop BB33_7 Depth=1
                                        ; =>  This Inner Loop Header: Depth=2
	v_cmp_gt_i32_e32 vcc, s42, v3
	s_and_saveexec_b64 s[34:35], vcc
	s_cbranch_execz .LBB33_94
; %bb.97:                               ;   in Loop: Header=BB33_96 Depth=2
	ds_read_u16 v5, v2
	s_waitcnt lgkmcnt(0)
	v_add_u32_sdwa v16, sext(v5), s61 dst_sel:DWORD dst_unused:UNUSED_PAD src0_sel:WORD_0 src1_sel:DWORD
	v_and_b32_e32 v16, v16, v36
	v_cmp_eq_u32_e32 vcc, v16, v29
	s_and_b64 exec, exec, vcc
	s_cbranch_execz .LBB33_94
; %bb.98:                               ;   in Loop: Header=BB33_96 Depth=2
	v_perm_b32 v5, v5, 1, v35
	ds_write_b32 v9, v5 offset:3072
	s_branch .LBB33_94
.LBB33_99:                              ;   in Loop: Header=BB33_96 Depth=2
	v_add_u32_e32 v3, s62, v3
	v_cmp_le_i32_e32 vcc, s38, v3
	v_add_u32_e32 v2, s82, v2
	s_mov_b64 s[36:37], 0
	s_orn2_b64 s[34:35], vcc, exec
	s_branch .LBB33_95
.LBB33_100:                             ;   in Loop: Header=BB33_7 Depth=1
	s_or_b64 exec, exec, s[26:27]
	s_andn2_b64 s[26:27], s[28:29], exec
	s_and_b64 s[28:29], s[30:31], exec
	v_lshrrev_b32_e32 v37, 16, v5
	s_or_b64 s[28:29], s[26:27], s[28:29]
.LBB33_101:                             ;   in Loop: Header=BB33_7 Depth=1
	s_or_b64 exec, exec, s[24:25]
	s_mov_b64 s[24:25], 0
	s_mov_b64 s[26:27], -1
.LBB33_102:                             ;   in Loop: Header=BB33_7 Depth=1
	s_orn2_b64 s[28:29], s[28:29], exec
.LBB33_103:                             ;   in Loop: Header=BB33_7 Depth=1
	s_or_b64 exec, exec, s[2:3]
	s_andn2_b64 s[2:3], s[66:67], exec
	s_and_b64 s[26:27], s[26:27], exec
	s_or_b64 s[66:67], s[2:3], s[26:27]
	s_andn2_b64 s[2:3], s[64:65], exec
	s_and_b64 s[24:25], s[24:25], exec
	v_readfirstlane_b32 s34, v0
	s_andn2_b64 s[68:69], s[68:69], exec
	s_or_b64 s[64:65], s[2:3], s[24:25]
                                        ; implicit-def: $vgpr16
	s_and_saveexec_b64 s[2:3], s[28:29]
	s_cbranch_execz .LBB33_6
; %bb.104:                              ;   in Loop: Header=BB33_7 Depth=1
	s_xor_b64 s[24:25], s[22:23], -1
	s_mov_b64 s[22:23], 0
	v_mov_b32_e32 v16, 1
	v_mov_b32_e32 v5, 1
	s_and_saveexec_b64 s[20:21], s[24:25]
	s_cbranch_execz .LBB33_113
; %bb.105:                              ;   in Loop: Header=BB33_7 Depth=1
	v_cmp_ge_i32_e32 vcc, s17, v38
	s_and_saveexec_b64 s[22:23], vcc
	s_xor_b64 s[22:23], exec, s[22:23]
	s_cbranch_execz .LBB33_110
; %bb.106:                              ;   in Loop: Header=BB33_7 Depth=1
	ds_read_b32 v2, v9 offset:4096
	v_and_b32_e32 v29, v29, v8
	v_or_b32_e32 v36, v36, v4
	s_waitcnt lgkmcnt(0)
	v_cmp_ne_u32_e32 vcc, 0, v2
	s_cbranch_vccnz .LBB33_110
; %bb.107:                              ;   in Loop: Header=BB33_7 Depth=1
	s_and_saveexec_b64 s[24:25], s[0:1]
; %bb.108:                              ;   in Loop: Header=BB33_7 Depth=1
	v_mov_b32_e32 v2, s17
	ds_write_b32 v9, v2 offset:4100
; %bb.109:                              ;   in Loop: Header=BB33_7 Depth=1
	s_or_b64 exec, exec, s[24:25]
	s_waitcnt lgkmcnt(0)
	s_barrier
.LBB33_110:                             ;   in Loop: Header=BB33_7 Depth=1
	s_or_saveexec_b64 s[22:23], s[22:23]
	s_mov_b64 s[24:25], 0
	v_mov_b32_e32 v5, 8
	s_xor_b64 exec, exec, s[22:23]
; %bb.111:                              ;   in Loop: Header=BB33_7 Depth=1
	s_mov_b64 s[24:25], exec
	v_subrev_u32_e32 v38, s17, v38
	v_mov_b32_e32 v5, 0
; %bb.112:                              ;   in Loop: Header=BB33_7 Depth=1
	s_or_b64 exec, exec, s[22:23]
	s_and_b64 s[22:23], s[24:25], exec
	v_mov_b32_e32 v16, v38
.LBB33_113:                             ;   in Loop: Header=BB33_7 Depth=1
	s_or_b64 exec, exec, s[20:21]
	s_mov_b64 s[20:21], -1
	s_mov_b64 s[28:29], -1
                                        ; implicit-def: $sgpr24_sgpr25
                                        ; implicit-def: $sgpr26_sgpr27
	s_and_saveexec_b64 s[30:31], s[22:23]
	s_xor_b64 s[22:23], exec, s[30:31]
	s_cbranch_execz .LBB33_230
; %bb.114:                              ;   in Loop: Header=BB33_7 Depth=1
	s_cmp_eq_u32 s16, 1
	s_cselect_b64 s[24:25], -1, 0
	v_cmp_eq_u32_e32 vcc, 1, v16
	s_and_b64 s[30:31], s[24:25], vcc
	s_mov_b64 s[34:35], -1
                                        ; implicit-def: $sgpr26_sgpr27
                                        ; implicit-def: $sgpr24_sgpr25
	s_and_saveexec_b64 s[28:29], s[30:31]
	s_cbranch_execz .LBB33_140
; %bb.115:                              ;   in Loop: Header=BB33_7 Depth=1
	ds_read_b32 v2, v9 offset:4096
	s_waitcnt lgkmcnt(0)
	s_barrier
	v_readfirstlane_b32 s17, v2
	s_and_saveexec_b64 s[24:25], s[4:5]
; %bb.116:                              ;   in Loop: Header=BB33_7 Depth=1
	ds_write_b16 v22, v9
; %bb.117:                              ;   in Loop: Header=BB33_7 Depth=1
	s_or_b64 exec, exec, s[24:25]
	v_and_b32_e32 v2, v29, v8
	v_lshl_or_b32 v29, 1, v34, v2
	v_or_b32_e32 v36, v36, v4
	s_mov_b64 s[24:25], -1
	s_mov_b64 s[26:27], 0
	s_cmp_gt_i32 s17, 0
	s_mov_b64 s[34:35], 0
	s_mov_b64 s[36:37], -1
	s_waitcnt lgkmcnt(0)
	s_barrier
                                        ; implicit-def: $vgpr37
	s_cbranch_scc1 .LBB33_128
; %bb.118:                              ;   in Loop: Header=BB33_7 Depth=1
	s_mov_b64 s[36:37], 0
                                        ; implicit-def: $vgpr37
	s_mov_b64 s[38:39], exec
	v_readlane_b32 s40, v52, 37
	v_readlane_b32 s41, v52, 38
	s_and_b64 s[40:41], s[38:39], s[40:41]
	s_mov_b64 exec, s[40:41]
	s_cbranch_execz .LBB33_127
; %bb.119:                              ;   in Loop: Header=BB33_7 Depth=1
	v_mov_b32_e32 v2, v6
	v_mov_b32_e32 v17, v0
                                        ; implicit-def: $sgpr40_sgpr41
	s_branch .LBB33_122
.LBB33_120:                             ;   in Loop: Header=BB33_122 Depth=2
	s_or_b64 exec, exec, s[42:43]
	s_waitcnt lgkmcnt(0)
	s_barrier
	ds_read_b32 v3, v9 offset:3072
	s_mov_b64 s[42:43], -1
	s_waitcnt lgkmcnt(0)
	s_barrier
	v_cmp_ne_u32_sdwa s[44:45], v3, v9 src0_sel:WORD_0 src1_sel:DWORD
	s_and_b64 vcc, exec, s[44:45]
	s_mov_b64 s[44:45], -1
	s_cbranch_vccz .LBB33_125
.LBB33_121:                             ;   in Loop: Header=BB33_122 Depth=2
	s_and_b64 s[42:43], exec, s[42:43]
	s_or_b64 s[34:35], s[42:43], s[34:35]
	s_andn2_b64 s[40:41], s[40:41], exec
	s_and_b64 s[42:43], s[44:45], exec
	s_or_b64 s[40:41], s[40:41], s[42:43]
	s_andn2_b64 exec, exec, s[34:35]
	s_cbranch_execz .LBB33_126
.LBB33_122:                             ;   Parent Loop BB33_7 Depth=1
                                        ; =>  This Inner Loop Header: Depth=2
	v_cmp_gt_i32_e32 vcc, s60, v17
	s_and_saveexec_b64 s[42:43], vcc
	s_cbranch_execz .LBB33_120
; %bb.123:                              ;   in Loop: Header=BB33_122 Depth=2
	v_ashrrev_i32_e32 v3, 31, v2
	v_lshl_add_u64 v[18:19], v[2:3], 1, s[72:73]
	global_load_ushort v3, v[18:19], off
	s_waitcnt vmcnt(0)
	v_add_u32_sdwa v18, sext(v3), s61 dst_sel:DWORD dst_unused:UNUSED_PAD src0_sel:WORD_0 src1_sel:DWORD
	v_and_b32_e32 v18, v18, v36
	v_cmp_eq_u32_e32 vcc, v18, v29
	s_and_b64 exec, exec, vcc
	s_cbranch_execz .LBB33_120
; %bb.124:                              ;   in Loop: Header=BB33_122 Depth=2
	v_perm_b32 v3, v3, 1, v35
	ds_write_b32 v9, v3 offset:3072
	s_branch .LBB33_120
.LBB33_125:                             ;   in Loop: Header=BB33_122 Depth=2
	v_add_u32_e32 v17, s62, v17
	v_cmp_le_i32_e32 vcc, s9, v17
	v_add_u32_e32 v2, s75, v2
	s_mov_b64 s[44:45], 0
	s_orn2_b64 s[42:43], vcc, exec
	s_branch .LBB33_121
.LBB33_126:                             ;   in Loop: Header=BB33_7 Depth=1
	s_or_b64 exec, exec, s[34:35]
	v_lshrrev_b32_e32 v37, 16, v3
	s_and_b64 s[34:35], s[40:41], exec
.LBB33_127:                             ;   in Loop: Header=BB33_7 Depth=1
	s_or_b64 exec, exec, s[38:39]
.LBB33_128:                             ;   in Loop: Header=BB33_7 Depth=1
	s_and_b64 vcc, exec, s[36:37]
	s_cbranch_vccz .LBB33_139
; %bb.129:                              ;   in Loop: Header=BB33_7 Depth=1
	s_add_i32 s42, s17, s33
	s_abs_i32 s25, s42
	s_mul_hi_u32 s26, s25, s8
	s_mul_i32 s26, s26, s62
	s_sub_i32 s25, s25, s26
	s_ashr_i32 s24, s42, 31
	s_sub_i32 s26, s25, s62
	s_cmp_ge_u32 s25, s62
	s_cselect_b32 s25, s26, s25
	s_sub_i32 s26, s25, s62
	s_cmp_ge_u32 s25, s62
	s_cselect_b32 s25, s26, s25
	s_xor_b32 s25, s25, s24
	s_sub_i32 s24, s24, s25
	s_add_i32 s42, s42, s24
	v_cmp_gt_i32_e32 vcc, s42, v0
                                        ; implicit-def: $vgpr37
	s_and_saveexec_b64 s[24:25], vcc
	s_cbranch_execz .LBB33_138
; %bb.130:                              ;   in Loop: Header=BB33_7 Depth=1
	s_mov_b64 s[26:27], 0
	v_mov_b32_e32 v2, v21
	v_mov_b32_e32 v3, v0
                                        ; implicit-def: $sgpr36_sgpr37
	s_branch .LBB33_133
.LBB33_131:                             ;   in Loop: Header=BB33_133 Depth=2
	s_or_b64 exec, exec, s[38:39]
	s_waitcnt lgkmcnt(0)
	s_barrier
	ds_read_b32 v17, v9 offset:3072
	s_mov_b64 s[38:39], -1
	s_waitcnt lgkmcnt(0)
	s_barrier
	v_cmp_eq_u32_sdwa s[40:41], v17, v9 src0_sel:WORD_0 src1_sel:DWORD
	s_and_b64 vcc, exec, s[40:41]
	s_mov_b64 s[40:41], -1
	s_cbranch_vccnz .LBB33_136
.LBB33_132:                             ;   in Loop: Header=BB33_133 Depth=2
	s_and_b64 s[38:39], exec, s[38:39]
	s_or_b64 s[26:27], s[38:39], s[26:27]
	s_andn2_b64 s[36:37], s[36:37], exec
	s_and_b64 s[38:39], s[40:41], exec
	s_or_b64 s[36:37], s[36:37], s[38:39]
	s_andn2_b64 exec, exec, s[26:27]
	s_cbranch_execz .LBB33_137
.LBB33_133:                             ;   Parent Loop BB33_7 Depth=1
                                        ; =>  This Inner Loop Header: Depth=2
	v_cmp_gt_i32_e32 vcc, s17, v3
	s_and_saveexec_b64 s[38:39], vcc
	s_cbranch_execz .LBB33_131
; %bb.134:                              ;   in Loop: Header=BB33_133 Depth=2
	ds_read_u16 v17, v2
	s_waitcnt lgkmcnt(0)
	v_add_u32_sdwa v18, sext(v17), s61 dst_sel:DWORD dst_unused:UNUSED_PAD src0_sel:WORD_0 src1_sel:DWORD
	v_and_b32_e32 v18, v18, v36
	v_cmp_eq_u32_e32 vcc, v18, v29
	s_and_b64 exec, exec, vcc
	s_cbranch_execz .LBB33_131
; %bb.135:                              ;   in Loop: Header=BB33_133 Depth=2
	v_perm_b32 v17, v17, 1, v35
	ds_write_b32 v9, v17 offset:3072
	s_branch .LBB33_131
.LBB33_136:                             ;   in Loop: Header=BB33_133 Depth=2
	v_add_u32_e32 v3, s62, v3
	v_cmp_le_i32_e32 vcc, s42, v3
	v_add_u32_e32 v2, s82, v2
	s_mov_b64 s[40:41], 0
	s_orn2_b64 s[38:39], vcc, exec
	s_branch .LBB33_132
.LBB33_137:                             ;   in Loop: Header=BB33_7 Depth=1
	s_or_b64 exec, exec, s[26:27]
	s_andn2_b64 s[26:27], s[34:35], exec
	s_and_b64 s[34:35], s[36:37], exec
	v_lshrrev_b32_e32 v37, 16, v17
	s_or_b64 s[34:35], s[26:27], s[34:35]
.LBB33_138:                             ;   in Loop: Header=BB33_7 Depth=1
	s_or_b64 exec, exec, s[24:25]
	s_mov_b64 s[24:25], 0
	s_mov_b64 s[26:27], -1
.LBB33_139:                             ;   in Loop: Header=BB33_7 Depth=1
	s_orn2_b64 s[34:35], s[34:35], exec
.LBB33_140:                             ;   in Loop: Header=BB33_7 Depth=1
	s_or_b64 exec, exec, s[28:29]
	s_mov_b64 s[36:37], 0
	s_and_saveexec_b64 s[28:29], s[34:35]
	s_cbranch_execz .LBB33_229
; %bb.141:                              ;   in Loop: Header=BB33_7 Depth=1
	s_xor_b64 s[34:35], s[30:31], -1
	s_mov_b64 s[40:41], 0
	v_mov_b32_e32 v17, 1
	v_mov_b32_e32 v5, 1
	s_and_saveexec_b64 s[30:31], s[34:35]
	s_cbranch_execz .LBB33_150
; %bb.142:                              ;   in Loop: Header=BB33_7 Depth=1
	v_cmp_ge_i32_e32 vcc, s16, v16
	s_and_saveexec_b64 s[34:35], vcc
	s_xor_b64 s[34:35], exec, s[34:35]
	s_cbranch_execz .LBB33_147
; %bb.143:                              ;   in Loop: Header=BB33_7 Depth=1
	ds_read_b32 v2, v9 offset:4096
	v_and_b32_e32 v3, v29, v8
	v_lshl_or_b32 v29, 1, v34, v3
	v_or_b32_e32 v36, v36, v4
	s_waitcnt lgkmcnt(0)
	v_cmp_ne_u32_e32 vcc, 0, v2
	s_cbranch_vccnz .LBB33_147
; %bb.144:                              ;   in Loop: Header=BB33_7 Depth=1
	s_and_saveexec_b64 s[36:37], s[0:1]
; %bb.145:                              ;   in Loop: Header=BB33_7 Depth=1
	v_mov_b32_e32 v2, s16
	ds_write_b32 v9, v2 offset:4100
; %bb.146:                              ;   in Loop: Header=BB33_7 Depth=1
	s_or_b64 exec, exec, s[36:37]
	s_waitcnt lgkmcnt(0)
	s_barrier
.LBB33_147:                             ;   in Loop: Header=BB33_7 Depth=1
	s_or_saveexec_b64 s[34:35], s[34:35]
	s_mov_b64 s[36:37], 0
	v_mov_b32_e32 v5, 8
	s_xor_b64 exec, exec, s[34:35]
; %bb.148:                              ;   in Loop: Header=BB33_7 Depth=1
	s_mov_b64 s[36:37], exec
	v_subrev_u32_e32 v16, s16, v16
	v_mov_b32_e32 v5, 0
; %bb.149:                              ;   in Loop: Header=BB33_7 Depth=1
	s_or_b64 exec, exec, s[34:35]
	s_and_b64 s[40:41], s[36:37], exec
	v_mov_b32_e32 v17, v16
.LBB33_150:                             ;   in Loop: Header=BB33_7 Depth=1
	s_or_b64 exec, exec, s[30:31]
	s_mov_b64 s[38:39], -1
                                        ; implicit-def: $sgpr34_sgpr35
                                        ; implicit-def: $sgpr36_sgpr37
	s_and_saveexec_b64 s[30:31], s[40:41]
	s_cbranch_execz .LBB33_228
; %bb.151:                              ;   in Loop: Header=BB33_7 Depth=1
	s_cmp_eq_u32 s54, 1
	s_cselect_b64 s[16:17], -1, 0
	v_cmp_eq_u32_e32 vcc, 1, v17
	s_and_b64 s[40:41], s[16:17], vcc
	s_mov_b64 s[42:43], -1
                                        ; implicit-def: $sgpr36_sgpr37
                                        ; implicit-def: $sgpr34_sgpr35
	s_and_saveexec_b64 s[38:39], s[40:41]
	s_cbranch_execz .LBB33_177
; %bb.152:                              ;   in Loop: Header=BB33_7 Depth=1
	ds_read_b32 v2, v9 offset:4096
	s_waitcnt lgkmcnt(0)
	s_barrier
	v_readfirstlane_b32 s16, v2
	s_and_saveexec_b64 s[34:35], s[4:5]
; %bb.153:                              ;   in Loop: Header=BB33_7 Depth=1
	ds_write_b16 v22, v9
; %bb.154:                              ;   in Loop: Header=BB33_7 Depth=1
	s_or_b64 exec, exec, s[34:35]
	v_and_b32_e32 v2, v29, v8
	v_lshl_or_b32 v29, 2, v34, v2
	v_or_b32_e32 v36, v36, v4
	s_mov_b64 s[34:35], -1
	s_mov_b64 s[36:37], 0
	s_cmp_gt_i32 s16, 0
	s_mov_b64 s[42:43], 0
	s_mov_b64 s[44:45], -1
	s_waitcnt lgkmcnt(0)
	s_barrier
                                        ; implicit-def: $vgpr37
	s_cbranch_scc1 .LBB33_165
; %bb.155:                              ;   in Loop: Header=BB33_7 Depth=1
	s_mov_b64 s[44:45], 0
                                        ; implicit-def: $vgpr37
	s_mov_b64 s[46:47], exec
	v_readlane_b32 s48, v52, 37
	v_readlane_b32 s49, v52, 38
	s_and_b64 s[48:49], s[46:47], s[48:49]
	s_mov_b64 exec, s[48:49]
	s_cbranch_execz .LBB33_164
; %bb.156:                              ;   in Loop: Header=BB33_7 Depth=1
	v_mov_b32_e32 v2, v6
	v_mov_b32_e32 v16, v0
                                        ; implicit-def: $sgpr48_sgpr49
	s_branch .LBB33_159
.LBB33_157:                             ;   in Loop: Header=BB33_159 Depth=2
	s_or_b64 exec, exec, s[50:51]
	s_waitcnt lgkmcnt(0)
	s_barrier
	ds_read_b32 v3, v9 offset:3072
	s_mov_b64 s[50:51], -1
	s_waitcnt lgkmcnt(0)
	s_barrier
	v_cmp_ne_u32_sdwa s[52:53], v3, v9 src0_sel:WORD_0 src1_sel:DWORD
	s_and_b64 vcc, exec, s[52:53]
	s_mov_b64 s[52:53], -1
	s_cbranch_vccz .LBB33_162
.LBB33_158:                             ;   in Loop: Header=BB33_159 Depth=2
	s_and_b64 s[50:51], exec, s[50:51]
	s_or_b64 s[42:43], s[50:51], s[42:43]
	s_andn2_b64 s[48:49], s[48:49], exec
	s_and_b64 s[50:51], s[52:53], exec
	s_or_b64 s[48:49], s[48:49], s[50:51]
	s_andn2_b64 exec, exec, s[42:43]
	s_cbranch_execz .LBB33_163
.LBB33_159:                             ;   Parent Loop BB33_7 Depth=1
                                        ; =>  This Inner Loop Header: Depth=2
	v_cmp_gt_i32_e32 vcc, s60, v16
	s_and_saveexec_b64 s[50:51], vcc
	s_cbranch_execz .LBB33_157
; %bb.160:                              ;   in Loop: Header=BB33_159 Depth=2
	v_ashrrev_i32_e32 v3, 31, v2
	v_lshl_add_u64 v[18:19], v[2:3], 1, s[72:73]
	global_load_ushort v3, v[18:19], off
	s_waitcnt vmcnt(0)
	v_add_u32_sdwa v18, sext(v3), s61 dst_sel:DWORD dst_unused:UNUSED_PAD src0_sel:WORD_0 src1_sel:DWORD
	v_and_b32_e32 v18, v18, v36
	v_cmp_eq_u32_e32 vcc, v18, v29
	s_and_b64 exec, exec, vcc
	s_cbranch_execz .LBB33_157
; %bb.161:                              ;   in Loop: Header=BB33_159 Depth=2
	v_perm_b32 v3, v3, 1, v35
	ds_write_b32 v9, v3 offset:3072
	s_branch .LBB33_157
.LBB33_162:                             ;   in Loop: Header=BB33_159 Depth=2
	v_add_u32_e32 v16, s62, v16
	v_cmp_le_i32_e32 vcc, s9, v16
	v_add_u32_e32 v2, s75, v2
	s_mov_b64 s[52:53], 0
	s_orn2_b64 s[50:51], vcc, exec
	s_branch .LBB33_158
.LBB33_163:                             ;   in Loop: Header=BB33_7 Depth=1
	s_or_b64 exec, exec, s[42:43]
	v_lshrrev_b32_e32 v37, 16, v3
	s_and_b64 s[42:43], s[48:49], exec
.LBB33_164:                             ;   in Loop: Header=BB33_7 Depth=1
	s_or_b64 exec, exec, s[46:47]
.LBB33_165:                             ;   in Loop: Header=BB33_7 Depth=1
	s_and_b64 vcc, exec, s[44:45]
	s_cbranch_vccz .LBB33_176
; %bb.166:                              ;   in Loop: Header=BB33_7 Depth=1
	s_add_i32 s17, s16, s33
	s_abs_i32 s35, s17
	s_mul_hi_u32 s36, s35, s8
	s_mul_i32 s36, s36, s62
	s_sub_i32 s35, s35, s36
	s_ashr_i32 s34, s17, 31
	s_sub_i32 s36, s35, s62
	s_cmp_ge_u32 s35, s62
	s_cselect_b32 s35, s36, s35
	s_sub_i32 s36, s35, s62
	s_cmp_ge_u32 s35, s62
	s_cselect_b32 s35, s36, s35
	s_xor_b32 s35, s35, s34
	s_sub_i32 s34, s34, s35
	s_add_i32 s17, s17, s34
	v_cmp_gt_i32_e32 vcc, s17, v0
                                        ; implicit-def: $vgpr37
	s_and_saveexec_b64 s[34:35], vcc
	s_cbranch_execz .LBB33_175
; %bb.167:                              ;   in Loop: Header=BB33_7 Depth=1
	s_mov_b64 s[36:37], 0
	v_mov_b32_e32 v2, v21
	v_mov_b32_e32 v3, v0
                                        ; implicit-def: $sgpr44_sgpr45
	s_branch .LBB33_170
.LBB33_168:                             ;   in Loop: Header=BB33_170 Depth=2
	s_or_b64 exec, exec, s[46:47]
	s_waitcnt lgkmcnt(0)
	s_barrier
	ds_read_b32 v16, v9 offset:3072
	s_mov_b64 s[46:47], -1
	s_waitcnt lgkmcnt(0)
	s_barrier
	v_cmp_eq_u32_sdwa s[48:49], v16, v9 src0_sel:WORD_0 src1_sel:DWORD
	s_and_b64 vcc, exec, s[48:49]
	s_mov_b64 s[48:49], -1
	s_cbranch_vccnz .LBB33_173
.LBB33_169:                             ;   in Loop: Header=BB33_170 Depth=2
	s_and_b64 s[46:47], exec, s[46:47]
	s_or_b64 s[36:37], s[46:47], s[36:37]
	s_andn2_b64 s[44:45], s[44:45], exec
	s_and_b64 s[46:47], s[48:49], exec
	s_or_b64 s[44:45], s[44:45], s[46:47]
	s_andn2_b64 exec, exec, s[36:37]
	s_cbranch_execz .LBB33_174
.LBB33_170:                             ;   Parent Loop BB33_7 Depth=1
                                        ; =>  This Inner Loop Header: Depth=2
	v_cmp_gt_i32_e32 vcc, s16, v3
	s_and_saveexec_b64 s[46:47], vcc
	s_cbranch_execz .LBB33_168
; %bb.171:                              ;   in Loop: Header=BB33_170 Depth=2
	ds_read_u16 v16, v2
	s_waitcnt lgkmcnt(0)
	v_add_u32_sdwa v18, sext(v16), s61 dst_sel:DWORD dst_unused:UNUSED_PAD src0_sel:WORD_0 src1_sel:DWORD
	v_and_b32_e32 v18, v18, v36
	v_cmp_eq_u32_e32 vcc, v18, v29
	s_and_b64 exec, exec, vcc
	s_cbranch_execz .LBB33_168
; %bb.172:                              ;   in Loop: Header=BB33_170 Depth=2
	v_perm_b32 v16, v16, 1, v35
	ds_write_b32 v9, v16 offset:3072
	s_branch .LBB33_168
.LBB33_173:                             ;   in Loop: Header=BB33_170 Depth=2
	v_add_u32_e32 v3, s62, v3
	v_cmp_le_i32_e32 vcc, s17, v3
	v_add_u32_e32 v2, s82, v2
	s_mov_b64 s[48:49], 0
	s_orn2_b64 s[46:47], vcc, exec
	s_branch .LBB33_169
.LBB33_174:                             ;   in Loop: Header=BB33_7 Depth=1
	s_or_b64 exec, exec, s[36:37]
	s_andn2_b64 s[16:17], s[42:43], exec
	s_and_b64 s[36:37], s[44:45], exec
	v_lshrrev_b32_e32 v37, 16, v16
	s_or_b64 s[42:43], s[16:17], s[36:37]
.LBB33_175:                             ;   in Loop: Header=BB33_7 Depth=1
	s_or_b64 exec, exec, s[34:35]
	s_mov_b64 s[34:35], 0
	s_mov_b64 s[36:37], -1
.LBB33_176:                             ;   in Loop: Header=BB33_7 Depth=1
	s_orn2_b64 s[42:43], s[42:43], exec
.LBB33_177:                             ;   in Loop: Header=BB33_7 Depth=1
	s_or_b64 exec, exec, s[38:39]
	s_mov_b64 s[44:45], 0
	s_and_saveexec_b64 s[38:39], s[42:43]
	s_cbranch_execz .LBB33_227
; %bb.178:                              ;   in Loop: Header=BB33_7 Depth=1
	s_xor_b64 s[16:17], s[40:41], -1
	s_mov_b64 s[48:49], 0
	v_mov_b32_e32 v16, 1
	v_mov_b32_e32 v5, 1
	s_and_saveexec_b64 s[40:41], s[16:17]
	s_cbranch_execz .LBB33_187
; %bb.179:                              ;   in Loop: Header=BB33_7 Depth=1
	v_cmp_ge_i32_e32 vcc, s54, v17
	s_and_saveexec_b64 s[16:17], vcc
	s_xor_b64 s[42:43], exec, s[16:17]
	s_cbranch_execz .LBB33_184
; %bb.180:                              ;   in Loop: Header=BB33_7 Depth=1
	ds_read_b32 v2, v9 offset:4096
	v_and_b32_e32 v3, v29, v8
	v_lshl_or_b32 v29, 2, v34, v3
	v_or_b32_e32 v36, v36, v4
	s_waitcnt lgkmcnt(0)
	v_cmp_ne_u32_e32 vcc, 0, v2
	s_cbranch_vccnz .LBB33_184
; %bb.181:                              ;   in Loop: Header=BB33_7 Depth=1
	s_and_saveexec_b64 s[44:45], s[0:1]
; %bb.182:                              ;   in Loop: Header=BB33_7 Depth=1
	v_mov_b32_e32 v2, s54
	ds_write_b32 v9, v2 offset:4100
; %bb.183:                              ;   in Loop: Header=BB33_7 Depth=1
	s_or_b64 exec, exec, s[44:45]
	s_waitcnt lgkmcnt(0)
	s_barrier
.LBB33_184:                             ;   in Loop: Header=BB33_7 Depth=1
	s_or_saveexec_b64 s[42:43], s[42:43]
	s_mov_b64 s[44:45], 0
	v_mov_b32_e32 v5, 8
	s_xor_b64 exec, exec, s[42:43]
; %bb.185:                              ;   in Loop: Header=BB33_7 Depth=1
	s_mov_b64 s[44:45], exec
	v_subrev_u32_e32 v17, s54, v17
	v_mov_b32_e32 v5, 0
; %bb.186:                              ;   in Loop: Header=BB33_7 Depth=1
	s_or_b64 exec, exec, s[42:43]
	s_and_b64 s[48:49], s[44:45], exec
	v_mov_b32_e32 v16, v17
.LBB33_187:                             ;   in Loop: Header=BB33_7 Depth=1
	s_or_b64 exec, exec, s[40:41]
	s_mov_b64 s[42:43], -1
                                        ; implicit-def: $sgpr46_sgpr47
                                        ; implicit-def: $sgpr44_sgpr45
	s_and_saveexec_b64 s[40:41], s[48:49]
	s_cbranch_execz .LBB33_226
; %bb.188:                              ;   in Loop: Header=BB33_7 Depth=1
	s_cmp_eq_u32 s86, 1
	s_cselect_b64 s[16:17], -1, 0
	v_cmp_eq_u32_e32 vcc, 1, v16
	s_and_b64 s[42:43], s[16:17], vcc
	s_mov_b64 s[50:51], -1
                                        ; implicit-def: $sgpr46_sgpr47
                                        ; implicit-def: $sgpr44_sgpr45
	s_and_saveexec_b64 s[48:49], s[42:43]
	s_cbranch_execz .LBB33_214
; %bb.189:                              ;   in Loop: Header=BB33_7 Depth=1
	ds_read_b32 v2, v9 offset:4096
	s_waitcnt lgkmcnt(0)
	s_barrier
	v_readfirstlane_b32 s16, v2
	s_and_saveexec_b64 s[44:45], s[4:5]
; %bb.190:                              ;   in Loop: Header=BB33_7 Depth=1
	ds_write_b16 v22, v9
; %bb.191:                              ;   in Loop: Header=BB33_7 Depth=1
	s_or_b64 exec, exec, s[44:45]
	v_or_b32_e32 v29, v29, v4
	v_or_b32_e32 v36, v36, v4
	s_mov_b64 s[44:45], -1
	s_mov_b64 s[46:47], 0
	s_cmp_gt_i32 s16, 0
	s_mov_b64 s[50:51], 0
	s_mov_b64 s[52:53], -1
	s_waitcnt lgkmcnt(0)
	s_barrier
                                        ; implicit-def: $vgpr37
	s_cbranch_scc1 .LBB33_202
; %bb.192:                              ;   in Loop: Header=BB33_7 Depth=1
	s_mov_b64 s[52:53], 0
                                        ; implicit-def: $vgpr37
	s_mov_b64 s[54:55], exec
	v_readlane_b32 s56, v52, 37
	v_readlane_b32 s57, v52, 38
	s_and_b64 s[56:57], s[54:55], s[56:57]
	s_mov_b64 exec, s[56:57]
	s_cbranch_execz .LBB33_201
; %bb.193:                              ;   in Loop: Header=BB33_7 Depth=1
	v_mov_b32_e32 v2, v6
	v_mov_b32_e32 v8, v0
                                        ; implicit-def: $sgpr56_sgpr57
	s_branch .LBB33_196
.LBB33_194:                             ;   in Loop: Header=BB33_196 Depth=2
	s_or_b64 exec, exec, s[58:59]
	s_waitcnt lgkmcnt(0)
	s_barrier
	ds_read_b32 v3, v9 offset:3072
	s_mov_b64 s[58:59], -1
	s_waitcnt lgkmcnt(0)
	s_barrier
	v_cmp_ne_u32_sdwa s[70:71], v3, v9 src0_sel:WORD_0 src1_sel:DWORD
	s_and_b64 vcc, exec, s[70:71]
	s_mov_b64 s[70:71], -1
	s_cbranch_vccz .LBB33_199
.LBB33_195:                             ;   in Loop: Header=BB33_196 Depth=2
	s_and_b64 s[58:59], exec, s[58:59]
	s_or_b64 s[50:51], s[58:59], s[50:51]
	s_andn2_b64 s[56:57], s[56:57], exec
	s_and_b64 s[58:59], s[70:71], exec
	s_or_b64 s[56:57], s[56:57], s[58:59]
	s_andn2_b64 exec, exec, s[50:51]
	s_cbranch_execz .LBB33_200
.LBB33_196:                             ;   Parent Loop BB33_7 Depth=1
                                        ; =>  This Inner Loop Header: Depth=2
	v_cmp_gt_i32_e32 vcc, s60, v8
	s_and_saveexec_b64 s[58:59], vcc
	s_cbranch_execz .LBB33_194
; %bb.197:                              ;   in Loop: Header=BB33_196 Depth=2
	v_ashrrev_i32_e32 v3, 31, v2
	v_lshl_add_u64 v[18:19], v[2:3], 1, s[72:73]
	global_load_ushort v3, v[18:19], off
	s_waitcnt vmcnt(0)
	v_add_u32_sdwa v17, sext(v3), s61 dst_sel:DWORD dst_unused:UNUSED_PAD src0_sel:WORD_0 src1_sel:DWORD
	v_and_b32_e32 v17, v17, v36
	v_cmp_eq_u32_e32 vcc, v17, v29
	s_and_b64 exec, exec, vcc
	s_cbranch_execz .LBB33_194
; %bb.198:                              ;   in Loop: Header=BB33_196 Depth=2
	v_perm_b32 v3, v3, 1, v35
	ds_write_b32 v9, v3 offset:3072
	s_branch .LBB33_194
.LBB33_199:                             ;   in Loop: Header=BB33_196 Depth=2
	v_add_u32_e32 v8, s62, v8
	v_cmp_le_i32_e32 vcc, s9, v8
	v_add_u32_e32 v2, s75, v2
	s_mov_b64 s[70:71], 0
	s_orn2_b64 s[58:59], vcc, exec
	s_branch .LBB33_195
.LBB33_200:                             ;   in Loop: Header=BB33_7 Depth=1
	s_or_b64 exec, exec, s[50:51]
	v_lshrrev_b32_e32 v37, 16, v3
	s_and_b64 s[50:51], s[56:57], exec
.LBB33_201:                             ;   in Loop: Header=BB33_7 Depth=1
	s_or_b64 exec, exec, s[54:55]
.LBB33_202:                             ;   in Loop: Header=BB33_7 Depth=1
	s_and_b64 vcc, exec, s[52:53]
	s_cbranch_vccz .LBB33_213
; %bb.203:                              ;   in Loop: Header=BB33_7 Depth=1
	s_add_i32 s17, s16, s33
	s_abs_i32 s45, s17
	s_mul_hi_u32 s46, s45, s8
	s_mul_i32 s46, s46, s62
	s_sub_i32 s45, s45, s46
	s_ashr_i32 s44, s17, 31
	s_sub_i32 s46, s45, s62
	s_cmp_ge_u32 s45, s62
	s_cselect_b32 s45, s46, s45
	s_sub_i32 s46, s45, s62
	s_cmp_ge_u32 s45, s62
	s_cselect_b32 s45, s46, s45
	s_xor_b32 s45, s45, s44
	s_sub_i32 s44, s44, s45
	s_add_i32 s17, s17, s44
	v_cmp_gt_i32_e32 vcc, s17, v0
                                        ; implicit-def: $vgpr37
	s_and_saveexec_b64 s[44:45], vcc
	s_cbranch_execz .LBB33_212
; %bb.204:                              ;   in Loop: Header=BB33_7 Depth=1
	s_mov_b64 s[46:47], 0
	v_mov_b32_e32 v2, v21
	v_mov_b32_e32 v3, v0
                                        ; implicit-def: $sgpr52_sgpr53
	s_branch .LBB33_207
.LBB33_205:                             ;   in Loop: Header=BB33_207 Depth=2
	s_or_b64 exec, exec, s[54:55]
	s_waitcnt lgkmcnt(0)
	s_barrier
	ds_read_b32 v8, v9 offset:3072
	s_mov_b64 s[54:55], -1
	s_waitcnt lgkmcnt(0)
	s_barrier
	v_cmp_eq_u32_sdwa s[56:57], v8, v9 src0_sel:WORD_0 src1_sel:DWORD
	s_and_b64 vcc, exec, s[56:57]
	s_mov_b64 s[56:57], -1
	s_cbranch_vccnz .LBB33_210
.LBB33_206:                             ;   in Loop: Header=BB33_207 Depth=2
	s_and_b64 s[54:55], exec, s[54:55]
	s_or_b64 s[46:47], s[54:55], s[46:47]
	s_andn2_b64 s[52:53], s[52:53], exec
	s_and_b64 s[54:55], s[56:57], exec
	s_or_b64 s[52:53], s[52:53], s[54:55]
	s_andn2_b64 exec, exec, s[46:47]
	s_cbranch_execz .LBB33_211
.LBB33_207:                             ;   Parent Loop BB33_7 Depth=1
                                        ; =>  This Inner Loop Header: Depth=2
	v_cmp_gt_i32_e32 vcc, s16, v3
	s_and_saveexec_b64 s[54:55], vcc
	s_cbranch_execz .LBB33_205
; %bb.208:                              ;   in Loop: Header=BB33_207 Depth=2
	ds_read_u16 v8, v2
	s_waitcnt lgkmcnt(0)
	v_add_u32_sdwa v17, sext(v8), s61 dst_sel:DWORD dst_unused:UNUSED_PAD src0_sel:WORD_0 src1_sel:DWORD
	v_and_b32_e32 v17, v17, v36
	v_cmp_eq_u32_e32 vcc, v17, v29
	s_and_b64 exec, exec, vcc
	s_cbranch_execz .LBB33_205
; %bb.209:                              ;   in Loop: Header=BB33_207 Depth=2
	v_perm_b32 v8, v8, 1, v35
	ds_write_b32 v9, v8 offset:3072
	s_branch .LBB33_205
.LBB33_210:                             ;   in Loop: Header=BB33_207 Depth=2
	v_add_u32_e32 v3, s62, v3
	v_cmp_le_i32_e32 vcc, s17, v3
	v_add_u32_e32 v2, s82, v2
	s_mov_b64 s[56:57], 0
	s_orn2_b64 s[54:55], vcc, exec
	s_branch .LBB33_206
.LBB33_211:                             ;   in Loop: Header=BB33_7 Depth=1
	s_or_b64 exec, exec, s[46:47]
	s_andn2_b64 s[16:17], s[50:51], exec
	s_and_b64 s[46:47], s[52:53], exec
	v_lshrrev_b32_e32 v37, 16, v8
	s_or_b64 s[50:51], s[16:17], s[46:47]
.LBB33_212:                             ;   in Loop: Header=BB33_7 Depth=1
	s_or_b64 exec, exec, s[44:45]
	s_mov_b64 s[44:45], 0
	s_mov_b64 s[46:47], -1
.LBB33_213:                             ;   in Loop: Header=BB33_7 Depth=1
	s_orn2_b64 s[50:51], s[50:51], exec
.LBB33_214:                             ;   in Loop: Header=BB33_7 Depth=1
	s_or_b64 exec, exec, s[48:49]
	s_mov_b64 s[52:53], 0
	s_and_saveexec_b64 s[48:49], s[50:51]
	s_cbranch_execz .LBB33_225
; %bb.215:                              ;   in Loop: Header=BB33_7 Depth=1
	s_xor_b64 s[16:17], s[42:43], -1
	v_mov_b32_e32 v5, 1
	v_mov_b32_e32 v2, 1
	s_and_saveexec_b64 s[42:43], s[16:17]
	s_cbranch_execz .LBB33_224
; %bb.216:                              ;   in Loop: Header=BB33_7 Depth=1
	v_cmp_ge_i32_e32 vcc, s86, v16
	s_and_saveexec_b64 s[16:17], vcc
	s_xor_b64 s[50:51], exec, s[16:17]
	s_cbranch_execz .LBB33_221
; %bb.217:                              ;   in Loop: Header=BB33_7 Depth=1
	ds_read_b32 v2, v9 offset:4096
	v_or_b32_e32 v29, v29, v4
	v_or_b32_e32 v36, v36, v4
	s_waitcnt lgkmcnt(0)
	v_cmp_ne_u32_e32 vcc, 0, v2
	s_cbranch_vccnz .LBB33_221
; %bb.218:                              ;   in Loop: Header=BB33_7 Depth=1
	s_and_saveexec_b64 s[52:53], s[0:1]
; %bb.219:                              ;   in Loop: Header=BB33_7 Depth=1
	v_mov_b32_e32 v2, s86
	ds_write_b32 v9, v2 offset:4100
; %bb.220:                              ;   in Loop: Header=BB33_7 Depth=1
	s_or_b64 exec, exec, s[52:53]
	s_waitcnt lgkmcnt(0)
	s_barrier
.LBB33_221:                             ;   in Loop: Header=BB33_7 Depth=1
	s_andn2_saveexec_b64 s[50:51], s[50:51]
; %bb.222:                              ;   in Loop: Header=BB33_7 Depth=1
	v_subrev_u32_e32 v16, s86, v16
; %bb.223:                              ;   in Loop: Header=BB33_7 Depth=1
	s_or_b64 exec, exec, s[50:51]
	v_mov_b32_e32 v5, 8
	v_mov_b32_e32 v2, v16
.LBB33_224:                             ;   in Loop: Header=BB33_7 Depth=1
	s_or_b64 exec, exec, s[42:43]
	s_mov_b64 s[52:53], exec
	v_mov_b32_e32 v16, v2
.LBB33_225:                             ;   in Loop: Header=BB33_7 Depth=1
	s_or_b64 exec, exec, s[48:49]
	s_orn2_b64 s[42:43], s[52:53], exec
.LBB33_226:                             ;   in Loop: Header=BB33_7 Depth=1
	s_or_b64 exec, exec, s[40:41]
	s_andn2_b64 s[16:17], s[36:37], exec
	s_and_b64 s[36:37], s[46:47], exec
	s_or_b64 s[36:37], s[16:17], s[36:37]
	s_andn2_b64 s[16:17], s[34:35], exec
	s_and_b64 s[34:35], s[44:45], exec
	s_or_b64 s[34:35], s[16:17], s[34:35]
	s_and_b64 s[44:45], s[42:43], exec
	v_mov_b32_e32 v17, v16
.LBB33_227:                             ;   in Loop: Header=BB33_7 Depth=1
	s_or_b64 exec, exec, s[38:39]
	s_orn2_b64 s[38:39], s[44:45], exec
.LBB33_228:                             ;   in Loop: Header=BB33_7 Depth=1
	s_or_b64 exec, exec, s[30:31]
	s_andn2_b64 s[16:17], s[26:27], exec
	s_and_b64 s[26:27], s[36:37], exec
	s_or_b64 s[26:27], s[16:17], s[26:27]
	s_andn2_b64 s[16:17], s[24:25], exec
	s_and_b64 s[24:25], s[34:35], exec
	s_or_b64 s[24:25], s[16:17], s[24:25]
	s_and_b64 s[36:37], s[38:39], exec
	v_mov_b32_e32 v16, v17
.LBB33_229:                             ;   in Loop: Header=BB33_7 Depth=1
	s_or_b64 exec, exec, s[28:29]
	s_orn2_b64 s[28:29], s[36:37], exec
.LBB33_230:                             ;   in Loop: Header=BB33_7 Depth=1
	s_or_b64 exec, exec, s[22:23]
	s_mov_b64 s[30:31], 0
                                        ; implicit-def: $sgpr34
	s_and_saveexec_b64 s[16:17], s[28:29]
	s_xor_b64 s[22:23], exec, s[16:17]
	s_cbranch_execz .LBB33_5
; %bb.231:                              ;   in Loop: Header=BB33_7 Depth=1
	v_and_b32_e32 v2, 7, v5
	v_cmp_eq_u32_e32 vcc, 0, v2
	s_mov_b64 s[20:21], -1
	s_mov_b64 s[28:29], -1
                                        ; implicit-def: $sgpr34
	s_and_saveexec_b64 s[30:31], vcc
	s_cbranch_execz .LBB33_4
; %bb.232:                              ;   in Loop: Header=BB33_7 Depth=1
	v_add_u32_e32 v2, -2, v34
	v_cmp_eq_u32_e32 vcc, 0, v34
	s_xor_b32 s34, s83, 1
	s_xor_b64 s[28:29], exec, -1
	s_orn2_b64 s[20:21], vcc, exec
	v_mov_b32_e32 v34, v2
	s_branch .LBB33_4
.LBB33_233:
	s_or_b64 exec, exec, s[92:93]
	s_xor_b64 s[8:9], s[98:99], -1
	s_xor_b64 s[2:3], s[94:95], -1
	;; [unrolled: 1-line block ×3, first 2 shown]
	s_mov_b64 s[4:5], 0
	s_and_saveexec_b64 s[10:11], s[2:3]
	s_xor_b64 s[2:3], exec, s[10:11]
	s_cbranch_execnz .LBB33_238
; %bb.234:
	s_andn2_saveexec_b64 s[0:1], s[2:3]
	s_cbranch_execnz .LBB33_258
.LBB33_235:
	s_or_b64 exec, exec, s[0:1]
	s_and_saveexec_b64 s[0:1], s[4:5]
.LBB33_236:
	; divergent unreachable
.LBB33_237:
	s_endpgm
.LBB33_238:
	s_and_saveexec_b64 s[4:5], s[8:9]
	s_xor_b64 s[4:5], exec, s[4:5]
	s_cbranch_execz .LBB33_256
; %bb.239:
	s_and_saveexec_b64 s[8:9], s[6:7]
	s_xor_b64 s[6:7], exec, s[8:9]
; %bb.240:
	v_xor_b32_e32 v37, 0xffff8000, v29
; %bb.241:
	s_or_b64 exec, exec, s[6:7]
	s_and_saveexec_b64 s[6:7], s[0:1]
	v_readlane_b32 s20, v52, 18
	v_readlane_b32 s21, v52, 14
	;; [unrolled: 1-line block ×5, first 2 shown]
; %bb.242:
	v_mov_b32_e32 v1, 0
	v_mov_b32_e32 v2, s60
	ds_write_b32 v1, v2 offset:4108
; %bb.243:
	s_or_b64 exec, exec, s[6:7]
	v_mov_b32_e32 v1, 0
	s_waitcnt lgkmcnt(0)
	s_barrier
	ds_read_b32 v1, v1 offset:4108
	s_waitcnt lgkmcnt(0)
	v_min_i32_e32 v2, s60, v1
	v_cmp_lt_i32_e32 vcc, v0, v2
	s_and_saveexec_b64 s[6:7], vcc
	s_cbranch_execz .LBB33_253
; %bb.244:
	s_mov_b64 s[8:9], 0
                                        ; implicit-def: $sgpr10_sgpr11
                                        ; implicit-def: $sgpr14_sgpr15
                                        ; implicit-def: $sgpr12_sgpr13
	s_branch .LBB33_246
.LBB33_245:                             ;   in Loop: Header=BB33_246 Depth=1
	s_or_b64 exec, exec, s[16:17]
	s_and_b64 s[16:17], exec, s[14:15]
	s_or_b64 s[8:9], s[16:17], s[8:9]
	s_andn2_b64 s[10:11], s[10:11], exec
	s_and_b64 s[16:17], s[12:13], exec
	s_or_b64 s[10:11], s[10:11], s[16:17]
	s_andn2_b64 exec, exec, s[8:9]
	s_cbranch_execz .LBB33_248
.LBB33_246:                             ; =>This Inner Loop Header: Depth=1
	v_ashrrev_i32_e32 v7, 31, v6
	v_lshl_add_u64 v[4:5], v[6:7], 1, s[72:73]
	global_load_ushort v3, v[4:5], off
	v_mov_b32_e32 v1, v0
	s_or_b64 s[12:13], s[12:13], exec
	s_or_b64 s[14:15], s[14:15], exec
                                        ; implicit-def: $vgpr0
	s_waitcnt vmcnt(0)
	v_cmp_ne_u16_e32 vcc, v3, v37
	s_and_saveexec_b64 s[16:17], vcc
	s_cbranch_execz .LBB33_245
; %bb.247:                              ;   in Loop: Header=BB33_246 Depth=1
	v_add_u32_e32 v0, s62, v1
	v_cmp_ge_i32_e32 vcc, v0, v2
	s_andn2_b64 s[14:15], s[14:15], exec
	s_and_b64 s[18:19], vcc, exec
	v_add_u32_e32 v6, s75, v6
	s_andn2_b64 s[12:13], s[12:13], exec
	s_or_b64 s[14:15], s[14:15], s[18:19]
	s_branch .LBB33_245
.LBB33_248:
	s_or_b64 exec, exec, s[8:9]
	s_and_saveexec_b64 s[8:9], s[10:11]
	s_xor_b64 s[8:9], exec, s[8:9]
	s_cbranch_execz .LBB33_253
; %bb.249:
	s_mov_b64 s[8:9], exec
	s_brev_b32 s10, -2
.LBB33_250:                             ; =>This Inner Loop Header: Depth=1
	s_ff1_i32_b64 s11, s[8:9]
	v_readlane_b32 s14, v1, s11
	s_lshl_b64 s[12:13], 1, s11
	s_min_i32 s10, s10, s14
	s_andn2_b64 s[8:9], s[8:9], s[12:13]
	s_cmp_lg_u64 s[8:9], 0
	s_cbranch_scc1 .LBB33_250
; %bb.251:
	v_mbcnt_lo_u32_b32 v0, exec_lo, 0
	v_mbcnt_hi_u32_b32 v0, exec_hi, v0
	v_cmp_eq_u32_e32 vcc, 0, v0
	s_and_saveexec_b64 s[8:9], vcc
	s_xor_b64 s[8:9], exec, s[8:9]
; %bb.252:
	v_mov_b32_e32 v0, 0
	v_mov_b32_e32 v1, s10
	ds_min_i32 v0, v1 offset:4108
.LBB33_253:
	s_or_b64 exec, exec, s[6:7]
	s_waitcnt lgkmcnt(0)
	s_barrier
	s_and_saveexec_b64 s[6:7], s[0:1]
	s_cbranch_execz .LBB33_255
; %bb.254:
	v_readlane_b32 s10, v52, 8
	v_readlane_b32 s11, v52, 9
	s_mul_i32 s1, s11, s10
	v_readlane_b32 s0, v52, 13
	s_sub_i32 s1, s23, s1
	s_xor_b32 s0, s22, s0
	s_add_i32 s8, s11, 1
	s_sub_i32 s9, s1, s10
	s_cmp_ge_u32 s1, s10
	s_cselect_b32 s8, s8, s11
	s_cselect_b32 s1, s9, s1
	s_add_i32 s9, s8, 1
	s_cmp_ge_u32 s1, s10
	s_cselect_b32 s1, s9, s8
	s_xor_b32 s1, s1, s0
	s_sub_i32 s0, s1, s0
	s_mul_i32 s1, s0, s24
	v_readlane_b32 s8, v52, 6
	s_sub_i32 s1, s20, s1
	v_readlane_b32 s9, v52, 7
	v_readlane_b32 s11, v52, 10
	;; [unrolled: 1-line block ×3, first 2 shown]
	s_mul_i32 s1, s1, s9
	s_mul_i32 s0, s0, s8
	;; [unrolled: 1-line block ×3, first 2 shown]
	s_add_i32 s0, s0, s1
	v_readlane_b32 s1, v52, 15
	s_sub_i32 s8, s23, s8
	s_xor_b32 s1, s22, s1
	s_add_i32 s9, s12, 1
	s_sub_i32 s10, s8, s11
	s_cmp_ge_u32 s8, s11
	s_cselect_b32 s9, s9, s12
	s_cselect_b32 s8, s10, s8
	s_add_i32 s10, s9, 1
	s_cmp_ge_u32 s8, s11
	s_cselect_b32 s8, s10, s9
	s_xor_b32 s8, s8, s1
	s_sub_i32 s1, s8, s1
	s_mul_i32 s8, s1, s21
	v_readlane_b32 s10, v52, 2
	s_sub_i32 s8, s20, s8
	v_readlane_b32 s11, v52, 3
	s_mul_i32 s8, s8, s11
	s_mul_i32 s1, s1, s10
	s_add_i32 s8, s1, s8
	s_ashr_i32 s1, s0, 31
	v_mov_b32_e32 v2, 0
	s_lshl_b64 s[0:1], s[0:1], 1
	v_readlane_b32 s10, v52, 0
	ds_read_b32 v0, v2 offset:4108
	v_readlane_b32 s11, v52, 1
	s_add_u32 s0, s10, s0
	s_addc_u32 s1, s11, s1
	s_ashr_i32 s9, s8, 31
	s_lshl_b64 s[8:9], s[8:9], 3
	v_readlane_b32 s10, v52, 4
	v_readlane_b32 s11, v52, 5
	s_add_u32 s8, s10, s8
	s_addc_u32 s9, s11, s9
	s_waitcnt lgkmcnt(0)
	v_ashrrev_i32_e32 v1, 31, v0
	global_store_dwordx2 v2, v[0:1], s[8:9]
	global_store_short v2, v37, s[0:1]
.LBB33_255:
	s_or_b64 exec, exec, s[6:7]
.LBB33_256:
	s_or_saveexec_b64 s[0:1], s[4:5]
	s_mov_b64 s[4:5], 0
	s_xor_b64 exec, exec, s[0:1]
	s_cbranch_execnz .LBB33_259
.LBB33_257:
	s_or_b64 exec, exec, s[0:1]
	s_and_b64 s[4:5], s[4:5], exec
	s_andn2_saveexec_b64 s[0:1], s[2:3]
	s_cbranch_execz .LBB33_235
.LBB33_258:
	s_or_b64 s[4:5], s[4:5], exec
	s_trap 2
	s_or_b64 exec, exec, s[0:1]
	s_and_saveexec_b64 s[0:1], s[4:5]
	s_cbranch_execnz .LBB33_236
	s_branch .LBB33_237
.LBB33_259:
	s_mov_b64 s[4:5], exec
	s_trap 2
	s_branch .LBB33_257
	.section	.rodata,"a",@progbits
	.p2align	6, 0x0
	.amdhsa_kernel _ZN2at6native12_GLOBAL__N_114gatherKthValueIsiLi2EEEvNS_4cuda6detail10TensorInfoIKT_T0_EES8_S8_S8_S8_NS5_IS6_S8_EENS5_IlS8_EE
		.amdhsa_group_segment_fixed_size 4112
		.amdhsa_private_segment_fixed_size 0
		.amdhsa_kernarg_size 920
		.amdhsa_user_sgpr_count 2
		.amdhsa_user_sgpr_dispatch_ptr 0
		.amdhsa_user_sgpr_queue_ptr 0
		.amdhsa_user_sgpr_kernarg_segment_ptr 1
		.amdhsa_user_sgpr_dispatch_id 0
		.amdhsa_user_sgpr_kernarg_preload_length 0
		.amdhsa_user_sgpr_kernarg_preload_offset 0
		.amdhsa_user_sgpr_private_segment_size 0
		.amdhsa_uses_dynamic_stack 0
		.amdhsa_enable_private_segment 0
		.amdhsa_system_sgpr_workgroup_id_x 1
		.amdhsa_system_sgpr_workgroup_id_y 1
		.amdhsa_system_sgpr_workgroup_id_z 1
		.amdhsa_system_sgpr_workgroup_info 0
		.amdhsa_system_vgpr_workitem_id 0
		.amdhsa_next_free_vgpr 53
		.amdhsa_next_free_sgpr 100
		.amdhsa_accum_offset 56
		.amdhsa_reserve_vcc 1
		.amdhsa_float_round_mode_32 0
		.amdhsa_float_round_mode_16_64 0
		.amdhsa_float_denorm_mode_32 3
		.amdhsa_float_denorm_mode_16_64 3
		.amdhsa_dx10_clamp 1
		.amdhsa_ieee_mode 1
		.amdhsa_fp16_overflow 0
		.amdhsa_tg_split 0
		.amdhsa_exception_fp_ieee_invalid_op 0
		.amdhsa_exception_fp_denorm_src 0
		.amdhsa_exception_fp_ieee_div_zero 0
		.amdhsa_exception_fp_ieee_overflow 0
		.amdhsa_exception_fp_ieee_underflow 0
		.amdhsa_exception_fp_ieee_inexact 0
		.amdhsa_exception_int_div_zero 0
	.end_amdhsa_kernel
	.section	.text._ZN2at6native12_GLOBAL__N_114gatherKthValueIsiLi2EEEvNS_4cuda6detail10TensorInfoIKT_T0_EES8_S8_S8_S8_NS5_IS6_S8_EENS5_IlS8_EE,"axG",@progbits,_ZN2at6native12_GLOBAL__N_114gatherKthValueIsiLi2EEEvNS_4cuda6detail10TensorInfoIKT_T0_EES8_S8_S8_S8_NS5_IS6_S8_EENS5_IlS8_EE,comdat
.Lfunc_end33:
	.size	_ZN2at6native12_GLOBAL__N_114gatherKthValueIsiLi2EEEvNS_4cuda6detail10TensorInfoIKT_T0_EES8_S8_S8_S8_NS5_IS6_S8_EENS5_IlS8_EE, .Lfunc_end33-_ZN2at6native12_GLOBAL__N_114gatherKthValueIsiLi2EEEvNS_4cuda6detail10TensorInfoIKT_T0_EES8_S8_S8_S8_NS5_IS6_S8_EENS5_IlS8_EE
                                        ; -- End function
	.set _ZN2at6native12_GLOBAL__N_114gatherKthValueIsiLi2EEEvNS_4cuda6detail10TensorInfoIKT_T0_EES8_S8_S8_S8_NS5_IS6_S8_EENS5_IlS8_EE.num_vgpr, 53
	.set _ZN2at6native12_GLOBAL__N_114gatherKthValueIsiLi2EEEvNS_4cuda6detail10TensorInfoIKT_T0_EES8_S8_S8_S8_NS5_IS6_S8_EENS5_IlS8_EE.num_agpr, 0
	.set _ZN2at6native12_GLOBAL__N_114gatherKthValueIsiLi2EEEvNS_4cuda6detail10TensorInfoIKT_T0_EES8_S8_S8_S8_NS5_IS6_S8_EENS5_IlS8_EE.numbered_sgpr, 100
	.set _ZN2at6native12_GLOBAL__N_114gatherKthValueIsiLi2EEEvNS_4cuda6detail10TensorInfoIKT_T0_EES8_S8_S8_S8_NS5_IS6_S8_EENS5_IlS8_EE.num_named_barrier, 0
	.set _ZN2at6native12_GLOBAL__N_114gatherKthValueIsiLi2EEEvNS_4cuda6detail10TensorInfoIKT_T0_EES8_S8_S8_S8_NS5_IS6_S8_EENS5_IlS8_EE.private_seg_size, 0
	.set _ZN2at6native12_GLOBAL__N_114gatherKthValueIsiLi2EEEvNS_4cuda6detail10TensorInfoIKT_T0_EES8_S8_S8_S8_NS5_IS6_S8_EENS5_IlS8_EE.uses_vcc, 1
	.set _ZN2at6native12_GLOBAL__N_114gatherKthValueIsiLi2EEEvNS_4cuda6detail10TensorInfoIKT_T0_EES8_S8_S8_S8_NS5_IS6_S8_EENS5_IlS8_EE.uses_flat_scratch, 0
	.set _ZN2at6native12_GLOBAL__N_114gatherKthValueIsiLi2EEEvNS_4cuda6detail10TensorInfoIKT_T0_EES8_S8_S8_S8_NS5_IS6_S8_EENS5_IlS8_EE.has_dyn_sized_stack, 0
	.set _ZN2at6native12_GLOBAL__N_114gatherKthValueIsiLi2EEEvNS_4cuda6detail10TensorInfoIKT_T0_EES8_S8_S8_S8_NS5_IS6_S8_EENS5_IlS8_EE.has_recursion, 0
	.set _ZN2at6native12_GLOBAL__N_114gatherKthValueIsiLi2EEEvNS_4cuda6detail10TensorInfoIKT_T0_EES8_S8_S8_S8_NS5_IS6_S8_EENS5_IlS8_EE.has_indirect_call, 0
	.section	.AMDGPU.csdata,"",@progbits
; Kernel info:
; codeLenInByte = 9704
; TotalNumSgprs: 106
; NumVgprs: 53
; NumAgprs: 0
; TotalNumVgprs: 53
; ScratchSize: 0
; MemoryBound: 0
; FloatMode: 240
; IeeeMode: 1
; LDSByteSize: 4112 bytes/workgroup (compile time only)
; SGPRBlocks: 13
; VGPRBlocks: 6
; NumSGPRsForWavesPerEU: 106
; NumVGPRsForWavesPerEU: 53
; AccumOffset: 56
; Occupancy: 7
; WaveLimiterHint : 1
; COMPUTE_PGM_RSRC2:SCRATCH_EN: 0
; COMPUTE_PGM_RSRC2:USER_SGPR: 2
; COMPUTE_PGM_RSRC2:TRAP_HANDLER: 0
; COMPUTE_PGM_RSRC2:TGID_X_EN: 1
; COMPUTE_PGM_RSRC2:TGID_Y_EN: 1
; COMPUTE_PGM_RSRC2:TGID_Z_EN: 1
; COMPUTE_PGM_RSRC2:TIDIG_COMP_CNT: 0
; COMPUTE_PGM_RSRC3_GFX90A:ACCUM_OFFSET: 13
; COMPUTE_PGM_RSRC3_GFX90A:TG_SPLIT: 0
	.section	.text._ZN2at6native12_GLOBAL__N_114gatherKthValueIsiLi3EEEvNS_4cuda6detail10TensorInfoIKT_T0_EES8_S8_S8_S8_NS5_IS6_S8_EENS5_IlS8_EE,"axG",@progbits,_ZN2at6native12_GLOBAL__N_114gatherKthValueIsiLi3EEEvNS_4cuda6detail10TensorInfoIKT_T0_EES8_S8_S8_S8_NS5_IS6_S8_EENS5_IlS8_EE,comdat
	.globl	_ZN2at6native12_GLOBAL__N_114gatherKthValueIsiLi3EEEvNS_4cuda6detail10TensorInfoIKT_T0_EES8_S8_S8_S8_NS5_IS6_S8_EENS5_IlS8_EE ; -- Begin function _ZN2at6native12_GLOBAL__N_114gatherKthValueIsiLi3EEEvNS_4cuda6detail10TensorInfoIKT_T0_EES8_S8_S8_S8_NS5_IS6_S8_EENS5_IlS8_EE
	.p2align	8
	.type	_ZN2at6native12_GLOBAL__N_114gatherKthValueIsiLi3EEEvNS_4cuda6detail10TensorInfoIKT_T0_EES8_S8_S8_S8_NS5_IS6_S8_EENS5_IlS8_EE,@function
_ZN2at6native12_GLOBAL__N_114gatherKthValueIsiLi3EEEvNS_4cuda6detail10TensorInfoIKT_T0_EES8_S8_S8_S8_NS5_IS6_S8_EENS5_IlS8_EE: ; @_ZN2at6native12_GLOBAL__N_114gatherKthValueIsiLi3EEEvNS_4cuda6detail10TensorInfoIKT_T0_EES8_S8_S8_S8_NS5_IS6_S8_EENS5_IlS8_EE
; %bb.0:
	s_load_dwordx2 s[12:13], s[0:1], 0x298
	s_load_dwordx4 s[68:71], s[0:1], 0xd8
	s_add_u32 s10, s0, 0x298
	s_addc_u32 s11, s1, 0
	s_waitcnt lgkmcnt(0)
	s_mul_i32 s4, s13, s4
	s_add_i32 s3, s4, s3
	s_mul_i32 s3, s3, s12
	s_add_i32 s24, s3, s2
	s_cmp_ge_i32 s24, s70
	s_cbranch_scc1 .LBB34_237
; %bb.1:
	s_load_dwordx2 s[8:9], s[0:1], 0xc
	s_load_dwordx2 s[26:27], s[0:1], 0xf4
	s_abs_i32 s5, s24
	s_ashr_i32 s4, s24, 31
	s_load_dwordx4 s[28:31], s[0:1], 0x154
	s_waitcnt lgkmcnt(0)
	s_abs_i32 s3, s9
	v_cvt_f32_u32_e32 v1, s3
	s_sub_i32 s7, 0, s3
	s_ashr_i32 s6, s9, 31
	s_xor_b32 s6, s4, s6
	v_rcp_iflag_f32_e32 v1, v1
                                        ; implicit-def: $vgpr52 : SGPR spill to VGPR lane
                                        ; kill: killed $sgpr0 killed $sgpr1
	v_writelane_b32 v52, s28, 0
	v_mul_f32_e32 v1, 0x4f7ffffe, v1
	v_cvt_u32_f32_e32 v1, v1
	v_writelane_b32 v52, s29, 1
	v_writelane_b32 v52, s30, 2
	;; [unrolled: 1-line block ×3, first 2 shown]
	v_readfirstlane_b32 s13, v1
	s_mul_i32 s7, s7, s13
	s_mul_hi_u32 s7, s13, s7
	s_add_i32 s13, s13, s7
	s_mul_hi_u32 s7, s5, s13
	s_mul_i32 s13, s7, s3
	s_sub_i32 s13, s5, s13
	s_add_i32 s14, s7, 1
	s_sub_i32 s15, s13, s3
	s_cmp_ge_u32 s13, s3
	s_cselect_b32 s7, s14, s7
	s_cselect_b32 s13, s15, s13
	s_add_i32 s14, s7, 1
	s_cmp_ge_u32 s13, s3
	s_cselect_b32 s7, s14, s7
	s_abs_i32 s3, s8
	v_cvt_f32_u32_e32 v1, s3
	s_abs_i32 s15, s27
	v_cvt_f32_u32_e32 v2, s15
	s_xor_b32 s7, s7, s6
	v_rcp_iflag_f32_e32 v1, v1
	s_sub_i32 s16, 0, s3
	v_rcp_iflag_f32_e32 v2, v2
	s_sub_i32 s18, s7, s6
	v_mul_f32_e32 v1, 0x4f7ffffe, v1
	v_cvt_u32_f32_e32 v1, v1
	v_mul_f32_e32 v2, 0x4f7ffffe, v2
	v_cvt_u32_f32_e32 v2, v2
	s_ashr_i32 s14, s27, 31
	v_readfirstlane_b32 s6, v1
	s_mul_i32 s16, s16, s6
	s_mul_hi_u32 s7, s6, s16
	s_add_i32 s16, s6, s7
	s_sub_i32 s6, 0, s15
	v_readfirstlane_b32 s7, v2
	s_mul_i32 s6, s6, s7
	s_mul_hi_u32 s6, s7, s6
	s_add_i32 s7, s7, s6
	s_mul_hi_u32 s6, s5, s7
	s_mul_i32 s7, s6, s15
	s_sub_i32 s7, s5, s7
	s_ashr_i32 s13, s8, 31
	s_xor_b32 s17, s4, s14
	s_ashr_i32 s19, s18, 31
	s_abs_i32 s20, s18
	s_add_i32 s14, s6, 1
	s_sub_i32 s21, s7, s15
	s_cmp_ge_u32 s7, s15
	s_cselect_b32 s6, s14, s6
	s_cselect_b32 s7, s21, s7
	s_add_i32 s14, s6, 1
	s_cmp_ge_u32 s7, s15
	s_cselect_b32 s6, s14, s6
	s_load_dwordx2 s[14:15], s[0:1], 0x0
	s_load_dwordx4 s[28:31], s[0:1], 0x22c
	s_abs_i32 s7, s26
	v_cvt_f32_u32_e32 v1, s7
	s_xor_b32 s6, s6, s17
	s_sub_i32 s25, s6, s17
	s_waitcnt lgkmcnt(0)
	v_writelane_b32 v52, s28, 4
	v_rcp_iflag_f32_e32 v1, v1
	s_nop 0
	v_writelane_b32 v52, s29, 5
	v_writelane_b32 v52, s30, 6
	;; [unrolled: 1-line block ×3, first 2 shown]
	s_load_dwordx2 s[28:29], s[0:1], 0x1cc
	s_load_dwordx2 s[22:23], s[0:1], 0x1c0
	v_mul_f32_e32 v1, 0x4f7ffffe, v1
	v_cvt_u32_f32_e32 v1, v1
	s_waitcnt lgkmcnt(0)
	s_abs_i32 s6, s29
	v_cvt_f32_u32_e32 v2, s6
	v_readfirstlane_b32 s17, v1
	v_writelane_b32 v52, s22, 8
	v_rcp_iflag_f32_e32 v1, v2
	s_nop 0
	v_writelane_b32 v52, s23, 9
	v_writelane_b32 v52, s7, 10
	s_sub_i32 s7, 0, s7
	v_mul_f32_e32 v1, 0x4f7ffffe, v1
	v_cvt_u32_f32_e32 v1, v1
	s_mul_i32 s7, s7, s17
	s_mul_hi_u32 s7, s17, s7
	s_add_i32 s17, s17, s7
	s_ashr_i32 s7, s29, 31
	s_xor_b32 s21, s4, s7
	s_sub_i32 s4, 0, s6
	v_readfirstlane_b32 s7, v1
	s_mul_i32 s4, s4, s7
	s_mul_hi_u32 s4, s7, s4
	s_add_i32 s7, s7, s4
	s_mul_hi_u32 s4, s5, s7
	s_mul_i32 s7, s4, s6
	s_sub_i32 s5, s5, s7
	s_abs_i32 s23, s25
	s_add_i32 s7, s4, 1
	s_sub_i32 s22, s5, s6
	s_cmp_ge_u32 s5, s6
	s_cselect_b32 s4, s7, s4
	s_cselect_b32 s5, s22, s5
	s_add_i32 s7, s4, 1
	s_cmp_ge_u32 s5, s6
	s_cselect_b32 s22, s7, s4
	s_abs_i32 s30, s28
	v_cvt_f32_u32_e32 v1, s30
	s_load_dwordx2 s[4:5], s[0:1], 0xe8
	v_rcp_iflag_f32_e32 v1, v1
	s_waitcnt lgkmcnt(0)
	v_writelane_b32 v52, s4, 11
	v_mul_f32_e32 v1, 0x4f7ffffe, v1
	v_cvt_u32_f32_e32 v1, v1
	v_writelane_b32 v52, s5, 12
	s_load_dwordx4 s[4:7], s[0:1], 0x6c
	v_writelane_b32 v52, s23, 13
	s_mul_hi_u32 s0, s23, s17
	v_writelane_b32 v52, s0, 14
	s_xor_b32 s0, s22, s21
	s_sub_i32 s21, s0, s21
	s_sub_i32 s0, 0, s30
	v_readfirstlane_b32 s1, v1
	s_mul_i32 s0, s0, s1
	s_mul_hi_u32 s0, s1, s0
	s_waitcnt lgkmcnt(0)
	s_mul_hi_u32 s7, s20, s16
	s_abs_i32 s16, s21
	v_writelane_b32 v52, s30, 15
	s_add_i32 s1, s1, s0
	v_writelane_b32 v52, s16, 16
	s_mul_hi_u32 s0, s16, s1
	v_writelane_b32 v52, s0, 17
	v_cmp_eq_u32_e64 s[0:1], 0, v0
	s_and_saveexec_b64 s[16:17], s[0:1]
; %bb.2:
	v_mov_b32_e32 v2, 0
	v_mov_b32_e32 v3, s68
	;; [unrolled: 1-line block ×3, first 2 shown]
	ds_write_b96 v2, v[2:4] offset:4096
; %bb.3:
	s_or_b64 exec, exec, s[16:17]
	v_writelane_b32 v52, s25, 18
	s_ashr_i32 s16, s25, 31
	v_writelane_b32 v52, s16, 19
	v_writelane_b32 v52, s26, 20
	s_ashr_i32 s16, s26, 31
	s_mul_i32 s9, s18, s9
	v_writelane_b32 v52, s27, 21
	v_writelane_b32 v52, s16, 22
	;; [unrolled: 1-line block ×3, first 2 shown]
	s_ashr_i32 s16, s21, 31
	v_writelane_b32 v52, s16, 24
	s_sub_i32 s9, s24, s9
	v_writelane_b32 v52, s28, 25
	s_mul_i32 s9, s9, s6
	s_xor_b32 s6, s19, s13
	s_mul_i32 s13, s7, s3
	v_writelane_b32 v52, s29, 26
	s_ashr_i32 s16, s28, 31
	s_sub_i32 s13, s20, s13
	v_writelane_b32 v52, s16, 27
	s_add_i32 s16, s7, 1
	s_sub_i32 s17, s13, s3
	s_cmp_ge_u32 s13, s3
	s_cselect_b32 s7, s16, s7
	s_cselect_b32 s13, s17, s13
	s_add_i32 s16, s7, 1
	s_cmp_ge_u32 s13, s3
	s_cselect_b32 s3, s16, s7
	s_xor_b32 s3, s3, s6
	s_sub_i32 s3, s3, s6
	s_mul_i32 s6, s3, s8
	s_sub_i32 s6, s18, s6
	s_mul_i32 s5, s6, s5
	s_add_i32 s5, s5, s9
	s_mul_i32 s3, s3, s4
	s_add_i32 s4, s5, s3
	s_waitcnt lgkmcnt(0)
	s_barrier
	s_load_dword s3, s[10:11], 0xc
	s_ashr_i32 s5, s4, 31
	s_lshl_b64 s[4:5], s[4:5], 1
	s_add_u32 s80, s14, s4
	v_mbcnt_lo_u32_b32 v1, -1, 0
	s_addc_u32 s81, s15, s5
	s_waitcnt lgkmcnt(0)
	s_and_b32 s70, s3, 0xffff
	v_mbcnt_hi_u32_b32 v20, -1, v1
	v_cmp_gt_u32_e32 vcc, 64, v0
	v_cmp_gt_i32_e64 s[4:5], 4, v20
	s_add_i32 s33, s70, -1
	s_lshl_b32 s98, s70, 2
	s_and_b64 s[84:85], vcc, s[4:5]
	s_add_i32 s9, s33, s68
	v_writelane_b32 v52, s24, 28
	s_cmpk_gt_i32 s68, 0x600
	v_cmp_gt_u32_e64 s[6:7], s68, v0
	s_cselect_b64 s[86:87], -1, 0
	s_cmp_gt_u32 s70, 63
	v_writelane_b32 v52, s6, 29
	s_cselect_b64 s[88:89], -1, 0
	s_cmp_lt_u32 s2, s12
	v_writelane_b32 v52, s7, 30
	v_cmp_gt_i32_e64 s[6:7], s68, v0
	s_cselect_b32 s2, 12, 18
	v_lshlrev_b64 v[2:3], v20, -1
	v_writelane_b32 v52, s6, 31
	v_not_b32_e32 v12, v2
	v_lshrrev_b32_e32 v2, 2, v0
	v_writelane_b32 v52, s7, 32
	s_add_u32 s6, s10, s2
	s_addc_u32 s7, s11, 0
	v_writelane_b32 v52, s6, 33
	v_and_b32_e32 v2, 0xf0, v2
	v_or_b32_e32 v23, 0xc00, v2
	v_writelane_b32 v52, s7, 34
	s_bfe_u32 s6, s3, 0xa0006
	s_add_i32 s2, s6, -2
	s_lshr_b32 s3, s2, 1
	s_add_i32 s3, s3, 1
	s_cmpk_gt_u32 s70, 0x7f
	v_cvt_f32_u32_e32 v2, s98
	s_cselect_b64 s[10:11], -1, 0
	s_and_b32 s7, s6, 0x3fe
	s_and_b32 s8, s3, 7
	v_writelane_b32 v52, s10, 35
	s_cmp_gt_u32 s2, 13
	v_rcp_iflag_f32_e32 v2, v2
	v_writelane_b32 v52, s11, 36
	s_cselect_b64 s[10:11], -1, 0
	v_writelane_b32 v52, s10, 37
	s_and_b32 s2, s3, -8
	s_cmp_lg_u32 s8, 0
	v_writelane_b32 v52, s11, 38
	v_writelane_b32 v52, s2, 39
	;; [unrolled: 1-line block ×3, first 2 shown]
	s_cselect_b64 s[2:3], -1, 0
	v_writelane_b32 v52, s2, 41
	v_mul_f32_e32 v2, 0x4f7ffffe, v2
	v_cvt_u32_f32_e32 v2, v2
	v_writelane_b32 v52, s3, 42
	v_writelane_b32 v52, s6, 43
	s_cmp_lg_u32 s7, s6
	v_writelane_b32 v52, s7, 44
	s_cselect_b64 s[2:3], -1, 0
	v_writelane_b32 v52, s2, 45
	v_not_b32_e32 v1, v3
	v_cvt_f32_u32_e32 v3, s70
	v_writelane_b32 v52, s3, 46
	s_sub_i32 s2, 0, s98
	v_readfirstlane_b32 s3, v2
	s_mul_i32 s2, s2, s3
	s_mul_hi_u32 s2, s3, s2
	s_add_i32 s6, s3, s2
	s_mul_hi_u32 s2, s68, s6
	s_mul_i32 s2, s2, s98
	s_sub_i32 s2, s68, s2
	s_sub_i32 s3, s2, s98
	s_cmp_ge_u32 s2, s98
	s_cselect_b32 s2, s3, s2
	s_sub_i32 s3, s2, s98
	s_cmp_ge_u32 s2, s98
	s_cselect_b32 s2, s3, s2
	s_sub_i32 s7, s68, s2
	v_rcp_iflag_f32_e32 v5, v3
	v_add_u32_e32 v24, s7, v0
	v_mul_lo_u32 v2, v24, s71
	v_ashrrev_i32_e32 v3, 31, v2
	v_lshl_add_u64 v[14:15], v[2:3], 1, s[80:81]
	v_mul_f32_e32 v2, 0x4f7ffffe, v5
	v_cvt_u32_f32_e32 v2, v2
	s_sub_i32 s8, 0, s70
	s_abs_i32 s16, s9
	s_ashr_i32 s3, s9, 31
	v_readfirstlane_b32 s17, v2
	s_mul_i32 s8, s8, s17
	s_mul_hi_u32 s8, s17, s8
	s_add_i32 s8, s17, s8
	s_mul_hi_u32 s17, s16, s8
	s_mul_i32 s17, s17, s70
	s_sub_i32 s16, s16, s17
	s_sub_i32 s17, s16, s70
	s_cmp_ge_u32 s16, s70
	s_cselect_b32 s16, s17, s16
	s_sub_i32 s17, s16, s70
	s_cmp_ge_u32 s16, s70
	v_lshlrev_b32_e32 v13, 2, v0
	s_cselect_b32 s16, s17, s16
	s_xor_b32 s16, s16, s3
	v_mul_lo_u32 v2, s71, v13
	s_sub_i32 s3, s3, s16
	v_add_u32_e32 v25, s71, v2
	v_or_b32_e32 v2, 2, v13
	s_add_i32 s9, s9, s3
	v_mul_lo_u32 v26, s71, v2
	v_or_b32_e32 v2, 3, v13
	s_add_i32 s3, s70, s68
	v_mov_b32_e32 v9, 0
	v_mul_lo_u32 v27, s71, v2
	v_add_u32_e32 v2, s3, v0
	v_lshlrev_b32_e32 v21, 1, v0
	v_mul_lo_u32 v6, s71, v0
	v_mov_b32_e32 v7, v9
	v_lshlrev_b32_e32 v4, 2, v20
	v_cmp_gt_i32_e64 s[16:17], s9, v0
	s_mul_i32 s99, s71, s70
	v_subrev_u32_e32 v2, s2, v2
	s_mov_b32 s2, 0
	v_cmp_eq_u32_e64 s[18:19], 0, v20
	v_cmp_gt_u32_e64 s[4:5], 2, v0
	v_add_u32_e32 v22, 0xc00, v21
	v_lshl_add_u64 v[10:11], v[6:7], 1, s[80:81]
	v_and_b32_e32 v7, 0x100, v4
	v_cmp_gt_i32_e64 s[10:11], s7, v13
	v_cmp_gt_u32_e64 s[12:13], s68, v24
	v_cmp_gt_i32_e64 s[14:15], s68, v24
	v_writelane_b32 v52, s16, 47
	s_lshl_b32 s92, s99, 2
	v_lshlrev_b32_e32 v28, 2, v6
	v_mul_lo_u32 v30, s71, v2
	v_lshlrev_b32_e32 v31, 3, v0
	s_lshl_b32 s93, s70, 3
	s_lshl_b32 s90, s70, 1
	v_or_b32_e32 v32, 0xc00, v4
	s_mov_b64 s[74:75], 0
	v_mov_b32_e32 v34, 14
	v_mov_b32_e32 v38, s69
	s_mov_b32 s69, 0x8000
	v_mov_b32_e32 v39, s68
	v_mov_b32_e32 v33, 0xc00
	;; [unrolled: 1-line block ×6, first 2 shown]
	s_mov_b32 s3, 1
	s_mov_b32 s91, s2
	v_writelane_b32 v52, s17, 48
                                        ; implicit-def: $sgpr78_sgpr79
                                        ; implicit-def: $sgpr62_sgpr63
                                        ; implicit-def: $sgpr60_sgpr61
                                        ; implicit-def: $sgpr66_sgpr67
                                        ; implicit-def: $sgpr82_sgpr83
                                        ; implicit-def: $sgpr64_sgpr65
	s_branch .LBB34_7
.LBB34_4:                               ;   in Loop: Header=BB34_7 Depth=1
	s_or_b64 exec, exec, s[30:31]
	s_and_b64 s[30:31], s[28:29], exec
	s_andn2_b64 s[26:27], s[26:27], exec
	s_andn2_b64 s[24:25], s[24:25], exec
	s_orn2_b64 s[20:21], s[20:21], exec
.LBB34_5:                               ;   in Loop: Header=BB34_7 Depth=1
	s_or_b64 exec, exec, s[22:23]
	s_andn2_b64 s[16:17], s[64:65], exec
	s_and_b64 s[22:23], s[30:31], exec
	s_or_b64 s[64:65], s[16:17], s[22:23]
	s_andn2_b64 s[16:17], s[82:83], exec
	s_and_b64 s[22:23], s[26:27], exec
	s_or_b64 s[82:83], s[16:17], s[22:23]
	s_andn2_b64 s[16:17], s[66:67], exec
	s_and_b64 s[22:23], s[24:25], exec
	s_or_b64 s[66:67], s[16:17], s[22:23]
	s_orn2_b64 s[20:21], s[20:21], exec
.LBB34_6:                               ;   in Loop: Header=BB34_7 Depth=1
	s_or_b64 exec, exec, s[2:3]
	s_and_b64 s[2:3], exec, s[20:21]
	s_or_b64 s[74:75], s[2:3], s[74:75]
	s_andn2_b64 s[2:3], s[60:61], exec
	s_and_b64 s[16:17], s[64:65], exec
	s_or_b64 s[60:61], s[2:3], s[16:17]
	s_andn2_b64 s[2:3], s[62:63], exec
	s_and_b64 s[16:17], s[82:83], exec
	;; [unrolled: 3-line block ×3, first 2 shown]
	s_or_b64 s[78:79], s[2:3], s[16:17]
	s_mov_b32 s91, s34
	v_mov_b32_e32 v38, v16
	s_andn2_b64 exec, exec, s[74:75]
	s_cbranch_execz .LBB34_233
.LBB34_7:                               ; =>This Loop Header: Depth=1
                                        ;     Child Loop BB34_12 Depth 2
                                        ;     Child Loop BB34_27 Depth 2
                                        ;     Child Loop BB34_59 Depth 2
                                        ;     Child Loop BB34_63 Depth 2
                                        ;     Child Loop BB34_48 Depth 2
                                        ;     Child Loop BB34_53 Depth 2
                                        ;     Child Loop BB34_43 Depth 2
                                        ;     Child Loop BB34_72 Depth 2
                                        ;     Child Loop BB34_75 Depth 2
                                        ;     Child Loop BB34_85 Depth 2
                                        ;     Child Loop BB34_96 Depth 2
                                        ;     Child Loop BB34_122 Depth 2
                                        ;     Child Loop BB34_133 Depth 2
                                        ;     Child Loop BB34_159 Depth 2
                                        ;     Child Loop BB34_170 Depth 2
                                        ;     Child Loop BB34_196 Depth 2
                                        ;     Child Loop BB34_207 Depth 2
	ds_read_b64 v[2:3], v9 offset:4096
	s_waitcnt lgkmcnt(0)
	v_readfirstlane_b32 s16, v2
	s_cmp_gt_i32 s16, 0
	s_cbranch_scc1 .LBB34_34
; %bb.8:                                ;   in Loop: Header=BB34_7 Depth=1
	s_and_b64 vcc, exec, s[86:87]
	s_cbranch_vccz .LBB34_20
; %bb.9:                                ;   in Loop: Header=BB34_7 Depth=1
	s_movk_i32 s2, 0x601
	v_cmp_gt_i32_e32 vcc, s2, v3
	s_mov_b64 s[20:21], 0
	s_mov_b64 s[2:3], 0
	s_cbranch_vccz .LBB34_21
; %bb.10:                               ;   in Loop: Header=BB34_7 Depth=1
	v_readlane_b32 s2, v52, 33
	v_readlane_b32 s3, v52, 34
	s_nop 4
	global_load_ushort v2, v9, s[2:3]
	global_load_ushort v4, v[10:11], off
	s_mov_b64 s[22:23], 0
	s_waitcnt vmcnt(1)
	v_add_u32_e32 v5, v0, v2
	v_mul_lo_u32 v3, s71, v2
	v_mul_lo_u32 v8, s71, v5
	v_mov_b32_e32 v5, v0
	s_branch .LBB34_12
.LBB34_11:                              ;   in Loop: Header=BB34_12 Depth=2
	s_or_b64 exec, exec, s[2:3]
	v_cmp_le_i32_e32 vcc, s68, v5
	v_add_u32_e32 v8, v8, v3
	s_or_b64 s[22:23], vcc, s[22:23]
	v_mov_b32_e32 v4, v16
	s_andn2_b64 exec, exec, s[22:23]
	s_cbranch_execz .LBB34_66
.LBB34_12:                              ;   Parent Loop BB34_7 Depth=1
                                        ; =>  This Inner Loop Header: Depth=2
	v_add_u32_e32 v5, v5, v2
	v_cmp_gt_u32_e32 vcc, s68, v5
	s_waitcnt lgkmcnt(0)
	v_mov_b32_e32 v17, 0
	v_mov_b32_e32 v16, 0
	s_and_saveexec_b64 s[2:3], vcc
	s_cbranch_execz .LBB34_14
; %bb.13:                               ;   in Loop: Header=BB34_12 Depth=2
	v_lshl_add_u64 v[18:19], v[8:9], 1, s[80:81]
	global_load_ushort v16, v[18:19], off
.LBB34_14:                              ;   in Loop: Header=BB34_12 Depth=2
	s_or_b64 exec, exec, s[2:3]
	s_waitcnt vmcnt(0)
	v_add_u32_sdwa v18, sext(v4), s69 dst_sel:DWORD dst_unused:UNUSED_PAD src0_sel:WORD_0 src1_sel:DWORD
	v_and_b32_e32 v18, v18, v36
	v_cmp_eq_u32_e32 vcc, v18, v29
	s_cmp_lg_u64 vcc, 0
	s_cselect_b64 s[2:3], -1, 0
	s_and_b64 s[2:3], s[18:19], s[2:3]
	s_and_saveexec_b64 s[24:25], s[2:3]
	s_cbranch_execz .LBB34_18
; %bb.15:                               ;   in Loop: Header=BB34_12 Depth=2
	s_mov_b64 s[28:29], exec
	v_mbcnt_lo_u32_b32 v17, s28, 0
	v_mbcnt_hi_u32_b32 v17, s29, v17
	s_bcnt1_i32_b64 s17, vcc
	v_cmp_eq_u32_e64 s[2:3], 0, v17
                                        ; implicit-def: $vgpr18
	s_and_saveexec_b64 s[26:27], s[2:3]
; %bb.16:                               ;   in Loop: Header=BB34_12 Depth=2
	s_bcnt1_i32_b64 s2, s[28:29]
	s_mul_i32 s2, s17, s2
	v_mov_b32_e32 v18, s2
	ds_add_rtn_u32 v18, v9, v18 offset:4104
; %bb.17:                               ;   in Loop: Header=BB34_12 Depth=2
	s_or_b64 exec, exec, s[26:27]
	s_waitcnt lgkmcnt(0)
	v_readfirstlane_b32 s2, v18
	s_nop 1
	v_mov_b32_e32 v18, s2
	v_mad_u32_u24 v17, s17, v17, v18
.LBB34_18:                              ;   in Loop: Header=BB34_12 Depth=2
	s_or_b64 exec, exec, s[24:25]
	ds_bpermute_b32 v17, v7, v17
	s_and_saveexec_b64 s[2:3], vcc
	s_cbranch_execz .LBB34_11
; %bb.19:                               ;   in Loop: Header=BB34_12 Depth=2
	v_and_b32_e32 v19, vcc_lo, v12
	v_and_b32_e32 v18, vcc_hi, v1
	v_bcnt_u32_b32 v19, v19, 0
	v_bcnt_u32_b32 v18, v18, v19
	v_lshlrev_b32_e32 v18, 1, v18
	s_waitcnt lgkmcnt(0)
	v_lshl_add_u32 v17, v17, 1, v18
	ds_write_b16 v17, v4
	s_branch .LBB34_11
.LBB34_20:                              ;   in Loop: Header=BB34_7 Depth=1
	s_mov_b64 s[20:21], -1
	s_mov_b64 s[2:3], 0
.LBB34_21:                              ;   in Loop: Header=BB34_7 Depth=1
	s_and_b64 vcc, exec, s[20:21]
	s_cbranch_vccz .LBB34_32
.LBB34_22:                              ;   in Loop: Header=BB34_7 Depth=1
	v_mov_b32_e32 v2, 0
	s_mov_b64 s[2:3], exec
	v_readlane_b32 s20, v52, 29
	v_readlane_b32 s21, v52, 30
	s_and_b64 s[20:21], s[2:3], s[20:21]
	s_mov_b64 exec, s[20:21]
	s_cbranch_execz .LBB34_24
; %bb.23:                               ;   in Loop: Header=BB34_7 Depth=1
	global_load_ushort v2, v[10:11], off
.LBB34_24:                              ;   in Loop: Header=BB34_7 Depth=1
	s_or_b64 exec, exec, s[2:3]
	s_mov_b64 s[2:3], exec
	v_readlane_b32 s20, v52, 31
	v_readlane_b32 s21, v52, 32
	s_and_b64 s[20:21], s[2:3], s[20:21]
	s_mov_b64 exec, s[20:21]
	s_cbranch_execz .LBB34_29
; %bb.25:                               ;   in Loop: Header=BB34_7 Depth=1
	v_readlane_b32 s20, v52, 33
	v_readlane_b32 s21, v52, 34
	v_mov_b32_e32 v4, v21
	v_mov_b32_e32 v17, v0
	s_nop 2
	global_load_ushort v3, v9, s[20:21]
	s_mov_b64 s[20:21], 0
	s_waitcnt vmcnt(0)
	v_add_u32_e32 v8, v0, v3
	v_lshlrev_b32_e32 v5, 1, v3
	v_mul_lo_u32 v16, s71, v3
	v_mul_lo_u32 v8, s71, v8
	s_branch .LBB34_27
.LBB34_26:                              ;   in Loop: Header=BB34_27 Depth=2
	s_or_b64 exec, exec, s[22:23]
	v_cmp_le_i32_e32 vcc, s68, v17
	ds_write_b16 v4, v2
	v_add_u32_e32 v4, v4, v5
	v_add_u32_e32 v8, v8, v16
	s_or_b64 s[20:21], vcc, s[20:21]
	s_waitcnt vmcnt(0)
	v_mov_b32_e32 v2, v18
	s_andn2_b64 exec, exec, s[20:21]
	s_cbranch_execz .LBB34_29
.LBB34_27:                              ;   Parent Loop BB34_7 Depth=1
                                        ; =>  This Inner Loop Header: Depth=2
	v_add_u32_e32 v17, v17, v3
	v_cmp_gt_u32_e32 vcc, s68, v17
	v_mov_b32_e32 v18, 0
	s_and_saveexec_b64 s[22:23], vcc
	s_cbranch_execz .LBB34_26
; %bb.28:                               ;   in Loop: Header=BB34_27 Depth=2
	v_lshl_add_u64 v[18:19], v[8:9], 1, s[80:81]
	global_load_ushort v18, v[18:19], off
	s_branch .LBB34_26
.LBB34_29:                              ;   in Loop: Header=BB34_7 Depth=1
	s_or_b64 exec, exec, s[2:3]
	s_waitcnt lgkmcnt(0)
	s_barrier
	s_and_saveexec_b64 s[2:3], s[0:1]
; %bb.30:                               ;   in Loop: Header=BB34_7 Depth=1
	ds_write_b32 v9, v39 offset:4096
; %bb.31:                               ;   in Loop: Header=BB34_7 Depth=1
	s_or_b64 exec, exec, s[2:3]
	s_mov_b64 s[2:3], -1
	s_waitcnt lgkmcnt(0)
	s_barrier
.LBB34_32:                              ;   in Loop: Header=BB34_7 Depth=1
	s_and_b64 vcc, exec, s[2:3]
	s_cbranch_vccz .LBB34_34
; %bb.33:                               ;   in Loop: Header=BB34_7 Depth=1
	s_waitcnt vmcnt(0)
	ds_read_b32 v2, v9 offset:4096
	s_waitcnt lgkmcnt(0)
	v_readfirstlane_b32 s16, v2
.LBB34_34:                              ;   in Loop: Header=BB34_7 Depth=1
	s_cmp_lt_i32 s16, 1
	s_mov_b64 s[2:3], -1
                                        ; implicit-def: $vgpr4_vgpr5
	s_cbranch_scc1 .LBB34_44
; %bb.35:                               ;   in Loop: Header=BB34_7 Depth=1
	s_and_b64 vcc, exec, s[2:3]
	s_cbranch_vccnz .LBB34_57
.LBB34_36:                              ;   in Loop: Header=BB34_7 Depth=1
	s_lshl_b32 s16, s91, 6
	s_and_saveexec_b64 s[2:3], s[18:19]
	s_cbranch_execz .LBB34_38
.LBB34_37:                              ;   in Loop: Header=BB34_7 Depth=1
	v_lshl_add_u32 v8, s16, 2, v23
	s_waitcnt vmcnt(0)
	ds_write_b128 v8, v[2:5]
.LBB34_38:                              ;   in Loop: Header=BB34_7 Depth=1
	s_or_b64 exec, exec, s[2:3]
	s_waitcnt lgkmcnt(0)
	s_barrier
	s_and_saveexec_b64 s[2:3], s[84:85]
	s_cbranch_execz .LBB34_77
; %bb.39:                               ;   in Loop: Header=BB34_7 Depth=1
	v_add_u32_e32 v4, s16, v20
	s_andn2_b64 vcc, exec, s[88:89]
	s_waitcnt vmcnt(0)
	v_mov_b32_e32 v2, 0
	s_cbranch_vccnz .LBB34_76
; %bb.40:                               ;   in Loop: Header=BB34_7 Depth=1
	v_readlane_b32 s20, v52, 35
	v_readlane_b32 s21, v52, 36
	s_andn2_b64 vcc, exec, s[20:21]
	s_cbranch_vccnz .LBB34_69
; %bb.41:                               ;   in Loop: Header=BB34_7 Depth=1
	v_readlane_b32 s20, v52, 37
	v_readlane_b32 s21, v52, 38
	s_andn2_b64 vcc, exec, s[20:21]
	v_lshl_add_u32 v5, v4, 2, v33
	s_cbranch_vccnz .LBB34_70
; %bb.42:                               ;   in Loop: Header=BB34_7 Depth=1
	s_mov_b32 s21, 1
	s_mov_b32 s20, 0
	v_mov_b32_e32 v2, 0
	v_mov_b32_e32 v3, 0
	v_readlane_b32 s17, v52, 39
.LBB34_43:                              ;   Parent Loop BB34_7 Depth=1
                                        ; =>  This Inner Loop Header: Depth=2
	v_lshl_add_u32 v8, s20, 4, v5
	v_lshl_add_u32 v50, s21, 4, v5
	ds_read2_b32 v[16:17], v8 offset1:8
	ds_read2_b32 v[18:19], v50 offset1:8
	ds_read2_b32 v[40:41], v8 offset0:16 offset1:24
	ds_read2_b32 v[42:43], v50 offset0:16 offset1:24
	;; [unrolled: 1-line block ×6, first 2 shown]
	s_waitcnt lgkmcnt(7)
	v_add3_u32 v2, v16, v2, v17
	s_waitcnt lgkmcnt(6)
	v_add3_u32 v3, v18, v3, v19
	;; [unrolled: 2-line block ×3, first 2 shown]
	v_add3_u32 v2, v40, v2, v41
	s_add_i32 s21, s21, 16
	s_add_i32 s20, s20, 16
	s_add_i32 s17, s17, -8
	s_waitcnt lgkmcnt(3)
	v_add3_u32 v2, v44, v2, v45
	s_waitcnt lgkmcnt(2)
	v_add3_u32 v3, v46, v3, v47
	s_cmp_lg_u32 s17, 0
	s_waitcnt lgkmcnt(0)
	v_add3_u32 v3, v50, v3, v51
	v_add3_u32 v2, v48, v2, v49
	s_cbranch_scc1 .LBB34_43
	s_branch .LBB34_71
.LBB34_44:                              ;   in Loop: Header=BB34_7 Depth=1
	v_mov_b32_e32 v8, v9
	v_mov_b64_e32 v[4:5], v[8:9]
	s_waitcnt vmcnt(0)
	v_mov_b64_e32 v[2:3], v[8:9]
	s_and_saveexec_b64 s[72:73], s[10:11]
	s_cbranch_execnz .LBB34_47
; %bb.45:                               ;   in Loop: Header=BB34_7 Depth=1
	s_or_b64 exec, exec, s[72:73]
	v_mov_b32_e32 v18, 0
	s_and_saveexec_b64 s[2:3], s[12:13]
	s_cbranch_execnz .LBB34_50
.LBB34_46:                              ;   in Loop: Header=BB34_7 Depth=1
	s_or_b64 exec, exec, s[2:3]
	s_and_saveexec_b64 s[20:21], s[14:15]
	s_cbranch_execnz .LBB34_51
	s_branch .LBB34_56
.LBB34_47:                              ;   in Loop: Header=BB34_7 Depth=1
	s_mov_b32 s17, 0
	s_mov_b64 s[76:77], 0
	v_mov_b32_e32 v8, v13
	s_mov_b32 s94, 0
	s_mov_b32 s95, s17
	;; [unrolled: 1-line block ×4, first 2 shown]
.LBB34_48:                              ;   Parent Loop BB34_7 Depth=1
                                        ; =>  This Inner Loop Header: Depth=2
	v_add_u32_e32 v2, s17, v28
	v_add_u32_e32 v4, s17, v25
	;; [unrolled: 1-line block ×4, first 2 shown]
	v_ashrrev_i32_e32 v3, 31, v2
	v_ashrrev_i32_e32 v5, 31, v4
	;; [unrolled: 1-line block ×4, first 2 shown]
	v_lshl_add_u64 v[2:3], v[2:3], 1, s[80:81]
	v_lshl_add_u64 v[4:5], v[4:5], 1, s[80:81]
	;; [unrolled: 1-line block ×4, first 2 shown]
	global_load_sshort v2, v[2:3], off
	s_nop 0
	global_load_sshort v3, v[4:5], off
	s_nop 0
	global_load_sshort v4, v[16:17], off
	global_load_sshort v5, v[18:19], off
	v_add_u32_e32 v8, s98, v8
	s_add_i32 s17, s17, s92
	v_cmp_le_i32_e32 vcc, s7, v8
	s_waitcnt vmcnt(3)
	v_add_u32_e32 v2, 0x8000, v2
	s_waitcnt vmcnt(2)
	v_add_u32_e32 v3, 0x8000, v3
	v_and_b32_e32 v16, v2, v36
	v_bfe_u32 v2, v2, v34, 2
	s_waitcnt vmcnt(1)
	v_add_u32_e32 v4, 0x8000, v4
	v_and_b32_e32 v17, v3, v36
	v_bfe_u32 v3, v3, v34, 2
	v_cmp_eq_u32_e64 s[2:3], v16, v29
	v_cmp_eq_u32_e64 s[26:27], 0, v2
	s_waitcnt vmcnt(0)
	v_add_u32_e32 v5, 0x8000, v5
	v_and_b32_e32 v18, v4, v36
	v_bfe_u32 v4, v4, v34, 2
	v_cmp_eq_u32_e64 s[20:21], v17, v29
	v_cmp_eq_u32_e64 s[28:29], 0, v3
	s_and_b64 s[26:27], s[2:3], s[26:27]
	v_and_b32_e32 v19, v5, v36
	v_bfe_u32 v5, v5, v34, 2
	v_cmp_eq_u32_e64 s[22:23], v18, v29
	v_cmp_eq_u32_e64 s[30:31], 0, v4
	;; [unrolled: 1-line block ×5, first 2 shown]
	v_cndmask_b32_e64 v2, 0, 1, s[26:27]
	s_and_b64 s[26:27], s[20:21], s[28:29]
	v_cmp_eq_u32_e64 s[24:25], v19, v29
	v_cmp_eq_u32_e64 s[34:35], 0, v5
	;; [unrolled: 1-line block ×5, first 2 shown]
	v_cndmask_b32_e64 v3, 0, 1, s[26:27]
	s_and_b64 s[26:27], s[22:23], s[30:31]
	v_cmp_eq_u32_e64 s[40:41], 1, v4
	v_cmp_eq_u32_e64 s[48:49], 2, v4
	;; [unrolled: 1-line block ×3, first 2 shown]
	v_cndmask_b32_e64 v4, 0, 1, s[26:27]
	s_and_b64 s[26:27], s[24:25], s[34:35]
	v_cmp_eq_u32_e64 s[42:43], 1, v5
	v_cmp_eq_u32_e64 s[50:51], 2, v5
	;; [unrolled: 1-line block ×3, first 2 shown]
	v_cndmask_b32_e64 v5, 0, 1, s[26:27]
	s_and_b64 s[26:27], s[2:3], s[36:37]
	v_cndmask_b32_e64 v16, 0, 1, s[26:27]
	s_and_b64 s[26:27], s[20:21], s[38:39]
	;; [unrolled: 2-line block ×5, first 2 shown]
	s_and_b64 s[2:3], s[2:3], s[52:53]
	v_cndmask_b32_e64 v40, 0, 1, s[26:27]
	s_and_b64 s[26:27], s[20:21], s[46:47]
	v_cndmask_b32_e64 v44, 0, 1, s[2:3]
	;; [unrolled: 2-line block ×7, first 2 shown]
	v_cndmask_b32_e64 v47, 0, 1, s[2:3]
	v_cmp_ne_u32_e64 s[2:3], 0, v2
	v_cmp_ne_u32_e64 s[20:21], 0, v3
	;; [unrolled: 1-line block ×11, first 2 shown]
	s_bcnt1_i32_b64 s2, s[2:3]
	s_bcnt1_i32_b64 s3, s[20:21]
	;; [unrolled: 1-line block ×8, first 2 shown]
	v_cmp_ne_u32_e64 s[34:35], 0, v19
	v_cmp_ne_u32_e64 s[40:41], 0, v42
	;; [unrolled: 1-line block ×3, first 2 shown]
	s_bcnt1_i32_b64 s23, s[28:29]
	s_bcnt1_i32_b64 s27, s[38:39]
	s_bcnt1_i32_b64 s31, s[46:47]
	s_add_i32 s2, s94, s2
	s_add_i32 s22, s95, s22
	;; [unrolled: 1-line block ×4, first 2 shown]
	v_cmp_ne_u32_e64 s[42:43], 0, v43
	v_cmp_ne_u32_e64 s[50:51], 0, v47
	s_bcnt1_i32_b64 s25, s[34:35]
	s_bcnt1_i32_b64 s28, s[40:41]
	;; [unrolled: 1-line block ×3, first 2 shown]
	s_add_i32 s22, s22, s23
	s_add_i32 s2, s2, s3
	;; [unrolled: 1-line block ×4, first 2 shown]
	s_bcnt1_i32_b64 s29, s[42:43]
	s_bcnt1_i32_b64 s35, s[50:51]
	s_add_i32 s2, s2, s20
	s_add_i32 s20, s22, s24
	s_add_i32 s22, s23, s28
	s_add_i32 s3, s3, s34
	s_add_i32 s95, s20, s25
	s_add_i32 s94, s2, s21
	s_add_i32 s97, s3, s35
	s_add_i32 s96, s22, s29
	s_or_b64 s[76:77], vcc, s[76:77]
	v_mov_b64_e32 v[2:3], s[94:95]
	v_mov_b64_e32 v[4:5], s[96:97]
	s_andn2_b64 exec, exec, s[76:77]
	s_cbranch_execnz .LBB34_48
; %bb.49:                               ;   in Loop: Header=BB34_7 Depth=1
	s_or_b64 exec, exec, s[76:77]
	s_or_b64 exec, exec, s[72:73]
	v_mov_b32_e32 v18, 0
	s_and_saveexec_b64 s[2:3], s[12:13]
	s_cbranch_execz .LBB34_46
.LBB34_50:                              ;   in Loop: Header=BB34_7 Depth=1
	global_load_ushort v18, v[14:15], off
	s_or_b64 exec, exec, s[2:3]
	s_and_saveexec_b64 s[20:21], s[14:15]
	s_cbranch_execz .LBB34_56
.LBB34_51:                              ;   in Loop: Header=BB34_7 Depth=1
	s_mov_b64 s[22:23], 0
	v_mov_b32_e32 v16, v30
	v_mov_b32_e32 v8, v24
	s_branch .LBB34_53
.LBB34_52:                              ;   in Loop: Header=BB34_53 Depth=2
	s_or_b64 exec, exec, s[2:3]
	s_waitcnt vmcnt(0)
	v_add_u32_sdwa v18, sext(v18), s69 dst_sel:DWORD dst_unused:UNUSED_PAD src0_sel:WORD_0 src1_sel:DWORD
	v_and_b32_e32 v19, v18, v36
	v_bfe_u32 v18, v18, v34, 2
	v_cmp_eq_u32_e32 vcc, v19, v29
	v_cmp_eq_u32_e64 s[2:3], 0, v18
	s_and_b64 s[2:3], vcc, s[2:3]
	v_add_u32_e32 v16, s99, v16
	v_cndmask_b32_e64 v19, 0, 1, s[2:3]
	v_cmp_ne_u32_e64 s[2:3], 0, v19
	s_bcnt1_i32_b64 s17, s[2:3]
	v_cmp_eq_u32_e64 s[2:3], 1, v18
	s_and_b64 s[2:3], vcc, s[2:3]
	v_add_u32_e32 v2, s17, v2
	v_cndmask_b32_e64 v19, 0, 1, s[2:3]
	v_cmp_ne_u32_e64 s[2:3], 0, v19
	s_bcnt1_i32_b64 s2, s[2:3]
	s_nop 0
	v_add_u32_e32 v3, s2, v3
	v_cmp_eq_u32_e64 s[2:3], 2, v18
	s_and_b64 s[2:3], vcc, s[2:3]
	s_nop 0
	v_cndmask_b32_e64 v19, 0, 1, s[2:3]
	v_cmp_ne_u32_e64 s[2:3], 0, v19
	s_bcnt1_i32_b64 s17, s[2:3]
	v_cmp_eq_u32_e64 s[2:3], 3, v18
	s_and_b64 s[2:3], vcc, s[2:3]
	v_add_u32_e32 v4, s17, v4
	v_cndmask_b32_e64 v18, 0, 1, s[2:3]
	v_cmp_ne_u32_e32 vcc, 0, v18
	s_bcnt1_i32_b64 s2, vcc
	v_cmp_le_i32_e32 vcc, s68, v8
	v_add_u32_e32 v5, s2, v5
	s_or_b64 s[22:23], vcc, s[22:23]
	v_mov_b32_e32 v18, v17
	s_andn2_b64 exec, exec, s[22:23]
	s_cbranch_execz .LBB34_55
.LBB34_53:                              ;   Parent Loop BB34_7 Depth=1
                                        ; =>  This Inner Loop Header: Depth=2
	v_add_u32_e32 v8, s70, v8
	v_cmp_gt_u32_e32 vcc, s68, v8
	v_mov_b32_e32 v17, 0
	s_and_saveexec_b64 s[2:3], vcc
	s_cbranch_execz .LBB34_52
; %bb.54:                               ;   in Loop: Header=BB34_53 Depth=2
	v_ashrrev_i32_e32 v17, 31, v16
	v_lshl_add_u64 v[40:41], v[16:17], 1, s[80:81]
	global_load_ushort v17, v[40:41], off
	s_branch .LBB34_52
.LBB34_55:                              ;   in Loop: Header=BB34_7 Depth=1
	s_or_b64 exec, exec, s[22:23]
.LBB34_56:                              ;   in Loop: Header=BB34_7 Depth=1
	s_or_b64 exec, exec, s[20:21]
	s_branch .LBB34_36
.LBB34_57:                              ;   in Loop: Header=BB34_7 Depth=1
	s_mul_hi_u32 s2, s16, s6
	s_mul_i32 s2, s2, s98
	s_sub_i32 s2, s16, s2
	s_sub_i32 s3, s2, s98
	s_cmp_ge_u32 s2, s98
	s_cselect_b32 s2, s3, s2
	s_sub_i32 s3, s2, s98
	s_cmp_ge_u32 s2, s98
	s_cselect_b32 s2, s3, s2
	s_sub_i32 s17, s16, s2
	v_mov_b32_e32 v8, v9
	v_cmp_gt_u32_e32 vcc, s17, v13
	v_mov_b64_e32 v[4:5], v[8:9]
	s_waitcnt vmcnt(0)
	v_mov_b64_e32 v[2:3], v[8:9]
	s_and_saveexec_b64 s[72:73], vcc
	s_cbranch_execz .LBB34_61
; %bb.58:                               ;   in Loop: Header=BB34_7 Depth=1
	s_mov_b32 s94, 0
	s_mov_b64 s[76:77], 0
	v_mov_b32_e32 v8, v31
	v_mov_b32_e32 v16, v13
	s_mov_b32 s95, s94
	s_mov_b32 s96, s94
	;; [unrolled: 1-line block ×3, first 2 shown]
.LBB34_59:                              ;   Parent Loop BB34_7 Depth=1
                                        ; =>  This Inner Loop Header: Depth=2
	ds_read_b64 v[2:3], v8
	v_add_u32_e32 v16, s98, v16
	v_cmp_le_i32_e32 vcc, s17, v16
	v_add_u32_e32 v8, s93, v8
	s_waitcnt lgkmcnt(0)
	v_add_u32_sdwa v4, sext(v2), s69 dst_sel:DWORD dst_unused:UNUSED_PAD src0_sel:WORD_0 src1_sel:DWORD
	v_add_u32_sdwa v2, sext(v2), s69 dst_sel:DWORD dst_unused:UNUSED_PAD src0_sel:WORD_1 src1_sel:DWORD
	v_and_b32_e32 v17, v4, v36
	v_bfe_u32 v4, v4, v34, 2
	v_add_u32_sdwa v5, sext(v3), s69 dst_sel:DWORD dst_unused:UNUSED_PAD src0_sel:WORD_0 src1_sel:DWORD
	v_and_b32_e32 v18, v2, v36
	v_bfe_u32 v2, v2, v34, 2
	v_cmp_eq_u32_e64 s[2:3], v17, v29
	v_cmp_eq_u32_e64 s[26:27], 0, v4
	v_add_u32_sdwa v3, sext(v3), s69 dst_sel:DWORD dst_unused:UNUSED_PAD src0_sel:WORD_1 src1_sel:DWORD
	v_and_b32_e32 v19, v5, v36
	v_bfe_u32 v5, v5, v34, 2
	v_cmp_eq_u32_e64 s[20:21], v18, v29
	v_cmp_eq_u32_e64 s[28:29], 0, v2
	s_and_b64 s[26:27], s[2:3], s[26:27]
	v_and_b32_e32 v40, v3, v36
	v_bfe_u32 v3, v3, v34, 2
	v_cmp_eq_u32_e64 s[22:23], v19, v29
	v_cmp_eq_u32_e64 s[30:31], 0, v5
	;; [unrolled: 1-line block ×5, first 2 shown]
	v_cndmask_b32_e64 v2, 0, 1, s[26:27]
	s_and_b64 s[26:27], s[20:21], s[28:29]
	v_cmp_eq_u32_e64 s[24:25], v40, v29
	v_cmp_eq_u32_e64 s[34:35], 0, v3
	v_cmp_eq_u32_e64 s[42:43], 1, v3
	v_cmp_eq_u32_e64 s[50:51], 2, v3
	v_cmp_eq_u32_e64 s[58:59], 3, v3
	v_cndmask_b32_e64 v3, 0, 1, s[26:27]
	s_and_b64 s[26:27], s[22:23], s[30:31]
	v_cmp_eq_u32_e64 s[36:37], 1, v4
	v_cmp_eq_u32_e64 s[44:45], 2, v4
	;; [unrolled: 1-line block ×3, first 2 shown]
	v_cndmask_b32_e64 v4, 0, 1, s[26:27]
	s_and_b64 s[26:27], s[24:25], s[34:35]
	v_cmp_eq_u32_e64 s[40:41], 1, v5
	v_cmp_eq_u32_e64 s[48:49], 2, v5
	;; [unrolled: 1-line block ×3, first 2 shown]
	v_cndmask_b32_e64 v5, 0, 1, s[26:27]
	s_and_b64 s[26:27], s[2:3], s[36:37]
	v_cndmask_b32_e64 v17, 0, 1, s[26:27]
	s_and_b64 s[26:27], s[20:21], s[38:39]
	;; [unrolled: 2-line block ×5, first 2 shown]
	s_and_b64 s[2:3], s[2:3], s[52:53]
	v_cndmask_b32_e64 v41, 0, 1, s[26:27]
	s_and_b64 s[26:27], s[20:21], s[46:47]
	v_cndmask_b32_e64 v45, 0, 1, s[2:3]
	;; [unrolled: 2-line block ×7, first 2 shown]
	v_cndmask_b32_e64 v48, 0, 1, s[2:3]
	v_cmp_ne_u32_e64 s[2:3], 0, v2
	v_cmp_ne_u32_e64 s[20:21], 0, v3
	;; [unrolled: 1-line block ×11, first 2 shown]
	s_bcnt1_i32_b64 s2, s[2:3]
	s_bcnt1_i32_b64 s3, s[20:21]
	;; [unrolled: 1-line block ×8, first 2 shown]
	v_cmp_ne_u32_e64 s[34:35], 0, v40
	v_cmp_ne_u32_e64 s[40:41], 0, v43
	;; [unrolled: 1-line block ×3, first 2 shown]
	s_bcnt1_i32_b64 s23, s[28:29]
	s_bcnt1_i32_b64 s27, s[38:39]
	;; [unrolled: 1-line block ×3, first 2 shown]
	s_add_i32 s2, s94, s2
	s_add_i32 s22, s95, s22
	;; [unrolled: 1-line block ×4, first 2 shown]
	v_cmp_ne_u32_e64 s[42:43], 0, v44
	v_cmp_ne_u32_e64 s[50:51], 0, v48
	s_bcnt1_i32_b64 s25, s[34:35]
	s_bcnt1_i32_b64 s28, s[40:41]
	;; [unrolled: 1-line block ×3, first 2 shown]
	s_add_i32 s22, s22, s23
	s_add_i32 s2, s2, s3
	;; [unrolled: 1-line block ×4, first 2 shown]
	s_bcnt1_i32_b64 s29, s[42:43]
	s_bcnt1_i32_b64 s35, s[50:51]
	s_add_i32 s2, s2, s20
	s_add_i32 s20, s22, s24
	;; [unrolled: 1-line block ×8, first 2 shown]
	s_or_b64 s[76:77], vcc, s[76:77]
	v_mov_b64_e32 v[2:3], s[94:95]
	v_mov_b64_e32 v[4:5], s[96:97]
	s_andn2_b64 exec, exec, s[76:77]
	s_cbranch_execnz .LBB34_59
; %bb.60:                               ;   in Loop: Header=BB34_7 Depth=1
	s_or_b64 exec, exec, s[76:77]
.LBB34_61:                              ;   in Loop: Header=BB34_7 Depth=1
	s_or_b64 exec, exec, s[72:73]
	v_add_u32_e32 v8, s17, v0
	v_cmp_gt_i32_e32 vcc, s16, v8
	s_and_saveexec_b64 s[28:29], vcc
	s_cbranch_execz .LBB34_65
; %bb.62:                               ;   in Loop: Header=BB34_7 Depth=1
	v_lshlrev_b32_e32 v16, 1, v8
	s_mov_b64 s[30:31], 0
.LBB34_63:                              ;   Parent Loop BB34_7 Depth=1
                                        ; =>  This Inner Loop Header: Depth=2
	ds_read_i16 v17, v16
	v_add_u32_e32 v8, s70, v8
	v_cmp_le_i32_e32 vcc, s16, v8
	v_add_u32_e32 v16, s90, v16
	s_waitcnt lgkmcnt(0)
	v_add_u32_e32 v17, 0x8000, v17
	v_and_b32_e32 v18, v17, v36
	v_bfe_u32 v17, v17, v34, 2
	v_cmp_eq_u32_e64 s[2:3], v18, v29
	v_cmp_eq_u32_e64 s[20:21], 0, v17
	;; [unrolled: 1-line block ×3, first 2 shown]
	s_and_b64 s[20:21], s[2:3], s[20:21]
	v_cmp_eq_u32_e64 s[24:25], 2, v17
	v_cmp_eq_u32_e64 s[26:27], 3, v17
	v_cndmask_b32_e64 v17, 0, 1, s[20:21]
	s_and_b64 s[20:21], s[2:3], s[22:23]
	v_cndmask_b32_e64 v18, 0, 1, s[20:21]
	s_and_b64 s[20:21], s[2:3], s[24:25]
	s_and_b64 s[2:3], s[2:3], s[26:27]
	v_cndmask_b32_e64 v19, 0, 1, s[20:21]
	v_cndmask_b32_e64 v40, 0, 1, s[2:3]
	v_cmp_ne_u32_e64 s[2:3], 0, v17
	v_cmp_ne_u32_e64 s[20:21], 0, v18
	;; [unrolled: 1-line block ×4, first 2 shown]
	s_bcnt1_i32_b64 s2, s[2:3]
	s_bcnt1_i32_b64 s3, s[20:21]
	;; [unrolled: 1-line block ×4, first 2 shown]
	v_add_u32_e32 v3, s3, v3
	v_add_u32_e32 v2, s2, v2
	;; [unrolled: 1-line block ×3, first 2 shown]
	s_or_b64 s[30:31], vcc, s[30:31]
	v_add_u32_e32 v4, s17, v4
	s_andn2_b64 exec, exec, s[30:31]
	s_cbranch_execnz .LBB34_63
; %bb.64:                               ;   in Loop: Header=BB34_7 Depth=1
	s_or_b64 exec, exec, s[30:31]
.LBB34_65:                              ;   in Loop: Header=BB34_7 Depth=1
	s_or_b64 exec, exec, s[28:29]
	s_lshl_b32 s16, s91, 6
	s_and_saveexec_b64 s[2:3], s[18:19]
	s_cbranch_execnz .LBB34_37
	s_branch .LBB34_38
.LBB34_66:                              ;   in Loop: Header=BB34_7 Depth=1
	s_or_b64 exec, exec, s[22:23]
	s_waitcnt lgkmcnt(0)
	s_barrier
	s_and_saveexec_b64 s[2:3], s[0:1]
	s_cbranch_execz .LBB34_68
; %bb.67:                               ;   in Loop: Header=BB34_7 Depth=1
	ds_read_b32 v2, v9 offset:4104
	s_waitcnt lgkmcnt(0)
	ds_write_b32 v9, v2 offset:4096
.LBB34_68:                              ;   in Loop: Header=BB34_7 Depth=1
	s_or_b64 exec, exec, s[2:3]
	s_waitcnt lgkmcnt(0)
	s_barrier
	s_mov_b64 s[2:3], -1
	s_and_b64 vcc, exec, s[20:21]
	s_cbranch_vccnz .LBB34_22
	s_branch .LBB34_32
.LBB34_69:                              ;   in Loop: Header=BB34_7 Depth=1
	v_mov_b32_e32 v2, 0
	s_mov_b32 s17, 0
	s_cbranch_execnz .LBB34_74
	s_branch .LBB34_76
.LBB34_70:                              ;   in Loop: Header=BB34_7 Depth=1
	v_mov_b32_e32 v8, v9
	s_mov_b32 s20, 0
	v_mov_b64_e32 v[2:3], v[8:9]
	s_mov_b32 s21, 1
.LBB34_71:                              ;   in Loop: Header=BB34_7 Depth=1
	v_readlane_b32 s22, v52, 41
	v_readlane_b32 s23, v52, 42
	s_andn2_b64 vcc, exec, s[22:23]
	v_readlane_b32 s17, v52, 40
	s_cbranch_vccnz .LBB34_73
.LBB34_72:                              ;   Parent Loop BB34_7 Depth=1
                                        ; =>  This Inner Loop Header: Depth=2
	v_lshl_add_u32 v8, s20, 4, v5
	v_lshl_add_u32 v16, s21, 4, v5
	ds_read_b32 v16, v16
	ds_read_b32 v8, v8
	s_add_i32 s21, s21, 2
	s_add_i32 s20, s20, 2
	s_add_i32 s17, s17, -1
	s_cmp_lg_u32 s17, 0
	s_waitcnt lgkmcnt(1)
	v_add_u32_e32 v3, v16, v3
	s_waitcnt lgkmcnt(0)
	v_add_u32_e32 v2, v8, v2
	s_cbranch_scc1 .LBB34_72
.LBB34_73:                              ;   in Loop: Header=BB34_7 Depth=1
	v_readlane_b32 s20, v52, 45
	v_add_u32_e32 v2, v2, v3
	v_readlane_b32 s17, v52, 44
	v_readlane_b32 s21, v52, 46
	s_and_b64 vcc, exec, s[20:21]
	s_cbranch_vccz .LBB34_76
.LBB34_74:                              ;   in Loop: Header=BB34_7 Depth=1
	s_lshl_b32 s20, s91, 8
	s_lshl_b32 s21, s17, 4
	s_add_i32 s20, s20, s21
	v_add_u32_e32 v3, s20, v32
	v_readlane_b32 s20, v52, 43
	s_sub_i32 s17, s20, s17
.LBB34_75:                              ;   Parent Loop BB34_7 Depth=1
                                        ; =>  This Inner Loop Header: Depth=2
	ds_read_b32 v5, v3
	s_add_i32 s17, s17, -1
	v_add_u32_e32 v3, 16, v3
	s_cmp_eq_u32 s17, 0
	s_waitcnt lgkmcnt(0)
	v_add_u32_e32 v2, v5, v2
	s_cbranch_scc0 .LBB34_75
.LBB34_76:                              ;   in Loop: Header=BB34_7 Depth=1
	v_lshlrev_b32_e32 v3, 2, v4
	ds_write_b32 v3, v2 offset:3072
.LBB34_77:                              ;   in Loop: Header=BB34_7 Depth=1
	s_or_b64 exec, exec, s[2:3]
	s_lshl_b32 s2, s16, 2
	s_waitcnt vmcnt(0)
	v_mov_b32_e32 v2, s2
	s_waitcnt lgkmcnt(0)
	s_barrier
	ds_read_b128 v[2:5], v2 offset:3072
	v_cmp_eq_u32_e32 vcc, 1, v38
	s_mov_b64 s[20:21], -1
	s_mov_b64 s[28:29], -1
                                        ; implicit-def: $sgpr26_sgpr27
                                        ; implicit-def: $sgpr24_sgpr25
	s_waitcnt lgkmcnt(0)
	v_readfirstlane_b32 s17, v2
	s_cmp_eq_u32 s17, 1
	v_readfirstlane_b32 s54, v4
	v_lshlrev_b32_e64 v4, v34, 3
	s_cselect_b64 s[2:3], -1, 0
	v_readfirstlane_b32 s16, v3
	v_readfirstlane_b32 s76, v5
	v_not_b32_e32 v8, v4
	s_and_b64 s[22:23], s[2:3], vcc
	s_and_saveexec_b64 s[2:3], s[22:23]
	s_cbranch_execz .LBB34_103
; %bb.78:                               ;   in Loop: Header=BB34_7 Depth=1
	ds_read_b32 v2, v9 offset:4096
	s_waitcnt lgkmcnt(0)
	s_barrier
	v_readfirstlane_b32 s42, v2
	s_and_saveexec_b64 s[24:25], s[4:5]
; %bb.79:                               ;   in Loop: Header=BB34_7 Depth=1
	ds_write_b16 v22, v9
; %bb.80:                               ;   in Loop: Header=BB34_7 Depth=1
	s_or_b64 exec, exec, s[24:25]
	v_and_b32_e32 v29, v29, v8
	v_or_b32_e32 v36, v36, v4
	s_mov_b64 s[24:25], -1
	s_mov_b64 s[26:27], 0
	s_cmp_lt_i32 s42, 1
	s_mov_b64 s[28:29], 0
	s_mov_b64 s[30:31], -1
	s_waitcnt lgkmcnt(0)
	s_barrier
                                        ; implicit-def: $vgpr37
	s_cbranch_scc0 .LBB34_91
; %bb.81:                               ;   in Loop: Header=BB34_7 Depth=1
	s_mov_b64 s[30:31], 0
                                        ; implicit-def: $vgpr37
	s_mov_b64 s[34:35], exec
	v_readlane_b32 s36, v52, 47
	v_readlane_b32 s37, v52, 48
	s_and_b64 s[36:37], s[34:35], s[36:37]
	s_mov_b64 exec, s[36:37]
	s_cbranch_execz .LBB34_90
; %bb.82:                               ;   in Loop: Header=BB34_7 Depth=1
	v_mov_b32_e32 v2, v6
	v_mov_b32_e32 v5, v0
                                        ; implicit-def: $sgpr36_sgpr37
	s_branch .LBB34_85
.LBB34_83:                              ;   in Loop: Header=BB34_85 Depth=2
	s_or_b64 exec, exec, s[38:39]
	s_waitcnt lgkmcnt(0)
	s_barrier
	ds_read_b32 v3, v9 offset:3072
	s_mov_b64 s[38:39], -1
	s_waitcnt lgkmcnt(0)
	s_barrier
	v_cmp_ne_u32_sdwa s[40:41], v3, v9 src0_sel:WORD_0 src1_sel:DWORD
	s_and_b64 vcc, exec, s[40:41]
	s_mov_b64 s[40:41], -1
	s_cbranch_vccz .LBB34_88
.LBB34_84:                              ;   in Loop: Header=BB34_85 Depth=2
	s_and_b64 s[38:39], exec, s[38:39]
	s_or_b64 s[28:29], s[38:39], s[28:29]
	s_andn2_b64 s[36:37], s[36:37], exec
	s_and_b64 s[38:39], s[40:41], exec
	s_or_b64 s[36:37], s[36:37], s[38:39]
	s_andn2_b64 exec, exec, s[28:29]
	s_cbranch_execz .LBB34_89
.LBB34_85:                              ;   Parent Loop BB34_7 Depth=1
                                        ; =>  This Inner Loop Header: Depth=2
	v_cmp_gt_i32_e32 vcc, s68, v5
	s_and_saveexec_b64 s[38:39], vcc
	s_cbranch_execz .LBB34_83
; %bb.86:                               ;   in Loop: Header=BB34_85 Depth=2
	v_ashrrev_i32_e32 v3, 31, v2
	v_lshl_add_u64 v[16:17], v[2:3], 1, s[80:81]
	global_load_ushort v3, v[16:17], off
	s_waitcnt vmcnt(0)
	v_add_u32_sdwa v16, sext(v3), s69 dst_sel:DWORD dst_unused:UNUSED_PAD src0_sel:WORD_0 src1_sel:DWORD
	v_and_b32_e32 v16, v16, v36
	v_cmp_eq_u32_e32 vcc, v16, v29
	s_and_b64 exec, exec, vcc
	s_cbranch_execz .LBB34_83
; %bb.87:                               ;   in Loop: Header=BB34_85 Depth=2
	v_perm_b32 v3, v3, 1, v35
	ds_write_b32 v9, v3 offset:3072
	s_branch .LBB34_83
.LBB34_88:                              ;   in Loop: Header=BB34_85 Depth=2
	v_add_u32_e32 v5, s70, v5
	v_cmp_le_i32_e32 vcc, s9, v5
	v_add_u32_e32 v2, s99, v2
	s_mov_b64 s[40:41], 0
	s_orn2_b64 s[38:39], vcc, exec
	s_branch .LBB34_84
.LBB34_89:                              ;   in Loop: Header=BB34_7 Depth=1
	s_or_b64 exec, exec, s[28:29]
	v_lshrrev_b32_e32 v37, 16, v3
	s_and_b64 s[28:29], s[36:37], exec
.LBB34_90:                              ;   in Loop: Header=BB34_7 Depth=1
	s_or_b64 exec, exec, s[34:35]
.LBB34_91:                              ;   in Loop: Header=BB34_7 Depth=1
	s_and_b64 vcc, exec, s[30:31]
	s_cbranch_vccz .LBB34_102
; %bb.92:                               ;   in Loop: Header=BB34_7 Depth=1
	s_add_i32 s38, s42, s33
	s_abs_i32 s25, s38
	s_mul_hi_u32 s26, s25, s8
	s_mul_i32 s26, s26, s70
	s_sub_i32 s25, s25, s26
	s_ashr_i32 s24, s38, 31
	s_sub_i32 s26, s25, s70
	s_cmp_ge_u32 s25, s70
	s_cselect_b32 s25, s26, s25
	s_sub_i32 s26, s25, s70
	s_cmp_ge_u32 s25, s70
	s_cselect_b32 s25, s26, s25
	s_xor_b32 s25, s25, s24
	s_sub_i32 s24, s24, s25
	s_add_i32 s38, s38, s24
	v_cmp_gt_i32_e32 vcc, s38, v0
                                        ; implicit-def: $vgpr37
	s_and_saveexec_b64 s[24:25], vcc
	s_cbranch_execz .LBB34_101
; %bb.93:                               ;   in Loop: Header=BB34_7 Depth=1
	s_mov_b64 s[26:27], 0
	v_mov_b32_e32 v2, v21
	v_mov_b32_e32 v3, v0
                                        ; implicit-def: $sgpr30_sgpr31
	s_branch .LBB34_96
.LBB34_94:                              ;   in Loop: Header=BB34_96 Depth=2
	s_or_b64 exec, exec, s[34:35]
	s_waitcnt lgkmcnt(0)
	s_barrier
	ds_read_b32 v5, v9 offset:3072
	s_mov_b64 s[34:35], -1
	s_waitcnt lgkmcnt(0)
	s_barrier
	v_cmp_ne_u32_sdwa s[36:37], v5, v9 src0_sel:WORD_0 src1_sel:DWORD
	s_and_b64 vcc, exec, s[36:37]
	s_mov_b64 s[36:37], -1
	s_cbranch_vccz .LBB34_99
.LBB34_95:                              ;   in Loop: Header=BB34_96 Depth=2
	s_and_b64 s[34:35], exec, s[34:35]
	s_or_b64 s[26:27], s[34:35], s[26:27]
	s_andn2_b64 s[30:31], s[30:31], exec
	s_and_b64 s[34:35], s[36:37], exec
	s_or_b64 s[30:31], s[30:31], s[34:35]
	s_andn2_b64 exec, exec, s[26:27]
	s_cbranch_execz .LBB34_100
.LBB34_96:                              ;   Parent Loop BB34_7 Depth=1
                                        ; =>  This Inner Loop Header: Depth=2
	v_cmp_gt_i32_e32 vcc, s42, v3
	s_and_saveexec_b64 s[34:35], vcc
	s_cbranch_execz .LBB34_94
; %bb.97:                               ;   in Loop: Header=BB34_96 Depth=2
	ds_read_u16 v5, v2
	s_waitcnt lgkmcnt(0)
	v_add_u32_sdwa v16, sext(v5), s69 dst_sel:DWORD dst_unused:UNUSED_PAD src0_sel:WORD_0 src1_sel:DWORD
	v_and_b32_e32 v16, v16, v36
	v_cmp_eq_u32_e32 vcc, v16, v29
	s_and_b64 exec, exec, vcc
	s_cbranch_execz .LBB34_94
; %bb.98:                               ;   in Loop: Header=BB34_96 Depth=2
	v_perm_b32 v5, v5, 1, v35
	ds_write_b32 v9, v5 offset:3072
	s_branch .LBB34_94
.LBB34_99:                              ;   in Loop: Header=BB34_96 Depth=2
	v_add_u32_e32 v3, s70, v3
	v_cmp_le_i32_e32 vcc, s38, v3
	v_add_u32_e32 v2, s90, v2
	s_mov_b64 s[36:37], 0
	s_orn2_b64 s[34:35], vcc, exec
	s_branch .LBB34_95
.LBB34_100:                             ;   in Loop: Header=BB34_7 Depth=1
	s_or_b64 exec, exec, s[26:27]
	s_andn2_b64 s[26:27], s[28:29], exec
	s_and_b64 s[28:29], s[30:31], exec
	v_lshrrev_b32_e32 v37, 16, v5
	s_or_b64 s[28:29], s[26:27], s[28:29]
.LBB34_101:                             ;   in Loop: Header=BB34_7 Depth=1
	s_or_b64 exec, exec, s[24:25]
	s_mov_b64 s[24:25], 0
	s_mov_b64 s[26:27], -1
.LBB34_102:                             ;   in Loop: Header=BB34_7 Depth=1
	s_orn2_b64 s[28:29], s[28:29], exec
.LBB34_103:                             ;   in Loop: Header=BB34_7 Depth=1
	s_or_b64 exec, exec, s[2:3]
	s_andn2_b64 s[2:3], s[82:83], exec
	s_and_b64 s[26:27], s[26:27], exec
	s_or_b64 s[82:83], s[2:3], s[26:27]
	s_andn2_b64 s[2:3], s[66:67], exec
	s_and_b64 s[24:25], s[24:25], exec
	v_readfirstlane_b32 s34, v0
	s_andn2_b64 s[64:65], s[64:65], exec
	s_or_b64 s[66:67], s[2:3], s[24:25]
                                        ; implicit-def: $vgpr16
	s_and_saveexec_b64 s[2:3], s[28:29]
	s_cbranch_execz .LBB34_6
; %bb.104:                              ;   in Loop: Header=BB34_7 Depth=1
	s_xor_b64 s[24:25], s[22:23], -1
	s_mov_b64 s[22:23], 0
	v_mov_b32_e32 v16, 1
	v_mov_b32_e32 v5, 1
	s_and_saveexec_b64 s[20:21], s[24:25]
	s_cbranch_execz .LBB34_113
; %bb.105:                              ;   in Loop: Header=BB34_7 Depth=1
	v_cmp_ge_i32_e32 vcc, s17, v38
	s_and_saveexec_b64 s[22:23], vcc
	s_xor_b64 s[22:23], exec, s[22:23]
	s_cbranch_execz .LBB34_110
; %bb.106:                              ;   in Loop: Header=BB34_7 Depth=1
	ds_read_b32 v2, v9 offset:4096
	v_and_b32_e32 v29, v29, v8
	v_or_b32_e32 v36, v36, v4
	s_waitcnt lgkmcnt(0)
	v_cmp_ne_u32_e32 vcc, 0, v2
	s_cbranch_vccnz .LBB34_110
; %bb.107:                              ;   in Loop: Header=BB34_7 Depth=1
	s_and_saveexec_b64 s[24:25], s[0:1]
; %bb.108:                              ;   in Loop: Header=BB34_7 Depth=1
	v_mov_b32_e32 v2, s17
	ds_write_b32 v9, v2 offset:4100
; %bb.109:                              ;   in Loop: Header=BB34_7 Depth=1
	s_or_b64 exec, exec, s[24:25]
	s_waitcnt lgkmcnt(0)
	s_barrier
.LBB34_110:                             ;   in Loop: Header=BB34_7 Depth=1
	s_or_saveexec_b64 s[22:23], s[22:23]
	s_mov_b64 s[24:25], 0
	v_mov_b32_e32 v5, 8
	s_xor_b64 exec, exec, s[22:23]
; %bb.111:                              ;   in Loop: Header=BB34_7 Depth=1
	s_mov_b64 s[24:25], exec
	v_subrev_u32_e32 v38, s17, v38
	v_mov_b32_e32 v5, 0
; %bb.112:                              ;   in Loop: Header=BB34_7 Depth=1
	s_or_b64 exec, exec, s[22:23]
	s_and_b64 s[22:23], s[24:25], exec
	v_mov_b32_e32 v16, v38
.LBB34_113:                             ;   in Loop: Header=BB34_7 Depth=1
	s_or_b64 exec, exec, s[20:21]
	s_mov_b64 s[20:21], -1
	s_mov_b64 s[28:29], -1
                                        ; implicit-def: $sgpr24_sgpr25
                                        ; implicit-def: $sgpr26_sgpr27
	s_and_saveexec_b64 s[30:31], s[22:23]
	s_xor_b64 s[22:23], exec, s[30:31]
	s_cbranch_execz .LBB34_230
; %bb.114:                              ;   in Loop: Header=BB34_7 Depth=1
	s_cmp_eq_u32 s16, 1
	s_cselect_b64 s[24:25], -1, 0
	v_cmp_eq_u32_e32 vcc, 1, v16
	s_and_b64 s[30:31], s[24:25], vcc
	s_mov_b64 s[34:35], -1
                                        ; implicit-def: $sgpr26_sgpr27
                                        ; implicit-def: $sgpr24_sgpr25
	s_and_saveexec_b64 s[28:29], s[30:31]
	s_cbranch_execz .LBB34_140
; %bb.115:                              ;   in Loop: Header=BB34_7 Depth=1
	ds_read_b32 v2, v9 offset:4096
	s_waitcnt lgkmcnt(0)
	s_barrier
	v_readfirstlane_b32 s17, v2
	s_and_saveexec_b64 s[24:25], s[4:5]
; %bb.116:                              ;   in Loop: Header=BB34_7 Depth=1
	ds_write_b16 v22, v9
; %bb.117:                              ;   in Loop: Header=BB34_7 Depth=1
	s_or_b64 exec, exec, s[24:25]
	v_and_b32_e32 v2, v29, v8
	v_lshl_or_b32 v29, 1, v34, v2
	v_or_b32_e32 v36, v36, v4
	s_mov_b64 s[24:25], -1
	s_mov_b64 s[26:27], 0
	s_cmp_gt_i32 s17, 0
	s_mov_b64 s[34:35], 0
	s_mov_b64 s[36:37], -1
	s_waitcnt lgkmcnt(0)
	s_barrier
                                        ; implicit-def: $vgpr37
	s_cbranch_scc1 .LBB34_128
; %bb.118:                              ;   in Loop: Header=BB34_7 Depth=1
	s_mov_b64 s[36:37], 0
                                        ; implicit-def: $vgpr37
	s_mov_b64 s[38:39], exec
	v_readlane_b32 s40, v52, 47
	v_readlane_b32 s41, v52, 48
	s_and_b64 s[40:41], s[38:39], s[40:41]
	s_mov_b64 exec, s[40:41]
	s_cbranch_execz .LBB34_127
; %bb.119:                              ;   in Loop: Header=BB34_7 Depth=1
	v_mov_b32_e32 v2, v6
	v_mov_b32_e32 v17, v0
                                        ; implicit-def: $sgpr40_sgpr41
	s_branch .LBB34_122
.LBB34_120:                             ;   in Loop: Header=BB34_122 Depth=2
	s_or_b64 exec, exec, s[42:43]
	s_waitcnt lgkmcnt(0)
	s_barrier
	ds_read_b32 v3, v9 offset:3072
	s_mov_b64 s[42:43], -1
	s_waitcnt lgkmcnt(0)
	s_barrier
	v_cmp_ne_u32_sdwa s[44:45], v3, v9 src0_sel:WORD_0 src1_sel:DWORD
	s_and_b64 vcc, exec, s[44:45]
	s_mov_b64 s[44:45], -1
	s_cbranch_vccz .LBB34_125
.LBB34_121:                             ;   in Loop: Header=BB34_122 Depth=2
	s_and_b64 s[42:43], exec, s[42:43]
	s_or_b64 s[34:35], s[42:43], s[34:35]
	s_andn2_b64 s[40:41], s[40:41], exec
	s_and_b64 s[42:43], s[44:45], exec
	s_or_b64 s[40:41], s[40:41], s[42:43]
	s_andn2_b64 exec, exec, s[34:35]
	s_cbranch_execz .LBB34_126
.LBB34_122:                             ;   Parent Loop BB34_7 Depth=1
                                        ; =>  This Inner Loop Header: Depth=2
	v_cmp_gt_i32_e32 vcc, s68, v17
	s_and_saveexec_b64 s[42:43], vcc
	s_cbranch_execz .LBB34_120
; %bb.123:                              ;   in Loop: Header=BB34_122 Depth=2
	v_ashrrev_i32_e32 v3, 31, v2
	v_lshl_add_u64 v[18:19], v[2:3], 1, s[80:81]
	global_load_ushort v3, v[18:19], off
	s_waitcnt vmcnt(0)
	v_add_u32_sdwa v18, sext(v3), s69 dst_sel:DWORD dst_unused:UNUSED_PAD src0_sel:WORD_0 src1_sel:DWORD
	v_and_b32_e32 v18, v18, v36
	v_cmp_eq_u32_e32 vcc, v18, v29
	s_and_b64 exec, exec, vcc
	s_cbranch_execz .LBB34_120
; %bb.124:                              ;   in Loop: Header=BB34_122 Depth=2
	v_perm_b32 v3, v3, 1, v35
	ds_write_b32 v9, v3 offset:3072
	s_branch .LBB34_120
.LBB34_125:                             ;   in Loop: Header=BB34_122 Depth=2
	v_add_u32_e32 v17, s70, v17
	v_cmp_le_i32_e32 vcc, s9, v17
	v_add_u32_e32 v2, s99, v2
	s_mov_b64 s[44:45], 0
	s_orn2_b64 s[42:43], vcc, exec
	s_branch .LBB34_121
.LBB34_126:                             ;   in Loop: Header=BB34_7 Depth=1
	s_or_b64 exec, exec, s[34:35]
	v_lshrrev_b32_e32 v37, 16, v3
	s_and_b64 s[34:35], s[40:41], exec
.LBB34_127:                             ;   in Loop: Header=BB34_7 Depth=1
	s_or_b64 exec, exec, s[38:39]
.LBB34_128:                             ;   in Loop: Header=BB34_7 Depth=1
	s_and_b64 vcc, exec, s[36:37]
	s_cbranch_vccz .LBB34_139
; %bb.129:                              ;   in Loop: Header=BB34_7 Depth=1
	s_add_i32 s42, s17, s33
	s_abs_i32 s25, s42
	s_mul_hi_u32 s26, s25, s8
	s_mul_i32 s26, s26, s70
	s_sub_i32 s25, s25, s26
	s_ashr_i32 s24, s42, 31
	s_sub_i32 s26, s25, s70
	s_cmp_ge_u32 s25, s70
	s_cselect_b32 s25, s26, s25
	s_sub_i32 s26, s25, s70
	s_cmp_ge_u32 s25, s70
	s_cselect_b32 s25, s26, s25
	s_xor_b32 s25, s25, s24
	s_sub_i32 s24, s24, s25
	s_add_i32 s42, s42, s24
	v_cmp_gt_i32_e32 vcc, s42, v0
                                        ; implicit-def: $vgpr37
	s_and_saveexec_b64 s[24:25], vcc
	s_cbranch_execz .LBB34_138
; %bb.130:                              ;   in Loop: Header=BB34_7 Depth=1
	s_mov_b64 s[26:27], 0
	v_mov_b32_e32 v2, v21
	v_mov_b32_e32 v3, v0
                                        ; implicit-def: $sgpr36_sgpr37
	s_branch .LBB34_133
.LBB34_131:                             ;   in Loop: Header=BB34_133 Depth=2
	s_or_b64 exec, exec, s[38:39]
	s_waitcnt lgkmcnt(0)
	s_barrier
	ds_read_b32 v17, v9 offset:3072
	s_mov_b64 s[38:39], -1
	s_waitcnt lgkmcnt(0)
	s_barrier
	v_cmp_eq_u32_sdwa s[40:41], v17, v9 src0_sel:WORD_0 src1_sel:DWORD
	s_and_b64 vcc, exec, s[40:41]
	s_mov_b64 s[40:41], -1
	s_cbranch_vccnz .LBB34_136
.LBB34_132:                             ;   in Loop: Header=BB34_133 Depth=2
	s_and_b64 s[38:39], exec, s[38:39]
	s_or_b64 s[26:27], s[38:39], s[26:27]
	s_andn2_b64 s[36:37], s[36:37], exec
	s_and_b64 s[38:39], s[40:41], exec
	s_or_b64 s[36:37], s[36:37], s[38:39]
	s_andn2_b64 exec, exec, s[26:27]
	s_cbranch_execz .LBB34_137
.LBB34_133:                             ;   Parent Loop BB34_7 Depth=1
                                        ; =>  This Inner Loop Header: Depth=2
	v_cmp_gt_i32_e32 vcc, s17, v3
	s_and_saveexec_b64 s[38:39], vcc
	s_cbranch_execz .LBB34_131
; %bb.134:                              ;   in Loop: Header=BB34_133 Depth=2
	ds_read_u16 v17, v2
	s_waitcnt lgkmcnt(0)
	v_add_u32_sdwa v18, sext(v17), s69 dst_sel:DWORD dst_unused:UNUSED_PAD src0_sel:WORD_0 src1_sel:DWORD
	v_and_b32_e32 v18, v18, v36
	v_cmp_eq_u32_e32 vcc, v18, v29
	s_and_b64 exec, exec, vcc
	s_cbranch_execz .LBB34_131
; %bb.135:                              ;   in Loop: Header=BB34_133 Depth=2
	v_perm_b32 v17, v17, 1, v35
	ds_write_b32 v9, v17 offset:3072
	s_branch .LBB34_131
.LBB34_136:                             ;   in Loop: Header=BB34_133 Depth=2
	v_add_u32_e32 v3, s70, v3
	v_cmp_le_i32_e32 vcc, s42, v3
	v_add_u32_e32 v2, s90, v2
	s_mov_b64 s[40:41], 0
	s_orn2_b64 s[38:39], vcc, exec
	s_branch .LBB34_132
.LBB34_137:                             ;   in Loop: Header=BB34_7 Depth=1
	s_or_b64 exec, exec, s[26:27]
	s_andn2_b64 s[26:27], s[34:35], exec
	s_and_b64 s[34:35], s[36:37], exec
	v_lshrrev_b32_e32 v37, 16, v17
	s_or_b64 s[34:35], s[26:27], s[34:35]
.LBB34_138:                             ;   in Loop: Header=BB34_7 Depth=1
	s_or_b64 exec, exec, s[24:25]
	s_mov_b64 s[24:25], 0
	s_mov_b64 s[26:27], -1
.LBB34_139:                             ;   in Loop: Header=BB34_7 Depth=1
	s_orn2_b64 s[34:35], s[34:35], exec
.LBB34_140:                             ;   in Loop: Header=BB34_7 Depth=1
	s_or_b64 exec, exec, s[28:29]
	s_mov_b64 s[36:37], 0
	s_and_saveexec_b64 s[28:29], s[34:35]
	s_cbranch_execz .LBB34_229
; %bb.141:                              ;   in Loop: Header=BB34_7 Depth=1
	s_xor_b64 s[34:35], s[30:31], -1
	s_mov_b64 s[40:41], 0
	v_mov_b32_e32 v17, 1
	v_mov_b32_e32 v5, 1
	s_and_saveexec_b64 s[30:31], s[34:35]
	s_cbranch_execz .LBB34_150
; %bb.142:                              ;   in Loop: Header=BB34_7 Depth=1
	v_cmp_ge_i32_e32 vcc, s16, v16
	s_and_saveexec_b64 s[34:35], vcc
	s_xor_b64 s[34:35], exec, s[34:35]
	s_cbranch_execz .LBB34_147
; %bb.143:                              ;   in Loop: Header=BB34_7 Depth=1
	ds_read_b32 v2, v9 offset:4096
	v_and_b32_e32 v3, v29, v8
	v_lshl_or_b32 v29, 1, v34, v3
	v_or_b32_e32 v36, v36, v4
	s_waitcnt lgkmcnt(0)
	v_cmp_ne_u32_e32 vcc, 0, v2
	s_cbranch_vccnz .LBB34_147
; %bb.144:                              ;   in Loop: Header=BB34_7 Depth=1
	s_and_saveexec_b64 s[36:37], s[0:1]
; %bb.145:                              ;   in Loop: Header=BB34_7 Depth=1
	v_mov_b32_e32 v2, s16
	ds_write_b32 v9, v2 offset:4100
; %bb.146:                              ;   in Loop: Header=BB34_7 Depth=1
	s_or_b64 exec, exec, s[36:37]
	s_waitcnt lgkmcnt(0)
	s_barrier
.LBB34_147:                             ;   in Loop: Header=BB34_7 Depth=1
	s_or_saveexec_b64 s[34:35], s[34:35]
	s_mov_b64 s[36:37], 0
	v_mov_b32_e32 v5, 8
	s_xor_b64 exec, exec, s[34:35]
; %bb.148:                              ;   in Loop: Header=BB34_7 Depth=1
	s_mov_b64 s[36:37], exec
	v_subrev_u32_e32 v16, s16, v16
	v_mov_b32_e32 v5, 0
; %bb.149:                              ;   in Loop: Header=BB34_7 Depth=1
	s_or_b64 exec, exec, s[34:35]
	s_and_b64 s[40:41], s[36:37], exec
	v_mov_b32_e32 v17, v16
.LBB34_150:                             ;   in Loop: Header=BB34_7 Depth=1
	s_or_b64 exec, exec, s[30:31]
	s_mov_b64 s[38:39], -1
                                        ; implicit-def: $sgpr34_sgpr35
                                        ; implicit-def: $sgpr36_sgpr37
	s_and_saveexec_b64 s[30:31], s[40:41]
	s_cbranch_execz .LBB34_228
; %bb.151:                              ;   in Loop: Header=BB34_7 Depth=1
	s_cmp_eq_u32 s54, 1
	s_cselect_b64 s[16:17], -1, 0
	v_cmp_eq_u32_e32 vcc, 1, v17
	s_and_b64 s[40:41], s[16:17], vcc
	s_mov_b64 s[42:43], -1
                                        ; implicit-def: $sgpr36_sgpr37
                                        ; implicit-def: $sgpr34_sgpr35
	s_and_saveexec_b64 s[38:39], s[40:41]
	s_cbranch_execz .LBB34_177
; %bb.152:                              ;   in Loop: Header=BB34_7 Depth=1
	ds_read_b32 v2, v9 offset:4096
	s_waitcnt lgkmcnt(0)
	s_barrier
	v_readfirstlane_b32 s16, v2
	s_and_saveexec_b64 s[34:35], s[4:5]
; %bb.153:                              ;   in Loop: Header=BB34_7 Depth=1
	ds_write_b16 v22, v9
; %bb.154:                              ;   in Loop: Header=BB34_7 Depth=1
	s_or_b64 exec, exec, s[34:35]
	v_and_b32_e32 v2, v29, v8
	v_lshl_or_b32 v29, 2, v34, v2
	v_or_b32_e32 v36, v36, v4
	s_mov_b64 s[34:35], -1
	s_mov_b64 s[36:37], 0
	s_cmp_gt_i32 s16, 0
	s_mov_b64 s[42:43], 0
	s_mov_b64 s[44:45], -1
	s_waitcnt lgkmcnt(0)
	s_barrier
                                        ; implicit-def: $vgpr37
	s_cbranch_scc1 .LBB34_165
; %bb.155:                              ;   in Loop: Header=BB34_7 Depth=1
	s_mov_b64 s[44:45], 0
                                        ; implicit-def: $vgpr37
	s_mov_b64 s[46:47], exec
	v_readlane_b32 s48, v52, 47
	v_readlane_b32 s49, v52, 48
	s_and_b64 s[48:49], s[46:47], s[48:49]
	s_mov_b64 exec, s[48:49]
	s_cbranch_execz .LBB34_164
; %bb.156:                              ;   in Loop: Header=BB34_7 Depth=1
	v_mov_b32_e32 v2, v6
	v_mov_b32_e32 v16, v0
                                        ; implicit-def: $sgpr48_sgpr49
	s_branch .LBB34_159
.LBB34_157:                             ;   in Loop: Header=BB34_159 Depth=2
	s_or_b64 exec, exec, s[50:51]
	s_waitcnt lgkmcnt(0)
	s_barrier
	ds_read_b32 v3, v9 offset:3072
	s_mov_b64 s[50:51], -1
	s_waitcnt lgkmcnt(0)
	s_barrier
	v_cmp_ne_u32_sdwa s[52:53], v3, v9 src0_sel:WORD_0 src1_sel:DWORD
	s_and_b64 vcc, exec, s[52:53]
	s_mov_b64 s[52:53], -1
	s_cbranch_vccz .LBB34_162
.LBB34_158:                             ;   in Loop: Header=BB34_159 Depth=2
	s_and_b64 s[50:51], exec, s[50:51]
	s_or_b64 s[42:43], s[50:51], s[42:43]
	s_andn2_b64 s[48:49], s[48:49], exec
	s_and_b64 s[50:51], s[52:53], exec
	s_or_b64 s[48:49], s[48:49], s[50:51]
	s_andn2_b64 exec, exec, s[42:43]
	s_cbranch_execz .LBB34_163
.LBB34_159:                             ;   Parent Loop BB34_7 Depth=1
                                        ; =>  This Inner Loop Header: Depth=2
	v_cmp_gt_i32_e32 vcc, s68, v16
	s_and_saveexec_b64 s[50:51], vcc
	s_cbranch_execz .LBB34_157
; %bb.160:                              ;   in Loop: Header=BB34_159 Depth=2
	v_ashrrev_i32_e32 v3, 31, v2
	v_lshl_add_u64 v[18:19], v[2:3], 1, s[80:81]
	global_load_ushort v3, v[18:19], off
	s_waitcnt vmcnt(0)
	v_add_u32_sdwa v18, sext(v3), s69 dst_sel:DWORD dst_unused:UNUSED_PAD src0_sel:WORD_0 src1_sel:DWORD
	v_and_b32_e32 v18, v18, v36
	v_cmp_eq_u32_e32 vcc, v18, v29
	s_and_b64 exec, exec, vcc
	s_cbranch_execz .LBB34_157
; %bb.161:                              ;   in Loop: Header=BB34_159 Depth=2
	v_perm_b32 v3, v3, 1, v35
	ds_write_b32 v9, v3 offset:3072
	s_branch .LBB34_157
.LBB34_162:                             ;   in Loop: Header=BB34_159 Depth=2
	v_add_u32_e32 v16, s70, v16
	v_cmp_le_i32_e32 vcc, s9, v16
	v_add_u32_e32 v2, s99, v2
	s_mov_b64 s[52:53], 0
	s_orn2_b64 s[50:51], vcc, exec
	s_branch .LBB34_158
.LBB34_163:                             ;   in Loop: Header=BB34_7 Depth=1
	s_or_b64 exec, exec, s[42:43]
	v_lshrrev_b32_e32 v37, 16, v3
	s_and_b64 s[42:43], s[48:49], exec
.LBB34_164:                             ;   in Loop: Header=BB34_7 Depth=1
	s_or_b64 exec, exec, s[46:47]
.LBB34_165:                             ;   in Loop: Header=BB34_7 Depth=1
	s_and_b64 vcc, exec, s[44:45]
	s_cbranch_vccz .LBB34_176
; %bb.166:                              ;   in Loop: Header=BB34_7 Depth=1
	s_add_i32 s17, s16, s33
	s_abs_i32 s35, s17
	s_mul_hi_u32 s36, s35, s8
	s_mul_i32 s36, s36, s70
	s_sub_i32 s35, s35, s36
	s_ashr_i32 s34, s17, 31
	s_sub_i32 s36, s35, s70
	s_cmp_ge_u32 s35, s70
	s_cselect_b32 s35, s36, s35
	s_sub_i32 s36, s35, s70
	s_cmp_ge_u32 s35, s70
	s_cselect_b32 s35, s36, s35
	s_xor_b32 s35, s35, s34
	s_sub_i32 s34, s34, s35
	s_add_i32 s17, s17, s34
	v_cmp_gt_i32_e32 vcc, s17, v0
                                        ; implicit-def: $vgpr37
	s_and_saveexec_b64 s[34:35], vcc
	s_cbranch_execz .LBB34_175
; %bb.167:                              ;   in Loop: Header=BB34_7 Depth=1
	s_mov_b64 s[36:37], 0
	v_mov_b32_e32 v2, v21
	v_mov_b32_e32 v3, v0
                                        ; implicit-def: $sgpr44_sgpr45
	s_branch .LBB34_170
.LBB34_168:                             ;   in Loop: Header=BB34_170 Depth=2
	s_or_b64 exec, exec, s[46:47]
	s_waitcnt lgkmcnt(0)
	s_barrier
	ds_read_b32 v16, v9 offset:3072
	s_mov_b64 s[46:47], -1
	s_waitcnt lgkmcnt(0)
	s_barrier
	v_cmp_eq_u32_sdwa s[48:49], v16, v9 src0_sel:WORD_0 src1_sel:DWORD
	s_and_b64 vcc, exec, s[48:49]
	s_mov_b64 s[48:49], -1
	s_cbranch_vccnz .LBB34_173
.LBB34_169:                             ;   in Loop: Header=BB34_170 Depth=2
	s_and_b64 s[46:47], exec, s[46:47]
	s_or_b64 s[36:37], s[46:47], s[36:37]
	s_andn2_b64 s[44:45], s[44:45], exec
	s_and_b64 s[46:47], s[48:49], exec
	s_or_b64 s[44:45], s[44:45], s[46:47]
	s_andn2_b64 exec, exec, s[36:37]
	s_cbranch_execz .LBB34_174
.LBB34_170:                             ;   Parent Loop BB34_7 Depth=1
                                        ; =>  This Inner Loop Header: Depth=2
	v_cmp_gt_i32_e32 vcc, s16, v3
	s_and_saveexec_b64 s[46:47], vcc
	s_cbranch_execz .LBB34_168
; %bb.171:                              ;   in Loop: Header=BB34_170 Depth=2
	ds_read_u16 v16, v2
	s_waitcnt lgkmcnt(0)
	v_add_u32_sdwa v18, sext(v16), s69 dst_sel:DWORD dst_unused:UNUSED_PAD src0_sel:WORD_0 src1_sel:DWORD
	v_and_b32_e32 v18, v18, v36
	v_cmp_eq_u32_e32 vcc, v18, v29
	s_and_b64 exec, exec, vcc
	s_cbranch_execz .LBB34_168
; %bb.172:                              ;   in Loop: Header=BB34_170 Depth=2
	v_perm_b32 v16, v16, 1, v35
	ds_write_b32 v9, v16 offset:3072
	s_branch .LBB34_168
.LBB34_173:                             ;   in Loop: Header=BB34_170 Depth=2
	v_add_u32_e32 v3, s70, v3
	v_cmp_le_i32_e32 vcc, s17, v3
	v_add_u32_e32 v2, s90, v2
	s_mov_b64 s[48:49], 0
	s_orn2_b64 s[46:47], vcc, exec
	s_branch .LBB34_169
.LBB34_174:                             ;   in Loop: Header=BB34_7 Depth=1
	s_or_b64 exec, exec, s[36:37]
	s_andn2_b64 s[16:17], s[42:43], exec
	s_and_b64 s[36:37], s[44:45], exec
	v_lshrrev_b32_e32 v37, 16, v16
	s_or_b64 s[42:43], s[16:17], s[36:37]
.LBB34_175:                             ;   in Loop: Header=BB34_7 Depth=1
	s_or_b64 exec, exec, s[34:35]
	s_mov_b64 s[34:35], 0
	s_mov_b64 s[36:37], -1
.LBB34_176:                             ;   in Loop: Header=BB34_7 Depth=1
	s_orn2_b64 s[42:43], s[42:43], exec
.LBB34_177:                             ;   in Loop: Header=BB34_7 Depth=1
	s_or_b64 exec, exec, s[38:39]
	s_mov_b64 s[44:45], 0
	s_and_saveexec_b64 s[38:39], s[42:43]
	s_cbranch_execz .LBB34_227
; %bb.178:                              ;   in Loop: Header=BB34_7 Depth=1
	s_xor_b64 s[16:17], s[40:41], -1
	s_mov_b64 s[48:49], 0
	v_mov_b32_e32 v16, 1
	v_mov_b32_e32 v5, 1
	s_and_saveexec_b64 s[40:41], s[16:17]
	s_cbranch_execz .LBB34_187
; %bb.179:                              ;   in Loop: Header=BB34_7 Depth=1
	v_cmp_ge_i32_e32 vcc, s54, v17
	s_and_saveexec_b64 s[16:17], vcc
	s_xor_b64 s[42:43], exec, s[16:17]
	s_cbranch_execz .LBB34_184
; %bb.180:                              ;   in Loop: Header=BB34_7 Depth=1
	ds_read_b32 v2, v9 offset:4096
	v_and_b32_e32 v3, v29, v8
	v_lshl_or_b32 v29, 2, v34, v3
	v_or_b32_e32 v36, v36, v4
	s_waitcnt lgkmcnt(0)
	v_cmp_ne_u32_e32 vcc, 0, v2
	s_cbranch_vccnz .LBB34_184
; %bb.181:                              ;   in Loop: Header=BB34_7 Depth=1
	s_and_saveexec_b64 s[44:45], s[0:1]
; %bb.182:                              ;   in Loop: Header=BB34_7 Depth=1
	v_mov_b32_e32 v2, s54
	ds_write_b32 v9, v2 offset:4100
; %bb.183:                              ;   in Loop: Header=BB34_7 Depth=1
	s_or_b64 exec, exec, s[44:45]
	s_waitcnt lgkmcnt(0)
	s_barrier
.LBB34_184:                             ;   in Loop: Header=BB34_7 Depth=1
	s_or_saveexec_b64 s[42:43], s[42:43]
	s_mov_b64 s[44:45], 0
	v_mov_b32_e32 v5, 8
	s_xor_b64 exec, exec, s[42:43]
; %bb.185:                              ;   in Loop: Header=BB34_7 Depth=1
	s_mov_b64 s[44:45], exec
	v_subrev_u32_e32 v17, s54, v17
	v_mov_b32_e32 v5, 0
; %bb.186:                              ;   in Loop: Header=BB34_7 Depth=1
	s_or_b64 exec, exec, s[42:43]
	s_and_b64 s[48:49], s[44:45], exec
	v_mov_b32_e32 v16, v17
.LBB34_187:                             ;   in Loop: Header=BB34_7 Depth=1
	s_or_b64 exec, exec, s[40:41]
	s_mov_b64 s[42:43], -1
                                        ; implicit-def: $sgpr46_sgpr47
                                        ; implicit-def: $sgpr44_sgpr45
	s_and_saveexec_b64 s[40:41], s[48:49]
	s_cbranch_execz .LBB34_226
; %bb.188:                              ;   in Loop: Header=BB34_7 Depth=1
	s_cmp_eq_u32 s76, 1
	s_cselect_b64 s[16:17], -1, 0
	v_cmp_eq_u32_e32 vcc, 1, v16
	s_and_b64 s[42:43], s[16:17], vcc
	s_mov_b64 s[50:51], -1
                                        ; implicit-def: $sgpr46_sgpr47
                                        ; implicit-def: $sgpr44_sgpr45
	s_and_saveexec_b64 s[48:49], s[42:43]
	s_cbranch_execz .LBB34_214
; %bb.189:                              ;   in Loop: Header=BB34_7 Depth=1
	ds_read_b32 v2, v9 offset:4096
	s_waitcnt lgkmcnt(0)
	s_barrier
	v_readfirstlane_b32 s16, v2
	s_and_saveexec_b64 s[44:45], s[4:5]
; %bb.190:                              ;   in Loop: Header=BB34_7 Depth=1
	ds_write_b16 v22, v9
; %bb.191:                              ;   in Loop: Header=BB34_7 Depth=1
	s_or_b64 exec, exec, s[44:45]
	v_or_b32_e32 v29, v29, v4
	v_or_b32_e32 v36, v36, v4
	s_mov_b64 s[44:45], -1
	s_mov_b64 s[46:47], 0
	s_cmp_gt_i32 s16, 0
	s_mov_b64 s[50:51], 0
	s_mov_b64 s[52:53], -1
	s_waitcnt lgkmcnt(0)
	s_barrier
                                        ; implicit-def: $vgpr37
	s_cbranch_scc1 .LBB34_202
; %bb.192:                              ;   in Loop: Header=BB34_7 Depth=1
	s_mov_b64 s[52:53], 0
                                        ; implicit-def: $vgpr37
	s_mov_b64 s[54:55], exec
	v_readlane_b32 s56, v52, 47
	v_readlane_b32 s57, v52, 48
	s_and_b64 s[56:57], s[54:55], s[56:57]
	s_mov_b64 exec, s[56:57]
	s_cbranch_execz .LBB34_201
; %bb.193:                              ;   in Loop: Header=BB34_7 Depth=1
	v_mov_b32_e32 v2, v6
	v_mov_b32_e32 v8, v0
                                        ; implicit-def: $sgpr56_sgpr57
	s_branch .LBB34_196
.LBB34_194:                             ;   in Loop: Header=BB34_196 Depth=2
	s_or_b64 exec, exec, s[58:59]
	s_waitcnt lgkmcnt(0)
	s_barrier
	ds_read_b32 v3, v9 offset:3072
	s_mov_b64 s[58:59], -1
	s_waitcnt lgkmcnt(0)
	s_barrier
	v_cmp_ne_u32_sdwa s[72:73], v3, v9 src0_sel:WORD_0 src1_sel:DWORD
	s_and_b64 vcc, exec, s[72:73]
	s_mov_b64 s[72:73], -1
	s_cbranch_vccz .LBB34_199
.LBB34_195:                             ;   in Loop: Header=BB34_196 Depth=2
	s_and_b64 s[58:59], exec, s[58:59]
	s_or_b64 s[50:51], s[58:59], s[50:51]
	s_andn2_b64 s[56:57], s[56:57], exec
	s_and_b64 s[58:59], s[72:73], exec
	s_or_b64 s[56:57], s[56:57], s[58:59]
	s_andn2_b64 exec, exec, s[50:51]
	s_cbranch_execz .LBB34_200
.LBB34_196:                             ;   Parent Loop BB34_7 Depth=1
                                        ; =>  This Inner Loop Header: Depth=2
	v_cmp_gt_i32_e32 vcc, s68, v8
	s_and_saveexec_b64 s[58:59], vcc
	s_cbranch_execz .LBB34_194
; %bb.197:                              ;   in Loop: Header=BB34_196 Depth=2
	v_ashrrev_i32_e32 v3, 31, v2
	v_lshl_add_u64 v[18:19], v[2:3], 1, s[80:81]
	global_load_ushort v3, v[18:19], off
	s_waitcnt vmcnt(0)
	v_add_u32_sdwa v17, sext(v3), s69 dst_sel:DWORD dst_unused:UNUSED_PAD src0_sel:WORD_0 src1_sel:DWORD
	v_and_b32_e32 v17, v17, v36
	v_cmp_eq_u32_e32 vcc, v17, v29
	s_and_b64 exec, exec, vcc
	s_cbranch_execz .LBB34_194
; %bb.198:                              ;   in Loop: Header=BB34_196 Depth=2
	v_perm_b32 v3, v3, 1, v35
	ds_write_b32 v9, v3 offset:3072
	s_branch .LBB34_194
.LBB34_199:                             ;   in Loop: Header=BB34_196 Depth=2
	v_add_u32_e32 v8, s70, v8
	v_cmp_le_i32_e32 vcc, s9, v8
	v_add_u32_e32 v2, s99, v2
	s_mov_b64 s[72:73], 0
	s_orn2_b64 s[58:59], vcc, exec
	s_branch .LBB34_195
.LBB34_200:                             ;   in Loop: Header=BB34_7 Depth=1
	s_or_b64 exec, exec, s[50:51]
	v_lshrrev_b32_e32 v37, 16, v3
	s_and_b64 s[50:51], s[56:57], exec
.LBB34_201:                             ;   in Loop: Header=BB34_7 Depth=1
	s_or_b64 exec, exec, s[54:55]
.LBB34_202:                             ;   in Loop: Header=BB34_7 Depth=1
	s_and_b64 vcc, exec, s[52:53]
	s_cbranch_vccz .LBB34_213
; %bb.203:                              ;   in Loop: Header=BB34_7 Depth=1
	s_add_i32 s17, s16, s33
	s_abs_i32 s45, s17
	s_mul_hi_u32 s46, s45, s8
	s_mul_i32 s46, s46, s70
	s_sub_i32 s45, s45, s46
	s_ashr_i32 s44, s17, 31
	s_sub_i32 s46, s45, s70
	s_cmp_ge_u32 s45, s70
	s_cselect_b32 s45, s46, s45
	s_sub_i32 s46, s45, s70
	s_cmp_ge_u32 s45, s70
	s_cselect_b32 s45, s46, s45
	s_xor_b32 s45, s45, s44
	s_sub_i32 s44, s44, s45
	s_add_i32 s17, s17, s44
	v_cmp_gt_i32_e32 vcc, s17, v0
                                        ; implicit-def: $vgpr37
	s_and_saveexec_b64 s[44:45], vcc
	s_cbranch_execz .LBB34_212
; %bb.204:                              ;   in Loop: Header=BB34_7 Depth=1
	s_mov_b64 s[46:47], 0
	v_mov_b32_e32 v2, v21
	v_mov_b32_e32 v3, v0
                                        ; implicit-def: $sgpr52_sgpr53
	s_branch .LBB34_207
.LBB34_205:                             ;   in Loop: Header=BB34_207 Depth=2
	s_or_b64 exec, exec, s[54:55]
	s_waitcnt lgkmcnt(0)
	s_barrier
	ds_read_b32 v8, v9 offset:3072
	s_mov_b64 s[54:55], -1
	s_waitcnt lgkmcnt(0)
	s_barrier
	v_cmp_eq_u32_sdwa s[56:57], v8, v9 src0_sel:WORD_0 src1_sel:DWORD
	s_and_b64 vcc, exec, s[56:57]
	s_mov_b64 s[56:57], -1
	s_cbranch_vccnz .LBB34_210
.LBB34_206:                             ;   in Loop: Header=BB34_207 Depth=2
	s_and_b64 s[54:55], exec, s[54:55]
	s_or_b64 s[46:47], s[54:55], s[46:47]
	s_andn2_b64 s[52:53], s[52:53], exec
	s_and_b64 s[54:55], s[56:57], exec
	s_or_b64 s[52:53], s[52:53], s[54:55]
	s_andn2_b64 exec, exec, s[46:47]
	s_cbranch_execz .LBB34_211
.LBB34_207:                             ;   Parent Loop BB34_7 Depth=1
                                        ; =>  This Inner Loop Header: Depth=2
	v_cmp_gt_i32_e32 vcc, s16, v3
	s_and_saveexec_b64 s[54:55], vcc
	s_cbranch_execz .LBB34_205
; %bb.208:                              ;   in Loop: Header=BB34_207 Depth=2
	ds_read_u16 v8, v2
	s_waitcnt lgkmcnt(0)
	v_add_u32_sdwa v17, sext(v8), s69 dst_sel:DWORD dst_unused:UNUSED_PAD src0_sel:WORD_0 src1_sel:DWORD
	v_and_b32_e32 v17, v17, v36
	v_cmp_eq_u32_e32 vcc, v17, v29
	s_and_b64 exec, exec, vcc
	s_cbranch_execz .LBB34_205
; %bb.209:                              ;   in Loop: Header=BB34_207 Depth=2
	v_perm_b32 v8, v8, 1, v35
	ds_write_b32 v9, v8 offset:3072
	s_branch .LBB34_205
.LBB34_210:                             ;   in Loop: Header=BB34_207 Depth=2
	v_add_u32_e32 v3, s70, v3
	v_cmp_le_i32_e32 vcc, s17, v3
	v_add_u32_e32 v2, s90, v2
	s_mov_b64 s[56:57], 0
	s_orn2_b64 s[54:55], vcc, exec
	s_branch .LBB34_206
.LBB34_211:                             ;   in Loop: Header=BB34_7 Depth=1
	s_or_b64 exec, exec, s[46:47]
	s_andn2_b64 s[16:17], s[50:51], exec
	s_and_b64 s[46:47], s[52:53], exec
	v_lshrrev_b32_e32 v37, 16, v8
	s_or_b64 s[50:51], s[16:17], s[46:47]
.LBB34_212:                             ;   in Loop: Header=BB34_7 Depth=1
	s_or_b64 exec, exec, s[44:45]
	s_mov_b64 s[44:45], 0
	s_mov_b64 s[46:47], -1
.LBB34_213:                             ;   in Loop: Header=BB34_7 Depth=1
	s_orn2_b64 s[50:51], s[50:51], exec
.LBB34_214:                             ;   in Loop: Header=BB34_7 Depth=1
	s_or_b64 exec, exec, s[48:49]
	s_mov_b64 s[52:53], 0
	s_and_saveexec_b64 s[48:49], s[50:51]
	s_cbranch_execz .LBB34_225
; %bb.215:                              ;   in Loop: Header=BB34_7 Depth=1
	s_xor_b64 s[16:17], s[42:43], -1
	v_mov_b32_e32 v5, 1
	v_mov_b32_e32 v2, 1
	s_and_saveexec_b64 s[42:43], s[16:17]
	s_cbranch_execz .LBB34_224
; %bb.216:                              ;   in Loop: Header=BB34_7 Depth=1
	v_cmp_ge_i32_e32 vcc, s76, v16
	s_and_saveexec_b64 s[16:17], vcc
	s_xor_b64 s[50:51], exec, s[16:17]
	s_cbranch_execz .LBB34_221
; %bb.217:                              ;   in Loop: Header=BB34_7 Depth=1
	ds_read_b32 v2, v9 offset:4096
	v_or_b32_e32 v29, v29, v4
	v_or_b32_e32 v36, v36, v4
	s_waitcnt lgkmcnt(0)
	v_cmp_ne_u32_e32 vcc, 0, v2
	s_cbranch_vccnz .LBB34_221
; %bb.218:                              ;   in Loop: Header=BB34_7 Depth=1
	s_and_saveexec_b64 s[52:53], s[0:1]
; %bb.219:                              ;   in Loop: Header=BB34_7 Depth=1
	v_mov_b32_e32 v2, s76
	ds_write_b32 v9, v2 offset:4100
; %bb.220:                              ;   in Loop: Header=BB34_7 Depth=1
	s_or_b64 exec, exec, s[52:53]
	s_waitcnt lgkmcnt(0)
	s_barrier
.LBB34_221:                             ;   in Loop: Header=BB34_7 Depth=1
	s_andn2_saveexec_b64 s[50:51], s[50:51]
; %bb.222:                              ;   in Loop: Header=BB34_7 Depth=1
	v_subrev_u32_e32 v16, s76, v16
; %bb.223:                              ;   in Loop: Header=BB34_7 Depth=1
	s_or_b64 exec, exec, s[50:51]
	v_mov_b32_e32 v5, 8
	v_mov_b32_e32 v2, v16
.LBB34_224:                             ;   in Loop: Header=BB34_7 Depth=1
	s_or_b64 exec, exec, s[42:43]
	s_mov_b64 s[52:53], exec
	v_mov_b32_e32 v16, v2
.LBB34_225:                             ;   in Loop: Header=BB34_7 Depth=1
	s_or_b64 exec, exec, s[48:49]
	s_orn2_b64 s[42:43], s[52:53], exec
.LBB34_226:                             ;   in Loop: Header=BB34_7 Depth=1
	s_or_b64 exec, exec, s[40:41]
	s_andn2_b64 s[16:17], s[36:37], exec
	s_and_b64 s[36:37], s[46:47], exec
	s_or_b64 s[36:37], s[16:17], s[36:37]
	s_andn2_b64 s[16:17], s[34:35], exec
	s_and_b64 s[34:35], s[44:45], exec
	s_or_b64 s[34:35], s[16:17], s[34:35]
	s_and_b64 s[44:45], s[42:43], exec
	v_mov_b32_e32 v17, v16
.LBB34_227:                             ;   in Loop: Header=BB34_7 Depth=1
	s_or_b64 exec, exec, s[38:39]
	s_orn2_b64 s[38:39], s[44:45], exec
.LBB34_228:                             ;   in Loop: Header=BB34_7 Depth=1
	s_or_b64 exec, exec, s[30:31]
	s_andn2_b64 s[16:17], s[26:27], exec
	s_and_b64 s[26:27], s[36:37], exec
	s_or_b64 s[26:27], s[16:17], s[26:27]
	s_andn2_b64 s[16:17], s[24:25], exec
	s_and_b64 s[24:25], s[34:35], exec
	s_or_b64 s[24:25], s[16:17], s[24:25]
	s_and_b64 s[36:37], s[38:39], exec
	v_mov_b32_e32 v16, v17
.LBB34_229:                             ;   in Loop: Header=BB34_7 Depth=1
	s_or_b64 exec, exec, s[28:29]
	s_orn2_b64 s[28:29], s[36:37], exec
.LBB34_230:                             ;   in Loop: Header=BB34_7 Depth=1
	s_or_b64 exec, exec, s[22:23]
	s_mov_b64 s[30:31], 0
                                        ; implicit-def: $sgpr34
	s_and_saveexec_b64 s[16:17], s[28:29]
	s_xor_b64 s[22:23], exec, s[16:17]
	s_cbranch_execz .LBB34_5
; %bb.231:                              ;   in Loop: Header=BB34_7 Depth=1
	v_and_b32_e32 v2, 7, v5
	v_cmp_eq_u32_e32 vcc, 0, v2
	s_mov_b64 s[20:21], -1
	s_mov_b64 s[28:29], -1
                                        ; implicit-def: $sgpr34
	s_and_saveexec_b64 s[30:31], vcc
	s_cbranch_execz .LBB34_4
; %bb.232:                              ;   in Loop: Header=BB34_7 Depth=1
	v_add_u32_e32 v2, -2, v34
	v_cmp_eq_u32_e32 vcc, 0, v34
	s_xor_b32 s34, s91, 1
	s_xor_b64 s[28:29], exec, -1
	s_orn2_b64 s[20:21], vcc, exec
	v_mov_b32_e32 v34, v2
	s_branch .LBB34_4
.LBB34_233:
	s_or_b64 exec, exec, s[74:75]
	s_xor_b64 s[8:9], s[62:63], -1
	s_xor_b64 s[2:3], s[78:79], -1
	;; [unrolled: 1-line block ×3, first 2 shown]
	s_mov_b64 s[4:5], 0
	s_and_saveexec_b64 s[10:11], s[2:3]
	s_xor_b64 s[2:3], exec, s[10:11]
	s_cbranch_execnz .LBB34_238
; %bb.234:
	s_andn2_saveexec_b64 s[0:1], s[2:3]
	s_cbranch_execnz .LBB34_258
.LBB34_235:
	s_or_b64 exec, exec, s[0:1]
	s_and_saveexec_b64 s[0:1], s[4:5]
.LBB34_236:
	; divergent unreachable
.LBB34_237:
	s_endpgm
.LBB34_238:
	s_and_saveexec_b64 s[4:5], s[8:9]
	s_xor_b64 s[4:5], exec, s[4:5]
	s_cbranch_execz .LBB34_256
; %bb.239:
	s_and_saveexec_b64 s[8:9], s[6:7]
	s_xor_b64 s[6:7], exec, s[8:9]
; %bb.240:
	v_xor_b32_e32 v37, 0xffff8000, v29
; %bb.241:
	s_or_b64 exec, exec, s[6:7]
	s_and_saveexec_b64 s[6:7], s[0:1]
	v_readlane_b32 s22, v52, 20
	v_readlane_b32 s24, v52, 25
	;; [unrolled: 1-line block ×7, first 2 shown]
; %bb.242:
	v_mov_b32_e32 v1, 0
	v_mov_b32_e32 v2, s68
	ds_write_b32 v1, v2 offset:4108
; %bb.243:
	s_or_b64 exec, exec, s[6:7]
	v_mov_b32_e32 v1, 0
	s_waitcnt lgkmcnt(0)
	s_barrier
	ds_read_b32 v1, v1 offset:4108
	s_waitcnt lgkmcnt(0)
	v_min_i32_e32 v2, s68, v1
	v_cmp_lt_i32_e32 vcc, v0, v2
	s_and_saveexec_b64 s[6:7], vcc
	s_cbranch_execz .LBB34_253
; %bb.244:
	s_mov_b64 s[8:9], 0
                                        ; implicit-def: $sgpr10_sgpr11
                                        ; implicit-def: $sgpr14_sgpr15
                                        ; implicit-def: $sgpr12_sgpr13
	s_branch .LBB34_246
.LBB34_245:                             ;   in Loop: Header=BB34_246 Depth=1
	s_or_b64 exec, exec, s[16:17]
	s_and_b64 s[16:17], exec, s[14:15]
	s_or_b64 s[8:9], s[16:17], s[8:9]
	s_andn2_b64 s[10:11], s[10:11], exec
	s_and_b64 s[16:17], s[12:13], exec
	s_or_b64 s[10:11], s[10:11], s[16:17]
	s_andn2_b64 exec, exec, s[8:9]
	s_cbranch_execz .LBB34_248
.LBB34_246:                             ; =>This Inner Loop Header: Depth=1
	v_ashrrev_i32_e32 v7, 31, v6
	v_lshl_add_u64 v[4:5], v[6:7], 1, s[80:81]
	global_load_ushort v3, v[4:5], off
	v_mov_b32_e32 v1, v0
	s_or_b64 s[12:13], s[12:13], exec
	s_or_b64 s[14:15], s[14:15], exec
                                        ; implicit-def: $vgpr0
	s_waitcnt vmcnt(0)
	v_cmp_ne_u16_e32 vcc, v3, v37
	s_and_saveexec_b64 s[16:17], vcc
	s_cbranch_execz .LBB34_245
; %bb.247:                              ;   in Loop: Header=BB34_246 Depth=1
	v_add_u32_e32 v0, s70, v1
	v_cmp_ge_i32_e32 vcc, v0, v2
	s_andn2_b64 s[14:15], s[14:15], exec
	s_and_b64 s[18:19], vcc, exec
	v_add_u32_e32 v6, s99, v6
	s_andn2_b64 s[12:13], s[12:13], exec
	s_or_b64 s[14:15], s[14:15], s[18:19]
	s_branch .LBB34_245
.LBB34_248:
	s_or_b64 exec, exec, s[8:9]
	s_and_saveexec_b64 s[8:9], s[10:11]
	s_xor_b64 s[8:9], exec, s[8:9]
	s_cbranch_execz .LBB34_253
; %bb.249:
	s_mov_b64 s[8:9], exec
	s_brev_b32 s10, -2
.LBB34_250:                             ; =>This Inner Loop Header: Depth=1
	s_ff1_i32_b64 s11, s[8:9]
	v_readlane_b32 s14, v1, s11
	s_lshl_b64 s[12:13], 1, s11
	s_min_i32 s10, s10, s14
	s_andn2_b64 s[8:9], s[8:9], s[12:13]
	s_cmp_lg_u64 s[8:9], 0
	s_cbranch_scc1 .LBB34_250
; %bb.251:
	v_mbcnt_lo_u32_b32 v0, exec_lo, 0
	v_mbcnt_hi_u32_b32 v0, exec_hi, v0
	v_cmp_eq_u32_e32 vcc, 0, v0
	s_and_saveexec_b64 s[8:9], vcc
	s_xor_b64 s[8:9], exec, s[8:9]
; %bb.252:
	v_mov_b32_e32 v0, 0
	v_mov_b32_e32 v1, s10
	ds_min_i32 v0, v1 offset:4108
.LBB34_253:
	s_or_b64 exec, exec, s[6:7]
	s_waitcnt lgkmcnt(0)
	s_barrier
	s_and_saveexec_b64 s[6:7], s[0:1]
	s_cbranch_execz .LBB34_255
; %bb.254:
	v_readlane_b32 s8, v52, 0
	s_mul_i32 s0, s21, s23
	v_readlane_b32 s10, v52, 2
	s_sub_i32 s0, s20, s0
	v_readlane_b32 s9, v52, 1
	v_readlane_b32 s11, v52, 3
	s_mov_b32 s14, s10
	s_mov_b64 s[12:13], s[8:9]
	s_mul_i32 s0, s0, s14
	v_readlane_b32 s1, v52, 19
	v_readlane_b32 s8, v52, 22
	;; [unrolled: 1-line block ×4, first 2 shown]
	s_xor_b32 s1, s1, s8
	s_mul_i32 s8, s14, s11
	v_readlane_b32 s9, v52, 13
	s_sub_i32 s8, s9, s8
	s_add_i32 s9, s14, 1
	s_sub_i32 s10, s8, s11
	s_cmp_ge_u32 s8, s11
	s_cselect_b32 s9, s9, s14
	s_cselect_b32 s8, s10, s8
	s_add_i32 s10, s9, 1
	s_cmp_ge_u32 s8, s11
	s_cselect_b32 s8, s10, s9
	s_xor_b32 s8, s8, s1
	s_sub_i32 s1, s8, s1
	s_mul_i32 s8, s1, s22
	s_sub_i32 s8, s21, s8
	s_mul_i32 s8, s8, s13
	s_add_i32 s0, s8, s0
	s_mul_i32 s1, s1, s12
	v_readlane_b32 s8, v52, 4
	s_add_i32 s0, s0, s1
	s_mul_i32 s1, s26, s25
	v_readlane_b32 s10, v52, 6
	s_sub_i32 s1, s20, s1
	v_readlane_b32 s9, v52, 5
	s_mov_b32 s14, s10
	s_mov_b64 s[12:13], s[8:9]
	s_mul_i32 s1, s1, s14
	v_readlane_b32 s8, v52, 24
	v_readlane_b32 s9, v52, 27
	;; [unrolled: 1-line block ×4, first 2 shown]
	s_xor_b32 s8, s8, s9
	s_mul_i32 s9, s15, s14
	v_readlane_b32 s10, v52, 16
	v_readlane_b32 s11, v52, 7
	s_sub_i32 s9, s10, s9
	s_add_i32 s10, s15, 1
	s_sub_i32 s11, s9, s14
	s_cmp_ge_u32 s9, s14
	s_cselect_b32 s10, s10, s15
	s_cselect_b32 s9, s11, s9
	s_add_i32 s11, s10, 1
	s_cmp_ge_u32 s9, s14
	s_cselect_b32 s9, s11, s10
	s_xor_b32 s9, s9, s8
	s_sub_i32 s8, s9, s8
	s_mul_i32 s9, s8, s24
	s_sub_i32 s9, s26, s9
	s_mul_i32 s9, s9, s13
	s_add_i32 s1, s9, s1
	s_mul_i32 s8, s8, s12
	s_add_i32 s8, s1, s8
	s_ashr_i32 s1, s0, 31
	v_mov_b32_e32 v2, 0
	s_lshl_b64 s[0:1], s[0:1], 1
	v_readlane_b32 s10, v52, 11
	ds_read_b32 v0, v2 offset:4108
	v_readlane_b32 s11, v52, 12
	s_add_u32 s0, s10, s0
	s_addc_u32 s1, s11, s1
	s_ashr_i32 s9, s8, 31
	s_lshl_b64 s[8:9], s[8:9], 3
	v_readlane_b32 s10, v52, 8
	v_readlane_b32 s11, v52, 9
	s_add_u32 s8, s10, s8
	s_addc_u32 s9, s11, s9
	s_waitcnt lgkmcnt(0)
	v_ashrrev_i32_e32 v1, 31, v0
	global_store_dwordx2 v2, v[0:1], s[8:9]
	global_store_short v2, v37, s[0:1]
.LBB34_255:
	s_or_b64 exec, exec, s[6:7]
.LBB34_256:
	s_or_saveexec_b64 s[0:1], s[4:5]
	s_mov_b64 s[4:5], 0
	s_xor_b64 exec, exec, s[0:1]
	s_cbranch_execnz .LBB34_259
.LBB34_257:
	s_or_b64 exec, exec, s[0:1]
	s_and_b64 s[4:5], s[4:5], exec
	s_andn2_saveexec_b64 s[0:1], s[2:3]
	s_cbranch_execz .LBB34_235
.LBB34_258:
	s_or_b64 s[4:5], s[4:5], exec
	s_trap 2
	s_or_b64 exec, exec, s[0:1]
	s_and_saveexec_b64 s[0:1], s[4:5]
	s_cbranch_execnz .LBB34_236
	s_branch .LBB34_237
.LBB34_259:
	s_mov_b64 s[4:5], exec
	s_trap 2
	s_branch .LBB34_257
	.section	.rodata,"a",@progbits
	.p2align	6, 0x0
	.amdhsa_kernel _ZN2at6native12_GLOBAL__N_114gatherKthValueIsiLi3EEEvNS_4cuda6detail10TensorInfoIKT_T0_EES8_S8_S8_S8_NS5_IS6_S8_EENS5_IlS8_EE
		.amdhsa_group_segment_fixed_size 4112
		.amdhsa_private_segment_fixed_size 0
		.amdhsa_kernarg_size 920
		.amdhsa_user_sgpr_count 2
		.amdhsa_user_sgpr_dispatch_ptr 0
		.amdhsa_user_sgpr_queue_ptr 0
		.amdhsa_user_sgpr_kernarg_segment_ptr 1
		.amdhsa_user_sgpr_dispatch_id 0
		.amdhsa_user_sgpr_kernarg_preload_length 0
		.amdhsa_user_sgpr_kernarg_preload_offset 0
		.amdhsa_user_sgpr_private_segment_size 0
		.amdhsa_uses_dynamic_stack 0
		.amdhsa_enable_private_segment 0
		.amdhsa_system_sgpr_workgroup_id_x 1
		.amdhsa_system_sgpr_workgroup_id_y 1
		.amdhsa_system_sgpr_workgroup_id_z 1
		.amdhsa_system_sgpr_workgroup_info 0
		.amdhsa_system_vgpr_workitem_id 0
		.amdhsa_next_free_vgpr 53
		.amdhsa_next_free_sgpr 100
		.amdhsa_accum_offset 56
		.amdhsa_reserve_vcc 1
		.amdhsa_float_round_mode_32 0
		.amdhsa_float_round_mode_16_64 0
		.amdhsa_float_denorm_mode_32 3
		.amdhsa_float_denorm_mode_16_64 3
		.amdhsa_dx10_clamp 1
		.amdhsa_ieee_mode 1
		.amdhsa_fp16_overflow 0
		.amdhsa_tg_split 0
		.amdhsa_exception_fp_ieee_invalid_op 0
		.amdhsa_exception_fp_denorm_src 0
		.amdhsa_exception_fp_ieee_div_zero 0
		.amdhsa_exception_fp_ieee_overflow 0
		.amdhsa_exception_fp_ieee_underflow 0
		.amdhsa_exception_fp_ieee_inexact 0
		.amdhsa_exception_int_div_zero 0
	.end_amdhsa_kernel
	.section	.text._ZN2at6native12_GLOBAL__N_114gatherKthValueIsiLi3EEEvNS_4cuda6detail10TensorInfoIKT_T0_EES8_S8_S8_S8_NS5_IS6_S8_EENS5_IlS8_EE,"axG",@progbits,_ZN2at6native12_GLOBAL__N_114gatherKthValueIsiLi3EEEvNS_4cuda6detail10TensorInfoIKT_T0_EES8_S8_S8_S8_NS5_IS6_S8_EENS5_IlS8_EE,comdat
.Lfunc_end34:
	.size	_ZN2at6native12_GLOBAL__N_114gatherKthValueIsiLi3EEEvNS_4cuda6detail10TensorInfoIKT_T0_EES8_S8_S8_S8_NS5_IS6_S8_EENS5_IlS8_EE, .Lfunc_end34-_ZN2at6native12_GLOBAL__N_114gatherKthValueIsiLi3EEEvNS_4cuda6detail10TensorInfoIKT_T0_EES8_S8_S8_S8_NS5_IS6_S8_EENS5_IlS8_EE
                                        ; -- End function
	.set _ZN2at6native12_GLOBAL__N_114gatherKthValueIsiLi3EEEvNS_4cuda6detail10TensorInfoIKT_T0_EES8_S8_S8_S8_NS5_IS6_S8_EENS5_IlS8_EE.num_vgpr, 53
	.set _ZN2at6native12_GLOBAL__N_114gatherKthValueIsiLi3EEEvNS_4cuda6detail10TensorInfoIKT_T0_EES8_S8_S8_S8_NS5_IS6_S8_EENS5_IlS8_EE.num_agpr, 0
	.set _ZN2at6native12_GLOBAL__N_114gatherKthValueIsiLi3EEEvNS_4cuda6detail10TensorInfoIKT_T0_EES8_S8_S8_S8_NS5_IS6_S8_EENS5_IlS8_EE.numbered_sgpr, 100
	.set _ZN2at6native12_GLOBAL__N_114gatherKthValueIsiLi3EEEvNS_4cuda6detail10TensorInfoIKT_T0_EES8_S8_S8_S8_NS5_IS6_S8_EENS5_IlS8_EE.num_named_barrier, 0
	.set _ZN2at6native12_GLOBAL__N_114gatherKthValueIsiLi3EEEvNS_4cuda6detail10TensorInfoIKT_T0_EES8_S8_S8_S8_NS5_IS6_S8_EENS5_IlS8_EE.private_seg_size, 0
	.set _ZN2at6native12_GLOBAL__N_114gatherKthValueIsiLi3EEEvNS_4cuda6detail10TensorInfoIKT_T0_EES8_S8_S8_S8_NS5_IS6_S8_EENS5_IlS8_EE.uses_vcc, 1
	.set _ZN2at6native12_GLOBAL__N_114gatherKthValueIsiLi3EEEvNS_4cuda6detail10TensorInfoIKT_T0_EES8_S8_S8_S8_NS5_IS6_S8_EENS5_IlS8_EE.uses_flat_scratch, 0
	.set _ZN2at6native12_GLOBAL__N_114gatherKthValueIsiLi3EEEvNS_4cuda6detail10TensorInfoIKT_T0_EES8_S8_S8_S8_NS5_IS6_S8_EENS5_IlS8_EE.has_dyn_sized_stack, 0
	.set _ZN2at6native12_GLOBAL__N_114gatherKthValueIsiLi3EEEvNS_4cuda6detail10TensorInfoIKT_T0_EES8_S8_S8_S8_NS5_IS6_S8_EENS5_IlS8_EE.has_recursion, 0
	.set _ZN2at6native12_GLOBAL__N_114gatherKthValueIsiLi3EEEvNS_4cuda6detail10TensorInfoIKT_T0_EES8_S8_S8_S8_NS5_IS6_S8_EENS5_IlS8_EE.has_indirect_call, 0
	.section	.AMDGPU.csdata,"",@progbits
; Kernel info:
; codeLenInByte = 10240
; TotalNumSgprs: 106
; NumVgprs: 53
; NumAgprs: 0
; TotalNumVgprs: 53
; ScratchSize: 0
; MemoryBound: 0
; FloatMode: 240
; IeeeMode: 1
; LDSByteSize: 4112 bytes/workgroup (compile time only)
; SGPRBlocks: 13
; VGPRBlocks: 6
; NumSGPRsForWavesPerEU: 106
; NumVGPRsForWavesPerEU: 53
; AccumOffset: 56
; Occupancy: 7
; WaveLimiterHint : 1
; COMPUTE_PGM_RSRC2:SCRATCH_EN: 0
; COMPUTE_PGM_RSRC2:USER_SGPR: 2
; COMPUTE_PGM_RSRC2:TRAP_HANDLER: 0
; COMPUTE_PGM_RSRC2:TGID_X_EN: 1
; COMPUTE_PGM_RSRC2:TGID_Y_EN: 1
; COMPUTE_PGM_RSRC2:TGID_Z_EN: 1
; COMPUTE_PGM_RSRC2:TIDIG_COMP_CNT: 0
; COMPUTE_PGM_RSRC3_GFX90A:ACCUM_OFFSET: 13
; COMPUTE_PGM_RSRC3_GFX90A:TG_SPLIT: 0
	.section	.text._ZN2at6native12_GLOBAL__N_114gatherKthValueIsiLin1EEEvNS_4cuda6detail10TensorInfoIKT_T0_EES8_S8_S8_S8_NS5_IS6_S8_EENS5_IlS8_EE,"axG",@progbits,_ZN2at6native12_GLOBAL__N_114gatherKthValueIsiLin1EEEvNS_4cuda6detail10TensorInfoIKT_T0_EES8_S8_S8_S8_NS5_IS6_S8_EENS5_IlS8_EE,comdat
	.globl	_ZN2at6native12_GLOBAL__N_114gatherKthValueIsiLin1EEEvNS_4cuda6detail10TensorInfoIKT_T0_EES8_S8_S8_S8_NS5_IS6_S8_EENS5_IlS8_EE ; -- Begin function _ZN2at6native12_GLOBAL__N_114gatherKthValueIsiLin1EEEvNS_4cuda6detail10TensorInfoIKT_T0_EES8_S8_S8_S8_NS5_IS6_S8_EENS5_IlS8_EE
	.p2align	8
	.type	_ZN2at6native12_GLOBAL__N_114gatherKthValueIsiLin1EEEvNS_4cuda6detail10TensorInfoIKT_T0_EES8_S8_S8_S8_NS5_IS6_S8_EENS5_IlS8_EE,@function
_ZN2at6native12_GLOBAL__N_114gatherKthValueIsiLin1EEEvNS_4cuda6detail10TensorInfoIKT_T0_EES8_S8_S8_S8_NS5_IS6_S8_EENS5_IlS8_EE: ; @_ZN2at6native12_GLOBAL__N_114gatherKthValueIsiLin1EEEvNS_4cuda6detail10TensorInfoIKT_T0_EES8_S8_S8_S8_NS5_IS6_S8_EENS5_IlS8_EE
; %bb.0:
	s_load_dwordx2 s[12:13], s[0:1], 0x298
	s_load_dwordx4 s[60:63], s[0:1], 0xd8
	s_add_u32 s10, s0, 0x298
	s_addc_u32 s11, s1, 0
	s_waitcnt lgkmcnt(0)
	s_mul_i32 s4, s13, s4
	s_add_i32 s3, s4, s3
	s_mul_i32 s3, s3, s12
	s_add_i32 s33, s3, s2
	s_cmp_ge_i32 s33, s62
	s_cbranch_scc1 .LBB35_246
; %bb.1:
	s_load_dword s4, s[0:1], 0xd0
	s_mov_b32 s5, 0
	s_mov_b32 s3, s33
	s_waitcnt lgkmcnt(0)
	s_cmp_lt_i32 s4, 2
	s_cbranch_scc1 .LBB35_4
; %bb.2:
	s_add_i32 s8, s4, 1
	s_add_i32 s4, s4, -1
	s_lshl_b64 s[6:7], s[4:5], 2
	s_add_u32 s3, s0, s6
	s_addc_u32 s4, s1, s7
	s_add_u32 s6, s3, 8
	s_addc_u32 s7, s4, 0
	s_mov_b32 s3, s33
.LBB35_3:                               ; =>This Inner Loop Header: Depth=1
	s_load_dword s4, s[6:7], 0x0
	s_load_dword s13, s[6:7], 0x64
	s_mov_b32 s9, s3
	s_abs_i32 s3, s3
	s_waitcnt lgkmcnt(0)
	s_abs_i32 s15, s4
	v_cvt_f32_u32_e32 v1, s15
	s_sub_i32 s16, 0, s15
	s_xor_b32 s14, s9, s4
	s_ashr_i32 s14, s14, 31
	v_rcp_iflag_f32_e32 v1, v1
	s_nop 0
	v_mul_f32_e32 v1, 0x4f7ffffe, v1
	v_cvt_u32_f32_e32 v1, v1
	s_nop 0
	v_readfirstlane_b32 s17, v1
	s_mul_i32 s16, s16, s17
	s_mul_hi_u32 s16, s17, s16
	s_add_i32 s17, s17, s16
	s_mul_hi_u32 s16, s3, s17
	s_mul_i32 s17, s16, s15
	s_sub_i32 s3, s3, s17
	s_add_i32 s18, s16, 1
	s_sub_i32 s17, s3, s15
	s_cmp_ge_u32 s3, s15
	s_cselect_b32 s16, s18, s16
	s_cselect_b32 s3, s17, s3
	s_add_i32 s17, s16, 1
	s_cmp_ge_u32 s3, s15
	s_cselect_b32 s3, s17, s16
	s_xor_b32 s3, s3, s14
	s_sub_i32 s3, s3, s14
	s_mul_i32 s4, s3, s4
	s_sub_i32 s4, s9, s4
	s_mul_i32 s4, s13, s4
	s_add_i32 s8, s8, -1
	s_add_i32 s5, s4, s5
	s_add_u32 s6, s6, -4
	s_addc_u32 s7, s7, -1
	s_cmp_gt_u32 s8, 2
	s_cbranch_scc1 .LBB35_3
.LBB35_4:
	s_load_dword s8, s[0:1], 0x1b8
	s_add_u32 s6, s0, 0xe8
	s_addc_u32 s7, s1, 0
	s_mov_b32 s65, 0
	s_mov_b32 s62, s33
	s_waitcnt lgkmcnt(0)
	s_cmp_lt_i32 s8, 2
	s_cbranch_scc1 .LBB35_7
; %bb.5:
	s_add_i32 s64, s8, -1
	s_add_i32 s4, s8, 1
	s_lshl_b64 s[8:9], s[64:65], 2
	s_add_u32 s8, s6, s8
	s_addc_u32 s9, s7, s9
	s_add_u32 s8, s8, 8
	s_addc_u32 s9, s9, 0
	s_mov_b32 s62, s33
.LBB35_6:                               ; =>This Inner Loop Header: Depth=1
	s_load_dword s13, s[8:9], 0x0
	s_load_dword s15, s[8:9], 0x64
	s_abs_i32 s16, s62
	s_mov_b32 s14, s62
	s_waitcnt lgkmcnt(0)
	s_abs_i32 s18, s13
	v_cvt_f32_u32_e32 v1, s18
	s_sub_i32 s19, 0, s18
	s_xor_b32 s17, s62, s13
	s_ashr_i32 s17, s17, 31
	v_rcp_iflag_f32_e32 v1, v1
	s_nop 0
	v_mul_f32_e32 v1, 0x4f7ffffe, v1
	v_cvt_u32_f32_e32 v1, v1
	s_nop 0
	v_readfirstlane_b32 s20, v1
	s_mul_i32 s19, s19, s20
	s_mul_hi_u32 s19, s20, s19
	s_add_i32 s20, s20, s19
	s_mul_hi_u32 s19, s16, s20
	s_mul_i32 s20, s19, s18
	s_sub_i32 s16, s16, s20
	s_add_i32 s21, s19, 1
	s_sub_i32 s20, s16, s18
	s_cmp_ge_u32 s16, s18
	s_cselect_b32 s19, s21, s19
	s_cselect_b32 s16, s20, s16
	s_add_i32 s20, s19, 1
	s_cmp_ge_u32 s16, s18
	s_cselect_b32 s16, s20, s19
	s_xor_b32 s16, s16, s17
	s_sub_i32 s62, s16, s17
	s_mul_i32 s13, s62, s13
	s_sub_i32 s13, s14, s13
	s_mul_i32 s13, s15, s13
	s_add_i32 s4, s4, -1
	s_add_i32 s65, s13, s65
	s_add_u32 s8, s8, -4
	s_addc_u32 s9, s9, -1
	s_cmp_gt_u32 s4, 2
	s_cbranch_scc1 .LBB35_6
.LBB35_7:
	s_load_dword s4, s[0:1], 0x6c
	s_load_dword s14, s[0:1], 0x290
	s_add_u32 s8, s0, 0x1c0
	s_addc_u32 s9, s1, 0
	s_mov_b32 s67, 0
	s_waitcnt lgkmcnt(0)
	s_cmp_lt_i32 s14, 2
	s_cbranch_scc1 .LBB35_10
; %bb.8:
	s_add_i32 s66, s14, -1
	s_add_i32 s13, s14, 1
	s_lshl_b64 s[14:15], s[66:67], 2
	s_add_u32 s8, s8, s14
	s_addc_u32 s9, s9, s15
	s_add_u32 s8, s8, 8
	s_addc_u32 s9, s9, 0
.LBB35_9:                               ; =>This Inner Loop Header: Depth=1
	s_load_dword s14, s[8:9], 0x0
	s_load_dword s16, s[8:9], 0x64
	s_abs_i32 s17, s33
	s_mov_b32 s15, s33
	s_waitcnt lgkmcnt(0)
	s_abs_i32 s19, s14
	v_cvt_f32_u32_e32 v1, s19
	s_sub_i32 s20, 0, s19
	s_xor_b32 s18, s33, s14
	s_ashr_i32 s18, s18, 31
	v_rcp_iflag_f32_e32 v1, v1
	s_nop 0
	v_mul_f32_e32 v1, 0x4f7ffffe, v1
	v_cvt_u32_f32_e32 v1, v1
	s_nop 0
	v_readfirstlane_b32 s21, v1
	s_mul_i32 s20, s20, s21
	s_mul_hi_u32 s20, s21, s20
	s_add_i32 s21, s21, s20
	s_mul_hi_u32 s20, s17, s21
	s_mul_i32 s21, s20, s19
	s_sub_i32 s17, s17, s21
	s_add_i32 s22, s20, 1
	s_sub_i32 s21, s17, s19
	s_cmp_ge_u32 s17, s19
	s_cselect_b32 s20, s22, s20
	s_cselect_b32 s17, s21, s17
	s_add_i32 s21, s20, 1
	s_cmp_ge_u32 s17, s19
	s_cselect_b32 s17, s21, s20
	s_xor_b32 s17, s17, s18
	s_sub_i32 s33, s17, s18
	s_mul_i32 s14, s33, s14
	s_sub_i32 s14, s15, s14
	s_mul_i32 s14, s16, s14
	s_add_i32 s13, s13, -1
	s_add_i32 s67, s14, s67
	s_add_u32 s8, s8, -4
	s_addc_u32 s9, s9, -1
	s_cmp_gt_u32 s13, 2
	s_cbranch_scc1 .LBB35_9
.LBB35_10:
	s_load_dword s6, s[6:7], 0x6c
                                        ; implicit-def: $vgpr52 : SGPR spill to VGPR lane
	v_cmp_eq_u32_e64 s[14:15], 0, v0
	s_waitcnt lgkmcnt(0)
	v_writelane_b32 v52, s6, 0
	s_load_dwordx2 s[6:7], s[0:1], 0x0
	s_load_dwordx2 s[8:9], s[0:1], 0xe8
	s_waitcnt lgkmcnt(0)
	v_writelane_b32 v52, s8, 1
	s_nop 1
	v_writelane_b32 v52, s9, 2
	s_load_dwordx2 s[8:9], s[0:1], 0x1c0
	s_waitcnt lgkmcnt(0)
	v_writelane_b32 v52, s8, 3
	s_nop 1
	v_writelane_b32 v52, s9, 4
	s_mov_b64 s[8:9], exec
	v_writelane_b32 v52, s14, 5
	s_nop 1
	v_writelane_b32 v52, s15, 6
	s_and_b64 s[14:15], s[8:9], s[14:15]
	s_mov_b64 exec, s[14:15]
; %bb.11:
	v_mov_b32_e32 v2, 0
	v_mov_b32_e32 v3, s60
	;; [unrolled: 1-line block ×3, first 2 shown]
	ds_write_b96 v2, v[2:4] offset:4096
; %bb.12:
	s_or_b64 exec, exec, s[8:9]
	s_load_dword s0, s[0:1], 0x22c
	s_waitcnt lgkmcnt(0)
	s_barrier
	v_mbcnt_lo_u32_b32 v1, -1, 0
	v_writelane_b32 v52, s0, 7
	s_mul_i32 s0, s4, s3
	s_load_dword s3, s[10:11], 0xc
	s_add_i32 s0, s0, s5
	s_ashr_i32 s1, s0, 31
	s_lshl_b64 s[0:1], s[0:1], 1
	s_add_u32 s72, s6, s0
	s_addc_u32 s73, s7, s1
	s_waitcnt lgkmcnt(0)
	s_and_b32 s64, s3, 0xffff
	v_mbcnt_hi_u32_b32 v20, -1, v1
	v_cmp_gt_u32_e32 vcc, 64, v0
	v_cmp_gt_i32_e64 s[4:5], 4, v20
	s_add_i32 s6, s64, -1
	s_lshl_b32 s66, s64, 2
	s_and_b64 s[76:77], vcc, s[4:5]
	s_add_i32 s83, s6, s60
	v_writelane_b32 v52, s6, 8
	s_cmpk_gt_i32 s60, 0x600
	v_cmp_gt_u32_e64 s[6:7], s60, v0
	s_cselect_b64 s[78:79], -1, 0
	s_cmp_gt_u32 s64, 63
	v_writelane_b32 v52, s6, 9
	s_cselect_b64 s[80:81], -1, 0
	s_cmp_lt_u32 s2, s12
	v_writelane_b32 v52, s7, 10
	v_cmp_gt_i32_e64 s[6:7], s60, v0
	s_cselect_b32 s2, 12, 18
	v_lshlrev_b64 v[2:3], v20, -1
	v_writelane_b32 v52, s6, 11
	v_not_b32_e32 v12, v2
	v_lshrrev_b32_e32 v2, 2, v0
	v_writelane_b32 v52, s7, 12
	s_add_u32 s6, s10, s2
	s_addc_u32 s7, s11, 0
	v_writelane_b32 v52, s6, 13
	v_and_b32_e32 v2, 0xf0, v2
	v_or_b32_e32 v23, 0xc00, v2
	v_writelane_b32 v52, s7, 14
	s_bfe_u32 s6, s3, 0xa0006
	s_add_i32 s2, s6, -2
	s_lshr_b32 s3, s2, 1
	s_add_i32 s3, s3, 1
	s_cmpk_gt_u32 s64, 0x7f
	s_cselect_b64 s[8:9], -1, 0
	v_writelane_b32 v52, s8, 15
	v_cvt_f32_u32_e32 v2, s66
	s_and_b32 s7, s6, 0x3fe
	v_writelane_b32 v52, s9, 16
	s_and_b32 s8, s3, 7
	s_cmp_gt_u32 s2, 13
	s_cselect_b64 s[10:11], -1, 0
	v_writelane_b32 v52, s10, 17
	v_rcp_iflag_f32_e32 v2, v2
	s_and_b32 s2, s3, -8
	v_writelane_b32 v52, s11, 18
	v_writelane_b32 v52, s2, 19
	s_cmp_lg_u32 s8, 0
	v_writelane_b32 v52, s8, 20
	s_cselect_b64 s[2:3], -1, 0
	v_writelane_b32 v52, s2, 21
	v_mul_f32_e32 v2, 0x4f7ffffe, v2
	v_cvt_u32_f32_e32 v2, v2
	v_writelane_b32 v52, s3, 22
	v_writelane_b32 v52, s6, 23
	s_cmp_lg_u32 s7, s6
	v_writelane_b32 v52, s7, 24
	s_cselect_b64 s[2:3], -1, 0
	v_writelane_b32 v52, s2, 25
	v_not_b32_e32 v1, v3
	v_cvt_f32_u32_e32 v3, s64
	v_writelane_b32 v52, s3, 26
	s_sub_i32 s2, 0, s66
	v_readfirstlane_b32 s3, v2
	s_mul_i32 s2, s2, s3
	s_mul_hi_u32 s2, s3, s2
	s_add_i32 s8, s3, s2
	s_mul_hi_u32 s2, s60, s8
	s_mul_i32 s2, s2, s66
	s_sub_i32 s2, s60, s2
	s_sub_i32 s3, s2, s66
	s_cmp_ge_u32 s2, s66
	s_cselect_b32 s2, s3, s2
	s_sub_i32 s3, s2, s66
	s_cmp_ge_u32 s2, s66
	s_cselect_b32 s2, s3, s2
	s_sub_i32 s9, s60, s2
	v_rcp_iflag_f32_e32 v5, v3
	v_add_u32_e32 v24, s9, v0
	v_mul_lo_u32 v2, v24, s63
	v_ashrrev_i32_e32 v3, 31, v2
	v_lshl_add_u64 v[14:15], v[2:3], 1, s[72:73]
	v_mul_f32_e32 v2, 0x4f7ffffe, v5
	v_cvt_u32_f32_e32 v2, v2
	s_sub_i32 s7, 0, s64
	s_abs_i32 s6, s83
	s_ashr_i32 s3, s83, 31
	v_readfirstlane_b32 s16, v2
	s_mul_i32 s7, s7, s16
	s_mul_hi_u32 s7, s16, s7
	s_add_i32 s7, s16, s7
	v_writelane_b32 v52, s7, 27
	s_mul_hi_u32 s7, s6, s7
	s_mul_i32 s7, s7, s64
	s_sub_i32 s6, s6, s7
	s_sub_i32 s7, s6, s64
	s_cmp_ge_u32 s6, s64
	s_cselect_b32 s6, s7, s6
	s_sub_i32 s7, s6, s64
	s_cmp_ge_u32 s6, s64
	s_cselect_b32 s6, s7, s6
	v_lshlrev_b32_e32 v13, 2, v0
	s_xor_b32 s6, s6, s3
	s_sub_i32 s3, s3, s6
	v_mul_lo_u32 v2, s63, v13
	s_add_i32 s83, s83, s3
	v_add_u32_e32 v25, s63, v2
	v_or_b32_e32 v2, 2, v13
	v_cmp_gt_i32_e64 s[6:7], s83, v0
	v_mul_lo_u32 v26, s63, v2
	v_or_b32_e32 v2, 3, v13
	s_add_i32 s3, s64, s60
	v_mov_b32_e32 v9, 0
	v_writelane_b32 v52, s6, 28
	v_mul_lo_u32 v27, s63, v2
	v_add_u32_e32 v2, s3, v0
	s_mov_b32 s18, 0
	s_mov_b32 s19, 1
	v_lshlrev_b32_e32 v21, 1, v0
	v_mul_lo_u32 v6, s63, v0
	v_mov_b32_e32 v7, v9
	v_lshlrev_b32_e32 v4, 2, v20
	v_writelane_b32 v52, s7, 29
	s_mul_i32 s84, s63, s64
	v_subrev_u32_e32 v2, s2, v2
	v_cmp_eq_u32_e64 s[0:1], 0, v20
	v_cmp_gt_u32_e64 s[4:5], 2, v0
	v_add_u32_e32 v22, 0xc00, v21
	v_lshl_add_u64 v[10:11], v[6:7], 1, s[72:73]
	v_and_b32_e32 v7, 0x100, v4
	v_cmp_gt_i32_e64 s[10:11], s9, v13
	v_cmp_gt_u32_e64 s[12:13], s60, v24
	v_cmp_gt_i32_e64 s[14:15], s60, v24
	s_lshl_b32 s16, s84, 2
	v_lshlrev_b32_e32 v28, 2, v6
	v_mul_lo_u32 v29, s63, v2
	v_lshlrev_b32_e32 v31, 3, v0
	s_lshl_b32 s17, s64, 3
	s_lshl_b32 s85, s64, 1
	v_or_b32_e32 v32, 0xc00, v4
	s_mov_b64 s[92:93], 0
	v_mov_b32_e32 v34, 14
	v_mov_b32_e32 v38, s61
	s_mov_b32 s61, 0x8000
	v_mov_b32_e32 v39, s60
	v_mov_b32_e32 v33, 0xc00
	;; [unrolled: 1-line block ×4, first 2 shown]
	v_writelane_b32 v52, s18, 30
	s_mov_b32 s82, s18
	v_mov_b32_e32 v30, 0
	v_mov_b32_e32 v36, 0
                                        ; implicit-def: $sgpr94_sgpr95
                                        ; implicit-def: $sgpr98_sgpr99
                                        ; implicit-def: $sgpr96_sgpr97
                                        ; implicit-def: $sgpr70_sgpr71
                                        ; implicit-def: $sgpr86_sgpr87
                                        ; implicit-def: $sgpr68_sgpr69
	v_writelane_b32 v52, s19, 31
	s_branch .LBB35_16
.LBB35_13:                              ;   in Loop: Header=BB35_16 Depth=1
	s_or_b64 exec, exec, s[28:29]
	s_and_b64 s[22:23], s[22:23], exec
	s_andn2_b64 s[26:27], s[26:27], exec
	s_andn2_b64 s[24:25], s[24:25], exec
	s_orn2_b64 s[20:21], s[20:21], exec
.LBB35_14:                              ;   in Loop: Header=BB35_16 Depth=1
	s_or_b64 exec, exec, s[6:7]
	s_andn2_b64 s[6:7], s[68:69], exec
	s_and_b64 s[18:19], s[22:23], exec
	s_or_b64 s[68:69], s[6:7], s[18:19]
	s_andn2_b64 s[6:7], s[86:87], exec
	s_and_b64 s[18:19], s[26:27], exec
	s_or_b64 s[86:87], s[6:7], s[18:19]
	;; [unrolled: 3-line block ×3, first 2 shown]
	s_orn2_b64 s[20:21], s[20:21], exec
.LBB35_15:                              ;   in Loop: Header=BB35_16 Depth=1
	s_or_b64 exec, exec, s[2:3]
	s_and_b64 s[2:3], exec, s[20:21]
	s_or_b64 s[92:93], s[2:3], s[92:93]
	s_andn2_b64 s[2:3], s[96:97], exec
	s_and_b64 s[6:7], s[68:69], exec
	s_or_b64 s[96:97], s[2:3], s[6:7]
	s_andn2_b64 s[2:3], s[98:99], exec
	s_and_b64 s[6:7], s[86:87], exec
	;; [unrolled: 3-line block ×3, first 2 shown]
	s_or_b64 s[94:95], s[2:3], s[6:7]
	s_mov_b32 s82, s30
	v_mov_b32_e32 v38, v16
	s_andn2_b64 exec, exec, s[92:93]
	s_cbranch_execz .LBB35_242
.LBB35_16:                              ; =>This Loop Header: Depth=1
                                        ;     Child Loop BB35_21 Depth 2
                                        ;     Child Loop BB35_36 Depth 2
	;; [unrolled: 1-line block ×17, first 2 shown]
	ds_read_b64 v[2:3], v9 offset:4096
	s_waitcnt lgkmcnt(0)
	v_readfirstlane_b32 s18, v2
	s_cmp_gt_i32 s18, 0
	s_cbranch_scc1 .LBB35_43
; %bb.17:                               ;   in Loop: Header=BB35_16 Depth=1
	s_and_b64 vcc, exec, s[78:79]
	s_cbranch_vccz .LBB35_29
; %bb.18:                               ;   in Loop: Header=BB35_16 Depth=1
	s_movk_i32 s2, 0x601
	v_cmp_gt_i32_e32 vcc, s2, v3
	s_mov_b64 s[6:7], 0
	s_mov_b64 s[2:3], 0
	s_cbranch_vccz .LBB35_30
; %bb.19:                               ;   in Loop: Header=BB35_16 Depth=1
	v_readlane_b32 s2, v52, 13
	v_readlane_b32 s3, v52, 14
	s_nop 4
	global_load_ushort v2, v9, s[2:3]
	global_load_ushort v4, v[10:11], off
	s_mov_b64 s[20:21], 0
	s_waitcnt vmcnt(1)
	v_add_u32_e32 v5, v0, v2
	v_mul_lo_u32 v3, s63, v2
	v_mul_lo_u32 v8, s63, v5
	v_mov_b32_e32 v5, v0
	s_branch .LBB35_21
.LBB35_20:                              ;   in Loop: Header=BB35_21 Depth=2
	s_or_b64 exec, exec, s[2:3]
	v_cmp_le_i32_e32 vcc, s60, v5
	v_add_u32_e32 v8, v8, v3
	s_or_b64 s[20:21], vcc, s[20:21]
	v_mov_b32_e32 v4, v16
	s_andn2_b64 exec, exec, s[20:21]
	s_cbranch_execz .LBB35_75
.LBB35_21:                              ;   Parent Loop BB35_16 Depth=1
                                        ; =>  This Inner Loop Header: Depth=2
	v_add_u32_e32 v5, v5, v2
	v_cmp_gt_u32_e32 vcc, s60, v5
	s_waitcnt lgkmcnt(0)
	v_mov_b32_e32 v17, 0
	v_mov_b32_e32 v16, 0
	s_and_saveexec_b64 s[2:3], vcc
	s_cbranch_execz .LBB35_23
; %bb.22:                               ;   in Loop: Header=BB35_21 Depth=2
	v_lshl_add_u64 v[18:19], v[8:9], 1, s[72:73]
	global_load_ushort v16, v[18:19], off
.LBB35_23:                              ;   in Loop: Header=BB35_21 Depth=2
	s_or_b64 exec, exec, s[2:3]
	s_waitcnt vmcnt(0)
	v_add_u32_sdwa v18, sext(v4), s61 dst_sel:DWORD dst_unused:UNUSED_PAD src0_sel:WORD_0 src1_sel:DWORD
	v_and_b32_e32 v18, v18, v36
	v_cmp_eq_u32_e32 vcc, v18, v30
	s_cmp_lg_u64 vcc, 0
	s_cselect_b64 s[2:3], -1, 0
	s_and_b64 s[2:3], s[0:1], s[2:3]
	s_and_saveexec_b64 s[22:23], s[2:3]
	s_cbranch_execz .LBB35_27
; %bb.24:                               ;   in Loop: Header=BB35_21 Depth=2
	s_mov_b64 s[26:27], exec
	v_mbcnt_lo_u32_b32 v17, s26, 0
	v_mbcnt_hi_u32_b32 v17, s27, v17
	s_bcnt1_i32_b64 s19, vcc
	v_cmp_eq_u32_e64 s[2:3], 0, v17
                                        ; implicit-def: $vgpr18
	s_and_saveexec_b64 s[24:25], s[2:3]
; %bb.25:                               ;   in Loop: Header=BB35_21 Depth=2
	s_bcnt1_i32_b64 s2, s[26:27]
	s_mul_i32 s2, s19, s2
	v_mov_b32_e32 v18, s2
	ds_add_rtn_u32 v18, v9, v18 offset:4104
; %bb.26:                               ;   in Loop: Header=BB35_21 Depth=2
	s_or_b64 exec, exec, s[24:25]
	s_waitcnt lgkmcnt(0)
	v_readfirstlane_b32 s2, v18
	s_nop 1
	v_mov_b32_e32 v18, s2
	v_mad_u32_u24 v17, s19, v17, v18
.LBB35_27:                              ;   in Loop: Header=BB35_21 Depth=2
	s_or_b64 exec, exec, s[22:23]
	ds_bpermute_b32 v17, v7, v17
	s_and_saveexec_b64 s[2:3], vcc
	s_cbranch_execz .LBB35_20
; %bb.28:                               ;   in Loop: Header=BB35_21 Depth=2
	v_and_b32_e32 v19, vcc_lo, v12
	v_and_b32_e32 v18, vcc_hi, v1
	v_bcnt_u32_b32 v19, v19, 0
	v_bcnt_u32_b32 v18, v18, v19
	v_lshlrev_b32_e32 v18, 1, v18
	s_waitcnt lgkmcnt(0)
	v_lshl_add_u32 v17, v17, 1, v18
	ds_write_b16 v17, v4
	s_branch .LBB35_20
.LBB35_29:                              ;   in Loop: Header=BB35_16 Depth=1
	s_mov_b64 s[6:7], -1
	s_mov_b64 s[2:3], 0
.LBB35_30:                              ;   in Loop: Header=BB35_16 Depth=1
	s_and_b64 vcc, exec, s[6:7]
	s_cbranch_vccz .LBB35_41
.LBB35_31:                              ;   in Loop: Header=BB35_16 Depth=1
	v_mov_b32_e32 v2, 0
	s_mov_b64 s[2:3], exec
	v_readlane_b32 s6, v52, 9
	v_readlane_b32 s7, v52, 10
	s_and_b64 s[6:7], s[2:3], s[6:7]
	s_mov_b64 exec, s[6:7]
	s_cbranch_execz .LBB35_33
; %bb.32:                               ;   in Loop: Header=BB35_16 Depth=1
	global_load_ushort v2, v[10:11], off
.LBB35_33:                              ;   in Loop: Header=BB35_16 Depth=1
	s_or_b64 exec, exec, s[2:3]
	s_mov_b64 s[2:3], exec
	v_readlane_b32 s6, v52, 11
	v_readlane_b32 s7, v52, 12
	s_and_b64 s[6:7], s[2:3], s[6:7]
	s_mov_b64 exec, s[6:7]
	s_cbranch_execz .LBB35_38
; %bb.34:                               ;   in Loop: Header=BB35_16 Depth=1
	v_readlane_b32 s6, v52, 13
	v_readlane_b32 s7, v52, 14
	v_mov_b32_e32 v4, v21
	v_mov_b32_e32 v17, v0
	s_nop 2
	global_load_ushort v3, v9, s[6:7]
	s_mov_b64 s[6:7], 0
	s_waitcnt vmcnt(0)
	v_add_u32_e32 v8, v0, v3
	v_lshlrev_b32_e32 v5, 1, v3
	v_mul_lo_u32 v16, s63, v3
	v_mul_lo_u32 v8, s63, v8
	s_branch .LBB35_36
.LBB35_35:                              ;   in Loop: Header=BB35_36 Depth=2
	s_or_b64 exec, exec, s[20:21]
	v_cmp_le_i32_e32 vcc, s60, v17
	ds_write_b16 v4, v2
	v_add_u32_e32 v4, v4, v5
	v_add_u32_e32 v8, v8, v16
	s_or_b64 s[6:7], vcc, s[6:7]
	s_waitcnt vmcnt(0)
	v_mov_b32_e32 v2, v18
	s_andn2_b64 exec, exec, s[6:7]
	s_cbranch_execz .LBB35_38
.LBB35_36:                              ;   Parent Loop BB35_16 Depth=1
                                        ; =>  This Inner Loop Header: Depth=2
	v_add_u32_e32 v17, v17, v3
	v_cmp_gt_u32_e32 vcc, s60, v17
	v_mov_b32_e32 v18, 0
	s_and_saveexec_b64 s[20:21], vcc
	s_cbranch_execz .LBB35_35
; %bb.37:                               ;   in Loop: Header=BB35_36 Depth=2
	v_lshl_add_u64 v[18:19], v[8:9], 1, s[72:73]
	global_load_ushort v18, v[18:19], off
	s_branch .LBB35_35
.LBB35_38:                              ;   in Loop: Header=BB35_16 Depth=1
	s_or_b64 exec, exec, s[2:3]
	s_waitcnt lgkmcnt(0)
	s_barrier
	s_mov_b64 s[2:3], exec
	v_readlane_b32 s6, v52, 5
	v_readlane_b32 s7, v52, 6
	s_and_b64 s[6:7], s[2:3], s[6:7]
	s_mov_b64 exec, s[6:7]
; %bb.39:                               ;   in Loop: Header=BB35_16 Depth=1
	ds_write_b32 v9, v39 offset:4096
; %bb.40:                               ;   in Loop: Header=BB35_16 Depth=1
	s_or_b64 exec, exec, s[2:3]
	s_mov_b64 s[2:3], -1
	s_waitcnt lgkmcnt(0)
	s_barrier
.LBB35_41:                              ;   in Loop: Header=BB35_16 Depth=1
	s_and_b64 vcc, exec, s[2:3]
	s_cbranch_vccz .LBB35_43
; %bb.42:                               ;   in Loop: Header=BB35_16 Depth=1
	s_waitcnt vmcnt(0)
	ds_read_b32 v2, v9 offset:4096
	s_waitcnt lgkmcnt(0)
	v_readfirstlane_b32 s18, v2
.LBB35_43:                              ;   in Loop: Header=BB35_16 Depth=1
	s_cmp_lt_i32 s18, 1
	s_mov_b64 s[2:3], -1
                                        ; implicit-def: $vgpr4_vgpr5
	s_cbranch_scc1 .LBB35_53
; %bb.44:                               ;   in Loop: Header=BB35_16 Depth=1
	s_and_b64 vcc, exec, s[2:3]
	s_cbranch_vccnz .LBB35_66
.LBB35_45:                              ;   in Loop: Header=BB35_16 Depth=1
	s_lshl_b32 s18, s82, 6
	s_and_saveexec_b64 s[2:3], s[0:1]
	s_cbranch_execz .LBB35_47
.LBB35_46:                              ;   in Loop: Header=BB35_16 Depth=1
	v_lshl_add_u32 v8, s18, 2, v23
	s_waitcnt vmcnt(0)
	ds_write_b128 v8, v[2:5]
.LBB35_47:                              ;   in Loop: Header=BB35_16 Depth=1
	s_or_b64 exec, exec, s[2:3]
	s_waitcnt lgkmcnt(0)
	s_barrier
	s_and_saveexec_b64 s[2:3], s[76:77]
	s_cbranch_execz .LBB35_86
; %bb.48:                               ;   in Loop: Header=BB35_16 Depth=1
	v_add_u32_e32 v4, s18, v20
	s_andn2_b64 vcc, exec, s[80:81]
	s_waitcnt vmcnt(0)
	v_mov_b32_e32 v2, 0
	s_cbranch_vccnz .LBB35_85
; %bb.49:                               ;   in Loop: Header=BB35_16 Depth=1
	v_readlane_b32 s6, v52, 15
	v_readlane_b32 s7, v52, 16
	s_andn2_b64 vcc, exec, s[6:7]
	s_cbranch_vccnz .LBB35_78
; %bb.50:                               ;   in Loop: Header=BB35_16 Depth=1
	v_readlane_b32 s6, v52, 17
	v_readlane_b32 s7, v52, 18
	s_andn2_b64 vcc, exec, s[6:7]
	v_lshl_add_u32 v5, v4, 2, v33
	s_cbranch_vccnz .LBB35_79
; %bb.51:                               ;   in Loop: Header=BB35_16 Depth=1
	s_mov_b32 s7, 1
	s_mov_b32 s6, 0
	v_mov_b32_e32 v2, 0
	v_mov_b32_e32 v3, 0
	v_readlane_b32 s19, v52, 19
.LBB35_52:                              ;   Parent Loop BB35_16 Depth=1
                                        ; =>  This Inner Loop Header: Depth=2
	v_lshl_add_u32 v8, s6, 4, v5
	v_lshl_add_u32 v50, s7, 4, v5
	ds_read2_b32 v[16:17], v8 offset1:8
	ds_read2_b32 v[18:19], v50 offset1:8
	ds_read2_b32 v[40:41], v8 offset0:16 offset1:24
	ds_read2_b32 v[42:43], v50 offset0:16 offset1:24
	;; [unrolled: 1-line block ×6, first 2 shown]
	s_waitcnt lgkmcnt(7)
	v_add3_u32 v2, v16, v2, v17
	s_waitcnt lgkmcnt(6)
	v_add3_u32 v3, v18, v3, v19
	;; [unrolled: 2-line block ×3, first 2 shown]
	v_add3_u32 v2, v40, v2, v41
	s_add_i32 s7, s7, 16
	s_add_i32 s6, s6, 16
	s_add_i32 s19, s19, -8
	s_waitcnt lgkmcnt(3)
	v_add3_u32 v2, v44, v2, v45
	s_waitcnt lgkmcnt(2)
	v_add3_u32 v3, v46, v3, v47
	s_cmp_lg_u32 s19, 0
	s_waitcnt lgkmcnt(0)
	v_add3_u32 v3, v50, v3, v51
	v_add3_u32 v2, v48, v2, v49
	s_cbranch_scc1 .LBB35_52
	s_branch .LBB35_80
.LBB35_53:                              ;   in Loop: Header=BB35_16 Depth=1
	v_mov_b32_e32 v8, v9
	v_mov_b64_e32 v[4:5], v[8:9]
	s_waitcnt vmcnt(0)
	v_mov_b64_e32 v[2:3], v[8:9]
	s_and_saveexec_b64 s[88:89], s[10:11]
	s_cbranch_execnz .LBB35_56
; %bb.54:                               ;   in Loop: Header=BB35_16 Depth=1
	s_or_b64 exec, exec, s[88:89]
	v_mov_b32_e32 v18, 0
	s_and_saveexec_b64 s[2:3], s[12:13]
	s_cbranch_execnz .LBB35_59
.LBB35_55:                              ;   in Loop: Header=BB35_16 Depth=1
	s_or_b64 exec, exec, s[2:3]
	s_and_saveexec_b64 s[6:7], s[14:15]
	s_cbranch_execnz .LBB35_60
	s_branch .LBB35_65
.LBB35_56:                              ;   in Loop: Header=BB35_16 Depth=1
	s_mov_b32 s19, 0
	s_mov_b64 s[90:91], 0
	v_mov_b32_e32 v8, v13
	s_mov_b32 s74, 0
	s_mov_b32 s75, s19
	;; [unrolled: 1-line block ×4, first 2 shown]
.LBB35_57:                              ;   Parent Loop BB35_16 Depth=1
                                        ; =>  This Inner Loop Header: Depth=2
	v_add_u32_e32 v2, s19, v28
	v_add_u32_e32 v4, s19, v25
	;; [unrolled: 1-line block ×4, first 2 shown]
	v_ashrrev_i32_e32 v3, 31, v2
	v_ashrrev_i32_e32 v5, 31, v4
	;; [unrolled: 1-line block ×4, first 2 shown]
	v_lshl_add_u64 v[2:3], v[2:3], 1, s[72:73]
	v_lshl_add_u64 v[4:5], v[4:5], 1, s[72:73]
	;; [unrolled: 1-line block ×4, first 2 shown]
	global_load_sshort v2, v[2:3], off
	s_nop 0
	global_load_sshort v3, v[4:5], off
	s_nop 0
	global_load_sshort v4, v[16:17], off
	global_load_sshort v5, v[18:19], off
	v_add_u32_e32 v8, s66, v8
	s_add_i32 s19, s19, s16
	v_cmp_le_i32_e32 vcc, s9, v8
	s_waitcnt vmcnt(3)
	v_add_u32_e32 v2, 0x8000, v2
	s_waitcnt vmcnt(2)
	v_add_u32_e32 v3, 0x8000, v3
	v_and_b32_e32 v16, v2, v36
	v_bfe_u32 v2, v2, v34, 2
	s_waitcnt vmcnt(1)
	v_add_u32_e32 v4, 0x8000, v4
	v_and_b32_e32 v17, v3, v36
	v_bfe_u32 v3, v3, v34, 2
	v_cmp_eq_u32_e64 s[2:3], v16, v30
	v_cmp_eq_u32_e64 s[26:27], 0, v2
	s_waitcnt vmcnt(0)
	v_add_u32_e32 v5, 0x8000, v5
	v_and_b32_e32 v18, v4, v36
	v_bfe_u32 v4, v4, v34, 2
	v_cmp_eq_u32_e64 s[20:21], v17, v30
	v_cmp_eq_u32_e64 s[28:29], 0, v3
	s_and_b64 s[26:27], s[2:3], s[26:27]
	v_and_b32_e32 v19, v5, v36
	v_bfe_u32 v5, v5, v34, 2
	v_cmp_eq_u32_e64 s[22:23], v18, v30
	v_cmp_eq_u32_e64 s[30:31], 0, v4
	;; [unrolled: 1-line block ×5, first 2 shown]
	v_cndmask_b32_e64 v2, 0, 1, s[26:27]
	s_and_b64 s[26:27], s[20:21], s[28:29]
	v_cmp_eq_u32_e64 s[24:25], v19, v30
	v_cmp_eq_u32_e64 s[34:35], 0, v5
	;; [unrolled: 1-line block ×5, first 2 shown]
	v_cndmask_b32_e64 v3, 0, 1, s[26:27]
	s_and_b64 s[26:27], s[22:23], s[30:31]
	v_cmp_eq_u32_e64 s[40:41], 1, v4
	v_cmp_eq_u32_e64 s[48:49], 2, v4
	;; [unrolled: 1-line block ×3, first 2 shown]
	v_cndmask_b32_e64 v4, 0, 1, s[26:27]
	s_and_b64 s[26:27], s[24:25], s[34:35]
	v_cmp_eq_u32_e64 s[42:43], 1, v5
	v_cmp_eq_u32_e64 s[50:51], 2, v5
	v_cmp_eq_u32_e64 s[58:59], 3, v5
	v_cndmask_b32_e64 v5, 0, 1, s[26:27]
	s_and_b64 s[26:27], s[2:3], s[36:37]
	v_cndmask_b32_e64 v16, 0, 1, s[26:27]
	s_and_b64 s[26:27], s[20:21], s[38:39]
	;; [unrolled: 2-line block ×5, first 2 shown]
	s_and_b64 s[2:3], s[2:3], s[52:53]
	v_cndmask_b32_e64 v40, 0, 1, s[26:27]
	s_and_b64 s[26:27], s[20:21], s[46:47]
	v_cndmask_b32_e64 v44, 0, 1, s[2:3]
	;; [unrolled: 2-line block ×7, first 2 shown]
	v_cndmask_b32_e64 v47, 0, 1, s[2:3]
	v_cmp_ne_u32_e64 s[2:3], 0, v2
	v_cmp_ne_u32_e64 s[20:21], 0, v3
	v_cmp_ne_u32_e64 s[22:23], 0, v4
	v_cmp_ne_u32_e64 s[24:25], 0, v5
	v_cmp_ne_u32_e64 s[26:27], 0, v16
	v_cmp_ne_u32_e64 s[30:31], 0, v18
	v_cmp_ne_u32_e64 s[36:37], 0, v40
	v_cmp_ne_u32_e64 s[44:45], 0, v44
	v_cmp_ne_u32_e64 s[28:29], 0, v17
	v_cmp_ne_u32_e64 s[38:39], 0, v41
	v_cmp_ne_u32_e64 s[46:47], 0, v45
	s_bcnt1_i32_b64 s2, s[2:3]
	s_bcnt1_i32_b64 s3, s[20:21]
	;; [unrolled: 1-line block ×8, first 2 shown]
	v_cmp_ne_u32_e64 s[34:35], 0, v19
	v_cmp_ne_u32_e64 s[40:41], 0, v42
	v_cmp_ne_u32_e64 s[48:49], 0, v46
	s_bcnt1_i32_b64 s23, s[28:29]
	s_bcnt1_i32_b64 s27, s[38:39]
	;; [unrolled: 1-line block ×3, first 2 shown]
	s_add_i32 s2, s74, s2
	s_add_i32 s22, s75, s22
	;; [unrolled: 1-line block ×4, first 2 shown]
	v_cmp_ne_u32_e64 s[42:43], 0, v43
	v_cmp_ne_u32_e64 s[50:51], 0, v47
	s_bcnt1_i32_b64 s25, s[34:35]
	s_bcnt1_i32_b64 s28, s[40:41]
	;; [unrolled: 1-line block ×3, first 2 shown]
	s_add_i32 s22, s22, s23
	s_add_i32 s2, s2, s3
	;; [unrolled: 1-line block ×4, first 2 shown]
	s_bcnt1_i32_b64 s29, s[42:43]
	s_bcnt1_i32_b64 s35, s[50:51]
	s_add_i32 s2, s2, s20
	s_add_i32 s7, s22, s24
	;; [unrolled: 1-line block ×8, first 2 shown]
	s_or_b64 s[90:91], vcc, s[90:91]
	v_mov_b64_e32 v[2:3], s[74:75]
	v_mov_b64_e32 v[4:5], s[6:7]
	s_andn2_b64 exec, exec, s[90:91]
	s_cbranch_execnz .LBB35_57
; %bb.58:                               ;   in Loop: Header=BB35_16 Depth=1
	s_or_b64 exec, exec, s[90:91]
	s_or_b64 exec, exec, s[88:89]
	v_mov_b32_e32 v18, 0
	s_and_saveexec_b64 s[2:3], s[12:13]
	s_cbranch_execz .LBB35_55
.LBB35_59:                              ;   in Loop: Header=BB35_16 Depth=1
	global_load_ushort v18, v[14:15], off
	s_or_b64 exec, exec, s[2:3]
	s_and_saveexec_b64 s[6:7], s[14:15]
	s_cbranch_execz .LBB35_65
.LBB35_60:                              ;   in Loop: Header=BB35_16 Depth=1
	s_mov_b64 s[20:21], 0
	v_mov_b32_e32 v16, v29
	v_mov_b32_e32 v8, v24
	s_branch .LBB35_62
.LBB35_61:                              ;   in Loop: Header=BB35_62 Depth=2
	s_or_b64 exec, exec, s[2:3]
	s_waitcnt vmcnt(0)
	v_add_u32_sdwa v18, sext(v18), s61 dst_sel:DWORD dst_unused:UNUSED_PAD src0_sel:WORD_0 src1_sel:DWORD
	v_and_b32_e32 v19, v18, v36
	v_bfe_u32 v18, v18, v34, 2
	v_cmp_eq_u32_e32 vcc, v19, v30
	v_cmp_eq_u32_e64 s[2:3], 0, v18
	s_and_b64 s[2:3], vcc, s[2:3]
	v_add_u32_e32 v16, s84, v16
	v_cndmask_b32_e64 v19, 0, 1, s[2:3]
	v_cmp_ne_u32_e64 s[2:3], 0, v19
	s_bcnt1_i32_b64 s19, s[2:3]
	v_cmp_eq_u32_e64 s[2:3], 1, v18
	s_and_b64 s[2:3], vcc, s[2:3]
	v_add_u32_e32 v2, s19, v2
	v_cndmask_b32_e64 v19, 0, 1, s[2:3]
	v_cmp_ne_u32_e64 s[2:3], 0, v19
	s_bcnt1_i32_b64 s2, s[2:3]
	s_nop 0
	v_add_u32_e32 v3, s2, v3
	v_cmp_eq_u32_e64 s[2:3], 2, v18
	s_and_b64 s[2:3], vcc, s[2:3]
	s_nop 0
	v_cndmask_b32_e64 v19, 0, 1, s[2:3]
	v_cmp_ne_u32_e64 s[2:3], 0, v19
	s_bcnt1_i32_b64 s19, s[2:3]
	v_cmp_eq_u32_e64 s[2:3], 3, v18
	s_and_b64 s[2:3], vcc, s[2:3]
	v_add_u32_e32 v4, s19, v4
	v_cndmask_b32_e64 v18, 0, 1, s[2:3]
	v_cmp_ne_u32_e32 vcc, 0, v18
	s_bcnt1_i32_b64 s2, vcc
	v_cmp_le_i32_e32 vcc, s60, v8
	v_add_u32_e32 v5, s2, v5
	s_or_b64 s[20:21], vcc, s[20:21]
	v_mov_b32_e32 v18, v17
	s_andn2_b64 exec, exec, s[20:21]
	s_cbranch_execz .LBB35_64
.LBB35_62:                              ;   Parent Loop BB35_16 Depth=1
                                        ; =>  This Inner Loop Header: Depth=2
	v_add_u32_e32 v8, s64, v8
	v_cmp_gt_u32_e32 vcc, s60, v8
	v_mov_b32_e32 v17, 0
	s_and_saveexec_b64 s[2:3], vcc
	s_cbranch_execz .LBB35_61
; %bb.63:                               ;   in Loop: Header=BB35_62 Depth=2
	v_ashrrev_i32_e32 v17, 31, v16
	v_lshl_add_u64 v[40:41], v[16:17], 1, s[72:73]
	global_load_ushort v17, v[40:41], off
	s_branch .LBB35_61
.LBB35_64:                              ;   in Loop: Header=BB35_16 Depth=1
	s_or_b64 exec, exec, s[20:21]
.LBB35_65:                              ;   in Loop: Header=BB35_16 Depth=1
	s_or_b64 exec, exec, s[6:7]
	s_branch .LBB35_45
.LBB35_66:                              ;   in Loop: Header=BB35_16 Depth=1
	s_mul_hi_u32 s2, s18, s8
	s_mul_i32 s2, s2, s66
	s_sub_i32 s2, s18, s2
	s_sub_i32 s3, s2, s66
	s_cmp_ge_u32 s2, s66
	s_cselect_b32 s2, s3, s2
	s_sub_i32 s3, s2, s66
	s_cmp_ge_u32 s2, s66
	s_cselect_b32 s2, s3, s2
	s_sub_i32 s19, s18, s2
	v_mov_b32_e32 v8, v9
	v_cmp_gt_u32_e32 vcc, s19, v13
	v_mov_b64_e32 v[4:5], v[8:9]
	s_waitcnt vmcnt(0)
	v_mov_b64_e32 v[2:3], v[8:9]
	s_and_saveexec_b64 s[6:7], vcc
	s_cbranch_execz .LBB35_70
; %bb.67:                               ;   in Loop: Header=BB35_16 Depth=1
	s_mov_b32 s88, 0
	s_mov_b64 s[74:75], 0
	v_mov_b32_e32 v8, v31
	v_mov_b32_e32 v16, v13
	s_mov_b32 s89, s88
	s_mov_b32 s90, s88
	;; [unrolled: 1-line block ×3, first 2 shown]
.LBB35_68:                              ;   Parent Loop BB35_16 Depth=1
                                        ; =>  This Inner Loop Header: Depth=2
	ds_read_b64 v[2:3], v8
	v_add_u32_e32 v16, s66, v16
	v_cmp_le_i32_e32 vcc, s19, v16
	v_add_u32_e32 v8, s17, v8
	s_waitcnt lgkmcnt(0)
	v_add_u32_sdwa v4, sext(v2), s61 dst_sel:DWORD dst_unused:UNUSED_PAD src0_sel:WORD_0 src1_sel:DWORD
	v_add_u32_sdwa v2, sext(v2), s61 dst_sel:DWORD dst_unused:UNUSED_PAD src0_sel:WORD_1 src1_sel:DWORD
	v_and_b32_e32 v17, v4, v36
	v_bfe_u32 v4, v4, v34, 2
	v_add_u32_sdwa v5, sext(v3), s61 dst_sel:DWORD dst_unused:UNUSED_PAD src0_sel:WORD_0 src1_sel:DWORD
	v_and_b32_e32 v18, v2, v36
	v_bfe_u32 v2, v2, v34, 2
	v_cmp_eq_u32_e64 s[2:3], v17, v30
	v_cmp_eq_u32_e64 s[26:27], 0, v4
	v_add_u32_sdwa v3, sext(v3), s61 dst_sel:DWORD dst_unused:UNUSED_PAD src0_sel:WORD_1 src1_sel:DWORD
	v_and_b32_e32 v19, v5, v36
	v_bfe_u32 v5, v5, v34, 2
	v_cmp_eq_u32_e64 s[20:21], v18, v30
	v_cmp_eq_u32_e64 s[28:29], 0, v2
	s_and_b64 s[26:27], s[2:3], s[26:27]
	v_and_b32_e32 v40, v3, v36
	v_bfe_u32 v3, v3, v34, 2
	v_cmp_eq_u32_e64 s[22:23], v19, v30
	v_cmp_eq_u32_e64 s[30:31], 0, v5
	;; [unrolled: 1-line block ×5, first 2 shown]
	v_cndmask_b32_e64 v2, 0, 1, s[26:27]
	s_and_b64 s[26:27], s[20:21], s[28:29]
	v_cmp_eq_u32_e64 s[24:25], v40, v30
	v_cmp_eq_u32_e64 s[34:35], 0, v3
	;; [unrolled: 1-line block ×5, first 2 shown]
	v_cndmask_b32_e64 v3, 0, 1, s[26:27]
	s_and_b64 s[26:27], s[22:23], s[30:31]
	v_cmp_eq_u32_e64 s[36:37], 1, v4
	v_cmp_eq_u32_e64 s[44:45], 2, v4
	;; [unrolled: 1-line block ×3, first 2 shown]
	v_cndmask_b32_e64 v4, 0, 1, s[26:27]
	s_and_b64 s[26:27], s[24:25], s[34:35]
	v_cmp_eq_u32_e64 s[40:41], 1, v5
	v_cmp_eq_u32_e64 s[48:49], 2, v5
	;; [unrolled: 1-line block ×3, first 2 shown]
	v_cndmask_b32_e64 v5, 0, 1, s[26:27]
	s_and_b64 s[26:27], s[2:3], s[36:37]
	v_cndmask_b32_e64 v17, 0, 1, s[26:27]
	s_and_b64 s[26:27], s[20:21], s[38:39]
	;; [unrolled: 2-line block ×5, first 2 shown]
	s_and_b64 s[2:3], s[2:3], s[52:53]
	v_cndmask_b32_e64 v41, 0, 1, s[26:27]
	s_and_b64 s[26:27], s[20:21], s[46:47]
	v_cndmask_b32_e64 v45, 0, 1, s[2:3]
	;; [unrolled: 2-line block ×7, first 2 shown]
	v_cndmask_b32_e64 v48, 0, 1, s[2:3]
	v_cmp_ne_u32_e64 s[2:3], 0, v2
	v_cmp_ne_u32_e64 s[20:21], 0, v3
	;; [unrolled: 1-line block ×11, first 2 shown]
	s_bcnt1_i32_b64 s2, s[2:3]
	s_bcnt1_i32_b64 s3, s[20:21]
	;; [unrolled: 1-line block ×8, first 2 shown]
	v_cmp_ne_u32_e64 s[34:35], 0, v40
	v_cmp_ne_u32_e64 s[40:41], 0, v43
	;; [unrolled: 1-line block ×3, first 2 shown]
	s_bcnt1_i32_b64 s23, s[28:29]
	s_bcnt1_i32_b64 s27, s[38:39]
	;; [unrolled: 1-line block ×3, first 2 shown]
	s_add_i32 s2, s88, s2
	s_add_i32 s22, s89, s22
	;; [unrolled: 1-line block ×4, first 2 shown]
	v_cmp_ne_u32_e64 s[42:43], 0, v44
	v_cmp_ne_u32_e64 s[50:51], 0, v48
	s_bcnt1_i32_b64 s25, s[34:35]
	s_bcnt1_i32_b64 s28, s[40:41]
	;; [unrolled: 1-line block ×3, first 2 shown]
	s_add_i32 s22, s22, s23
	s_add_i32 s2, s2, s3
	;; [unrolled: 1-line block ×4, first 2 shown]
	s_bcnt1_i32_b64 s29, s[42:43]
	s_bcnt1_i32_b64 s35, s[50:51]
	s_add_i32 s2, s2, s20
	s_add_i32 s20, s22, s24
	s_add_i32 s22, s23, s28
	s_add_i32 s3, s3, s34
	s_add_i32 s89, s20, s25
	s_add_i32 s88, s2, s21
	s_add_i32 s91, s3, s35
	s_add_i32 s90, s22, s29
	s_or_b64 s[74:75], vcc, s[74:75]
	v_mov_b64_e32 v[2:3], s[88:89]
	v_mov_b64_e32 v[4:5], s[90:91]
	s_andn2_b64 exec, exec, s[74:75]
	s_cbranch_execnz .LBB35_68
; %bb.69:                               ;   in Loop: Header=BB35_16 Depth=1
	s_or_b64 exec, exec, s[74:75]
.LBB35_70:                              ;   in Loop: Header=BB35_16 Depth=1
	s_or_b64 exec, exec, s[6:7]
	v_add_u32_e32 v8, s19, v0
	v_cmp_gt_i32_e32 vcc, s18, v8
	s_and_saveexec_b64 s[6:7], vcc
	s_cbranch_execz .LBB35_74
; %bb.71:                               ;   in Loop: Header=BB35_16 Depth=1
	v_lshlrev_b32_e32 v16, 1, v8
	s_mov_b64 s[28:29], 0
.LBB35_72:                              ;   Parent Loop BB35_16 Depth=1
                                        ; =>  This Inner Loop Header: Depth=2
	ds_read_i16 v17, v16
	v_add_u32_e32 v8, s64, v8
	v_cmp_le_i32_e32 vcc, s18, v8
	v_add_u32_e32 v16, s85, v16
	s_waitcnt lgkmcnt(0)
	v_add_u32_e32 v17, 0x8000, v17
	v_and_b32_e32 v18, v17, v36
	v_bfe_u32 v17, v17, v34, 2
	v_cmp_eq_u32_e64 s[2:3], v18, v30
	v_cmp_eq_u32_e64 s[20:21], 0, v17
	;; [unrolled: 1-line block ×3, first 2 shown]
	s_and_b64 s[20:21], s[2:3], s[20:21]
	v_cmp_eq_u32_e64 s[24:25], 2, v17
	v_cmp_eq_u32_e64 s[26:27], 3, v17
	v_cndmask_b32_e64 v17, 0, 1, s[20:21]
	s_and_b64 s[20:21], s[2:3], s[22:23]
	v_cndmask_b32_e64 v18, 0, 1, s[20:21]
	s_and_b64 s[20:21], s[2:3], s[24:25]
	s_and_b64 s[2:3], s[2:3], s[26:27]
	v_cndmask_b32_e64 v19, 0, 1, s[20:21]
	v_cndmask_b32_e64 v40, 0, 1, s[2:3]
	v_cmp_ne_u32_e64 s[2:3], 0, v17
	v_cmp_ne_u32_e64 s[20:21], 0, v18
	;; [unrolled: 1-line block ×4, first 2 shown]
	s_bcnt1_i32_b64 s2, s[2:3]
	s_bcnt1_i32_b64 s3, s[20:21]
	;; [unrolled: 1-line block ×4, first 2 shown]
	v_add_u32_e32 v3, s3, v3
	v_add_u32_e32 v2, s2, v2
	;; [unrolled: 1-line block ×3, first 2 shown]
	s_or_b64 s[28:29], vcc, s[28:29]
	v_add_u32_e32 v4, s19, v4
	s_andn2_b64 exec, exec, s[28:29]
	s_cbranch_execnz .LBB35_72
; %bb.73:                               ;   in Loop: Header=BB35_16 Depth=1
	s_or_b64 exec, exec, s[28:29]
.LBB35_74:                              ;   in Loop: Header=BB35_16 Depth=1
	s_or_b64 exec, exec, s[6:7]
	s_lshl_b32 s18, s82, 6
	s_and_saveexec_b64 s[2:3], s[0:1]
	s_cbranch_execnz .LBB35_46
	s_branch .LBB35_47
.LBB35_75:                              ;   in Loop: Header=BB35_16 Depth=1
	s_or_b64 exec, exec, s[20:21]
	s_waitcnt lgkmcnt(0)
	s_barrier
	s_mov_b64 s[2:3], exec
	v_readlane_b32 s20, v52, 5
	v_readlane_b32 s21, v52, 6
	s_and_b64 s[20:21], s[2:3], s[20:21]
	s_mov_b64 exec, s[20:21]
	s_cbranch_execz .LBB35_77
; %bb.76:                               ;   in Loop: Header=BB35_16 Depth=1
	ds_read_b32 v2, v9 offset:4104
	s_waitcnt lgkmcnt(0)
	ds_write_b32 v9, v2 offset:4096
.LBB35_77:                              ;   in Loop: Header=BB35_16 Depth=1
	s_or_b64 exec, exec, s[2:3]
	s_waitcnt lgkmcnt(0)
	s_barrier
	s_mov_b64 s[2:3], -1
	s_and_b64 vcc, exec, s[6:7]
	s_cbranch_vccnz .LBB35_31
	s_branch .LBB35_41
.LBB35_78:                              ;   in Loop: Header=BB35_16 Depth=1
	v_mov_b32_e32 v2, 0
	s_mov_b32 s19, 0
	s_cbranch_execnz .LBB35_83
	s_branch .LBB35_85
.LBB35_79:                              ;   in Loop: Header=BB35_16 Depth=1
	v_mov_b32_e32 v8, v9
	v_readlane_b32 s6, v52, 30
	v_mov_b64_e32 v[2:3], v[8:9]
	v_readlane_b32 s7, v52, 31
.LBB35_80:                              ;   in Loop: Header=BB35_16 Depth=1
	v_readlane_b32 s20, v52, 21
	v_readlane_b32 s21, v52, 22
	s_andn2_b64 vcc, exec, s[20:21]
	v_readlane_b32 s19, v52, 20
	s_cbranch_vccnz .LBB35_82
.LBB35_81:                              ;   Parent Loop BB35_16 Depth=1
                                        ; =>  This Inner Loop Header: Depth=2
	v_lshl_add_u32 v8, s6, 4, v5
	v_lshl_add_u32 v16, s7, 4, v5
	ds_read_b32 v16, v16
	ds_read_b32 v8, v8
	s_add_i32 s7, s7, 2
	s_add_i32 s6, s6, 2
	s_add_i32 s19, s19, -1
	s_cmp_lg_u32 s19, 0
	s_waitcnt lgkmcnt(1)
	v_add_u32_e32 v3, v16, v3
	s_waitcnt lgkmcnt(0)
	v_add_u32_e32 v2, v8, v2
	s_cbranch_scc1 .LBB35_81
.LBB35_82:                              ;   in Loop: Header=BB35_16 Depth=1
	v_readlane_b32 s6, v52, 25
	v_add_u32_e32 v2, v2, v3
	v_readlane_b32 s19, v52, 24
	v_readlane_b32 s7, v52, 26
	s_and_b64 vcc, exec, s[6:7]
	s_cbranch_vccz .LBB35_85
.LBB35_83:                              ;   in Loop: Header=BB35_16 Depth=1
	s_lshl_b32 s6, s82, 8
	s_lshl_b32 s7, s19, 4
	s_add_i32 s6, s6, s7
	v_add_u32_e32 v3, s6, v32
	v_readlane_b32 s6, v52, 23
	s_sub_i32 s6, s6, s19
.LBB35_84:                              ;   Parent Loop BB35_16 Depth=1
                                        ; =>  This Inner Loop Header: Depth=2
	ds_read_b32 v5, v3
	s_add_i32 s6, s6, -1
	v_add_u32_e32 v3, 16, v3
	s_cmp_eq_u32 s6, 0
	s_waitcnt lgkmcnt(0)
	v_add_u32_e32 v2, v5, v2
	s_cbranch_scc0 .LBB35_84
.LBB35_85:                              ;   in Loop: Header=BB35_16 Depth=1
	v_lshlrev_b32_e32 v3, 2, v4
	ds_write_b32 v3, v2 offset:3072
.LBB35_86:                              ;   in Loop: Header=BB35_16 Depth=1
	s_or_b64 exec, exec, s[2:3]
	s_lshl_b32 s2, s18, 2
	s_waitcnt vmcnt(0)
	v_mov_b32_e32 v2, s2
	s_waitcnt lgkmcnt(0)
	s_barrier
	ds_read_b128 v[2:5], v2 offset:3072
	v_cmp_eq_u32_e32 vcc, 1, v38
	s_mov_b64 s[20:21], -1
	s_mov_b64 s[26:27], -1
                                        ; implicit-def: $sgpr24_sgpr25
                                        ; implicit-def: $sgpr6_sgpr7
	s_waitcnt lgkmcnt(0)
	v_readfirstlane_b32 s19, v2
	s_cmp_eq_u32 s19, 1
	v_readfirstlane_b32 s52, v4
	v_lshlrev_b32_e64 v4, v34, 3
	s_cselect_b64 s[2:3], -1, 0
	v_readfirstlane_b32 s18, v3
	v_readfirstlane_b32 s74, v5
	v_not_b32_e32 v8, v4
	s_and_b64 s[22:23], s[2:3], vcc
	s_and_saveexec_b64 s[2:3], s[22:23]
	s_cbranch_execz .LBB35_112
; %bb.87:                               ;   in Loop: Header=BB35_16 Depth=1
	ds_read_b32 v2, v9 offset:4096
	s_waitcnt lgkmcnt(0)
	s_barrier
	v_readfirstlane_b32 s40, v2
	s_and_saveexec_b64 s[6:7], s[4:5]
; %bb.88:                               ;   in Loop: Header=BB35_16 Depth=1
	ds_write_b16 v22, v9
; %bb.89:                               ;   in Loop: Header=BB35_16 Depth=1
	s_or_b64 exec, exec, s[6:7]
	v_and_b32_e32 v30, v30, v8
	v_or_b32_e32 v36, v36, v4
	s_mov_b64 s[6:7], -1
	s_mov_b64 s[24:25], 0
	s_cmp_lt_i32 s40, 1
	s_mov_b64 s[26:27], 0
	s_mov_b64 s[28:29], -1
	s_waitcnt lgkmcnt(0)
	s_barrier
                                        ; implicit-def: $vgpr37
	s_cbranch_scc0 .LBB35_100
; %bb.90:                               ;   in Loop: Header=BB35_16 Depth=1
	s_mov_b64 s[28:29], 0
                                        ; implicit-def: $vgpr37
	s_mov_b64 s[30:31], exec
	v_readlane_b32 s34, v52, 28
	v_readlane_b32 s35, v52, 29
	s_and_b64 s[34:35], s[30:31], s[34:35]
	s_mov_b64 exec, s[34:35]
	s_cbranch_execz .LBB35_99
; %bb.91:                               ;   in Loop: Header=BB35_16 Depth=1
	v_mov_b32_e32 v2, v6
	v_mov_b32_e32 v5, v0
                                        ; implicit-def: $sgpr34_sgpr35
	s_branch .LBB35_94
.LBB35_92:                              ;   in Loop: Header=BB35_94 Depth=2
	s_or_b64 exec, exec, s[36:37]
	s_waitcnt lgkmcnt(0)
	s_barrier
	ds_read_b32 v3, v9 offset:3072
	s_mov_b64 s[36:37], -1
	s_waitcnt lgkmcnt(0)
	s_barrier
	v_cmp_ne_u32_sdwa s[38:39], v3, v9 src0_sel:WORD_0 src1_sel:DWORD
	s_and_b64 vcc, exec, s[38:39]
	s_mov_b64 s[38:39], -1
	s_cbranch_vccz .LBB35_97
.LBB35_93:                              ;   in Loop: Header=BB35_94 Depth=2
	s_and_b64 s[36:37], exec, s[36:37]
	s_or_b64 s[26:27], s[36:37], s[26:27]
	s_andn2_b64 s[34:35], s[34:35], exec
	s_and_b64 s[36:37], s[38:39], exec
	s_or_b64 s[34:35], s[34:35], s[36:37]
	s_andn2_b64 exec, exec, s[26:27]
	s_cbranch_execz .LBB35_98
.LBB35_94:                              ;   Parent Loop BB35_16 Depth=1
                                        ; =>  This Inner Loop Header: Depth=2
	v_cmp_gt_i32_e32 vcc, s60, v5
	s_and_saveexec_b64 s[36:37], vcc
	s_cbranch_execz .LBB35_92
; %bb.95:                               ;   in Loop: Header=BB35_94 Depth=2
	v_ashrrev_i32_e32 v3, 31, v2
	v_lshl_add_u64 v[16:17], v[2:3], 1, s[72:73]
	global_load_ushort v3, v[16:17], off
	s_waitcnt vmcnt(0)
	v_add_u32_sdwa v16, sext(v3), s61 dst_sel:DWORD dst_unused:UNUSED_PAD src0_sel:WORD_0 src1_sel:DWORD
	v_and_b32_e32 v16, v16, v36
	v_cmp_eq_u32_e32 vcc, v16, v30
	s_and_b64 exec, exec, vcc
	s_cbranch_execz .LBB35_92
; %bb.96:                               ;   in Loop: Header=BB35_94 Depth=2
	v_perm_b32 v3, v3, 1, v35
	ds_write_b32 v9, v3 offset:3072
	s_branch .LBB35_92
.LBB35_97:                              ;   in Loop: Header=BB35_94 Depth=2
	v_add_u32_e32 v5, s64, v5
	v_cmp_le_i32_e32 vcc, s83, v5
	v_add_u32_e32 v2, s84, v2
	s_mov_b64 s[38:39], 0
	s_orn2_b64 s[36:37], vcc, exec
	s_branch .LBB35_93
.LBB35_98:                              ;   in Loop: Header=BB35_16 Depth=1
	s_or_b64 exec, exec, s[26:27]
	v_lshrrev_b32_e32 v37, 16, v3
	s_and_b64 s[26:27], s[34:35], exec
.LBB35_99:                              ;   in Loop: Header=BB35_16 Depth=1
	s_or_b64 exec, exec, s[30:31]
.LBB35_100:                             ;   in Loop: Header=BB35_16 Depth=1
	s_and_b64 vcc, exec, s[28:29]
	s_cbranch_vccz .LBB35_111
; %bb.101:                              ;   in Loop: Header=BB35_16 Depth=1
	v_readlane_b32 s6, v52, 8
	s_add_i32 s36, s40, s6
	s_abs_i32 s7, s36
	v_readlane_b32 s24, v52, 27
	s_mul_hi_u32 s24, s7, s24
	s_mul_i32 s24, s24, s64
	s_sub_i32 s7, s7, s24
	s_ashr_i32 s6, s36, 31
	s_sub_i32 s24, s7, s64
	s_cmp_ge_u32 s7, s64
	s_cselect_b32 s7, s24, s7
	s_sub_i32 s24, s7, s64
	s_cmp_ge_u32 s7, s64
	s_cselect_b32 s7, s24, s7
	s_xor_b32 s7, s7, s6
	s_sub_i32 s6, s6, s7
	s_add_i32 s36, s36, s6
	v_cmp_gt_i32_e32 vcc, s36, v0
                                        ; implicit-def: $vgpr37
	s_and_saveexec_b64 s[6:7], vcc
	s_cbranch_execz .LBB35_110
; %bb.102:                              ;   in Loop: Header=BB35_16 Depth=1
	s_mov_b64 s[24:25], 0
	v_mov_b32_e32 v2, v21
	v_mov_b32_e32 v3, v0
                                        ; implicit-def: $sgpr28_sgpr29
	s_branch .LBB35_105
.LBB35_103:                             ;   in Loop: Header=BB35_105 Depth=2
	s_or_b64 exec, exec, s[30:31]
	s_waitcnt lgkmcnt(0)
	s_barrier
	ds_read_b32 v5, v9 offset:3072
	s_mov_b64 s[30:31], -1
	s_waitcnt lgkmcnt(0)
	s_barrier
	v_cmp_ne_u32_sdwa s[34:35], v5, v9 src0_sel:WORD_0 src1_sel:DWORD
	s_and_b64 vcc, exec, s[34:35]
	s_mov_b64 s[34:35], -1
	s_cbranch_vccz .LBB35_108
.LBB35_104:                             ;   in Loop: Header=BB35_105 Depth=2
	s_and_b64 s[30:31], exec, s[30:31]
	s_or_b64 s[24:25], s[30:31], s[24:25]
	s_andn2_b64 s[28:29], s[28:29], exec
	s_and_b64 s[30:31], s[34:35], exec
	s_or_b64 s[28:29], s[28:29], s[30:31]
	s_andn2_b64 exec, exec, s[24:25]
	s_cbranch_execz .LBB35_109
.LBB35_105:                             ;   Parent Loop BB35_16 Depth=1
                                        ; =>  This Inner Loop Header: Depth=2
	v_cmp_gt_i32_e32 vcc, s40, v3
	s_and_saveexec_b64 s[30:31], vcc
	s_cbranch_execz .LBB35_103
; %bb.106:                              ;   in Loop: Header=BB35_105 Depth=2
	ds_read_u16 v5, v2
	s_waitcnt lgkmcnt(0)
	v_add_u32_sdwa v16, sext(v5), s61 dst_sel:DWORD dst_unused:UNUSED_PAD src0_sel:WORD_0 src1_sel:DWORD
	v_and_b32_e32 v16, v16, v36
	v_cmp_eq_u32_e32 vcc, v16, v30
	s_and_b64 exec, exec, vcc
	s_cbranch_execz .LBB35_103
; %bb.107:                              ;   in Loop: Header=BB35_105 Depth=2
	v_perm_b32 v5, v5, 1, v35
	ds_write_b32 v9, v5 offset:3072
	s_branch .LBB35_103
.LBB35_108:                             ;   in Loop: Header=BB35_105 Depth=2
	v_add_u32_e32 v3, s64, v3
	v_cmp_le_i32_e32 vcc, s36, v3
	v_add_u32_e32 v2, s85, v2
	s_mov_b64 s[34:35], 0
	s_orn2_b64 s[30:31], vcc, exec
	s_branch .LBB35_104
.LBB35_109:                             ;   in Loop: Header=BB35_16 Depth=1
	s_or_b64 exec, exec, s[24:25]
	s_andn2_b64 s[24:25], s[26:27], exec
	s_and_b64 s[26:27], s[28:29], exec
	v_lshrrev_b32_e32 v37, 16, v5
	s_or_b64 s[26:27], s[24:25], s[26:27]
.LBB35_110:                             ;   in Loop: Header=BB35_16 Depth=1
	s_or_b64 exec, exec, s[6:7]
	s_mov_b64 s[6:7], 0
	s_mov_b64 s[24:25], -1
.LBB35_111:                             ;   in Loop: Header=BB35_16 Depth=1
	s_orn2_b64 s[26:27], s[26:27], exec
.LBB35_112:                             ;   in Loop: Header=BB35_16 Depth=1
	s_or_b64 exec, exec, s[2:3]
	s_andn2_b64 s[2:3], s[86:87], exec
	s_and_b64 s[24:25], s[24:25], exec
	s_or_b64 s[86:87], s[2:3], s[24:25]
	s_andn2_b64 s[2:3], s[70:71], exec
	s_and_b64 s[6:7], s[6:7], exec
	v_readfirstlane_b32 s30, v0
	s_andn2_b64 s[68:69], s[68:69], exec
	s_or_b64 s[70:71], s[2:3], s[6:7]
                                        ; implicit-def: $vgpr16
	s_and_saveexec_b64 s[2:3], s[26:27]
	s_cbranch_execz .LBB35_15
; %bb.113:                              ;   in Loop: Header=BB35_16 Depth=1
	s_xor_b64 s[20:21], s[22:23], -1
	s_mov_b64 s[22:23], 0
	v_mov_b32_e32 v16, 1
	v_mov_b32_e32 v5, 1
	s_and_saveexec_b64 s[6:7], s[20:21]
	s_cbranch_execz .LBB35_122
; %bb.114:                              ;   in Loop: Header=BB35_16 Depth=1
	v_cmp_ge_i32_e32 vcc, s19, v38
	s_and_saveexec_b64 s[20:21], vcc
	s_xor_b64 s[20:21], exec, s[20:21]
	s_cbranch_execz .LBB35_119
; %bb.115:                              ;   in Loop: Header=BB35_16 Depth=1
	ds_read_b32 v2, v9 offset:4096
	v_and_b32_e32 v30, v30, v8
	v_or_b32_e32 v36, v36, v4
	s_waitcnt lgkmcnt(0)
	v_cmp_ne_u32_e32 vcc, 0, v2
	s_cbranch_vccnz .LBB35_119
; %bb.116:                              ;   in Loop: Header=BB35_16 Depth=1
	s_mov_b64 s[22:23], exec
	v_readlane_b32 s24, v52, 5
	v_readlane_b32 s25, v52, 6
	s_and_b64 s[24:25], s[22:23], s[24:25]
	s_mov_b64 exec, s[24:25]
; %bb.117:                              ;   in Loop: Header=BB35_16 Depth=1
	v_mov_b32_e32 v2, s19
	ds_write_b32 v9, v2 offset:4100
; %bb.118:                              ;   in Loop: Header=BB35_16 Depth=1
	s_or_b64 exec, exec, s[22:23]
	s_waitcnt lgkmcnt(0)
	s_barrier
.LBB35_119:                             ;   in Loop: Header=BB35_16 Depth=1
	s_or_saveexec_b64 s[20:21], s[20:21]
	s_mov_b64 s[22:23], 0
	v_mov_b32_e32 v5, 8
	s_xor_b64 exec, exec, s[20:21]
; %bb.120:                              ;   in Loop: Header=BB35_16 Depth=1
	s_mov_b64 s[22:23], exec
	v_subrev_u32_e32 v38, s19, v38
	v_mov_b32_e32 v5, 0
; %bb.121:                              ;   in Loop: Header=BB35_16 Depth=1
	s_or_b64 exec, exec, s[20:21]
	s_and_b64 s[22:23], s[22:23], exec
	v_mov_b32_e32 v16, v38
.LBB35_122:                             ;   in Loop: Header=BB35_16 Depth=1
	s_or_b64 exec, exec, s[6:7]
	s_mov_b64 s[20:21], -1
	s_mov_b64 s[6:7], -1
                                        ; implicit-def: $sgpr24_sgpr25
                                        ; implicit-def: $sgpr26_sgpr27
	s_and_saveexec_b64 s[28:29], s[22:23]
	s_xor_b64 s[22:23], exec, s[28:29]
	s_cbranch_execz .LBB35_239
; %bb.123:                              ;   in Loop: Header=BB35_16 Depth=1
	s_cmp_eq_u32 s18, 1
	s_cselect_b64 s[6:7], -1, 0
	v_cmp_eq_u32_e32 vcc, 1, v16
	s_and_b64 s[30:31], s[6:7], vcc
	s_mov_b64 s[34:35], -1
                                        ; implicit-def: $sgpr26_sgpr27
                                        ; implicit-def: $sgpr24_sgpr25
	s_and_saveexec_b64 s[6:7], s[30:31]
	s_cbranch_execz .LBB35_149
; %bb.124:                              ;   in Loop: Header=BB35_16 Depth=1
	ds_read_b32 v2, v9 offset:4096
	s_waitcnt lgkmcnt(0)
	s_barrier
	v_readfirstlane_b32 s19, v2
	s_and_saveexec_b64 s[24:25], s[4:5]
; %bb.125:                              ;   in Loop: Header=BB35_16 Depth=1
	ds_write_b16 v22, v9
; %bb.126:                              ;   in Loop: Header=BB35_16 Depth=1
	s_or_b64 exec, exec, s[24:25]
	v_and_b32_e32 v2, v30, v8
	v_lshl_or_b32 v30, 1, v34, v2
	v_or_b32_e32 v36, v36, v4
	s_mov_b64 s[24:25], -1
	s_mov_b64 s[26:27], 0
	s_cmp_gt_i32 s19, 0
	s_mov_b64 s[28:29], 0
	s_waitcnt lgkmcnt(0)
	s_barrier
                                        ; implicit-def: $vgpr37
	s_cbranch_scc1 .LBB35_137
; %bb.127:                              ;   in Loop: Header=BB35_16 Depth=1
	s_mov_b64 s[34:35], 0
                                        ; implicit-def: $vgpr37
	s_mov_b64 s[36:37], exec
	v_readlane_b32 s38, v52, 28
	v_readlane_b32 s39, v52, 29
	s_and_b64 s[38:39], s[36:37], s[38:39]
	s_mov_b64 exec, s[38:39]
	s_cbranch_execz .LBB35_136
; %bb.128:                              ;   in Loop: Header=BB35_16 Depth=1
	v_mov_b32_e32 v2, v6
	v_mov_b32_e32 v17, v0
                                        ; implicit-def: $sgpr38_sgpr39
	s_branch .LBB35_131
.LBB35_129:                             ;   in Loop: Header=BB35_131 Depth=2
	s_or_b64 exec, exec, s[40:41]
	s_waitcnt lgkmcnt(0)
	s_barrier
	ds_read_b32 v3, v9 offset:3072
	s_mov_b64 s[40:41], -1
	s_waitcnt lgkmcnt(0)
	s_barrier
	v_cmp_ne_u32_sdwa s[42:43], v3, v9 src0_sel:WORD_0 src1_sel:DWORD
	s_and_b64 vcc, exec, s[42:43]
	s_mov_b64 s[42:43], -1
	s_cbranch_vccz .LBB35_134
.LBB35_130:                             ;   in Loop: Header=BB35_131 Depth=2
	s_and_b64 s[40:41], exec, s[40:41]
	s_or_b64 s[28:29], s[40:41], s[28:29]
	s_andn2_b64 s[38:39], s[38:39], exec
	s_and_b64 s[40:41], s[42:43], exec
	s_or_b64 s[38:39], s[38:39], s[40:41]
	s_andn2_b64 exec, exec, s[28:29]
	s_cbranch_execz .LBB35_135
.LBB35_131:                             ;   Parent Loop BB35_16 Depth=1
                                        ; =>  This Inner Loop Header: Depth=2
	v_cmp_gt_i32_e32 vcc, s60, v17
	s_and_saveexec_b64 s[40:41], vcc
	s_cbranch_execz .LBB35_129
; %bb.132:                              ;   in Loop: Header=BB35_131 Depth=2
	v_ashrrev_i32_e32 v3, 31, v2
	v_lshl_add_u64 v[18:19], v[2:3], 1, s[72:73]
	global_load_ushort v3, v[18:19], off
	s_waitcnt vmcnt(0)
	v_add_u32_sdwa v18, sext(v3), s61 dst_sel:DWORD dst_unused:UNUSED_PAD src0_sel:WORD_0 src1_sel:DWORD
	v_and_b32_e32 v18, v18, v36
	v_cmp_eq_u32_e32 vcc, v18, v30
	s_and_b64 exec, exec, vcc
	s_cbranch_execz .LBB35_129
; %bb.133:                              ;   in Loop: Header=BB35_131 Depth=2
	v_perm_b32 v3, v3, 1, v35
	ds_write_b32 v9, v3 offset:3072
	s_branch .LBB35_129
.LBB35_134:                             ;   in Loop: Header=BB35_131 Depth=2
	v_add_u32_e32 v17, s64, v17
	v_cmp_le_i32_e32 vcc, s83, v17
	v_add_u32_e32 v2, s84, v2
	s_mov_b64 s[42:43], 0
	s_orn2_b64 s[40:41], vcc, exec
	s_branch .LBB35_130
.LBB35_135:                             ;   in Loop: Header=BB35_16 Depth=1
	s_or_b64 exec, exec, s[28:29]
	v_lshrrev_b32_e32 v37, 16, v3
	s_and_b64 s[28:29], s[38:39], exec
.LBB35_136:                             ;   in Loop: Header=BB35_16 Depth=1
	s_or_b64 exec, exec, s[36:37]
.LBB35_137:                             ;   in Loop: Header=BB35_16 Depth=1
	s_and_b64 vcc, exec, s[34:35]
	s_cbranch_vccz .LBB35_148
; %bb.138:                              ;   in Loop: Header=BB35_16 Depth=1
	v_readlane_b32 s24, v52, 8
	s_add_i32 s40, s19, s24
	s_abs_i32 s25, s40
	v_readlane_b32 s26, v52, 27
	s_mul_hi_u32 s26, s25, s26
	s_mul_i32 s26, s26, s64
	s_sub_i32 s25, s25, s26
	s_ashr_i32 s24, s40, 31
	s_sub_i32 s26, s25, s64
	s_cmp_ge_u32 s25, s64
	s_cselect_b32 s25, s26, s25
	s_sub_i32 s26, s25, s64
	s_cmp_ge_u32 s25, s64
	s_cselect_b32 s25, s26, s25
	s_xor_b32 s25, s25, s24
	s_sub_i32 s24, s24, s25
	s_add_i32 s40, s40, s24
	v_cmp_gt_i32_e32 vcc, s40, v0
                                        ; implicit-def: $vgpr37
	s_and_saveexec_b64 s[24:25], vcc
	s_cbranch_execz .LBB35_147
; %bb.139:                              ;   in Loop: Header=BB35_16 Depth=1
	s_mov_b64 s[26:27], 0
	v_mov_b32_e32 v2, v21
	v_mov_b32_e32 v3, v0
                                        ; implicit-def: $sgpr34_sgpr35
	s_branch .LBB35_142
.LBB35_140:                             ;   in Loop: Header=BB35_142 Depth=2
	s_or_b64 exec, exec, s[36:37]
	s_waitcnt lgkmcnt(0)
	s_barrier
	ds_read_b32 v17, v9 offset:3072
	s_mov_b64 s[36:37], -1
	s_waitcnt lgkmcnt(0)
	s_barrier
	v_cmp_eq_u32_sdwa s[38:39], v17, v9 src0_sel:WORD_0 src1_sel:DWORD
	s_and_b64 vcc, exec, s[38:39]
	s_mov_b64 s[38:39], -1
	s_cbranch_vccnz .LBB35_145
.LBB35_141:                             ;   in Loop: Header=BB35_142 Depth=2
	s_and_b64 s[36:37], exec, s[36:37]
	s_or_b64 s[26:27], s[36:37], s[26:27]
	s_andn2_b64 s[34:35], s[34:35], exec
	s_and_b64 s[36:37], s[38:39], exec
	s_or_b64 s[34:35], s[34:35], s[36:37]
	s_andn2_b64 exec, exec, s[26:27]
	s_cbranch_execz .LBB35_146
.LBB35_142:                             ;   Parent Loop BB35_16 Depth=1
                                        ; =>  This Inner Loop Header: Depth=2
	v_cmp_gt_i32_e32 vcc, s19, v3
	s_and_saveexec_b64 s[36:37], vcc
	s_cbranch_execz .LBB35_140
; %bb.143:                              ;   in Loop: Header=BB35_142 Depth=2
	ds_read_u16 v17, v2
	s_waitcnt lgkmcnt(0)
	v_add_u32_sdwa v18, sext(v17), s61 dst_sel:DWORD dst_unused:UNUSED_PAD src0_sel:WORD_0 src1_sel:DWORD
	v_and_b32_e32 v18, v18, v36
	v_cmp_eq_u32_e32 vcc, v18, v30
	s_and_b64 exec, exec, vcc
	s_cbranch_execz .LBB35_140
; %bb.144:                              ;   in Loop: Header=BB35_142 Depth=2
	v_perm_b32 v17, v17, 1, v35
	ds_write_b32 v9, v17 offset:3072
	s_branch .LBB35_140
.LBB35_145:                             ;   in Loop: Header=BB35_142 Depth=2
	v_add_u32_e32 v3, s64, v3
	v_cmp_le_i32_e32 vcc, s40, v3
	v_add_u32_e32 v2, s85, v2
	s_mov_b64 s[38:39], 0
	s_orn2_b64 s[36:37], vcc, exec
	s_branch .LBB35_141
.LBB35_146:                             ;   in Loop: Header=BB35_16 Depth=1
	s_or_b64 exec, exec, s[26:27]
	s_andn2_b64 s[26:27], s[28:29], exec
	s_and_b64 s[28:29], s[34:35], exec
	v_lshrrev_b32_e32 v37, 16, v17
	s_or_b64 s[28:29], s[26:27], s[28:29]
.LBB35_147:                             ;   in Loop: Header=BB35_16 Depth=1
	s_or_b64 exec, exec, s[24:25]
	s_mov_b64 s[24:25], 0
	s_mov_b64 s[26:27], -1
.LBB35_148:                             ;   in Loop: Header=BB35_16 Depth=1
	s_orn2_b64 s[34:35], s[28:29], exec
.LBB35_149:                             ;   in Loop: Header=BB35_16 Depth=1
	s_or_b64 exec, exec, s[6:7]
	s_mov_b64 s[6:7], 0
	s_and_saveexec_b64 s[28:29], s[34:35]
	s_cbranch_execz .LBB35_238
; %bb.150:                              ;   in Loop: Header=BB35_16 Depth=1
	s_xor_b64 s[30:31], s[30:31], -1
	s_mov_b64 s[38:39], 0
	v_mov_b32_e32 v17, 1
	v_mov_b32_e32 v5, 1
	s_and_saveexec_b64 s[6:7], s[30:31]
	s_cbranch_execz .LBB35_159
; %bb.151:                              ;   in Loop: Header=BB35_16 Depth=1
	v_cmp_ge_i32_e32 vcc, s18, v16
	s_and_saveexec_b64 s[30:31], vcc
	s_xor_b64 s[30:31], exec, s[30:31]
	s_cbranch_execz .LBB35_156
; %bb.152:                              ;   in Loop: Header=BB35_16 Depth=1
	ds_read_b32 v2, v9 offset:4096
	v_and_b32_e32 v3, v30, v8
	v_lshl_or_b32 v30, 1, v34, v3
	v_or_b32_e32 v36, v36, v4
	s_waitcnt lgkmcnt(0)
	v_cmp_ne_u32_e32 vcc, 0, v2
	s_cbranch_vccnz .LBB35_156
; %bb.153:                              ;   in Loop: Header=BB35_16 Depth=1
	s_mov_b64 s[34:35], exec
	v_readlane_b32 s36, v52, 5
	v_readlane_b32 s37, v52, 6
	s_and_b64 s[36:37], s[34:35], s[36:37]
	s_mov_b64 exec, s[36:37]
; %bb.154:                              ;   in Loop: Header=BB35_16 Depth=1
	v_mov_b32_e32 v2, s18
	ds_write_b32 v9, v2 offset:4100
; %bb.155:                              ;   in Loop: Header=BB35_16 Depth=1
	s_or_b64 exec, exec, s[34:35]
	s_waitcnt lgkmcnt(0)
	s_barrier
.LBB35_156:                             ;   in Loop: Header=BB35_16 Depth=1
	s_or_saveexec_b64 s[30:31], s[30:31]
	s_mov_b64 s[34:35], 0
	v_mov_b32_e32 v5, 8
	s_xor_b64 exec, exec, s[30:31]
; %bb.157:                              ;   in Loop: Header=BB35_16 Depth=1
	s_mov_b64 s[34:35], exec
	v_subrev_u32_e32 v16, s18, v16
	v_mov_b32_e32 v5, 0
; %bb.158:                              ;   in Loop: Header=BB35_16 Depth=1
	s_or_b64 exec, exec, s[30:31]
	s_and_b64 s[38:39], s[34:35], exec
	v_mov_b32_e32 v17, v16
.LBB35_159:                             ;   in Loop: Header=BB35_16 Depth=1
	s_or_b64 exec, exec, s[6:7]
	s_mov_b64 s[6:7], -1
                                        ; implicit-def: $sgpr34_sgpr35
                                        ; implicit-def: $sgpr36_sgpr37
	s_and_saveexec_b64 s[30:31], s[38:39]
	s_cbranch_execz .LBB35_237
; %bb.160:                              ;   in Loop: Header=BB35_16 Depth=1
	s_cmp_eq_u32 s52, 1
	s_cselect_b64 s[6:7], -1, 0
	v_cmp_eq_u32_e32 vcc, 1, v17
	s_and_b64 s[40:41], s[6:7], vcc
	s_mov_b64 s[42:43], -1
                                        ; implicit-def: $sgpr36_sgpr37
                                        ; implicit-def: $sgpr34_sgpr35
	s_and_saveexec_b64 s[6:7], s[40:41]
	s_cbranch_execz .LBB35_186
; %bb.161:                              ;   in Loop: Header=BB35_16 Depth=1
	ds_read_b32 v2, v9 offset:4096
	s_waitcnt lgkmcnt(0)
	s_barrier
	v_readfirstlane_b32 s18, v2
	s_and_saveexec_b64 s[34:35], s[4:5]
; %bb.162:                              ;   in Loop: Header=BB35_16 Depth=1
	ds_write_b16 v22, v9
; %bb.163:                              ;   in Loop: Header=BB35_16 Depth=1
	s_or_b64 exec, exec, s[34:35]
	v_and_b32_e32 v2, v30, v8
	v_lshl_or_b32 v30, 2, v34, v2
	v_or_b32_e32 v36, v36, v4
	s_mov_b64 s[34:35], -1
	s_mov_b64 s[36:37], 0
	s_cmp_gt_i32 s18, 0
	s_mov_b64 s[38:39], 0
	s_waitcnt lgkmcnt(0)
	s_barrier
                                        ; implicit-def: $vgpr37
	s_cbranch_scc1 .LBB35_174
; %bb.164:                              ;   in Loop: Header=BB35_16 Depth=1
	s_mov_b64 s[42:43], 0
                                        ; implicit-def: $vgpr37
	s_mov_b64 s[44:45], exec
	v_readlane_b32 s46, v52, 28
	v_readlane_b32 s47, v52, 29
	s_and_b64 s[46:47], s[44:45], s[46:47]
	s_mov_b64 exec, s[46:47]
	s_cbranch_execz .LBB35_173
; %bb.165:                              ;   in Loop: Header=BB35_16 Depth=1
	v_mov_b32_e32 v2, v6
	v_mov_b32_e32 v16, v0
                                        ; implicit-def: $sgpr46_sgpr47
	s_branch .LBB35_168
.LBB35_166:                             ;   in Loop: Header=BB35_168 Depth=2
	s_or_b64 exec, exec, s[48:49]
	s_waitcnt lgkmcnt(0)
	s_barrier
	ds_read_b32 v3, v9 offset:3072
	s_mov_b64 s[48:49], -1
	s_waitcnt lgkmcnt(0)
	s_barrier
	v_cmp_ne_u32_sdwa s[50:51], v3, v9 src0_sel:WORD_0 src1_sel:DWORD
	s_and_b64 vcc, exec, s[50:51]
	s_mov_b64 s[50:51], -1
	s_cbranch_vccz .LBB35_171
.LBB35_167:                             ;   in Loop: Header=BB35_168 Depth=2
	s_and_b64 s[48:49], exec, s[48:49]
	s_or_b64 s[38:39], s[48:49], s[38:39]
	s_andn2_b64 s[46:47], s[46:47], exec
	s_and_b64 s[48:49], s[50:51], exec
	s_or_b64 s[46:47], s[46:47], s[48:49]
	s_andn2_b64 exec, exec, s[38:39]
	s_cbranch_execz .LBB35_172
.LBB35_168:                             ;   Parent Loop BB35_16 Depth=1
                                        ; =>  This Inner Loop Header: Depth=2
	v_cmp_gt_i32_e32 vcc, s60, v16
	s_and_saveexec_b64 s[48:49], vcc
	s_cbranch_execz .LBB35_166
; %bb.169:                              ;   in Loop: Header=BB35_168 Depth=2
	v_ashrrev_i32_e32 v3, 31, v2
	v_lshl_add_u64 v[18:19], v[2:3], 1, s[72:73]
	global_load_ushort v3, v[18:19], off
	s_waitcnt vmcnt(0)
	v_add_u32_sdwa v18, sext(v3), s61 dst_sel:DWORD dst_unused:UNUSED_PAD src0_sel:WORD_0 src1_sel:DWORD
	v_and_b32_e32 v18, v18, v36
	v_cmp_eq_u32_e32 vcc, v18, v30
	s_and_b64 exec, exec, vcc
	s_cbranch_execz .LBB35_166
; %bb.170:                              ;   in Loop: Header=BB35_168 Depth=2
	v_perm_b32 v3, v3, 1, v35
	ds_write_b32 v9, v3 offset:3072
	s_branch .LBB35_166
.LBB35_171:                             ;   in Loop: Header=BB35_168 Depth=2
	v_add_u32_e32 v16, s64, v16
	v_cmp_le_i32_e32 vcc, s83, v16
	v_add_u32_e32 v2, s84, v2
	s_mov_b64 s[50:51], 0
	s_orn2_b64 s[48:49], vcc, exec
	s_branch .LBB35_167
.LBB35_172:                             ;   in Loop: Header=BB35_16 Depth=1
	s_or_b64 exec, exec, s[38:39]
	v_lshrrev_b32_e32 v37, 16, v3
	s_and_b64 s[38:39], s[46:47], exec
.LBB35_173:                             ;   in Loop: Header=BB35_16 Depth=1
	s_or_b64 exec, exec, s[44:45]
.LBB35_174:                             ;   in Loop: Header=BB35_16 Depth=1
	s_and_b64 vcc, exec, s[42:43]
	s_cbranch_vccz .LBB35_185
; %bb.175:                              ;   in Loop: Header=BB35_16 Depth=1
	v_readlane_b32 s19, v52, 8
	s_add_i32 s19, s18, s19
	s_abs_i32 s35, s19
	v_readlane_b32 s36, v52, 27
	s_mul_hi_u32 s36, s35, s36
	s_mul_i32 s36, s36, s64
	s_sub_i32 s35, s35, s36
	s_ashr_i32 s34, s19, 31
	s_sub_i32 s36, s35, s64
	s_cmp_ge_u32 s35, s64
	s_cselect_b32 s35, s36, s35
	s_sub_i32 s36, s35, s64
	s_cmp_ge_u32 s35, s64
	s_cselect_b32 s35, s36, s35
	s_xor_b32 s35, s35, s34
	s_sub_i32 s34, s34, s35
	s_add_i32 s19, s19, s34
	v_cmp_gt_i32_e32 vcc, s19, v0
                                        ; implicit-def: $vgpr37
	s_and_saveexec_b64 s[34:35], vcc
	s_cbranch_execz .LBB35_184
; %bb.176:                              ;   in Loop: Header=BB35_16 Depth=1
	s_mov_b64 s[36:37], 0
	v_mov_b32_e32 v2, v21
	v_mov_b32_e32 v3, v0
                                        ; implicit-def: $sgpr42_sgpr43
	s_branch .LBB35_179
.LBB35_177:                             ;   in Loop: Header=BB35_179 Depth=2
	s_or_b64 exec, exec, s[44:45]
	s_waitcnt lgkmcnt(0)
	s_barrier
	ds_read_b32 v16, v9 offset:3072
	s_mov_b64 s[44:45], -1
	s_waitcnt lgkmcnt(0)
	s_barrier
	v_cmp_eq_u32_sdwa s[46:47], v16, v9 src0_sel:WORD_0 src1_sel:DWORD
	s_and_b64 vcc, exec, s[46:47]
	s_mov_b64 s[46:47], -1
	s_cbranch_vccnz .LBB35_182
.LBB35_178:                             ;   in Loop: Header=BB35_179 Depth=2
	s_and_b64 s[44:45], exec, s[44:45]
	s_or_b64 s[36:37], s[44:45], s[36:37]
	s_andn2_b64 s[42:43], s[42:43], exec
	s_and_b64 s[44:45], s[46:47], exec
	s_or_b64 s[42:43], s[42:43], s[44:45]
	s_andn2_b64 exec, exec, s[36:37]
	s_cbranch_execz .LBB35_183
.LBB35_179:                             ;   Parent Loop BB35_16 Depth=1
                                        ; =>  This Inner Loop Header: Depth=2
	v_cmp_gt_i32_e32 vcc, s18, v3
	s_and_saveexec_b64 s[44:45], vcc
	s_cbranch_execz .LBB35_177
; %bb.180:                              ;   in Loop: Header=BB35_179 Depth=2
	ds_read_u16 v16, v2
	s_waitcnt lgkmcnt(0)
	v_add_u32_sdwa v18, sext(v16), s61 dst_sel:DWORD dst_unused:UNUSED_PAD src0_sel:WORD_0 src1_sel:DWORD
	v_and_b32_e32 v18, v18, v36
	v_cmp_eq_u32_e32 vcc, v18, v30
	s_and_b64 exec, exec, vcc
	s_cbranch_execz .LBB35_177
; %bb.181:                              ;   in Loop: Header=BB35_179 Depth=2
	v_perm_b32 v16, v16, 1, v35
	ds_write_b32 v9, v16 offset:3072
	s_branch .LBB35_177
.LBB35_182:                             ;   in Loop: Header=BB35_179 Depth=2
	v_add_u32_e32 v3, s64, v3
	v_cmp_le_i32_e32 vcc, s19, v3
	v_add_u32_e32 v2, s85, v2
	s_mov_b64 s[46:47], 0
	s_orn2_b64 s[44:45], vcc, exec
	s_branch .LBB35_178
.LBB35_183:                             ;   in Loop: Header=BB35_16 Depth=1
	s_or_b64 exec, exec, s[36:37]
	s_andn2_b64 s[18:19], s[38:39], exec
	s_and_b64 s[36:37], s[42:43], exec
	v_lshrrev_b32_e32 v37, 16, v16
	s_or_b64 s[38:39], s[18:19], s[36:37]
.LBB35_184:                             ;   in Loop: Header=BB35_16 Depth=1
	s_or_b64 exec, exec, s[34:35]
	s_mov_b64 s[34:35], 0
	s_mov_b64 s[36:37], -1
.LBB35_185:                             ;   in Loop: Header=BB35_16 Depth=1
	s_orn2_b64 s[42:43], s[38:39], exec
.LBB35_186:                             ;   in Loop: Header=BB35_16 Depth=1
	s_or_b64 exec, exec, s[6:7]
	s_mov_b64 s[6:7], 0
	s_and_saveexec_b64 s[38:39], s[42:43]
	s_cbranch_execz .LBB35_236
; %bb.187:                              ;   in Loop: Header=BB35_16 Depth=1
	s_xor_b64 s[18:19], s[40:41], -1
	s_mov_b64 s[42:43], 0
	v_mov_b32_e32 v16, 1
	v_mov_b32_e32 v5, 1
	s_and_saveexec_b64 s[6:7], s[18:19]
	s_cbranch_execz .LBB35_196
; %bb.188:                              ;   in Loop: Header=BB35_16 Depth=1
	v_cmp_ge_i32_e32 vcc, s52, v17
	s_and_saveexec_b64 s[18:19], vcc
	s_xor_b64 s[40:41], exec, s[18:19]
	s_cbranch_execz .LBB35_193
; %bb.189:                              ;   in Loop: Header=BB35_16 Depth=1
	ds_read_b32 v2, v9 offset:4096
	v_and_b32_e32 v3, v30, v8
	v_lshl_or_b32 v30, 2, v34, v3
	v_or_b32_e32 v36, v36, v4
	s_waitcnt lgkmcnt(0)
	v_cmp_ne_u32_e32 vcc, 0, v2
	s_cbranch_vccnz .LBB35_193
; %bb.190:                              ;   in Loop: Header=BB35_16 Depth=1
	s_mov_b64 s[42:43], exec
	v_readlane_b32 s18, v52, 5
	v_readlane_b32 s19, v52, 6
	s_and_b64 s[18:19], s[42:43], s[18:19]
	s_mov_b64 exec, s[18:19]
; %bb.191:                              ;   in Loop: Header=BB35_16 Depth=1
	v_mov_b32_e32 v2, s52
	ds_write_b32 v9, v2 offset:4100
; %bb.192:                              ;   in Loop: Header=BB35_16 Depth=1
	s_or_b64 exec, exec, s[42:43]
	s_waitcnt lgkmcnt(0)
	s_barrier
.LBB35_193:                             ;   in Loop: Header=BB35_16 Depth=1
	s_or_saveexec_b64 s[40:41], s[40:41]
	s_mov_b64 s[42:43], 0
	v_mov_b32_e32 v5, 8
	s_xor_b64 exec, exec, s[40:41]
; %bb.194:                              ;   in Loop: Header=BB35_16 Depth=1
	s_mov_b64 s[42:43], exec
	v_subrev_u32_e32 v17, s52, v17
	v_mov_b32_e32 v5, 0
; %bb.195:                              ;   in Loop: Header=BB35_16 Depth=1
	s_or_b64 exec, exec, s[40:41]
	s_and_b64 s[42:43], s[42:43], exec
	v_mov_b32_e32 v16, v17
.LBB35_196:                             ;   in Loop: Header=BB35_16 Depth=1
	s_or_b64 exec, exec, s[6:7]
	s_mov_b64 s[6:7], -1
                                        ; implicit-def: $sgpr46_sgpr47
                                        ; implicit-def: $sgpr44_sgpr45
	s_and_saveexec_b64 s[40:41], s[42:43]
	s_cbranch_execz .LBB35_235
; %bb.197:                              ;   in Loop: Header=BB35_16 Depth=1
	s_cmp_eq_u32 s74, 1
	s_cselect_b64 s[6:7], -1, 0
	v_cmp_eq_u32_e32 vcc, 1, v16
	s_and_b64 s[42:43], s[6:7], vcc
	s_mov_b64 s[48:49], -1
                                        ; implicit-def: $sgpr46_sgpr47
                                        ; implicit-def: $sgpr44_sgpr45
	s_and_saveexec_b64 s[6:7], s[42:43]
	s_cbranch_execz .LBB35_223
; %bb.198:                              ;   in Loop: Header=BB35_16 Depth=1
	ds_read_b32 v2, v9 offset:4096
	s_waitcnt lgkmcnt(0)
	s_barrier
	v_readfirstlane_b32 s18, v2
	s_and_saveexec_b64 s[44:45], s[4:5]
; %bb.199:                              ;   in Loop: Header=BB35_16 Depth=1
	ds_write_b16 v22, v9
; %bb.200:                              ;   in Loop: Header=BB35_16 Depth=1
	s_or_b64 exec, exec, s[44:45]
	v_or_b32_e32 v30, v30, v4
	v_or_b32_e32 v36, v36, v4
	s_mov_b64 s[44:45], -1
	s_mov_b64 s[46:47], 0
	s_cmp_gt_i32 s18, 0
	s_mov_b64 s[48:49], 0
	s_mov_b64 s[50:51], -1
	s_waitcnt lgkmcnt(0)
	s_barrier
                                        ; implicit-def: $vgpr37
	s_cbranch_scc1 .LBB35_211
; %bb.201:                              ;   in Loop: Header=BB35_16 Depth=1
	s_mov_b64 s[50:51], 0
                                        ; implicit-def: $vgpr37
	s_mov_b64 s[52:53], exec
	v_readlane_b32 s54, v52, 28
	v_readlane_b32 s55, v52, 29
	s_and_b64 s[54:55], s[52:53], s[54:55]
	s_mov_b64 exec, s[54:55]
	s_cbranch_execz .LBB35_210
; %bb.202:                              ;   in Loop: Header=BB35_16 Depth=1
	v_mov_b32_e32 v2, v6
	v_mov_b32_e32 v8, v0
                                        ; implicit-def: $sgpr54_sgpr55
	s_branch .LBB35_205
.LBB35_203:                             ;   in Loop: Header=BB35_205 Depth=2
	s_or_b64 exec, exec, s[56:57]
	s_waitcnt lgkmcnt(0)
	s_barrier
	ds_read_b32 v3, v9 offset:3072
	s_mov_b64 s[56:57], -1
	s_waitcnt lgkmcnt(0)
	s_barrier
	v_cmp_ne_u32_sdwa s[58:59], v3, v9 src0_sel:WORD_0 src1_sel:DWORD
	s_and_b64 vcc, exec, s[58:59]
	s_mov_b64 s[58:59], -1
	s_cbranch_vccz .LBB35_208
.LBB35_204:                             ;   in Loop: Header=BB35_205 Depth=2
	s_and_b64 s[56:57], exec, s[56:57]
	s_or_b64 s[48:49], s[56:57], s[48:49]
	s_andn2_b64 s[54:55], s[54:55], exec
	s_and_b64 s[56:57], s[58:59], exec
	s_or_b64 s[54:55], s[54:55], s[56:57]
	s_andn2_b64 exec, exec, s[48:49]
	s_cbranch_execz .LBB35_209
.LBB35_205:                             ;   Parent Loop BB35_16 Depth=1
                                        ; =>  This Inner Loop Header: Depth=2
	v_cmp_gt_i32_e32 vcc, s60, v8
	s_and_saveexec_b64 s[56:57], vcc
	s_cbranch_execz .LBB35_203
; %bb.206:                              ;   in Loop: Header=BB35_205 Depth=2
	v_ashrrev_i32_e32 v3, 31, v2
	v_lshl_add_u64 v[18:19], v[2:3], 1, s[72:73]
	global_load_ushort v3, v[18:19], off
	s_waitcnt vmcnt(0)
	v_add_u32_sdwa v17, sext(v3), s61 dst_sel:DWORD dst_unused:UNUSED_PAD src0_sel:WORD_0 src1_sel:DWORD
	v_and_b32_e32 v17, v17, v36
	v_cmp_eq_u32_e32 vcc, v17, v30
	s_and_b64 exec, exec, vcc
	s_cbranch_execz .LBB35_203
; %bb.207:                              ;   in Loop: Header=BB35_205 Depth=2
	v_perm_b32 v3, v3, 1, v35
	ds_write_b32 v9, v3 offset:3072
	s_branch .LBB35_203
.LBB35_208:                             ;   in Loop: Header=BB35_205 Depth=2
	v_add_u32_e32 v8, s64, v8
	v_cmp_le_i32_e32 vcc, s83, v8
	v_add_u32_e32 v2, s84, v2
	s_mov_b64 s[58:59], 0
	s_orn2_b64 s[56:57], vcc, exec
	s_branch .LBB35_204
.LBB35_209:                             ;   in Loop: Header=BB35_16 Depth=1
	s_or_b64 exec, exec, s[48:49]
	v_lshrrev_b32_e32 v37, 16, v3
	s_and_b64 s[48:49], s[54:55], exec
.LBB35_210:                             ;   in Loop: Header=BB35_16 Depth=1
	s_or_b64 exec, exec, s[52:53]
.LBB35_211:                             ;   in Loop: Header=BB35_16 Depth=1
	s_and_b64 vcc, exec, s[50:51]
	s_cbranch_vccz .LBB35_222
; %bb.212:                              ;   in Loop: Header=BB35_16 Depth=1
	v_readlane_b32 s19, v52, 8
	s_add_i32 s19, s18, s19
	s_abs_i32 s45, s19
	v_readlane_b32 s46, v52, 27
	s_mul_hi_u32 s46, s45, s46
	s_mul_i32 s46, s46, s64
	s_sub_i32 s45, s45, s46
	s_ashr_i32 s44, s19, 31
	s_sub_i32 s46, s45, s64
	s_cmp_ge_u32 s45, s64
	s_cselect_b32 s45, s46, s45
	s_sub_i32 s46, s45, s64
	s_cmp_ge_u32 s45, s64
	s_cselect_b32 s45, s46, s45
	s_xor_b32 s45, s45, s44
	s_sub_i32 s44, s44, s45
	s_add_i32 s19, s19, s44
	v_cmp_gt_i32_e32 vcc, s19, v0
                                        ; implicit-def: $vgpr37
	s_and_saveexec_b64 s[44:45], vcc
	s_cbranch_execz .LBB35_221
; %bb.213:                              ;   in Loop: Header=BB35_16 Depth=1
	s_mov_b64 s[46:47], 0
	v_mov_b32_e32 v2, v21
	v_mov_b32_e32 v3, v0
                                        ; implicit-def: $sgpr50_sgpr51
	s_branch .LBB35_216
.LBB35_214:                             ;   in Loop: Header=BB35_216 Depth=2
	s_or_b64 exec, exec, s[52:53]
	s_waitcnt lgkmcnt(0)
	s_barrier
	ds_read_b32 v8, v9 offset:3072
	s_mov_b64 s[52:53], -1
	s_waitcnt lgkmcnt(0)
	s_barrier
	v_cmp_eq_u32_sdwa s[54:55], v8, v9 src0_sel:WORD_0 src1_sel:DWORD
	s_and_b64 vcc, exec, s[54:55]
	s_mov_b64 s[54:55], -1
	s_cbranch_vccnz .LBB35_219
.LBB35_215:                             ;   in Loop: Header=BB35_216 Depth=2
	s_and_b64 s[52:53], exec, s[52:53]
	s_or_b64 s[46:47], s[52:53], s[46:47]
	s_andn2_b64 s[50:51], s[50:51], exec
	s_and_b64 s[52:53], s[54:55], exec
	s_or_b64 s[50:51], s[50:51], s[52:53]
	s_andn2_b64 exec, exec, s[46:47]
	s_cbranch_execz .LBB35_220
.LBB35_216:                             ;   Parent Loop BB35_16 Depth=1
                                        ; =>  This Inner Loop Header: Depth=2
	v_cmp_gt_i32_e32 vcc, s18, v3
	s_and_saveexec_b64 s[52:53], vcc
	s_cbranch_execz .LBB35_214
; %bb.217:                              ;   in Loop: Header=BB35_216 Depth=2
	ds_read_u16 v8, v2
	s_waitcnt lgkmcnt(0)
	v_add_u32_sdwa v17, sext(v8), s61 dst_sel:DWORD dst_unused:UNUSED_PAD src0_sel:WORD_0 src1_sel:DWORD
	v_and_b32_e32 v17, v17, v36
	v_cmp_eq_u32_e32 vcc, v17, v30
	s_and_b64 exec, exec, vcc
	s_cbranch_execz .LBB35_214
; %bb.218:                              ;   in Loop: Header=BB35_216 Depth=2
	v_perm_b32 v8, v8, 1, v35
	ds_write_b32 v9, v8 offset:3072
	s_branch .LBB35_214
.LBB35_219:                             ;   in Loop: Header=BB35_216 Depth=2
	v_add_u32_e32 v3, s64, v3
	v_cmp_le_i32_e32 vcc, s19, v3
	v_add_u32_e32 v2, s85, v2
	s_mov_b64 s[54:55], 0
	s_orn2_b64 s[52:53], vcc, exec
	s_branch .LBB35_215
.LBB35_220:                             ;   in Loop: Header=BB35_16 Depth=1
	s_or_b64 exec, exec, s[46:47]
	s_andn2_b64 s[18:19], s[48:49], exec
	s_and_b64 s[46:47], s[50:51], exec
	v_lshrrev_b32_e32 v37, 16, v8
	s_or_b64 s[48:49], s[18:19], s[46:47]
.LBB35_221:                             ;   in Loop: Header=BB35_16 Depth=1
	s_or_b64 exec, exec, s[44:45]
	s_mov_b64 s[44:45], 0
	s_mov_b64 s[46:47], -1
.LBB35_222:                             ;   in Loop: Header=BB35_16 Depth=1
	s_orn2_b64 s[48:49], s[48:49], exec
.LBB35_223:                             ;   in Loop: Header=BB35_16 Depth=1
	s_or_b64 exec, exec, s[6:7]
	s_mov_b64 s[50:51], 0
	s_and_saveexec_b64 s[6:7], s[48:49]
	s_cbranch_execz .LBB35_234
; %bb.224:                              ;   in Loop: Header=BB35_16 Depth=1
	s_xor_b64 s[18:19], s[42:43], -1
	v_mov_b32_e32 v5, 1
	v_mov_b32_e32 v2, 1
	s_and_saveexec_b64 s[42:43], s[18:19]
	s_cbranch_execz .LBB35_233
; %bb.225:                              ;   in Loop: Header=BB35_16 Depth=1
	v_cmp_ge_i32_e32 vcc, s74, v16
	s_and_saveexec_b64 s[18:19], vcc
	s_xor_b64 s[48:49], exec, s[18:19]
	s_cbranch_execz .LBB35_230
; %bb.226:                              ;   in Loop: Header=BB35_16 Depth=1
	ds_read_b32 v2, v9 offset:4096
	v_or_b32_e32 v30, v30, v4
	v_or_b32_e32 v36, v36, v4
	s_waitcnt lgkmcnt(0)
	v_cmp_ne_u32_e32 vcc, 0, v2
	s_cbranch_vccnz .LBB35_230
; %bb.227:                              ;   in Loop: Header=BB35_16 Depth=1
	s_mov_b64 s[50:51], exec
	v_readlane_b32 s18, v52, 5
	v_readlane_b32 s19, v52, 6
	s_and_b64 s[18:19], s[50:51], s[18:19]
	s_mov_b64 exec, s[18:19]
; %bb.228:                              ;   in Loop: Header=BB35_16 Depth=1
	v_mov_b32_e32 v2, s74
	ds_write_b32 v9, v2 offset:4100
; %bb.229:                              ;   in Loop: Header=BB35_16 Depth=1
	s_or_b64 exec, exec, s[50:51]
	s_waitcnt lgkmcnt(0)
	s_barrier
.LBB35_230:                             ;   in Loop: Header=BB35_16 Depth=1
	s_andn2_saveexec_b64 s[48:49], s[48:49]
; %bb.231:                              ;   in Loop: Header=BB35_16 Depth=1
	v_subrev_u32_e32 v16, s74, v16
; %bb.232:                              ;   in Loop: Header=BB35_16 Depth=1
	s_or_b64 exec, exec, s[48:49]
	v_mov_b32_e32 v5, 8
	v_mov_b32_e32 v2, v16
.LBB35_233:                             ;   in Loop: Header=BB35_16 Depth=1
	s_or_b64 exec, exec, s[42:43]
	s_mov_b64 s[50:51], exec
	v_mov_b32_e32 v16, v2
.LBB35_234:                             ;   in Loop: Header=BB35_16 Depth=1
	s_or_b64 exec, exec, s[6:7]
	s_orn2_b64 s[6:7], s[50:51], exec
.LBB35_235:                             ;   in Loop: Header=BB35_16 Depth=1
	s_or_b64 exec, exec, s[40:41]
	s_andn2_b64 s[18:19], s[36:37], exec
	s_and_b64 s[36:37], s[46:47], exec
	s_or_b64 s[36:37], s[18:19], s[36:37]
	s_andn2_b64 s[18:19], s[34:35], exec
	s_and_b64 s[34:35], s[44:45], exec
	s_or_b64 s[34:35], s[18:19], s[34:35]
	s_and_b64 s[6:7], s[6:7], exec
	v_mov_b32_e32 v17, v16
.LBB35_236:                             ;   in Loop: Header=BB35_16 Depth=1
	s_or_b64 exec, exec, s[38:39]
	s_orn2_b64 s[6:7], s[6:7], exec
.LBB35_237:                             ;   in Loop: Header=BB35_16 Depth=1
	s_or_b64 exec, exec, s[30:31]
	s_andn2_b64 s[18:19], s[26:27], exec
	s_and_b64 s[26:27], s[36:37], exec
	s_or_b64 s[26:27], s[18:19], s[26:27]
	s_andn2_b64 s[18:19], s[24:25], exec
	s_and_b64 s[24:25], s[34:35], exec
	s_or_b64 s[24:25], s[18:19], s[24:25]
	s_and_b64 s[6:7], s[6:7], exec
	v_mov_b32_e32 v16, v17
.LBB35_238:                             ;   in Loop: Header=BB35_16 Depth=1
	s_or_b64 exec, exec, s[28:29]
	s_orn2_b64 s[6:7], s[6:7], exec
.LBB35_239:                             ;   in Loop: Header=BB35_16 Depth=1
	s_or_b64 exec, exec, s[22:23]
	s_mov_b64 s[22:23], 0
                                        ; implicit-def: $sgpr30
	s_and_saveexec_b64 s[18:19], s[6:7]
	s_xor_b64 s[6:7], exec, s[18:19]
	s_cbranch_execz .LBB35_14
; %bb.240:                              ;   in Loop: Header=BB35_16 Depth=1
	v_and_b32_e32 v2, 7, v5
	v_cmp_eq_u32_e32 vcc, 0, v2
	s_mov_b64 s[20:21], -1
	s_mov_b64 s[22:23], -1
                                        ; implicit-def: $sgpr30
	s_and_saveexec_b64 s[28:29], vcc
	s_cbranch_execz .LBB35_13
; %bb.241:                              ;   in Loop: Header=BB35_16 Depth=1
	v_add_u32_e32 v2, -2, v34
	v_cmp_eq_u32_e32 vcc, 0, v34
	s_xor_b32 s30, s82, 1
	s_xor_b64 s[22:23], exec, -1
	s_orn2_b64 s[20:21], vcc, exec
	v_mov_b32_e32 v34, v2
	s_branch .LBB35_13
.LBB35_242:
	s_or_b64 exec, exec, s[92:93]
	s_xor_b64 s[6:7], s[98:99], -1
	s_xor_b64 s[0:1], s[94:95], -1
	;; [unrolled: 1-line block ×3, first 2 shown]
	s_mov_b64 s[2:3], 0
	s_and_saveexec_b64 s[8:9], s[0:1]
	s_xor_b64 s[0:1], exec, s[8:9]
	s_cbranch_execnz .LBB35_247
; %bb.243:
	s_andn2_saveexec_b64 s[0:1], s[0:1]
	s_cbranch_execnz .LBB35_267
.LBB35_244:
	s_or_b64 exec, exec, s[0:1]
	s_and_saveexec_b64 s[0:1], s[2:3]
.LBB35_245:
	; divergent unreachable
.LBB35_246:
	s_endpgm
.LBB35_247:
	s_and_saveexec_b64 s[2:3], s[6:7]
	s_xor_b64 s[2:3], exec, s[2:3]
	s_cbranch_execz .LBB35_265
; %bb.248:
	s_and_saveexec_b64 s[6:7], s[4:5]
	s_xor_b64 s[4:5], exec, s[6:7]
; %bb.249:
	v_xor_b32_e32 v37, 0xffff8000, v30
; %bb.250:
	s_or_b64 exec, exec, s[4:5]
	s_mov_b64 s[4:5], exec
	v_readlane_b32 s6, v52, 5
	v_readlane_b32 s7, v52, 6
	s_and_b64 s[6:7], s[4:5], s[6:7]
	s_mov_b64 exec, s[6:7]
; %bb.251:
	v_mov_b32_e32 v1, 0
	v_mov_b32_e32 v2, s60
	ds_write_b32 v1, v2 offset:4108
; %bb.252:
	s_or_b64 exec, exec, s[4:5]
	v_mov_b32_e32 v1, 0
	s_waitcnt lgkmcnt(0)
	s_barrier
	ds_read_b32 v1, v1 offset:4108
	s_waitcnt lgkmcnt(0)
	v_min_i32_e32 v2, s60, v1
	v_cmp_lt_i32_e32 vcc, v0, v2
	s_and_saveexec_b64 s[4:5], vcc
	s_cbranch_execz .LBB35_262
; %bb.253:
	s_mov_b64 s[6:7], 0
                                        ; implicit-def: $sgpr8_sgpr9
                                        ; implicit-def: $sgpr12_sgpr13
                                        ; implicit-def: $sgpr10_sgpr11
	s_branch .LBB35_255
.LBB35_254:                             ;   in Loop: Header=BB35_255 Depth=1
	s_or_b64 exec, exec, s[14:15]
	s_and_b64 s[14:15], exec, s[12:13]
	s_or_b64 s[6:7], s[14:15], s[6:7]
	s_andn2_b64 s[8:9], s[8:9], exec
	s_and_b64 s[14:15], s[10:11], exec
	s_or_b64 s[8:9], s[8:9], s[14:15]
	s_andn2_b64 exec, exec, s[6:7]
	s_cbranch_execz .LBB35_257
.LBB35_255:                             ; =>This Inner Loop Header: Depth=1
	v_ashrrev_i32_e32 v7, 31, v6
	v_lshl_add_u64 v[4:5], v[6:7], 1, s[72:73]
	global_load_ushort v3, v[4:5], off
	v_mov_b32_e32 v1, v0
	s_or_b64 s[10:11], s[10:11], exec
	s_or_b64 s[12:13], s[12:13], exec
                                        ; implicit-def: $vgpr0
	s_waitcnt vmcnt(0)
	v_cmp_ne_u16_e32 vcc, v3, v37
	s_and_saveexec_b64 s[14:15], vcc
	s_cbranch_execz .LBB35_254
; %bb.256:                              ;   in Loop: Header=BB35_255 Depth=1
	v_add_u32_e32 v0, s64, v1
	v_cmp_ge_i32_e32 vcc, v0, v2
	s_andn2_b64 s[12:13], s[12:13], exec
	s_and_b64 s[16:17], vcc, exec
	v_add_u32_e32 v6, s84, v6
	s_andn2_b64 s[10:11], s[10:11], exec
	s_or_b64 s[12:13], s[12:13], s[16:17]
	s_branch .LBB35_254
.LBB35_257:
	s_or_b64 exec, exec, s[6:7]
	s_and_saveexec_b64 s[6:7], s[8:9]
	s_xor_b64 s[6:7], exec, s[6:7]
	s_cbranch_execz .LBB35_262
; %bb.258:
	s_mov_b64 s[6:7], exec
	s_brev_b32 s8, -2
.LBB35_259:                             ; =>This Inner Loop Header: Depth=1
	s_ff1_i32_b64 s9, s[6:7]
	v_readlane_b32 s12, v1, s9
	s_lshl_b64 s[10:11], 1, s9
	s_min_i32 s8, s8, s12
	s_andn2_b64 s[6:7], s[6:7], s[10:11]
	s_cmp_lg_u64 s[6:7], 0
	s_cbranch_scc1 .LBB35_259
; %bb.260:
	v_mbcnt_lo_u32_b32 v0, exec_lo, 0
	v_mbcnt_hi_u32_b32 v0, exec_hi, v0
	v_cmp_eq_u32_e32 vcc, 0, v0
	s_and_saveexec_b64 s[6:7], vcc
	s_xor_b64 s[6:7], exec, s[6:7]
; %bb.261:
	v_mov_b32_e32 v0, 0
	v_mov_b32_e32 v1, s8
	ds_min_i32 v0, v1 offset:4108
.LBB35_262:
	s_or_b64 exec, exec, s[4:5]
	s_waitcnt lgkmcnt(0)
	s_barrier
	s_mov_b64 s[4:5], exec
	v_readlane_b32 s6, v52, 5
	v_readlane_b32 s7, v52, 6
	s_and_b64 s[6:7], s[4:5], s[6:7]
	s_mov_b64 exec, s[6:7]
	s_cbranch_execz .LBB35_264
; %bb.263:
	v_readlane_b32 s6, v52, 0
	s_mul_i32 s6, s6, s62
	v_readlane_b32 s7, v52, 7
	s_add_i32 s6, s6, s65
	s_mul_i32 s7, s7, s33
	s_add_i32 s8, s7, s67
	s_ashr_i32 s7, s6, 31
	v_mov_b32_e32 v2, 0
	s_lshl_b64 s[6:7], s[6:7], 1
	v_readlane_b32 s10, v52, 1
	ds_read_b32 v0, v2 offset:4108
	v_readlane_b32 s11, v52, 2
	s_add_u32 s6, s10, s6
	s_addc_u32 s7, s11, s7
	s_ashr_i32 s9, s8, 31
	s_lshl_b64 s[8:9], s[8:9], 3
	v_readlane_b32 s10, v52, 3
	v_readlane_b32 s11, v52, 4
	s_add_u32 s8, s10, s8
	s_addc_u32 s9, s11, s9
	s_waitcnt lgkmcnt(0)
	v_ashrrev_i32_e32 v1, 31, v0
	global_store_dwordx2 v2, v[0:1], s[8:9]
	global_store_short v2, v37, s[6:7]
.LBB35_264:
	s_or_b64 exec, exec, s[4:5]
.LBB35_265:
	s_or_saveexec_b64 s[2:3], s[2:3]
	s_mov_b64 s[4:5], 0
	s_xor_b64 exec, exec, s[2:3]
	s_cbranch_execnz .LBB35_268
.LBB35_266:
	s_or_b64 exec, exec, s[2:3]
	s_and_b64 s[2:3], s[4:5], exec
	s_andn2_saveexec_b64 s[0:1], s[0:1]
	s_cbranch_execz .LBB35_244
.LBB35_267:
	s_or_b64 s[2:3], s[2:3], exec
	s_trap 2
	s_or_b64 exec, exec, s[0:1]
	s_and_saveexec_b64 s[0:1], s[2:3]
	s_cbranch_execnz .LBB35_245
	s_branch .LBB35_246
.LBB35_268:
	s_mov_b64 s[4:5], exec
	s_trap 2
	s_branch .LBB35_266
	.section	.rodata,"a",@progbits
	.p2align	6, 0x0
	.amdhsa_kernel _ZN2at6native12_GLOBAL__N_114gatherKthValueIsiLin1EEEvNS_4cuda6detail10TensorInfoIKT_T0_EES8_S8_S8_S8_NS5_IS6_S8_EENS5_IlS8_EE
		.amdhsa_group_segment_fixed_size 4112
		.amdhsa_private_segment_fixed_size 0
		.amdhsa_kernarg_size 920
		.amdhsa_user_sgpr_count 2
		.amdhsa_user_sgpr_dispatch_ptr 0
		.amdhsa_user_sgpr_queue_ptr 0
		.amdhsa_user_sgpr_kernarg_segment_ptr 1
		.amdhsa_user_sgpr_dispatch_id 0
		.amdhsa_user_sgpr_kernarg_preload_length 0
		.amdhsa_user_sgpr_kernarg_preload_offset 0
		.amdhsa_user_sgpr_private_segment_size 0
		.amdhsa_uses_dynamic_stack 0
		.amdhsa_enable_private_segment 0
		.amdhsa_system_sgpr_workgroup_id_x 1
		.amdhsa_system_sgpr_workgroup_id_y 1
		.amdhsa_system_sgpr_workgroup_id_z 1
		.amdhsa_system_sgpr_workgroup_info 0
		.amdhsa_system_vgpr_workitem_id 0
		.amdhsa_next_free_vgpr 53
		.amdhsa_next_free_sgpr 100
		.amdhsa_accum_offset 56
		.amdhsa_reserve_vcc 1
		.amdhsa_float_round_mode_32 0
		.amdhsa_float_round_mode_16_64 0
		.amdhsa_float_denorm_mode_32 3
		.amdhsa_float_denorm_mode_16_64 3
		.amdhsa_dx10_clamp 1
		.amdhsa_ieee_mode 1
		.amdhsa_fp16_overflow 0
		.amdhsa_tg_split 0
		.amdhsa_exception_fp_ieee_invalid_op 0
		.amdhsa_exception_fp_denorm_src 0
		.amdhsa_exception_fp_ieee_div_zero 0
		.amdhsa_exception_fp_ieee_overflow 0
		.amdhsa_exception_fp_ieee_underflow 0
		.amdhsa_exception_fp_ieee_inexact 0
		.amdhsa_exception_int_div_zero 0
	.end_amdhsa_kernel
	.section	.text._ZN2at6native12_GLOBAL__N_114gatherKthValueIsiLin1EEEvNS_4cuda6detail10TensorInfoIKT_T0_EES8_S8_S8_S8_NS5_IS6_S8_EENS5_IlS8_EE,"axG",@progbits,_ZN2at6native12_GLOBAL__N_114gatherKthValueIsiLin1EEEvNS_4cuda6detail10TensorInfoIKT_T0_EES8_S8_S8_S8_NS5_IS6_S8_EENS5_IlS8_EE,comdat
.Lfunc_end35:
	.size	_ZN2at6native12_GLOBAL__N_114gatherKthValueIsiLin1EEEvNS_4cuda6detail10TensorInfoIKT_T0_EES8_S8_S8_S8_NS5_IS6_S8_EENS5_IlS8_EE, .Lfunc_end35-_ZN2at6native12_GLOBAL__N_114gatherKthValueIsiLin1EEEvNS_4cuda6detail10TensorInfoIKT_T0_EES8_S8_S8_S8_NS5_IS6_S8_EENS5_IlS8_EE
                                        ; -- End function
	.set _ZN2at6native12_GLOBAL__N_114gatherKthValueIsiLin1EEEvNS_4cuda6detail10TensorInfoIKT_T0_EES8_S8_S8_S8_NS5_IS6_S8_EENS5_IlS8_EE.num_vgpr, 53
	.set _ZN2at6native12_GLOBAL__N_114gatherKthValueIsiLin1EEEvNS_4cuda6detail10TensorInfoIKT_T0_EES8_S8_S8_S8_NS5_IS6_S8_EENS5_IlS8_EE.num_agpr, 0
	.set _ZN2at6native12_GLOBAL__N_114gatherKthValueIsiLin1EEEvNS_4cuda6detail10TensorInfoIKT_T0_EES8_S8_S8_S8_NS5_IS6_S8_EENS5_IlS8_EE.numbered_sgpr, 100
	.set _ZN2at6native12_GLOBAL__N_114gatherKthValueIsiLin1EEEvNS_4cuda6detail10TensorInfoIKT_T0_EES8_S8_S8_S8_NS5_IS6_S8_EENS5_IlS8_EE.num_named_barrier, 0
	.set _ZN2at6native12_GLOBAL__N_114gatherKthValueIsiLin1EEEvNS_4cuda6detail10TensorInfoIKT_T0_EES8_S8_S8_S8_NS5_IS6_S8_EENS5_IlS8_EE.private_seg_size, 0
	.set _ZN2at6native12_GLOBAL__N_114gatherKthValueIsiLin1EEEvNS_4cuda6detail10TensorInfoIKT_T0_EES8_S8_S8_S8_NS5_IS6_S8_EENS5_IlS8_EE.uses_vcc, 1
	.set _ZN2at6native12_GLOBAL__N_114gatherKthValueIsiLin1EEEvNS_4cuda6detail10TensorInfoIKT_T0_EES8_S8_S8_S8_NS5_IS6_S8_EENS5_IlS8_EE.uses_flat_scratch, 0
	.set _ZN2at6native12_GLOBAL__N_114gatherKthValueIsiLin1EEEvNS_4cuda6detail10TensorInfoIKT_T0_EES8_S8_S8_S8_NS5_IS6_S8_EENS5_IlS8_EE.has_dyn_sized_stack, 0
	.set _ZN2at6native12_GLOBAL__N_114gatherKthValueIsiLin1EEEvNS_4cuda6detail10TensorInfoIKT_T0_EES8_S8_S8_S8_NS5_IS6_S8_EENS5_IlS8_EE.has_recursion, 0
	.set _ZN2at6native12_GLOBAL__N_114gatherKthValueIsiLin1EEEvNS_4cuda6detail10TensorInfoIKT_T0_EES8_S8_S8_S8_NS5_IS6_S8_EENS5_IlS8_EE.has_indirect_call, 0
	.section	.AMDGPU.csdata,"",@progbits
; Kernel info:
; codeLenInByte = 10124
; TotalNumSgprs: 106
; NumVgprs: 53
; NumAgprs: 0
; TotalNumVgprs: 53
; ScratchSize: 0
; MemoryBound: 0
; FloatMode: 240
; IeeeMode: 1
; LDSByteSize: 4112 bytes/workgroup (compile time only)
; SGPRBlocks: 13
; VGPRBlocks: 6
; NumSGPRsForWavesPerEU: 106
; NumVGPRsForWavesPerEU: 53
; AccumOffset: 56
; Occupancy: 7
; WaveLimiterHint : 1
; COMPUTE_PGM_RSRC2:SCRATCH_EN: 0
; COMPUTE_PGM_RSRC2:USER_SGPR: 2
; COMPUTE_PGM_RSRC2:TRAP_HANDLER: 0
; COMPUTE_PGM_RSRC2:TGID_X_EN: 1
; COMPUTE_PGM_RSRC2:TGID_Y_EN: 1
; COMPUTE_PGM_RSRC2:TGID_Z_EN: 1
; COMPUTE_PGM_RSRC2:TIDIG_COMP_CNT: 0
; COMPUTE_PGM_RSRC3_GFX90A:ACCUM_OFFSET: 13
; COMPUTE_PGM_RSRC3_GFX90A:TG_SPLIT: 0
	.section	.text._ZN2at6native12_GLOBAL__N_114gatherKthValueIslLi1EEEvNS_4cuda6detail10TensorInfoIKT_T0_EES8_S8_S8_S8_NS5_IS6_S8_EENS5_IlS8_EE,"axG",@progbits,_ZN2at6native12_GLOBAL__N_114gatherKthValueIslLi1EEEvNS_4cuda6detail10TensorInfoIKT_T0_EES8_S8_S8_S8_NS5_IS6_S8_EENS5_IlS8_EE,comdat
	.globl	_ZN2at6native12_GLOBAL__N_114gatherKthValueIslLi1EEEvNS_4cuda6detail10TensorInfoIKT_T0_EES8_S8_S8_S8_NS5_IS6_S8_EENS5_IlS8_EE ; -- Begin function _ZN2at6native12_GLOBAL__N_114gatherKthValueIslLi1EEEvNS_4cuda6detail10TensorInfoIKT_T0_EES8_S8_S8_S8_NS5_IS6_S8_EENS5_IlS8_EE
	.p2align	8
	.type	_ZN2at6native12_GLOBAL__N_114gatherKthValueIslLi1EEEvNS_4cuda6detail10TensorInfoIKT_T0_EES8_S8_S8_S8_NS5_IS6_S8_EENS5_IlS8_EE,@function
_ZN2at6native12_GLOBAL__N_114gatherKthValueIslLi1EEEvNS_4cuda6detail10TensorInfoIKT_T0_EES8_S8_S8_S8_NS5_IS6_S8_EENS5_IlS8_EE: ; @_ZN2at6native12_GLOBAL__N_114gatherKthValueIslLi1EEEvNS_4cuda6detail10TensorInfoIKT_T0_EES8_S8_S8_S8_NS5_IS6_S8_EENS5_IlS8_EE
; %bb.0:
	s_load_dwordx2 s[10:11], s[0:1], 0x500
	s_load_dwordx8 s[56:63], s[0:1], 0x1a0
	s_add_u32 s8, s0, 0x500
	s_addc_u32 s9, s1, 0
	s_mov_b32 s15, 0
	s_waitcnt lgkmcnt(0)
	s_mul_i32 s4, s11, s4
	s_add_i32 s3, s4, s3
	s_mul_i32 s3, s3, s10
	s_add_i32 s14, s3, s2
	v_mov_b64_e32 v[2:3], s[14:15]
	v_cmp_le_i64_e32 vcc, s[60:61], v[2:3]
	s_cbranch_vccnz .LBB36_274
; %bb.1:
	s_load_dwordx2 s[4:5], s[0:1], 0x430
                                        ; implicit-def: $vgpr67 : SGPR spill to VGPR lane
	v_cmp_eq_u32_e64 s[12:13], 0, v0
	s_waitcnt lgkmcnt(0)
	v_writelane_b32 v67, s4, 0
	s_nop 1
	v_writelane_b32 v67, s5, 1
	s_load_dwordx2 s[4:5], s[0:1], 0x360
	s_waitcnt lgkmcnt(0)
	v_writelane_b32 v67, s4, 2
	s_nop 1
	v_writelane_b32 v67, s5, 3
	s_load_dwordx2 s[4:5], s[0:1], 0x290
	;; [unrolled: 5-line block ×4, first 2 shown]
	s_load_dwordx2 s[4:5], s[0:1], 0x0
	s_mov_b64 s[0:1], exec
	v_writelane_b32 v67, s12, 8
	s_nop 1
	v_writelane_b32 v67, s13, 9
	s_and_b64 s[12:13], s[0:1], s[12:13]
	s_mov_b64 exec, s[12:13]
	s_cbranch_execz .LBB36_3
; %bb.2:
	v_mov_b32_e32 v2, 0
	v_mov_b32_e32 v4, s56
	;; [unrolled: 1-line block ×4, first 2 shown]
	ds_write_b32 v2, v2 offset:5136
	ds_write_b128 v2, v[2:5] offset:5120
.LBB36_3:
	s_or_b64 exec, exec, s[0:1]
	s_waitcnt lgkmcnt(0)
	s_mul_i32 s0, s7, s14
	s_mul_hi_u32 s1, s6, s14
	s_add_i32 s1, s1, s0
	s_mov_b32 s0, s14
	v_writelane_b32 v67, s0, 10
	v_mbcnt_lo_u32_b32 v1, -1, 0
	v_mbcnt_hi_u32_b32 v38, -1, v1
	v_writelane_b32 v67, s1, 11
	s_mul_i32 s0, s6, s14
	s_lshl_b64 s[0:1], s[0:1], 1
	s_add_u32 s0, s4, s0
	v_cmp_gt_u32_e32 vcc, 64, v0
	v_cmp_gt_i32_e64 s[6:7], 4, v38
	s_addc_u32 s1, s5, s1
	s_and_b64 s[80:81], vcc, s[6:7]
	v_cmp_gt_u32_e64 s[6:7], 2, v0
	v_mov_b64_e32 v[4:5], 0x600
	s_nop 0
	v_writelane_b32 v67, s6, 12
	s_barrier
	s_nop 0
	v_writelane_b32 v67, s7, 13
	v_cmp_gt_i64_e64 s[6:7], s[56:57], v[4:5]
	s_load_dword s3, s[8:9], 0xc
	v_mov_b32_e32 v3, 0
	v_writelane_b32 v67, s6, 14
	v_mov_b32_e32 v1, v3
	v_mov_b32_e32 v9, -1
	v_writelane_b32 v67, s7, 15
	v_mad_u64_u32 v[4:5], s[6:7], s62, v0, 0
	v_mov_b32_e32 v2, v5
	v_mad_u64_u32 v[6:7], s[6:7], s63, v0, v[2:3]
	v_cmp_gt_i64_e64 s[6:7], s[56:57], v[0:1]
	v_lshlrev_b32_e32 v2, 2, v38
	s_waitcnt lgkmcnt(0)
	s_and_b32 s72, s3, 0xffff
	s_bfe_u32 s3, s3, 0xa0006
	v_writelane_b32 v67, s6, 16
	v_and_b32_e32 v41, 0x100, v2
	s_cmp_gt_u32 s72, 63
	v_lshrrev_b32_e32 v2, 1, v0
	v_writelane_b32 v67, s7, 17
	s_cselect_b64 s[6:7], -1, 0
	v_and_b32_e32 v2, 0x1e0, v2
	v_mov_b32_e32 v5, v6
	v_lshlrev_b64 v[6:7], v38, -1
	v_writelane_b32 v67, s6, 18
	v_or_b32_e32 v42, 0xc00, v2
	v_add_u32_e32 v2, 2, v0
	v_not_b32_e32 v16, v6
	v_writelane_b32 v67, s7, 19
	s_add_u32 s6, s72, -1
	v_mov_b32_e32 v6, s57
	v_cmp_gt_i64_e32 vcc, s[56:57], v[2:3]
	v_not_b32_e32 v17, v7
	s_addc_u32 s7, 0, -1
	v_cndmask_b32_e32 v7, 0, v6, vcc
	v_mov_b32_e32 v6, s56
	s_add_u32 s86, s6, s56
	v_cndmask_b32_e32 v6, v2, v6, vcc
	v_not_b32_e32 v8, v0
	v_writelane_b32 v67, s6, 20
	s_addc_u32 s65, s7, s57
	v_lshl_add_u64 v[6:7], v[6:7], 0, v[8:9]
	v_writelane_b32 v67, s7, 21
	s_cmp_lt_u32 s2, s10
	v_cmp_lt_u64_e64 s[6:7], 3, v[6:7]
	s_cselect_b32 s2, 12, 18
	v_and_b32_e32 v18, -4, v6
	v_writelane_b32 v67, s6, 22
	v_mov_b32_e32 v19, v7
	s_add_u32 s82, s8, s2
	v_writelane_b32 v67, s7, 23
	v_cmp_ne_u64_e64 s[6:7], v[6:7], v[18:19]
	s_addc_u32 s83, s9, 0
	s_add_i32 s2, s3, -1
	v_writelane_b32 v67, s6, 24
	s_and_b32 s2, s2, 0xffff
	v_lshlrev_b32_e32 v43, 3, v0
	v_writelane_b32 v67, s7, 25
	s_bfe_u32 s6, s72, 0x30006
	s_cmp_gt_u32 s2, 6
	s_cselect_b64 s[8:9], -1, 0
	v_writelane_b32 v67, s8, 26
	s_and_b32 s85, s3, 0x3f8
	s_cmp_lg_u32 s6, 0
	v_writelane_b32 v67, s9, 27
	v_writelane_b32 v67, s6, 28
	s_cselect_b64 s[2:3], -1, 0
	v_writelane_b32 v67, s2, 29
	v_or_b32_e32 v6, 6, v43
	s_mov_b32 s74, s63
	v_writelane_b32 v67, s3, 30
	s_lshl_b64 s[2:3], s[62:63], 1
	v_writelane_b32 v67, s2, 31
	s_mov_b32 s66, s62
	s_mov_b32 s51, s63
	v_writelane_b32 v67, s3, 32
	v_mad_u64_u32 v[22:23], s[2:3], s62, v6, 0
	v_mov_b32_e32 v2, v23
	v_mad_u64_u32 v[6:7], s[2:3], s63, v6, v[2:3]
	v_mov_b32_e32 v23, v6
	v_or_b32_e32 v6, 4, v43
	v_mad_u64_u32 v[24:25], s[2:3], s62, v6, 0
	v_mov_b32_e32 v2, v25
	v_mad_u64_u32 v[6:7], s[2:3], s63, v6, v[2:3]
	v_mov_b32_e32 v25, v6
	v_or_b32_e32 v6, 2, v43
	v_mad_u64_u32 v[26:27], s[2:3], s62, v6, 0
	v_mov_b32_e32 v2, v27
	v_mad_u64_u32 v[6:7], s[2:3], s63, v6, v[2:3]
	s_mul_i32 s2, s63, s72
	s_mul_hi_u32 s3, s62, s72
	s_add_i32 s3, s3, s2
	s_mul_i32 s2, s62, s72
	s_lshl_b64 s[76:77], s[2:3], 1
	v_writelane_b32 v67, s76, 33
	s_mov_b32 s79, 0
	v_lshlrev_b32_e32 v39, 1, v0
	v_writelane_b32 v67, s77, 34
	v_writelane_b32 v67, s80, 35
	v_mov_b32_e32 v2, 0xc00
	s_lshl_b32 s52, s72, 1
	v_writelane_b32 v67, s81, 36
	v_writelane_b32 v67, s82, 37
	v_cmp_eq_u32_e64 s[4:5], 0, v38
	v_add_u32_e32 v40, 0xc00, v39
	v_writelane_b32 v67, s83, 38
	v_writelane_b32 v67, s74, 39
	;; [unrolled: 1-line block ×4, first 2 shown]
	v_lshl_add_u64 v[12:13], v[4:5], 1, s[0:1]
	v_lshlrev_b32_e32 v14, 2, v0
	v_mov_b32_e32 v15, v3
	s_mov_b32 s73, s79
	v_lshl_add_u64 v[20:21], v[18:19], 0, v[0:1]
	s_mov_b32 s84, s62
	s_mov_b32 s88, s63
	s_mov_b32 s90, s62
	s_mov_b32 s91, s62
	s_mov_b32 s50, s63
	s_lshl_b64 s[94:95], s[62:63], 3
	v_mov_b32_e32 v27, v6
	v_lshlrev_b64 v[28:29], 3, v[4:5]
	v_lshl_add_u64 v[30:31], s[56:57], 0, v[0:1]
	v_lshl_or_b32 v44, v38, 3, v2
	s_mov_b32 s33, 14
	s_mov_b64 s[96:97], 0
	v_mov_b64_e32 v[32:33], s[58:59]
	s_mov_b32 s75, 0x8000
	s_mov_b32 s53, 0x5040100
	v_mov_b64_e32 v[50:51], s[56:57]
	v_mov_b32_e32 v46, 0x5040100
	v_mov_b32_e32 v48, 0
	s_mov_b32 s67, 0
	v_mov_b32_e32 v45, 0
	v_mov_b32_e32 v47, 0
	v_writelane_b32 v67, s52, 42
                                        ; implicit-def: $sgpr2_sgpr3
                                        ; implicit-def: $sgpr60_sgpr61
                                        ; implicit-def: $sgpr98_sgpr99
                                        ; implicit-def: $sgpr68_sgpr69
                                        ; implicit-def: $sgpr58_sgpr59
                                        ; implicit-def: $sgpr70_sgpr71
	v_writelane_b32 v67, s50, 43
	s_branch .LBB36_7
.LBB36_4:                               ;   in Loop: Header=BB36_7 Depth=1
	s_or_b64 exec, exec, s[12:13]
	s_and_b64 s[8:9], s[8:9], exec
	s_andn2_b64 s[24:25], s[24:25], exec
	s_andn2_b64 s[2:3], s[2:3], exec
	s_orn2_b64 s[18:19], s[10:11], exec
.LBB36_5:                               ;   in Loop: Header=BB36_7 Depth=1
	s_or_b64 exec, exec, s[6:7]
	s_andn2_b64 s[6:7], s[70:71], exec
	s_and_b64 s[8:9], s[8:9], exec
	s_or_b64 s[20:21], s[6:7], s[8:9]
	s_andn2_b64 s[6:7], s[58:59], exec
	s_and_b64 s[8:9], s[24:25], exec
	s_or_b64 s[58:59], s[6:7], s[8:9]
	;; [unrolled: 3-line block ×3, first 2 shown]
	s_orn2_b64 s[2:3], s[18:19], exec
.LBB36_6:                               ;   in Loop: Header=BB36_7 Depth=1
	s_or_b64 exec, exec, s[16:17]
	s_and_b64 s[2:3], exec, s[2:3]
	s_or_b64 s[96:97], s[2:3], s[96:97]
	s_andn2_b64 s[2:3], s[98:99], exec
	s_and_b64 s[6:7], s[20:21], exec
	s_or_b64 s[98:99], s[2:3], s[6:7]
	s_andn2_b64 s[2:3], s[60:61], exec
	s_and_b64 s[6:7], s[58:59], exec
	s_or_b64 s[60:61], s[2:3], s[6:7]
	v_readlane_b32 s2, v67, 44
	v_readlane_b32 s3, v67, 45
	s_andn2_b64 s[2:3], s[2:3], exec
	s_and_b64 s[6:7], s[68:69], exec
	s_mov_b64 s[70:71], s[20:21]
	s_or_b64 s[2:3], s[2:3], s[6:7]
	v_mov_b64_e32 v[32:33], v[8:9]
	s_andn2_b64 exec, exec, s[96:97]
	s_cbranch_execz .LBB36_270
.LBB36_7:                               ; =>This Loop Header: Depth=1
                                        ;     Child Loop BB36_12 Depth 2
                                        ;     Child Loop BB36_26 Depth 2
	;; [unrolled: 1-line block ×17, first 2 shown]
	ds_read_b128 v[4:7], v3 offset:5120
	v_writelane_b32 v67, s2, 44
	s_waitcnt lgkmcnt(0)
	v_readfirstlane_b32 s13, v5
	v_readfirstlane_b32 s12, v4
	v_writelane_b32 v67, s3, 45
	s_nop 0
	v_cmp_gt_i64_e64 s[2:3], s[12:13], 0
	s_and_b64 vcc, exec, s[2:3]
	s_cbranch_vccnz .LBB36_39
; %bb.8:                                ;   in Loop: Header=BB36_7 Depth=1
	v_readlane_b32 s2, v67, 14
	v_readlane_b32 s3, v67, 15
	s_and_b64 vcc, exec, s[2:3]
	s_cbranch_vccz .LBB36_20
; %bb.9:                                ;   in Loop: Header=BB36_7 Depth=1
	s_mov_b64 s[2:3], 0x601
	v_cmp_gt_i64_e32 vcc, s[2:3], v[6:7]
	s_mov_b64 s[6:7], 0
	s_mov_b64 s[2:3], 0
	s_cbranch_vccz .LBB36_21
; %bb.10:                               ;   in Loop: Header=BB36_7 Depth=1
	global_load_ushort v6, v3, s[82:83]
	global_load_ushort v8, v[12:13], off
	v_mov_b64_e32 v[4:5], s[0:1]
	v_readlane_b32 s14, v67, 31
	v_readlane_b32 s15, v67, 32
	s_mov_b64 s[8:9], 0
	s_waitcnt vmcnt(1)
	v_and_b32_e32 v2, 0xffff, v6
	v_readfirstlane_b32 s2, v6
	v_lshl_add_u64 v[6:7], v[0:1], 0, v[2:3]
	s_and_b32 s10, 0xffff, s2
	v_mad_u64_u32 v[4:5], s[2:3], s14, v6, v[4:5]
	v_mul_lo_u32 v7, s14, v7
	v_mul_lo_u32 v9, s15, v6
	s_mul_i32 s2, s15, s10
	s_mul_hi_u32 s3, s14, s10
	s_mul_i32 s10, s14, s10
	v_add3_u32 v5, v9, v5, v7
	s_add_i32 s11, s3, s2
	v_mov_b64_e32 v[6:7], v[0:1]
	s_branch .LBB36_12
.LBB36_11:                              ;   in Loop: Header=BB36_12 Depth=2
	s_or_b64 exec, exec, s[2:3]
	v_lshl_add_u64 v[4:5], v[4:5], 0, s[10:11]
	v_mov_b32_e32 v8, v9
	s_andn2_b64 exec, exec, s[8:9]
	s_cbranch_execz .LBB36_73
.LBB36_12:                              ;   Parent Loop BB36_7 Depth=1
                                        ; =>  This Inner Loop Header: Depth=2
	v_lshl_add_u64 v[6:7], v[6:7], 0, v[2:3]
	v_cmp_gt_i64_e64 s[2:3], s[56:57], v[6:7]
	v_cmp_le_i64_e32 vcc, s[56:57], v[6:7]
	s_waitcnt lgkmcnt(0)
	v_mov_b32_e32 v10, 0
	v_mov_b32_e32 v9, 0
	s_and_saveexec_b64 s[14:15], s[2:3]
	s_cbranch_execz .LBB36_14
; %bb.13:                               ;   in Loop: Header=BB36_12 Depth=2
	global_load_ushort v9, v[4:5], off
.LBB36_14:                              ;   in Loop: Header=BB36_12 Depth=2
	s_or_b64 exec, exec, s[14:15]
	s_waitcnt vmcnt(0)
	v_add_u32_sdwa v11, sext(v8), s75 dst_sel:DWORD dst_unused:UNUSED_PAD src0_sel:WORD_0 src1_sel:DWORD
	v_and_b32_e32 v11, v11, v47
	v_cmp_eq_u32_e64 s[14:15], v11, v45
	s_cmp_lg_u64 s[14:15], 0
	s_cselect_b64 s[2:3], -1, 0
	s_and_b64 s[2:3], s[4:5], s[2:3]
	s_and_saveexec_b64 s[16:17], s[2:3]
	s_cbranch_execz .LBB36_18
; %bb.15:                               ;   in Loop: Header=BB36_12 Depth=2
	s_mov_b64 s[20:21], exec
	v_mbcnt_lo_u32_b32 v10, s20, 0
	v_mbcnt_hi_u32_b32 v10, s21, v10
	s_bcnt1_i32_b64 s13, s[14:15]
	v_cmp_eq_u32_e64 s[2:3], 0, v10
                                        ; implicit-def: $vgpr11
	s_and_saveexec_b64 s[18:19], s[2:3]
; %bb.16:                               ;   in Loop: Header=BB36_12 Depth=2
	s_bcnt1_i32_b64 s2, s[20:21]
	s_mul_i32 s2, s13, s2
	v_mov_b32_e32 v11, s2
	ds_add_rtn_u32 v11, v3, v11 offset:5136
; %bb.17:                               ;   in Loop: Header=BB36_12 Depth=2
	s_or_b64 exec, exec, s[18:19]
	s_waitcnt lgkmcnt(0)
	v_readfirstlane_b32 s2, v11
	s_nop 1
	v_mov_b32_e32 v11, s2
	v_mad_u32_u24 v10, s13, v10, v11
.LBB36_18:                              ;   in Loop: Header=BB36_12 Depth=2
	s_or_b64 exec, exec, s[16:17]
	ds_bpermute_b32 v10, v41, v10
	s_and_b64 s[2:3], exec, vcc
	s_or_b64 s[8:9], s[2:3], s[8:9]
	s_and_saveexec_b64 s[2:3], s[14:15]
	s_cbranch_execz .LBB36_11
; %bb.19:                               ;   in Loop: Header=BB36_12 Depth=2
	v_and_b32_e32 v34, s14, v16
	v_and_b32_e32 v11, s15, v17
	v_bcnt_u32_b32 v34, v34, 0
	v_bcnt_u32_b32 v11, v11, v34
	v_lshlrev_b32_e32 v11, 1, v11
	s_waitcnt lgkmcnt(0)
	v_lshl_add_u32 v10, v10, 1, v11
	ds_write_b16 v10, v8
	s_branch .LBB36_11
.LBB36_20:                              ;   in Loop: Header=BB36_7 Depth=1
	s_mov_b64 s[6:7], -1
	s_mov_b64 s[2:3], 0
.LBB36_21:                              ;   in Loop: Header=BB36_7 Depth=1
	s_and_b64 vcc, exec, s[6:7]
	s_cbranch_vccz .LBB36_37
.LBB36_22:                              ;   in Loop: Header=BB36_7 Depth=1
	s_mov_b64 s[2:3], exec
	v_readlane_b32 s6, v67, 16
	v_readlane_b32 s7, v67, 17
	s_and_b64 s[6:7], s[2:3], s[6:7]
	s_mov_b64 exec, s[6:7]
	s_cbranch_execz .LBB36_34
; %bb.23:                               ;   in Loop: Header=BB36_7 Depth=1
	global_load_ushort v2, v3, s[82:83]
	global_load_ushort v36, v[12:13], off
	v_mov_b32_e32 v8, v0
	s_waitcnt vmcnt(1)
	v_readfirstlane_b32 s8, v2
	v_add_u32_sdwa v2, v2, v0 dst_sel:DWORD dst_unused:UNUSED_PAD src0_sel:WORD_0 src1_sel:DWORD
	v_cmp_gt_i64_e32 vcc, s[56:57], v[2:3]
	s_and_saveexec_b64 s[6:7], vcc
	s_cbranch_execz .LBB36_33
; %bb.24:                               ;   in Loop: Header=BB36_7 Depth=1
	s_and_b32 s78, s8, 0xffff
	s_cmp_eq_u32 s78, 1
	v_readlane_b32 s10, v67, 22
	s_cselect_b64 s[8:9], -1, 0
	v_readlane_b32 s11, v67, 23
	s_and_b64 s[14:15], s[10:11], s[8:9]
	s_mov_b64 s[10:11], -1
	v_mov_b64_e32 v[6:7], v[0:1]
	v_mov_b64_e32 v[4:5], v[2:3]
                                        ; implicit-def: $vgpr8_vgpr9
	s_and_saveexec_b64 s[8:9], s[14:15]
	s_cbranch_execz .LBB36_28
; %bb.25:                               ;   in Loop: Header=BB36_7 Depth=1
	v_lshl_add_u64 v[8:9], v[2:3], 0, 3
	v_lshl_add_u64 v[6:7], v[2:3], 0, 2
	;; [unrolled: 1-line block ×3, first 2 shown]
	v_mov_b64_e32 v[10:11], v[8:9]
	s_waitcnt vmcnt(0)
	v_lshlrev_b32_e32 v49, 16, v36
	s_mov_b64 s[10:11], 0
	v_mov_b64_e32 v[34:35], v[18:19]
	v_mov_b32_e32 v37, v39
	v_mov_b64_e32 v[8:9], v[6:7]
	v_mov_b64_e32 v[6:7], v[4:5]
	;; [unrolled: 1-line block ×3, first 2 shown]
.LBB36_26:                              ;   Parent Loop BB36_7 Depth=1
                                        ; =>  This Inner Loop Header: Depth=2
	v_mul_lo_u32 v36, v11, s66
	v_mul_lo_u32 v60, v10, s51
	v_mad_u64_u32 v[52:53], s[14:15], v10, s66, 0
	v_mul_lo_u32 v61, v9, s91
	v_mul_lo_u32 v62, v8, s50
	v_mad_u64_u32 v[54:55], s[14:15], v8, s91, 0
	;; [unrolled: 3-line block ×4, first 2 shown]
	v_add3_u32 v53, v53, v60, v36
	v_add3_u32 v55, v55, v62, v61
	;; [unrolled: 1-line block ×4, first 2 shown]
	v_lshl_add_u64 v[54:55], v[54:55], 1, s[0:1]
	v_lshl_add_u64 v[52:53], v[52:53], 1, s[0:1]
	;; [unrolled: 1-line block ×4, first 2 shown]
	global_load_ushort v54, v[54:55], off
	s_nop 0
	global_load_ushort v36, v[52:53], off
	s_nop 0
	global_load_ushort v52, v[56:57], off
	global_load_ushort v55, v[58:59], off
	v_lshl_add_u64 v[34:35], v[34:35], 0, -4
	v_cmp_eq_u64_e32 vcc, 0, v[34:35]
	v_lshl_add_u64 v[10:11], v[10:11], 0, 4
	v_lshl_add_u64 v[8:9], v[8:9], 0, 4
	;; [unrolled: 1-line block ×4, first 2 shown]
	s_or_b64 s[10:11], vcc, s[10:11]
	s_waitcnt vmcnt(2)
	v_perm_b32 v56, v36, v54, s53
	s_waitcnt vmcnt(1)
	v_perm_b32 v53, v54, v52, s53
	s_waitcnt vmcnt(0)
	v_alignbit_b32 v52, v55, v49, 16
	ds_write_b64 v37, v[52:53]
	v_add_u32_e32 v37, 8, v37
	v_mov_b32_e32 v49, v56
	s_andn2_b64 exec, exec, s[10:11]
	s_cbranch_execnz .LBB36_26
; %bb.27:                               ;   in Loop: Header=BB36_7 Depth=1
	s_or_b64 exec, exec, s[10:11]
	v_readlane_b32 s10, v67, 24
	v_lshl_add_u64 v[4:5], v[2:3], 0, v[18:19]
	v_readlane_b32 s11, v67, 25
	v_lshl_add_u64 v[8:9], v[4:5], 0, -1
	s_orn2_b64 s[10:11], s[10:11], exec
	v_mov_b64_e32 v[6:7], v[20:21]
.LBB36_28:                              ;   in Loop: Header=BB36_7 Depth=1
	s_or_b64 exec, exec, s[8:9]
	s_and_saveexec_b64 s[8:9], s[10:11]
	s_cbranch_execz .LBB36_32
; %bb.29:                               ;   in Loop: Header=BB36_7 Depth=1
	v_mov_b64_e32 v[8:9], s[0:1]
	v_readlane_b32 s18, v67, 31
	v_readlane_b32 s19, v67, 32
	s_sub_u32 s10, 0, s78
	v_mad_u64_u32 v[8:9], s[16:17], s18, v4, v[8:9]
	v_mul_lo_u32 v2, s18, v5
	v_mul_lo_u32 v7, s19, v4
	s_mul_i32 s13, s19, s78
	s_mul_hi_u32 s16, s18, s78
	s_mov_b64 s[14:15], 0
	s_subb_u32 s11, 0, 0
	v_add3_u32 v9, v7, v9, v2
	s_add_i32 s17, s16, s13
	s_mul_i32 s16, s18, s78
.LBB36_30:                              ;   Parent Loop BB36_7 Depth=1
                                        ; =>  This Inner Loop Header: Depth=2
	global_load_ushort v2, v[8:9], off
	v_mov_b64_e32 v[10:11], v[4:5]
	v_lshlrev_b32_e32 v4, 1, v6
	s_waitcnt vmcnt(1)
	ds_write_b16 v4, v36
	v_lshl_add_u64 v[4:5], v[10:11], 0, s[78:79]
	v_cmp_le_i64_e32 vcc, s[56:57], v[4:5]
	v_lshl_add_u64 v[8:9], v[8:9], 0, s[16:17]
	v_mov_b64_e32 v[6:7], v[10:11]
	s_or_b64 s[14:15], vcc, s[14:15]
	s_waitcnt vmcnt(0)
	v_mov_b32_e32 v36, v2
	s_andn2_b64 exec, exec, s[14:15]
	s_cbranch_execnz .LBB36_30
; %bb.31:                               ;   in Loop: Header=BB36_7 Depth=1
	s_or_b64 exec, exec, s[14:15]
	v_lshl_add_u64 v[8:9], s[10:11], 0, v[4:5]
	v_mov_b32_e32 v36, v2
.LBB36_32:                              ;   in Loop: Header=BB36_7 Depth=1
	s_or_b64 exec, exec, s[8:9]
.LBB36_33:                              ;   in Loop: Header=BB36_7 Depth=1
	s_or_b64 exec, exec, s[6:7]
	v_lshlrev_b32_e32 v2, 1, v8
	s_waitcnt vmcnt(0)
	ds_write_b16 v2, v36
.LBB36_34:                              ;   in Loop: Header=BB36_7 Depth=1
	s_or_b64 exec, exec, s[2:3]
	s_waitcnt lgkmcnt(0)
	s_barrier
	s_mov_b64 s[2:3], exec
	v_readlane_b32 s6, v67, 8
	v_readlane_b32 s7, v67, 9
	s_and_b64 s[6:7], s[2:3], s[6:7]
	s_mov_b64 exec, s[6:7]
; %bb.35:                               ;   in Loop: Header=BB36_7 Depth=1
	ds_write_b64 v3, v[50:51] offset:5120
; %bb.36:                               ;   in Loop: Header=BB36_7 Depth=1
	s_or_b64 exec, exec, s[2:3]
	s_mov_b64 s[2:3], -1
	s_waitcnt lgkmcnt(0)
	s_barrier
.LBB36_37:                              ;   in Loop: Header=BB36_7 Depth=1
	s_and_b64 vcc, exec, s[2:3]
	s_cbranch_vccz .LBB36_39
; %bb.38:                               ;   in Loop: Header=BB36_7 Depth=1
	ds_read_b64 v[4:5], v3 offset:5120
	s_waitcnt lgkmcnt(0)
	v_readfirstlane_b32 s12, v4
.LBB36_39:                              ;   in Loop: Header=BB36_7 Depth=1
	s_cmp_lt_i32 s12, 1
	s_mov_b64 s[2:3], -1
                                        ; implicit-def: $vgpr4_vgpr5
                                        ; implicit-def: $vgpr8_vgpr9
	s_cbranch_scc1 .LBB36_49
; %bb.40:                               ;   in Loop: Header=BB36_7 Depth=1
	s_and_b64 vcc, exec, s[2:3]
	s_cbranch_vccnz .LBB36_63
.LBB36_41:                              ;   in Loop: Header=BB36_7 Depth=1
	s_lshl_b32 s6, s67, 6
	s_and_saveexec_b64 s[2:3], s[4:5]
	s_cbranch_execz .LBB36_43
.LBB36_42:                              ;   in Loop: Header=BB36_7 Depth=1
	v_lshl_add_u32 v2, s6, 3, v42
	ds_write_b128 v2, v[4:7]
	ds_write_b128 v2, v[8:11] offset:16
.LBB36_43:                              ;   in Loop: Header=BB36_7 Depth=1
	s_or_b64 exec, exec, s[2:3]
	s_waitcnt lgkmcnt(0)
	s_barrier
	s_and_saveexec_b64 s[2:3], s[80:81]
	s_cbranch_execz .LBB36_81
; %bb.44:                               ;   in Loop: Header=BB36_7 Depth=1
	v_readlane_b32 s8, v67, 18
	v_readlane_b32 s9, v67, 19
	s_andn2_b64 vcc, exec, s[8:9]
	v_mov_b64_e32 v[4:5], 0
	s_cbranch_vccnz .LBB36_80
; %bb.45:                               ;   in Loop: Header=BB36_7 Depth=1
	v_readlane_b32 s8, v67, 26
	v_readlane_b32 s9, v67, 27
	s_andn2_b64 vcc, exec, s[8:9]
	s_cbranch_vccnz .LBB36_76
; %bb.46:                               ;   in Loop: Header=BB36_7 Depth=1
	v_lshl_add_u32 v2, s67, 9, v44
	v_mov_b64_e32 v[4:5], 0
	s_mov_b32 s7, 0
.LBB36_47:                              ;   Parent Loop BB36_7 Depth=1
                                        ; =>  This Inner Loop Header: Depth=2
	ds_read2_b64 v[6:9], v2 offset1:4
	ds_read2_b64 v[34:37], v2 offset0:8 offset1:12
	ds_read2_b64 v[52:55], v2 offset0:16 offset1:20
	;; [unrolled: 1-line block ×3, first 2 shown]
	s_add_i32 s7, s7, 8
	s_waitcnt lgkmcnt(3)
	v_lshl_add_u64 v[4:5], v[6:7], 0, v[4:5]
	v_lshl_add_u64 v[4:5], v[8:9], 0, v[4:5]
	s_waitcnt lgkmcnt(2)
	v_lshl_add_u64 v[4:5], v[34:35], 0, v[4:5]
	v_lshl_add_u64 v[4:5], v[36:37], 0, v[4:5]
	;; [unrolled: 3-line block ×3, first 2 shown]
	s_waitcnt lgkmcnt(0)
	v_lshl_add_u64 v[4:5], v[56:57], 0, v[4:5]
	v_add_u32_e32 v2, 0x100, v2
	s_cmp_eq_u32 s85, s7
	v_lshl_add_u64 v[4:5], v[58:59], 0, v[4:5]
	s_cbranch_scc0 .LBB36_47
; %bb.48:                               ;   in Loop: Header=BB36_7 Depth=1
	s_mov_b32 s7, s85
	s_branch .LBB36_77
.LBB36_49:                              ;   in Loop: Header=BB36_7 Depth=1
	global_load_ushort v2, v3, s[82:83]
	s_mov_b32 s2, s79
	s_mov_b32 s92, s88
	s_waitcnt vmcnt(0)
	v_readfirstlane_b32 s3, v2
	s_and_b32 s10, s3, 0xffff
	s_lshl_b32 s78, s10, 2
	s_mov_b32 s3, s57
	s_cmp_lg_u64 s[2:3], 0
	s_cbranch_scc0 .LBB36_72
; %bb.50:                               ;   in Loop: Header=BB36_7 Depth=1
	s_add_u32 s2, s78, 0
	s_addc_u32 s3, 0, 0
	s_xor_b64 s[2:3], s[2:3], 0
	v_cvt_f32_u32_e32 v2, s2
	v_cvt_f32_u32_e32 v4, s3
	s_sub_u32 s8, 0, s2
	s_subb_u32 s9, 0, s3
	v_fmac_f32_e32 v2, 0x4f800000, v4
	v_rcp_f32_e32 v2, v2
	s_nop 0
	v_mul_f32_e32 v2, 0x5f7ffffc, v2
	v_mul_f32_e32 v4, 0x2f800000, v2
	v_trunc_f32_e32 v4, v4
	v_fmac_f32_e32 v2, 0xcf800000, v4
	v_cvt_u32_f32_e32 v4, v4
	v_cvt_u32_f32_e32 v2, v2
	v_readfirstlane_b32 s11, v4
	v_readfirstlane_b32 s6, v2
	s_mul_i32 s7, s8, s11
	s_mul_hi_u32 s14, s8, s6
	s_mul_i32 s13, s9, s6
	s_add_i32 s7, s14, s7
	s_mul_i32 s15, s8, s6
	s_add_i32 s7, s7, s13
	s_mul_i32 s14, s6, s7
	s_mul_hi_u32 s16, s6, s15
	s_mul_hi_u32 s13, s6, s7
	s_add_u32 s14, s16, s14
	s_addc_u32 s13, 0, s13
	s_mul_hi_u32 s17, s11, s15
	s_mul_i32 s15, s11, s15
	s_add_u32 s14, s14, s15
	s_mul_hi_u32 s16, s11, s7
	s_addc_u32 s13, s13, s17
	s_addc_u32 s14, s16, 0
	s_mul_i32 s7, s11, s7
	s_add_u32 s7, s13, s7
	s_addc_u32 s13, 0, s14
	s_add_u32 s14, s6, s7
	s_cselect_b64 s[6:7], -1, 0
	s_cmp_lg_u64 s[6:7], 0
	s_addc_u32 s11, s11, s13
	s_mul_i32 s6, s8, s11
	s_mul_hi_u32 s7, s8, s14
	s_add_i32 s6, s7, s6
	s_mul_i32 s9, s9, s14
	s_add_i32 s6, s6, s9
	s_mul_i32 s8, s8, s14
	s_mul_hi_u32 s9, s11, s8
	s_mul_i32 s13, s11, s8
	s_mul_i32 s16, s14, s6
	s_mul_hi_u32 s8, s14, s8
	s_mul_hi_u32 s15, s14, s6
	s_add_u32 s8, s8, s16
	s_addc_u32 s15, 0, s15
	s_add_u32 s8, s8, s13
	s_mul_hi_u32 s7, s11, s6
	s_addc_u32 s8, s15, s9
	s_addc_u32 s7, s7, 0
	s_mul_i32 s6, s11, s6
	s_add_u32 s6, s8, s6
	s_addc_u32 s8, 0, s7
	s_add_u32 s13, s14, s6
	s_cselect_b64 s[6:7], -1, 0
	s_cmp_lg_u64 s[6:7], 0
	s_addc_u32 s11, s11, s8
	s_ashr_i32 s6, s57, 31
	s_add_u32 s8, s56, s6
	s_mov_b32 s7, s6
	s_addc_u32 s9, s57, s6
	s_xor_b64 s[8:9], s[8:9], s[6:7]
	s_mul_i32 s15, s8, s11
	s_mul_hi_u32 s16, s8, s13
	s_mul_hi_u32 s14, s8, s11
	s_add_u32 s15, s16, s15
	s_addc_u32 s14, 0, s14
	s_mul_hi_u32 s17, s9, s13
	s_mul_i32 s13, s9, s13
	s_add_u32 s13, s15, s13
	s_mul_hi_u32 s16, s9, s11
	s_addc_u32 s13, s14, s17
	s_addc_u32 s14, s16, 0
	s_mul_i32 s11, s9, s11
	s_add_u32 s11, s13, s11
	s_addc_u32 s13, 0, s14
	s_mul_i32 s13, s2, s13
	s_mul_hi_u32 s14, s2, s11
	s_add_i32 s13, s14, s13
	s_mul_i32 s14, s3, s11
	s_add_i32 s13, s13, s14
	s_sub_i32 s16, s9, s13
	s_mul_i32 s11, s2, s11
	s_sub_u32 s8, s8, s11
	s_cselect_b64 s[14:15], -1, 0
	s_cmp_lg_u64 s[14:15], 0
	s_subb_u32 s11, s16, s3
	s_sub_u32 s18, s8, s2
	s_cselect_b64 s[16:17], -1, 0
	s_cmp_lg_u64 s[16:17], 0
	s_subb_u32 s19, s11, 0
	s_cmp_ge_u32 s19, s3
	s_cselect_b32 s20, -1, 0
	s_cmp_ge_u32 s18, s2
	s_cselect_b32 s21, -1, 0
	s_cmp_eq_u32 s19, s3
	s_cselect_b32 s20, s21, s20
	s_cmp_lg_u64 s[16:17], 0
	s_subb_u32 s11, s11, s3
	s_sub_u32 s21, s18, s2
	s_cselect_b64 s[16:17], -1, 0
	s_cmp_lg_u64 s[16:17], 0
	s_subb_u32 s11, s11, 0
	s_cmp_lg_u32 s20, 0
	s_cselect_b32 s16, s21, s18
	s_cselect_b32 s11, s11, s19
	s_cmp_lg_u64 s[14:15], 0
	s_subb_u32 s9, s9, s13
	s_cmp_ge_u32 s9, s3
	s_cselect_b32 s13, -1, 0
	s_cmp_ge_u32 s8, s2
	s_cselect_b32 s2, -1, 0
	s_cmp_eq_u32 s9, s3
	s_cselect_b32 s2, s2, s13
	s_cmp_lg_u32 s2, 0
	s_cselect_b32 s3, s11, s9
	s_cselect_b32 s2, s16, s8
	s_xor_b64 s[2:3], s[2:3], s[6:7]
	s_sub_u32 s88, s2, s6
	s_subb_u32 s89, s3, s6
	s_mov_b32 s66, s91
	s_mov_b32 s74, s90
	s_cbranch_execnz .LBB36_52
.LBB36_51:                              ;   in Loop: Header=BB36_7 Depth=1
	v_cvt_f32_u32_e32 v2, s78
	s_sub_i32 s2, 0, s78
	s_mov_b32 s89, s79
	v_rcp_iflag_f32_e32 v2, v2
	s_nop 0
	v_mul_f32_e32 v2, 0x4f7ffffe, v2
	v_cvt_u32_f32_e32 v2, v2
	s_nop 0
	v_readfirstlane_b32 s3, v2
	s_mul_i32 s2, s2, s3
	s_mul_hi_u32 s2, s3, s2
	s_add_i32 s3, s3, s2
	s_mul_hi_u32 s2, s56, s3
	s_mul_i32 s2, s2, s78
	s_sub_i32 s2, s56, s2
	s_sub_i32 s3, s2, s78
	s_cmp_ge_u32 s2, s78
	s_cselect_b32 s2, s3, s2
	s_sub_i32 s3, s2, s78
	s_cmp_ge_u32 s2, s78
	s_cselect_b32 s88, s3, s2
.LBB36_52:                              ;   in Loop: Header=BB36_7 Depth=1
	s_sub_u32 s90, s56, s88
	s_subb_u32 s91, s57, s89
	s_mov_b32 s11, s79
	v_cmp_gt_i64_e32 vcc, s[90:91], v[14:15]
	v_mov_b64_e32 v[4:5], 0
	v_mov_b64_e32 v[6:7], 0
	;; [unrolled: 1-line block ×4, first 2 shown]
	s_and_saveexec_b64 s[30:31], vcc
	s_cbranch_execz .LBB36_56
; %bb.53:                               ;   in Loop: Header=BB36_7 Depth=1
	s_mul_i32 s2, s95, s10
	s_mul_hi_u32 s3, s94, s10
	s_mov_b32 s93, s65
	s_mov_b32 s87, s86
	s_add_i32 s13, s3, s2
	s_mov_b64 s[64:65], 0
	s_mov_b64 s[76:77], s[0:1]
	;; [unrolled: 1-line block ×6, first 2 shown]
	v_mov_b64_e32 v[34:35], v[14:15]
.LBB36_54:                              ;   Parent Loop BB36_7 Depth=1
                                        ; =>  This Inner Loop Header: Depth=2
	v_lshl_add_u64 v[4:5], s[76:77], 0, v[28:29]
	v_lshl_add_u64 v[6:7], s[76:77], 0, v[26:27]
	;; [unrolled: 1-line block ×4, first 2 shown]
	global_load_sshort v2, v[4:5], off
	s_nop 0
	global_load_sshort v4, v[6:7], off
	global_load_sshort v5, v[8:9], off
	s_nop 0
	global_load_sshort v6, v[10:11], off
	s_mul_i32 s86, s94, s10
	v_lshl_add_u64 v[34:35], v[34:35], 0, s[78:79]
	v_cmp_le_i64_e32 vcc, s[90:91], v[34:35]
	s_waitcnt vmcnt(3)
	v_add_u32_e32 v2, 0x8000, v2
	s_waitcnt vmcnt(2)
	v_add_u32_e32 v4, 0x8000, v4
	v_and_b32_e32 v7, v2, v47
	v_bfe_u32 v2, v2, s33, 2
	s_waitcnt vmcnt(1)
	v_add_u32_e32 v5, 0x8000, v5
	v_and_b32_e32 v8, v4, v47
	v_bfe_u32 v4, v4, s33, 2
	v_cmp_eq_u32_e64 s[2:3], v7, v45
	v_cmp_eq_u32_e64 s[20:21], 0, v2
	s_waitcnt vmcnt(0)
	v_add_u32_e32 v6, 0x8000, v6
	v_and_b32_e32 v9, v5, v47
	v_bfe_u32 v5, v5, s33, 2
	v_cmp_eq_u32_e64 s[14:15], v8, v45
	v_cmp_eq_u32_e64 s[22:23], 0, v4
	s_and_b64 s[20:21], s[2:3], s[20:21]
	v_and_b32_e32 v10, v6, v47
	v_bfe_u32 v6, v6, s33, 2
	v_cmp_eq_u32_e64 s[16:17], v9, v45
	v_cmp_eq_u32_e64 s[24:25], 0, v5
	;; [unrolled: 1-line block ×5, first 2 shown]
	v_cndmask_b32_e64 v2, 0, 1, s[20:21]
	s_and_b64 s[20:21], s[14:15], s[22:23]
	v_cmp_eq_u32_e64 s[18:19], v10, v45
	v_cmp_eq_u32_e64 s[26:27], 0, v6
	;; [unrolled: 1-line block ×5, first 2 shown]
	v_cndmask_b32_e64 v4, 0, 1, s[20:21]
	s_and_b64 s[20:21], s[16:17], s[24:25]
	v_cmp_eq_u32_e64 s[36:37], 1, v5
	v_cmp_eq_u32_e64 s[44:45], 2, v5
	;; [unrolled: 1-line block ×3, first 2 shown]
	v_cndmask_b32_e64 v5, 0, 1, s[20:21]
	s_and_b64 s[20:21], s[18:19], s[26:27]
	v_cmp_eq_u32_e64 s[38:39], 1, v6
	v_cmp_eq_u32_e64 s[46:47], 2, v6
	;; [unrolled: 1-line block ×3, first 2 shown]
	v_cndmask_b32_e64 v6, 0, 1, s[20:21]
	v_cmp_ne_u32_e64 s[20:21], 0, v2
	v_cmp_ne_u32_e64 s[22:23], 0, v4
	v_cmp_ne_u32_e64 s[24:25], 0, v5
	v_cmp_ne_u32_e64 s[26:27], 0, v6
	s_bcnt1_i32_b64 s20, s[20:21]
	s_bcnt1_i32_b64 s21, s[22:23]
	s_bcnt1_i32_b64 s22, s[24:25]
	s_bcnt1_i32_b64 s23, s[26:27]
	s_add_u32 s20, s20, s80
	s_addc_u32 s24, 0, s81
	s_add_u32 s20, s20, s21
	s_addc_u32 s21, s24, 0
	s_add_u32 s20, s20, s22
	s_addc_u32 s21, s21, 0
	s_add_u32 s80, s20, s23
	s_addc_u32 s81, s21, 0
	s_and_b64 s[20:21], s[2:3], s[28:29]
	v_cndmask_b32_e64 v2, 0, 1, s[20:21]
	s_and_b64 s[20:21], s[14:15], s[34:35]
	v_cndmask_b32_e64 v6, 0, 1, s[20:21]
	s_and_b64 s[20:21], s[16:17], s[36:37]
	v_cndmask_b32_e64 v7, 0, 1, s[20:21]
	s_and_b64 s[20:21], s[18:19], s[38:39]
	v_cndmask_b32_e64 v8, 0, 1, s[20:21]
	v_cmp_ne_u32_e64 s[20:21], 0, v2
	v_cmp_ne_u32_e64 s[22:23], 0, v6
	v_cmp_ne_u32_e64 s[24:25], 0, v7
	v_cmp_ne_u32_e64 s[26:27], 0, v8
	s_bcnt1_i32_b64 s20, s[20:21]
	s_bcnt1_i32_b64 s21, s[22:23]
	s_bcnt1_i32_b64 s22, s[24:25]
	s_bcnt1_i32_b64 s23, s[26:27]
	s_add_u32 s6, s20, s6
	s_addc_u32 s7, 0, s7
	s_add_u32 s6, s6, s21
	s_addc_u32 s7, s7, 0
	s_add_u32 s6, s6, s22
	s_addc_u32 s7, s7, 0
	s_add_u32 s6, s6, s23
	s_addc_u32 s7, s7, 0
	s_and_b64 s[20:21], s[2:3], s[40:41]
	v_cndmask_b32_e64 v2, 0, 1, s[20:21]
	s_and_b64 s[20:21], s[14:15], s[42:43]
	v_cndmask_b32_e64 v8, 0, 1, s[20:21]
	s_and_b64 s[20:21], s[16:17], s[44:45]
	v_cndmask_b32_e64 v9, 0, 1, s[20:21]
	s_and_b64 s[20:21], s[18:19], s[46:47]
	;; [unrolled: 24-line block ×3, first 2 shown]
	v_cndmask_b32_e64 v36, 0, 1, s[2:3]
	v_cmp_ne_u32_e64 s[2:3], 0, v2
	v_cmp_ne_u32_e64 s[14:15], 0, v10
	;; [unrolled: 1-line block ×4, first 2 shown]
	s_bcnt1_i32_b64 s2, s[2:3]
	s_bcnt1_i32_b64 s3, s[14:15]
	;; [unrolled: 1-line block ×4, first 2 shown]
	s_add_u32 s2, s2, s8
	s_addc_u32 s8, 0, s9
	s_add_u32 s2, s2, s3
	s_addc_u32 s3, s8, 0
	;; [unrolled: 2-line block ×5, first 2 shown]
	v_mov_b64_e32 v[4:5], s[80:81]
	v_mov_b64_e32 v[6:7], s[6:7]
	;; [unrolled: 1-line block ×3, first 2 shown]
	s_or_b64 s[64:65], vcc, s[64:65]
	v_mov_b64_e32 v[10:11], s[8:9]
	s_andn2_b64 exec, exec, s[64:65]
	s_cbranch_execnz .LBB36_54
; %bb.55:                               ;   in Loop: Header=BB36_7 Depth=1
	s_or_b64 exec, exec, s[64:65]
	v_readlane_b32 s76, v67, 33
	v_readlane_b32 s80, v67, 35
	v_readlane_b32 s82, v67, 37
	v_readlane_b32 s77, v67, 34
	v_readlane_b32 s81, v67, 36
	s_mov_b32 s86, s87
	s_mov_b32 s65, s93
	v_readlane_b32 s83, v67, 38
	v_readlane_b32 s51, v67, 41
	;; [unrolled: 1-line block ×3, first 2 shown]
	s_mov_b32 s53, 0x5040100
	v_readlane_b32 s50, v67, 43
.LBB36_56:                              ;   in Loop: Header=BB36_7 Depth=1
	s_or_b64 exec, exec, s[30:31]
	v_lshl_add_u64 v[34:35], s[90:91], 0, v[0:1]
	v_cmp_gt_i64_e32 vcc, s[56:57], v[34:35]
	s_and_saveexec_b64 s[6:7], vcc
	s_mov_b32 s90, s74
	v_readlane_b32 s74, v67, 39
	s_mov_b32 s91, s66
	v_readlane_b32 s66, v67, 40
	s_cbranch_execz .LBB36_62
; %bb.57:                               ;   in Loop: Header=BB36_7 Depth=1
	v_mul_lo_u32 v2, v35, s62
	v_mul_lo_u32 v49, v34, s63
	v_mad_u64_u32 v[36:37], s[2:3], v34, s62, 0
	v_add3_u32 v37, v37, v49, v2
	v_lshl_add_u64 v[36:37], v[36:37], 1, s[0:1]
	global_load_ushort v2, v[36:37], off
	v_lshl_add_u64 v[36:37], v[30:31], 0, s[10:11]
	v_mov_b32_e32 v49, s89
	v_subrev_co_u32_e32 v52, vcc, s88, v36
	v_readlane_b32 s8, v67, 31
	s_nop 0
	v_subb_co_u32_e32 v36, vcc, v37, v49, vcc
	v_mul_lo_u32 v49, s8, v36
	v_mov_b64_e32 v[36:37], s[0:1]
	v_readlane_b32 s9, v67, 32
	v_mad_u64_u32 v[36:37], s[2:3], s8, v52, v[36:37]
	s_nop 0
	v_mul_lo_u32 v53, s9, v52
	s_mul_i32 s2, s9, s10
	s_mul_hi_u32 s3, s8, s10
	v_add3_u32 v37, v53, v37, v49
	s_add_i32 s9, s3, s2
	s_mul_i32 s8, s8, s10
	s_mov_b64 s[14:15], 0
	s_branch .LBB36_59
.LBB36_58:                              ;   in Loop: Header=BB36_59 Depth=2
	s_or_b64 exec, exec, s[16:17]
	s_waitcnt vmcnt(0)
	v_add_u32_sdwa v2, sext(v2), s75 dst_sel:DWORD dst_unused:UNUSED_PAD src0_sel:WORD_0 src1_sel:DWORD
	s_and_b64 s[2:3], exec, vcc
	v_and_b32_e32 v52, v2, v47
	v_bfe_u32 v2, v2, s33, 2
	s_or_b64 s[14:15], s[2:3], s[14:15]
	v_cmp_eq_u32_e32 vcc, v52, v45
	v_cmp_eq_u32_e64 s[2:3], 0, v2
	s_and_b64 s[2:3], vcc, s[2:3]
	v_lshl_add_u64 v[36:37], v[36:37], 0, s[8:9]
	v_cndmask_b32_e64 v52, 0, 1, s[2:3]
	v_cmp_ne_u32_e64 s[2:3], 0, v52
	s_bcnt1_i32_b64 s78, s[2:3]
	v_cmp_eq_u32_e64 s[2:3], 1, v2
	s_and_b64 s[2:3], vcc, s[2:3]
	v_lshl_add_u64 v[4:5], s[78:79], 0, v[4:5]
	v_cndmask_b32_e64 v52, 0, 1, s[2:3]
	v_cmp_ne_u32_e64 s[2:3], 0, v52
	s_bcnt1_i32_b64 s78, s[2:3]
	;; [unrolled: 6-line block ×3, first 2 shown]
	v_cmp_eq_u32_e64 s[2:3], 3, v2
	s_and_b64 s[2:3], vcc, s[2:3]
	v_lshl_add_u64 v[8:9], s[78:79], 0, v[8:9]
	v_cndmask_b32_e64 v2, 0, 1, s[2:3]
	v_cmp_ne_u32_e32 vcc, 0, v2
	s_bcnt1_i32_b64 s78, vcc
	v_lshl_add_u64 v[10:11], s[78:79], 0, v[10:11]
	v_mov_b32_e32 v2, v49
	s_andn2_b64 exec, exec, s[14:15]
	s_cbranch_execz .LBB36_61
.LBB36_59:                              ;   Parent Loop BB36_7 Depth=1
                                        ; =>  This Inner Loop Header: Depth=2
	v_lshl_add_u64 v[34:35], v[34:35], 0, s[10:11]
	v_cmp_gt_i64_e64 s[2:3], s[56:57], v[34:35]
	v_cmp_le_i64_e32 vcc, s[56:57], v[34:35]
	v_mov_b32_e32 v49, 0
	s_and_saveexec_b64 s[16:17], s[2:3]
	s_cbranch_execz .LBB36_58
; %bb.60:                               ;   in Loop: Header=BB36_59 Depth=2
	global_load_ushort v49, v[36:37], off
	s_branch .LBB36_58
.LBB36_61:                              ;   in Loop: Header=BB36_7 Depth=1
	s_or_b64 exec, exec, s[14:15]
.LBB36_62:                              ;   in Loop: Header=BB36_7 Depth=1
	s_or_b64 exec, exec, s[6:7]
	s_mov_b32 s88, s92
	s_branch .LBB36_41
.LBB36_63:                              ;   in Loop: Header=BB36_7 Depth=1
	global_load_ushort v2, v3, s[82:83]
	v_mov_b64_e32 v[8:9], 0
	s_waitcnt vmcnt(0)
	v_readfirstlane_b32 s2, v2
	s_and_b32 s13, 0xffff, s2
	s_lshl_b32 s78, s13, 2
	v_cvt_f32_u32_e32 v4, s78
	s_sub_i32 s2, 0, s78
	v_rcp_iflag_f32_e32 v6, v4
	v_mov_b64_e32 v[4:5], 0
	v_mul_f32_e32 v6, 0x4f7ffffe, v6
	v_cvt_u32_f32_e32 v10, v6
	v_mov_b64_e32 v[6:7], 0
	v_readfirstlane_b32 s3, v10
	s_mul_i32 s2, s2, s3
	s_mul_hi_u32 s2, s3, s2
	s_add_i32 s3, s3, s2
	s_mul_hi_u32 s2, s12, s3
	s_mul_i32 s3, s2, s78
	s_sub_i32 s3, s12, s3
	s_add_i32 s6, s2, 1
	s_sub_i32 s7, s3, s78
	s_cmp_ge_u32 s3, s78
	s_cselect_b32 s2, s6, s2
	s_cselect_b32 s3, s7, s3
	s_add_i32 s6, s2, 1
	s_cmp_ge_u32 s3, s78
	s_cselect_b32 s2, s6, s2
	s_mul_hi_u32 s7, s13, s2
	s_mul_i32 s6, s13, s2
	s_lshl_b64 s[8:9], s[6:7], 2
	v_cmp_gt_u64_e32 vcc, s[8:9], v[14:15]
	v_mov_b64_e32 v[10:11], 0
	s_and_saveexec_b64 s[10:11], vcc
	s_cbranch_execz .LBB36_67
; %bb.64:                               ;   in Loop: Header=BB36_7 Depth=1
	s_mov_b32 s87, s65
	s_lshl_b32 s7, s13, 3
	s_mov_b64 s[30:31], 0
	v_mov_b32_e32 v36, v43
	s_mov_b64 s[64:65], 0
	s_mov_b64 s[76:77], 0
	;; [unrolled: 1-line block ×4, first 2 shown]
	v_mov_b64_e32 v[34:35], v[14:15]
.LBB36_65:                              ;   Parent Loop BB36_7 Depth=1
                                        ; =>  This Inner Loop Header: Depth=2
	ds_read_b64 v[4:5], v36
	v_lshl_add_u64 v[34:35], v[34:35], 0, s[78:79]
	v_cmp_le_u64_e32 vcc, s[8:9], v[34:35]
	v_add_u32_e32 v36, s7, v36
	s_waitcnt lgkmcnt(0)
	v_add_u32_sdwa v6, sext(v4), s75 dst_sel:DWORD dst_unused:UNUSED_PAD src0_sel:WORD_0 src1_sel:DWORD
	v_add_u32_sdwa v4, sext(v4), s75 dst_sel:DWORD dst_unused:UNUSED_PAD src0_sel:WORD_1 src1_sel:DWORD
	v_and_b32_e32 v8, v6, v47
	v_bfe_u32 v6, v6, s33, 2
	v_add_u32_sdwa v7, sext(v5), s75 dst_sel:DWORD dst_unused:UNUSED_PAD src0_sel:WORD_0 src1_sel:DWORD
	v_and_b32_e32 v9, v4, v47
	v_bfe_u32 v4, v4, s33, 2
	v_cmp_eq_u32_e64 s[20:21], v8, v45
	v_cmp_eq_u32_e64 s[2:3], 0, v6
	v_add_u32_sdwa v5, sext(v5), s75 dst_sel:DWORD dst_unused:UNUSED_PAD src0_sel:WORD_1 src1_sel:DWORD
	v_and_b32_e32 v10, v7, v47
	v_bfe_u32 v7, v7, s33, 2
	v_cmp_eq_u32_e64 s[18:19], v9, v45
	v_cmp_eq_u32_e64 s[34:35], 0, v4
	s_and_b64 s[2:3], s[20:21], s[2:3]
	v_and_b32_e32 v11, v5, v47
	v_bfe_u32 v5, v5, s33, 2
	v_cmp_eq_u32_e64 s[16:17], v10, v45
	v_cmp_eq_u32_e64 s[36:37], 0, v7
	;; [unrolled: 1-line block ×5, first 2 shown]
	v_cndmask_b32_e64 v4, 0, 1, s[2:3]
	s_and_b64 s[2:3], s[18:19], s[34:35]
	v_cmp_eq_u32_e64 s[14:15], v11, v45
	v_cmp_eq_u32_e64 s[38:39], 0, v5
	;; [unrolled: 1-line block ×5, first 2 shown]
	v_cndmask_b32_e64 v5, 0, 1, s[2:3]
	s_and_b64 s[2:3], s[16:17], s[36:37]
	v_cmp_eq_u32_e64 s[40:41], 1, v6
	v_cmp_eq_u32_e64 s[48:49], 2, v6
	;; [unrolled: 1-line block ×3, first 2 shown]
	v_cndmask_b32_e64 v6, 0, 1, s[2:3]
	s_and_b64 s[2:3], s[14:15], s[38:39]
	v_cmp_eq_u32_e64 s[44:45], 1, v7
	v_cmp_eq_u32_e64 s[52:53], 2, v7
	;; [unrolled: 1-line block ×3, first 2 shown]
	v_cndmask_b32_e64 v7, 0, 1, s[2:3]
	v_cmp_ne_u32_e64 s[2:3], 0, v4
	v_cmp_ne_u32_e64 s[34:35], 0, v5
	v_cmp_ne_u32_e64 s[36:37], 0, v6
	v_cmp_ne_u32_e64 s[38:39], 0, v7
	s_bcnt1_i32_b64 s2, s[2:3]
	s_bcnt1_i32_b64 s3, s[34:35]
	s_bcnt1_i32_b64 s34, s[36:37]
	s_bcnt1_i32_b64 s35, s[38:39]
	s_add_u32 s2, s2, s82
	s_addc_u32 s36, 0, s83
	s_add_u32 s2, s2, s3
	s_addc_u32 s3, s36, 0
	s_add_u32 s2, s2, s34
	s_addc_u32 s3, s3, 0
	s_add_u32 s82, s2, s35
	s_addc_u32 s83, s3, 0
	s_and_b64 s[2:3], s[20:21], s[40:41]
	v_cndmask_b32_e64 v6, 0, 1, s[2:3]
	s_and_b64 s[2:3], s[18:19], s[42:43]
	v_cndmask_b32_e64 v7, 0, 1, s[2:3]
	s_and_b64 s[2:3], s[16:17], s[44:45]
	v_cndmask_b32_e64 v8, 0, 1, s[2:3]
	s_and_b64 s[2:3], s[14:15], s[46:47]
	v_cndmask_b32_e64 v9, 0, 1, s[2:3]
	v_cmp_ne_u32_e64 s[2:3], 0, v6
	v_cmp_ne_u32_e64 s[34:35], 0, v7
	v_cmp_ne_u32_e64 s[36:37], 0, v8
	v_cmp_ne_u32_e64 s[38:39], 0, v9
	s_bcnt1_i32_b64 s2, s[2:3]
	s_bcnt1_i32_b64 s3, s[34:35]
	s_bcnt1_i32_b64 s34, s[36:37]
	s_bcnt1_i32_b64 s35, s[38:39]
	s_add_u32 s2, s2, s80
	s_addc_u32 s36, 0, s81
	s_add_u32 s2, s2, s3
	s_addc_u32 s3, s36, 0
	s_add_u32 s2, s2, s34
	s_addc_u32 s3, s3, 0
	s_add_u32 s80, s2, s35
	s_addc_u32 s81, s3, 0
	s_and_b64 s[2:3], s[20:21], s[48:49]
	v_cndmask_b32_e64 v8, 0, 1, s[2:3]
	s_and_b64 s[2:3], s[18:19], s[50:51]
	v_cndmask_b32_e64 v9, 0, 1, s[2:3]
	s_and_b64 s[2:3], s[16:17], s[52:53]
	v_cndmask_b32_e64 v10, 0, 1, s[2:3]
	s_and_b64 s[2:3], s[14:15], s[54:55]
	;; [unrolled: 24-line block ×3, first 2 shown]
	v_cndmask_b32_e64 v49, 0, 1, s[2:3]
	v_cmp_ne_u32_e64 s[2:3], 0, v10
	v_cmp_ne_u32_e64 s[14:15], 0, v11
	;; [unrolled: 1-line block ×4, first 2 shown]
	s_bcnt1_i32_b64 s2, s[2:3]
	s_bcnt1_i32_b64 s3, s[14:15]
	;; [unrolled: 1-line block ×4, first 2 shown]
	s_add_u32 s2, s2, s64
	s_addc_u32 s16, 0, s65
	s_add_u32 s2, s2, s3
	s_addc_u32 s3, s16, 0
	;; [unrolled: 2-line block ×4, first 2 shown]
	v_mov_b64_e32 v[4:5], s[82:83]
	v_mov_b64_e32 v[6:7], s[80:81]
	;; [unrolled: 1-line block ×3, first 2 shown]
	s_or_b64 s[30:31], vcc, s[30:31]
	v_mov_b64_e32 v[10:11], s[64:65]
	s_andn2_b64 exec, exec, s[30:31]
	s_cbranch_execnz .LBB36_65
; %bb.66:                               ;   in Loop: Header=BB36_7 Depth=1
	s_or_b64 exec, exec, s[30:31]
	v_readlane_b32 s76, v67, 33
	v_readlane_b32 s80, v67, 35
	;; [unrolled: 1-line block ×5, first 2 shown]
	s_mov_b32 s65, s87
	v_readlane_b32 s83, v67, 38
	v_readlane_b32 s51, v67, 41
	;; [unrolled: 1-line block ×3, first 2 shown]
	s_mov_b32 s53, 0x5040100
	v_readlane_b32 s50, v67, 43
.LBB36_67:                              ;   in Loop: Header=BB36_7 Depth=1
	s_or_b64 exec, exec, s[10:11]
	s_and_b32 s10, s12, 0x7fffffff
	s_mov_b32 s11, s79
	v_lshl_add_u64 v[34:35], s[8:9], 0, v[0:1]
	v_and_b32_e32 v2, 0xffff, v2
	v_cmp_gt_u64_e32 vcc, s[10:11], v[34:35]
	s_and_saveexec_b64 s[8:9], vcc
	s_cbranch_execz .LBB36_71
; %bb.68:                               ;   in Loop: Header=BB36_7 Depth=1
	v_lshl_add_u32 v36, s6, 3, v39
	s_lshl_b32 s12, s13, 1
	s_mov_b64 s[6:7], 0
.LBB36_69:                              ;   Parent Loop BB36_7 Depth=1
                                        ; =>  This Inner Loop Header: Depth=2
	ds_read_i16 v37, v36
	v_lshl_add_u64 v[34:35], v[34:35], 0, v[2:3]
	v_cmp_le_u64_e32 vcc, s[10:11], v[34:35]
	v_add_u32_e32 v36, s12, v36
	s_waitcnt lgkmcnt(0)
	v_add_u32_e32 v37, 0x8000, v37
	v_and_b32_e32 v49, v37, v47
	v_bfe_u32 v37, v37, s33, 2
	v_cmp_eq_u32_e64 s[2:3], v49, v45
	v_cmp_eq_u32_e64 s[14:15], 0, v37
	;; [unrolled: 1-line block ×3, first 2 shown]
	s_and_b64 s[14:15], s[2:3], s[14:15]
	v_cmp_eq_u32_e64 s[18:19], 2, v37
	v_cmp_eq_u32_e64 s[20:21], 3, v37
	v_cndmask_b32_e64 v37, 0, 1, s[14:15]
	s_and_b64 s[14:15], s[2:3], s[16:17]
	v_cndmask_b32_e64 v49, 0, 1, s[14:15]
	s_and_b64 s[14:15], s[2:3], s[18:19]
	s_and_b64 s[2:3], s[2:3], s[20:21]
	v_cndmask_b32_e64 v53, 0, 1, s[2:3]
	v_cmp_ne_u32_e64 s[2:3], 0, v37
	v_cndmask_b32_e64 v52, 0, 1, s[14:15]
	v_cmp_ne_u32_e64 s[14:15], 0, v49
	s_bcnt1_i32_b64 s78, s[2:3]
	v_cmp_ne_u32_e64 s[16:17], 0, v52
	v_lshl_add_u64 v[4:5], s[78:79], 0, v[4:5]
	s_bcnt1_i32_b64 s78, s[14:15]
	v_cmp_ne_u32_e64 s[18:19], 0, v53
	v_lshl_add_u64 v[6:7], s[78:79], 0, v[6:7]
	s_bcnt1_i32_b64 s78, s[16:17]
	v_lshl_add_u64 v[8:9], s[78:79], 0, v[8:9]
	s_bcnt1_i32_b64 s78, s[18:19]
	s_or_b64 s[6:7], vcc, s[6:7]
	v_lshl_add_u64 v[10:11], s[78:79], 0, v[10:11]
	s_andn2_b64 exec, exec, s[6:7]
	s_cbranch_execnz .LBB36_69
; %bb.70:                               ;   in Loop: Header=BB36_7 Depth=1
	s_or_b64 exec, exec, s[6:7]
.LBB36_71:                              ;   in Loop: Header=BB36_7 Depth=1
	s_or_b64 exec, exec, s[8:9]
	s_lshl_b32 s6, s67, 6
	s_and_saveexec_b64 s[2:3], s[4:5]
	s_cbranch_execnz .LBB36_42
	s_branch .LBB36_43
.LBB36_72:                              ;   in Loop: Header=BB36_7 Depth=1
                                        ; implicit-def: $sgpr88_sgpr89
	s_mov_b32 s66, s91
	s_mov_b32 s74, s90
	s_branch .LBB36_51
.LBB36_73:                              ;   in Loop: Header=BB36_7 Depth=1
	s_or_b64 exec, exec, s[8:9]
	s_waitcnt lgkmcnt(0)
	s_barrier
	s_mov_b64 s[2:3], exec
	v_readlane_b32 s8, v67, 8
	v_readlane_b32 s9, v67, 9
	s_and_b64 s[8:9], s[2:3], s[8:9]
	s_mov_b64 exec, s[8:9]
	s_cbranch_execz .LBB36_75
; %bb.74:                               ;   in Loop: Header=BB36_7 Depth=1
	ds_read_b32 v4, v3 offset:5136
	s_waitcnt lgkmcnt(0)
	v_ashrrev_i32_e32 v5, 31, v4
	ds_write_b64 v3, v[4:5] offset:5120
.LBB36_75:                              ;   in Loop: Header=BB36_7 Depth=1
	s_or_b64 exec, exec, s[2:3]
	s_waitcnt lgkmcnt(0)
	s_barrier
	s_mov_b64 s[2:3], -1
	s_and_b64 vcc, exec, s[6:7]
	s_cbranch_vccnz .LBB36_22
	s_branch .LBB36_37
.LBB36_76:                              ;   in Loop: Header=BB36_7 Depth=1
	s_mov_b32 s7, 0
	v_mov_b64_e32 v[4:5], 0
.LBB36_77:                              ;   in Loop: Header=BB36_7 Depth=1
	v_readlane_b32 s8, v67, 29
	v_readlane_b32 s9, v67, 30
	s_andn2_b64 vcc, exec, s[8:9]
	s_cbranch_vccnz .LBB36_80
; %bb.78:                               ;   in Loop: Header=BB36_7 Depth=1
	s_lshl_b32 s8, s67, 9
	s_lshl_b32 s7, s7, 5
	s_add_i32 s8, s8, s7
	v_add_u32_e32 v2, s8, v44
	v_readlane_b32 s7, v67, 28
.LBB36_79:                              ;   Parent Loop BB36_7 Depth=1
                                        ; =>  This Inner Loop Header: Depth=2
	ds_read_b64 v[6:7], v2
	s_add_i32 s7, s7, -1
	v_add_u32_e32 v2, 32, v2
	s_cmp_lg_u32 s7, 0
	s_waitcnt lgkmcnt(0)
	v_lshl_add_u64 v[4:5], v[6:7], 0, v[4:5]
	s_cbranch_scc1 .LBB36_79
.LBB36_80:                              ;   in Loop: Header=BB36_7 Depth=1
	v_add_lshl_u32 v2, s6, v38, 3
	ds_write_b64 v2, v[4:5] offset:3072
.LBB36_81:                              ;   in Loop: Header=BB36_7 Depth=1
	s_or_b64 exec, exec, s[2:3]
	s_lshl_b32 s2, s6, 3
	v_mov_b32_e32 v2, s2
	s_waitcnt lgkmcnt(0)
	s_barrier
	ds_read_b128 v[8:11], v2 offset:3088
	ds_read_b128 v[4:7], v2 offset:3072
	s_lshl_b32 s54, 3, s33
	v_cmp_eq_u64_e64 s[2:3], 1, v[32:33]
	s_not_b32 s48, s54
	s_waitcnt lgkmcnt(1)
	v_readfirstlane_b32 s22, v8
	s_waitcnt lgkmcnt(0)
	v_cmp_eq_u64_e32 vcc, 1, v[4:5]
	v_readfirstlane_b32 s23, v9
	v_readfirstlane_b32 s14, v10
	;; [unrolled: 1-line block ×3, first 2 shown]
	s_and_b64 s[10:11], vcc, s[2:3]
	s_mov_b64 s[2:3], -1
	s_mov_b64 s[18:19], -1
                                        ; implicit-def: $sgpr8_sgpr9
                                        ; implicit-def: $sgpr6_sgpr7
	s_and_saveexec_b64 s[12:13], s[10:11]
	s_cbranch_execz .LBB36_113
; %bb.82:                               ;   in Loop: Header=BB36_7 Depth=1
	ds_read_b64 v[8:9], v3 offset:5120
	s_waitcnt lgkmcnt(0)
	s_barrier
	v_readfirstlane_b32 s16, v8
	v_readfirstlane_b32 s17, v9
	s_mov_b64 s[6:7], exec
	v_readlane_b32 s8, v67, 12
	v_readlane_b32 s9, v67, 13
	s_and_b64 s[8:9], s[6:7], s[8:9]
	s_mov_b64 exec, s[8:9]
; %bb.83:                               ;   in Loop: Header=BB36_7 Depth=1
	ds_write_b16 v40, v3
; %bb.84:                               ;   in Loop: Header=BB36_7 Depth=1
	s_or_b64 exec, exec, s[6:7]
	v_cmp_lt_i64_e64 s[18:19], s[16:17], 1
	v_and_b32_e32 v45, s48, v45
	v_or_b32_e32 v47, s54, v47
	s_mov_b64 s[6:7], -1
	s_mov_b64 s[8:9], 0
	s_and_b64 vcc, exec, s[18:19]
	s_mov_b64 s[18:19], 0
	s_mov_b64 s[20:21], -1
	s_waitcnt lgkmcnt(0)
	s_barrier
                                        ; implicit-def: $vgpr48
	s_cbranch_vccz .LBB36_98
; %bb.85:                               ;   in Loop: Header=BB36_7 Depth=1
	s_mov_b32 s64, s79
	s_cmp_lg_u64 s[64:65], 0
	s_cbranch_scc0 .LBB36_139
; %bb.86:                               ;   in Loop: Header=BB36_7 Depth=1
	s_add_u32 s18, s72, 0
	s_addc_u32 s19, 0, 0
	s_xor_b64 s[18:19], s[18:19], 0
	v_cvt_f32_u32_e32 v2, s18
	v_cvt_f32_u32_e32 v8, s19
	s_sub_u32 s24, 0, s18
	s_subb_u32 s25, 0, s19
	v_fmac_f32_e32 v2, 0x4f800000, v8
	v_rcp_f32_e32 v2, v2
	s_nop 0
	v_mul_f32_e32 v2, 0x5f7ffffc, v2
	v_mul_f32_e32 v8, 0x2f800000, v2
	v_trunc_f32_e32 v8, v8
	v_fmac_f32_e32 v2, 0xcf800000, v8
	v_cvt_u32_f32_e32 v8, v8
	v_cvt_u32_f32_e32 v2, v2
	v_readfirstlane_b32 s26, v8
	v_readfirstlane_b32 s20, v2
	s_mul_i32 s21, s24, s26
	s_mul_hi_u32 s28, s24, s20
	s_mul_i32 s27, s25, s20
	s_add_i32 s21, s28, s21
	s_mul_i32 s29, s24, s20
	s_add_i32 s21, s21, s27
	s_mul_i32 s28, s20, s21
	s_mul_hi_u32 s30, s20, s29
	s_mul_hi_u32 s27, s20, s21
	s_add_u32 s28, s30, s28
	s_addc_u32 s27, 0, s27
	s_mul_hi_u32 s31, s26, s29
	s_mul_i32 s29, s26, s29
	s_add_u32 s28, s28, s29
	s_mul_hi_u32 s30, s26, s21
	s_addc_u32 s27, s27, s31
	s_addc_u32 s28, s30, 0
	s_mul_i32 s21, s26, s21
	s_add_u32 s21, s27, s21
	s_addc_u32 s27, 0, s28
	s_add_u32 s28, s20, s21
	s_cselect_b64 s[20:21], -1, 0
	s_cmp_lg_u64 s[20:21], 0
	s_addc_u32 s26, s26, s27
	s_mul_i32 s20, s24, s26
	s_mul_hi_u32 s21, s24, s28
	s_add_i32 s20, s21, s20
	s_mul_i32 s25, s25, s28
	s_add_i32 s20, s20, s25
	s_mul_i32 s24, s24, s28
	s_mul_hi_u32 s25, s26, s24
	s_mul_i32 s27, s26, s24
	s_mul_i32 s30, s28, s20
	s_mul_hi_u32 s24, s28, s24
	s_mul_hi_u32 s29, s28, s20
	s_add_u32 s24, s24, s30
	s_addc_u32 s29, 0, s29
	s_add_u32 s24, s24, s27
	s_mul_hi_u32 s21, s26, s20
	s_addc_u32 s24, s29, s25
	s_addc_u32 s21, s21, 0
	s_mul_i32 s20, s26, s20
	s_add_u32 s20, s24, s20
	s_addc_u32 s24, 0, s21
	s_add_u32 s27, s28, s20
	s_cselect_b64 s[20:21], -1, 0
	s_cmp_lg_u64 s[20:21], 0
	s_addc_u32 s26, s26, s24
	s_ashr_i32 s20, s65, 31
	s_add_u32 s24, s86, s20
	s_mov_b32 s21, s20
	s_addc_u32 s25, s65, s20
	s_xor_b64 s[24:25], s[24:25], s[20:21]
	s_mul_i32 s29, s24, s26
	s_mul_hi_u32 s30, s24, s27
	s_mul_hi_u32 s28, s24, s26
	s_add_u32 s29, s30, s29
	s_addc_u32 s28, 0, s28
	s_mul_hi_u32 s31, s25, s27
	s_mul_i32 s27, s25, s27
	s_add_u32 s27, s29, s27
	s_mul_hi_u32 s30, s25, s26
	s_addc_u32 s27, s28, s31
	s_addc_u32 s28, s30, 0
	s_mul_i32 s26, s25, s26
	s_add_u32 s26, s27, s26
	s_addc_u32 s27, 0, s28
	s_mul_i32 s27, s18, s27
	s_mul_hi_u32 s28, s18, s26
	s_add_i32 s27, s28, s27
	s_mul_i32 s28, s19, s26
	s_add_i32 s30, s27, s28
	s_sub_i32 s28, s25, s30
	s_mul_i32 s26, s18, s26
	s_sub_u32 s24, s24, s26
	s_cselect_b64 s[26:27], -1, 0
	s_cmp_lg_u64 s[26:27], 0
	s_subb_u32 s31, s28, s19
	s_sub_u32 s34, s24, s18
	s_cselect_b64 s[28:29], -1, 0
	s_cmp_lg_u64 s[28:29], 0
	s_subb_u32 s35, s31, 0
	s_cmp_ge_u32 s35, s19
	s_cselect_b32 s36, -1, 0
	s_cmp_ge_u32 s34, s18
	s_cselect_b32 s37, -1, 0
	s_cmp_eq_u32 s35, s19
	s_cselect_b32 s36, s37, s36
	s_cmp_lg_u64 s[28:29], 0
	s_subb_u32 s31, s31, s19
	s_sub_u32 s37, s34, s18
	s_cselect_b64 s[28:29], -1, 0
	s_cmp_lg_u64 s[28:29], 0
	s_subb_u32 s28, s31, 0
	s_cmp_lg_u32 s36, 0
	s_cselect_b32 s29, s37, s34
	s_cselect_b32 s28, s28, s35
	s_cmp_lg_u64 s[26:27], 0
	s_subb_u32 s25, s25, s30
	s_cmp_ge_u32 s25, s19
	s_cselect_b32 s26, -1, 0
	s_cmp_ge_u32 s24, s18
	s_cselect_b32 s18, -1, 0
	s_cmp_eq_u32 s25, s19
	s_cselect_b32 s18, s18, s26
	s_cmp_lg_u32 s18, 0
	s_cselect_b32 s19, s28, s25
	s_cselect_b32 s18, s29, s24
	s_xor_b64 s[18:19], s[18:19], s[20:21]
	s_sub_u32 s18, s18, s20
	s_subb_u32 s19, s19, s20
	s_cbranch_execnz .LBB36_88
.LBB36_87:                              ;   in Loop: Header=BB36_7 Depth=1
	v_cvt_f32_u32_e32 v2, s72
	s_sub_i32 s18, 0, s72
	v_rcp_iflag_f32_e32 v2, v2
	s_nop 0
	v_mul_f32_e32 v2, 0x4f7ffffe, v2
	v_cvt_u32_f32_e32 v2, v2
	s_nop 0
	v_readfirstlane_b32 s19, v2
	s_mul_i32 s18, s18, s19
	s_mul_hi_u32 s18, s19, s18
	s_add_i32 s19, s19, s18
	s_mul_hi_u32 s18, s86, s19
	s_mul_i32 s18, s18, s72
	s_sub_i32 s18, s86, s18
	s_sub_i32 s19, s18, s72
	s_cmp_ge_u32 s18, s72
	s_cselect_b32 s18, s19, s18
	s_sub_i32 s19, s18, s72
	s_cmp_ge_u32 s18, s72
	s_cselect_b32 s78, s19, s18
	s_mov_b64 s[18:19], s[78:79]
.LBB36_88:                              ;   in Loop: Header=BB36_7 Depth=1
	s_sub_u32 s26, s86, s18
	s_subb_u32 s27, s65, s19
	v_cmp_gt_i64_e32 vcc, s[26:27], v[0:1]
	s_mov_b64 s[20:21], 0
	s_mov_b64 s[18:19], 0
                                        ; implicit-def: $vgpr48
	s_and_saveexec_b64 s[24:25], vcc
	s_cbranch_execz .LBB36_97
; %bb.89:                               ;   in Loop: Header=BB36_7 Depth=1
	v_mov_b64_e32 v[8:9], v[12:13]
	v_mov_b64_e32 v[10:11], v[0:1]
                                        ; implicit-def: $sgpr28_sgpr29
	s_branch .LBB36_92
.LBB36_90:                              ;   in Loop: Header=BB36_92 Depth=2
	s_or_b64 exec, exec, s[30:31]
	s_waitcnt lgkmcnt(0)
	s_barrier
	ds_read_b32 v2, v3 offset:3072
	s_mov_b64 s[30:31], -1
	s_waitcnt lgkmcnt(0)
	s_barrier
	v_cmp_ne_u32_sdwa s[34:35], v2, v3 src0_sel:WORD_0 src1_sel:DWORD
	s_and_b64 vcc, exec, s[34:35]
	s_mov_b64 s[34:35], -1
	s_cbranch_vccz .LBB36_95
.LBB36_91:                              ;   in Loop: Header=BB36_92 Depth=2
	s_and_b64 s[30:31], exec, s[30:31]
	s_or_b64 s[18:19], s[30:31], s[18:19]
	s_andn2_b64 s[28:29], s[28:29], exec
	s_and_b64 s[30:31], s[34:35], exec
	s_or_b64 s[28:29], s[28:29], s[30:31]
	s_andn2_b64 exec, exec, s[18:19]
	s_cbranch_execz .LBB36_96
.LBB36_92:                              ;   Parent Loop BB36_7 Depth=1
                                        ; =>  This Inner Loop Header: Depth=2
	v_cmp_gt_i64_e32 vcc, s[56:57], v[10:11]
	s_and_saveexec_b64 s[30:31], vcc
	s_cbranch_execz .LBB36_90
; %bb.93:                               ;   in Loop: Header=BB36_92 Depth=2
	global_load_ushort v2, v[8:9], off
	s_waitcnt vmcnt(0)
	v_add_u32_sdwa v34, sext(v2), s75 dst_sel:DWORD dst_unused:UNUSED_PAD src0_sel:WORD_0 src1_sel:DWORD
	v_and_b32_e32 v34, v34, v47
	v_cmp_eq_u32_e32 vcc, v34, v45
	s_and_b64 exec, exec, vcc
	s_cbranch_execz .LBB36_90
; %bb.94:                               ;   in Loop: Header=BB36_92 Depth=2
	v_perm_b32 v2, v2, 1, v46
	ds_write_b32 v3, v2 offset:3072
	s_branch .LBB36_90
.LBB36_95:                              ;   in Loop: Header=BB36_92 Depth=2
	v_lshl_add_u64 v[10:11], v[10:11], 0, s[72:73]
	v_cmp_le_i64_e32 vcc, s[26:27], v[10:11]
	v_lshl_add_u64 v[8:9], v[8:9], 0, s[76:77]
	s_mov_b64 s[34:35], 0
	s_orn2_b64 s[30:31], vcc, exec
	s_branch .LBB36_91
.LBB36_96:                              ;   in Loop: Header=BB36_7 Depth=1
	s_or_b64 exec, exec, s[18:19]
	v_lshrrev_b32_e32 v48, 16, v2
	s_and_b64 s[18:19], s[28:29], exec
.LBB36_97:                              ;   in Loop: Header=BB36_7 Depth=1
	s_or_b64 exec, exec, s[24:25]
.LBB36_98:                              ;   in Loop: Header=BB36_7 Depth=1
	s_and_b64 vcc, exec, s[20:21]
	s_cbranch_vccz .LBB36_112
; %bb.99:                               ;   in Loop: Header=BB36_7 Depth=1
	v_readlane_b32 s6, v67, 20
	s_add_u32 s24, s16, s6
	v_readlane_b32 s6, v67, 21
	s_addc_u32 s7, s17, s6
	s_mov_b32 s6, s79
	s_cmp_lg_u64 s[6:7], 0
	s_cbranch_scc0 .LBB36_140
; %bb.100:                              ;   in Loop: Header=BB36_7 Depth=1
	s_add_u32 s8, s72, 0
	s_addc_u32 s9, 0, 0
	s_xor_b64 s[8:9], s[8:9], 0
	v_cvt_f32_u32_e32 v2, s8
	v_cvt_f32_u32_e32 v8, s9
	s_sub_u32 s6, 0, s8
	s_subb_u32 s25, 0, s9
	v_fmac_f32_e32 v2, 0x4f800000, v8
	v_rcp_f32_e32 v2, v2
	s_nop 0
	v_mul_f32_e32 v2, 0x5f7ffffc, v2
	v_mul_f32_e32 v8, 0x2f800000, v2
	v_trunc_f32_e32 v8, v8
	v_fmac_f32_e32 v2, 0xcf800000, v8
	v_cvt_u32_f32_e32 v8, v8
	v_cvt_u32_f32_e32 v2, v2
	v_readfirstlane_b32 s26, v8
	v_readfirstlane_b32 s20, v2
	s_mul_i32 s21, s6, s26
	s_mul_hi_u32 s28, s6, s20
	s_mul_i32 s27, s25, s20
	s_add_i32 s21, s28, s21
	s_mul_i32 s29, s6, s20
	s_add_i32 s21, s21, s27
	s_mul_i32 s28, s20, s21
	s_mul_hi_u32 s30, s20, s29
	s_mul_hi_u32 s27, s20, s21
	s_add_u32 s28, s30, s28
	s_addc_u32 s27, 0, s27
	s_mul_hi_u32 s31, s26, s29
	s_mul_i32 s29, s26, s29
	s_add_u32 s28, s28, s29
	s_mul_hi_u32 s30, s26, s21
	s_addc_u32 s27, s27, s31
	s_addc_u32 s28, s30, 0
	s_mul_i32 s21, s26, s21
	s_add_u32 s21, s27, s21
	s_addc_u32 s27, 0, s28
	s_add_u32 s28, s20, s21
	s_cselect_b64 s[20:21], -1, 0
	s_cmp_lg_u64 s[20:21], 0
	s_addc_u32 s26, s26, s27
	s_mul_i32 s20, s6, s26
	s_mul_hi_u32 s21, s6, s28
	s_add_i32 s20, s21, s20
	s_mul_i32 s25, s25, s28
	s_add_i32 s20, s20, s25
	s_mul_i32 s6, s6, s28
	s_mul_hi_u32 s25, s26, s6
	s_mul_i32 s27, s26, s6
	s_mul_i32 s30, s28, s20
	s_mul_hi_u32 s6, s28, s6
	s_mul_hi_u32 s29, s28, s20
	s_add_u32 s6, s6, s30
	s_addc_u32 s29, 0, s29
	s_add_u32 s6, s6, s27
	s_mul_hi_u32 s21, s26, s20
	s_addc_u32 s6, s29, s25
	s_addc_u32 s21, s21, 0
	s_mul_i32 s20, s26, s20
	s_add_u32 s6, s6, s20
	s_addc_u32 s25, 0, s21
	s_add_u32 s6, s28, s6
	s_cselect_b64 s[20:21], -1, 0
	s_cmp_lg_u64 s[20:21], 0
	s_addc_u32 s25, s26, s25
	s_ashr_i32 s20, s7, 31
	s_add_u32 s26, s24, s20
	s_mov_b32 s21, s20
	s_addc_u32 s27, s7, s20
	s_xor_b64 s[26:27], s[26:27], s[20:21]
	s_mul_i32 s29, s26, s25
	s_mul_hi_u32 s30, s26, s6
	s_mul_hi_u32 s28, s26, s25
	s_add_u32 s29, s30, s29
	s_addc_u32 s28, 0, s28
	s_mul_hi_u32 s31, s27, s6
	s_mul_i32 s6, s27, s6
	s_add_u32 s6, s29, s6
	s_mul_hi_u32 s30, s27, s25
	s_addc_u32 s6, s28, s31
	s_addc_u32 s28, s30, 0
	s_mul_i32 s25, s27, s25
	s_add_u32 s6, s6, s25
	s_addc_u32 s25, 0, s28
	s_mul_i32 s25, s8, s25
	s_mul_hi_u32 s28, s8, s6
	s_add_i32 s25, s28, s25
	s_mul_i32 s28, s9, s6
	s_add_i32 s25, s25, s28
	s_sub_i32 s30, s27, s25
	s_mul_i32 s6, s8, s6
	s_sub_u32 s6, s26, s6
	s_cselect_b64 s[28:29], -1, 0
	s_cmp_lg_u64 s[28:29], 0
	s_subb_u32 s26, s30, s9
	s_sub_u32 s34, s6, s8
	s_cselect_b64 s[30:31], -1, 0
	s_cmp_lg_u64 s[30:31], 0
	s_subb_u32 s35, s26, 0
	s_cmp_ge_u32 s35, s9
	s_cselect_b32 s36, -1, 0
	s_cmp_ge_u32 s34, s8
	s_cselect_b32 s37, -1, 0
	s_cmp_eq_u32 s35, s9
	s_cselect_b32 s36, s37, s36
	s_cmp_lg_u64 s[30:31], 0
	s_subb_u32 s26, s26, s9
	s_sub_u32 s37, s34, s8
	s_cselect_b64 s[30:31], -1, 0
	s_cmp_lg_u64 s[30:31], 0
	s_subb_u32 s26, s26, 0
	s_cmp_lg_u32 s36, 0
	s_cselect_b32 s30, s37, s34
	s_cselect_b32 s26, s26, s35
	s_cmp_lg_u64 s[28:29], 0
	s_subb_u32 s25, s27, s25
	s_cmp_ge_u32 s25, s9
	s_cselect_b32 s27, -1, 0
	s_cmp_ge_u32 s6, s8
	s_cselect_b32 s8, -1, 0
	s_cmp_eq_u32 s25, s9
	s_cselect_b32 s8, s8, s27
	s_cmp_lg_u32 s8, 0
	s_cselect_b32 s9, s26, s25
	s_cselect_b32 s8, s30, s6
	s_xor_b64 s[8:9], s[8:9], s[20:21]
	s_sub_u32 s8, s8, s20
	s_subb_u32 s9, s9, s20
	s_cbranch_execnz .LBB36_102
.LBB36_101:                             ;   in Loop: Header=BB36_7 Depth=1
	v_cvt_f32_u32_e32 v2, s72
	s_sub_i32 s6, 0, s72
	v_rcp_iflag_f32_e32 v2, v2
	s_nop 0
	v_mul_f32_e32 v2, 0x4f7ffffe, v2
	v_cvt_u32_f32_e32 v2, v2
	s_nop 0
	v_readfirstlane_b32 s8, v2
	s_mul_i32 s6, s6, s8
	s_mul_hi_u32 s6, s8, s6
	s_add_i32 s8, s8, s6
	s_mul_hi_u32 s6, s24, s8
	s_mul_i32 s6, s6, s72
	s_sub_i32 s6, s24, s6
	s_sub_i32 s8, s6, s72
	s_cmp_ge_u32 s6, s72
	s_cselect_b32 s6, s8, s6
	s_sub_i32 s8, s6, s72
	s_cmp_ge_u32 s6, s72
	s_cselect_b32 s78, s8, s6
	s_mov_b64 s[8:9], s[78:79]
.LBB36_102:                             ;   in Loop: Header=BB36_7 Depth=1
	s_sub_u32 s8, s24, s8
	s_subb_u32 s9, s7, s9
	v_cmp_gt_i64_e32 vcc, s[8:9], v[0:1]
                                        ; implicit-def: $vgpr48
	s_and_saveexec_b64 s[6:7], vcc
	s_cbranch_execz .LBB36_111
; %bb.103:                              ;   in Loop: Header=BB36_7 Depth=1
	s_mov_b64 s[20:21], 0
	v_mov_b32_e32 v2, v39
	v_mov_b64_e32 v[8:9], v[0:1]
                                        ; implicit-def: $sgpr24_sgpr25
	s_branch .LBB36_106
.LBB36_104:                             ;   in Loop: Header=BB36_106 Depth=2
	s_or_b64 exec, exec, s[26:27]
	s_waitcnt lgkmcnt(0)
	s_barrier
	ds_read_b32 v10, v3 offset:3072
	s_mov_b64 s[26:27], -1
	s_waitcnt lgkmcnt(0)
	s_barrier
	v_cmp_ne_u32_sdwa s[28:29], v10, v3 src0_sel:WORD_0 src1_sel:DWORD
	s_and_b64 vcc, exec, s[28:29]
	s_mov_b64 s[28:29], -1
	s_cbranch_vccz .LBB36_109
.LBB36_105:                             ;   in Loop: Header=BB36_106 Depth=2
	s_and_b64 s[26:27], exec, s[26:27]
	s_or_b64 s[20:21], s[26:27], s[20:21]
	s_andn2_b64 s[24:25], s[24:25], exec
	s_and_b64 s[26:27], s[28:29], exec
	s_or_b64 s[24:25], s[24:25], s[26:27]
	s_andn2_b64 exec, exec, s[20:21]
	s_cbranch_execz .LBB36_110
.LBB36_106:                             ;   Parent Loop BB36_7 Depth=1
                                        ; =>  This Inner Loop Header: Depth=2
	v_cmp_gt_u64_e32 vcc, s[16:17], v[8:9]
	s_and_saveexec_b64 s[26:27], vcc
	s_cbranch_execz .LBB36_104
; %bb.107:                              ;   in Loop: Header=BB36_106 Depth=2
	ds_read_u16 v10, v2
	s_waitcnt lgkmcnt(0)
	v_add_u32_sdwa v11, sext(v10), s75 dst_sel:DWORD dst_unused:UNUSED_PAD src0_sel:WORD_0 src1_sel:DWORD
	v_and_b32_e32 v11, v11, v47
	v_cmp_eq_u32_e32 vcc, v11, v45
	s_and_b64 exec, exec, vcc
	s_cbranch_execz .LBB36_104
; %bb.108:                              ;   in Loop: Header=BB36_106 Depth=2
	v_perm_b32 v10, v10, 1, v46
	ds_write_b32 v3, v10 offset:3072
	s_branch .LBB36_104
.LBB36_109:                             ;   in Loop: Header=BB36_106 Depth=2
	v_lshl_add_u64 v[8:9], v[8:9], 0, s[72:73]
	v_cmp_le_i64_e32 vcc, s[8:9], v[8:9]
	v_add_u32_e32 v2, s52, v2
	s_mov_b64 s[28:29], 0
	s_orn2_b64 s[26:27], vcc, exec
	s_branch .LBB36_105
.LBB36_110:                             ;   in Loop: Header=BB36_7 Depth=1
	s_or_b64 exec, exec, s[20:21]
	s_andn2_b64 s[8:9], s[18:19], exec
	s_and_b64 s[16:17], s[24:25], exec
	v_lshrrev_b32_e32 v48, 16, v10
	s_or_b64 s[18:19], s[8:9], s[16:17]
.LBB36_111:                             ;   in Loop: Header=BB36_7 Depth=1
	s_or_b64 exec, exec, s[6:7]
	s_mov_b64 s[6:7], 0
	s_mov_b64 s[8:9], -1
.LBB36_112:                             ;   in Loop: Header=BB36_7 Depth=1
	s_orn2_b64 s[18:19], s[18:19], exec
.LBB36_113:                             ;   in Loop: Header=BB36_7 Depth=1
	s_or_b64 exec, exec, s[12:13]
	s_andn2_b64 s[12:13], s[58:59], exec
	s_and_b64 s[8:9], s[8:9], exec
	s_or_b64 s[58:59], s[12:13], s[8:9]
	s_andn2_b64 s[8:9], s[68:69], exec
	s_and_b64 s[6:7], s[6:7], exec
	s_andn2_b64 s[20:21], s[70:71], exec
	s_or_b64 s[68:69], s[8:9], s[6:7]
                                        ; implicit-def: $vgpr8_vgpr9
	s_and_saveexec_b64 s[16:17], s[18:19]
	s_cbranch_execz .LBB36_6
; %bb.114:                              ;   in Loop: Header=BB36_7 Depth=1
	s_mov_b64 s[70:71], s[20:21]
	s_xor_b64 s[6:7], s[10:11], -1
	v_mov_b32_e32 v2, 1
	s_mov_b64 s[8:9], 0
	v_mov_b64_e32 v[8:9], 1
	s_and_saveexec_b64 s[2:3], s[6:7]
	s_cbranch_execz .LBB36_123
; %bb.115:                              ;   in Loop: Header=BB36_7 Depth=1
	v_cmp_le_i64_e32 vcc, v[32:33], v[4:5]
	s_and_saveexec_b64 s[6:7], vcc
	s_xor_b64 s[6:7], exec, s[6:7]
	s_cbranch_execz .LBB36_120
; %bb.116:                              ;   in Loop: Header=BB36_7 Depth=1
	ds_read_b64 v[8:9], v3 offset:5120
	v_and_b32_e32 v45, s48, v45
	v_or_b32_e32 v47, s54, v47
	s_waitcnt lgkmcnt(0)
	v_cmp_ne_u64_e32 vcc, 0, v[8:9]
	s_cbranch_vccnz .LBB36_120
; %bb.117:                              ;   in Loop: Header=BB36_7 Depth=1
	s_mov_b64 s[8:9], exec
	v_readlane_b32 s10, v67, 8
	v_readlane_b32 s11, v67, 9
	s_and_b64 s[10:11], s[8:9], s[10:11]
	s_mov_b64 exec, s[10:11]
; %bb.118:                              ;   in Loop: Header=BB36_7 Depth=1
	ds_write_b64 v3, v[4:5] offset:5128
; %bb.119:                              ;   in Loop: Header=BB36_7 Depth=1
	s_or_b64 exec, exec, s[8:9]
	s_waitcnt lgkmcnt(0)
	s_barrier
.LBB36_120:                             ;   in Loop: Header=BB36_7 Depth=1
	s_or_saveexec_b64 s[6:7], s[6:7]
	s_mov_b64 s[8:9], 0
	v_mov_b32_e32 v2, 8
	s_xor_b64 exec, exec, s[6:7]
; %bb.121:                              ;   in Loop: Header=BB36_7 Depth=1
	v_sub_co_u32_e32 v32, vcc, v32, v4
	s_mov_b64 s[8:9], exec
	s_nop 0
	v_subb_co_u32_e32 v33, vcc, v33, v5, vcc
	v_mov_b32_e32 v2, 0
; %bb.122:                              ;   in Loop: Header=BB36_7 Depth=1
	s_or_b64 exec, exec, s[6:7]
	s_and_b64 s[8:9], s[8:9], exec
	v_mov_b64_e32 v[8:9], v[32:33]
.LBB36_123:                             ;   in Loop: Header=BB36_7 Depth=1
	s_or_b64 exec, exec, s[2:3]
	s_mov_b64 s[18:19], -1
	s_mov_b64 s[6:7], -1
                                        ; implicit-def: $sgpr2_sgpr3
                                        ; implicit-def: $sgpr24_sgpr25
	s_and_saveexec_b64 s[10:11], s[8:9]
	s_xor_b64 s[20:21], exec, s[10:11]
	s_cbranch_execz .LBB36_265
; %bb.124:                              ;   in Loop: Header=BB36_7 Depth=1
	v_cmp_eq_u64_e32 vcc, 1, v[6:7]
	v_cmp_eq_u64_e64 s[2:3], 1, v[8:9]
	s_and_b64 s[10:11], vcc, s[2:3]
                                        ; implicit-def: $sgpr24_sgpr25
                                        ; implicit-def: $sgpr2_sgpr3
	s_and_saveexec_b64 s[12:13], s[10:11]
	s_cbranch_execz .LBB36_158
; %bb.125:                              ;   in Loop: Header=BB36_7 Depth=1
	ds_read_b64 v[4:5], v3 offset:5120
	s_waitcnt lgkmcnt(0)
	s_barrier
	v_readfirstlane_b32 s26, v4
	v_readfirstlane_b32 s27, v5
	s_mov_b64 s[2:3], exec
	v_readlane_b32 s6, v67, 12
	v_readlane_b32 s7, v67, 13
	s_and_b64 s[6:7], s[2:3], s[6:7]
	s_mov_b64 exec, s[6:7]
; %bb.126:                              ;   in Loop: Header=BB36_7 Depth=1
	ds_write_b16 v40, v3
; %bb.127:                              ;   in Loop: Header=BB36_7 Depth=1
	s_or_b64 exec, exec, s[2:3]
	v_and_b32_e32 v4, s48, v45
	v_cmp_gt_i64_e64 s[6:7], s[26:27], 0
	v_lshl_or_b32 v45, 1, s33, v4
	v_or_b32_e32 v47, s54, v47
	s_mov_b64 s[2:3], -1
	s_mov_b64 s[24:25], 0
	s_and_b64 vcc, exec, s[6:7]
	s_mov_b64 s[6:7], 0
	s_mov_b64 s[8:9], -1
	s_waitcnt lgkmcnt(0)
	s_barrier
                                        ; implicit-def: $vgpr48
	s_cbranch_vccnz .LBB36_143
; %bb.128:                              ;   in Loop: Header=BB36_7 Depth=1
	s_mov_b32 s64, s79
	s_cmp_lg_u64 s[64:65], 0
	s_cbranch_scc0 .LBB36_185
; %bb.129:                              ;   in Loop: Header=BB36_7 Depth=1
	s_add_u32 s6, s72, 0
	s_addc_u32 s7, 0, 0
	s_xor_b64 s[6:7], s[6:7], 0
	v_cvt_f32_u32_e32 v4, s6
	v_cvt_f32_u32_e32 v5, s7
	s_sub_u32 s28, 0, s6
	s_subb_u32 s29, 0, s7
	v_fmac_f32_e32 v4, 0x4f800000, v5
	v_rcp_f32_e32 v4, v4
	s_nop 0
	v_mul_f32_e32 v4, 0x5f7ffffc, v4
	v_mul_f32_e32 v5, 0x2f800000, v4
	v_trunc_f32_e32 v5, v5
	v_fmac_f32_e32 v4, 0xcf800000, v5
	v_cvt_u32_f32_e32 v5, v5
	v_cvt_u32_f32_e32 v4, v4
	v_readfirstlane_b32 s30, v5
	v_readfirstlane_b32 s8, v4
	s_mul_i32 s9, s28, s30
	s_mul_hi_u32 s34, s28, s8
	s_mul_i32 s31, s29, s8
	s_add_i32 s9, s34, s9
	s_mul_i32 s35, s28, s8
	s_add_i32 s9, s9, s31
	s_mul_i32 s34, s8, s9
	s_mul_hi_u32 s36, s8, s35
	s_mul_hi_u32 s31, s8, s9
	s_add_u32 s34, s36, s34
	s_addc_u32 s31, 0, s31
	s_mul_hi_u32 s37, s30, s35
	s_mul_i32 s35, s30, s35
	s_add_u32 s34, s34, s35
	s_mul_hi_u32 s36, s30, s9
	s_addc_u32 s31, s31, s37
	s_addc_u32 s34, s36, 0
	s_mul_i32 s9, s30, s9
	s_add_u32 s9, s31, s9
	s_addc_u32 s31, 0, s34
	s_add_u32 s34, s8, s9
	s_cselect_b64 s[8:9], -1, 0
	s_cmp_lg_u64 s[8:9], 0
	s_addc_u32 s30, s30, s31
	s_mul_i32 s8, s28, s30
	s_mul_hi_u32 s9, s28, s34
	s_add_i32 s8, s9, s8
	s_mul_i32 s29, s29, s34
	s_add_i32 s8, s8, s29
	s_mul_i32 s28, s28, s34
	s_mul_hi_u32 s29, s30, s28
	s_mul_i32 s31, s30, s28
	s_mul_i32 s36, s34, s8
	s_mul_hi_u32 s28, s34, s28
	s_mul_hi_u32 s35, s34, s8
	s_add_u32 s28, s28, s36
	s_addc_u32 s35, 0, s35
	s_add_u32 s28, s28, s31
	s_mul_hi_u32 s9, s30, s8
	s_addc_u32 s28, s35, s29
	s_addc_u32 s9, s9, 0
	s_mul_i32 s8, s30, s8
	s_add_u32 s8, s28, s8
	s_addc_u32 s28, 0, s9
	s_add_u32 s31, s34, s8
	s_cselect_b64 s[8:9], -1, 0
	s_cmp_lg_u64 s[8:9], 0
	s_addc_u32 s30, s30, s28
	s_ashr_i32 s8, s65, 31
	s_add_u32 s28, s86, s8
	s_mov_b32 s9, s8
	s_addc_u32 s29, s65, s8
	s_xor_b64 s[28:29], s[28:29], s[8:9]
	s_mul_i32 s35, s28, s30
	s_mul_hi_u32 s36, s28, s31
	s_mul_hi_u32 s34, s28, s30
	s_add_u32 s35, s36, s35
	s_addc_u32 s34, 0, s34
	s_mul_hi_u32 s37, s29, s31
	s_mul_i32 s31, s29, s31
	s_add_u32 s31, s35, s31
	s_mul_hi_u32 s36, s29, s30
	s_addc_u32 s31, s34, s37
	s_addc_u32 s34, s36, 0
	s_mul_i32 s30, s29, s30
	s_add_u32 s30, s31, s30
	s_addc_u32 s31, 0, s34
	s_mul_i32 s31, s6, s31
	s_mul_hi_u32 s34, s6, s30
	s_add_i32 s31, s34, s31
	s_mul_i32 s34, s7, s30
	s_add_i32 s36, s31, s34
	s_sub_i32 s34, s29, s36
	s_mul_i32 s30, s6, s30
	s_sub_u32 s28, s28, s30
	s_cselect_b64 s[30:31], -1, 0
	s_cmp_lg_u64 s[30:31], 0
	s_subb_u32 s37, s34, s7
	s_sub_u32 s38, s28, s6
	s_cselect_b64 s[34:35], -1, 0
	s_cmp_lg_u64 s[34:35], 0
	s_subb_u32 s39, s37, 0
	s_cmp_ge_u32 s39, s7
	s_cselect_b32 s40, -1, 0
	s_cmp_ge_u32 s38, s6
	s_cselect_b32 s41, -1, 0
	s_cmp_eq_u32 s39, s7
	s_cselect_b32 s40, s41, s40
	s_cmp_lg_u64 s[34:35], 0
	s_subb_u32 s37, s37, s7
	s_sub_u32 s41, s38, s6
	s_cselect_b64 s[34:35], -1, 0
	s_cmp_lg_u64 s[34:35], 0
	s_subb_u32 s34, s37, 0
	s_cmp_lg_u32 s40, 0
	s_cselect_b32 s35, s41, s38
	s_cselect_b32 s34, s34, s39
	s_cmp_lg_u64 s[30:31], 0
	s_subb_u32 s29, s29, s36
	s_cmp_ge_u32 s29, s7
	s_cselect_b32 s30, -1, 0
	s_cmp_ge_u32 s28, s6
	s_cselect_b32 s6, -1, 0
	s_cmp_eq_u32 s29, s7
	s_cselect_b32 s6, s6, s30
	s_cmp_lg_u32 s6, 0
	s_cselect_b32 s7, s34, s29
	s_cselect_b32 s6, s35, s28
	s_xor_b64 s[6:7], s[6:7], s[8:9]
	s_sub_u32 s6, s6, s8
	s_subb_u32 s7, s7, s8
	s_cbranch_execnz .LBB36_131
.LBB36_130:                             ;   in Loop: Header=BB36_7 Depth=1
	v_cvt_f32_u32_e32 v4, s72
	s_sub_i32 s6, 0, s72
	v_rcp_iflag_f32_e32 v4, v4
	s_nop 0
	v_mul_f32_e32 v4, 0x4f7ffffe, v4
	v_cvt_u32_f32_e32 v4, v4
	s_nop 0
	v_readfirstlane_b32 s7, v4
	s_mul_i32 s6, s6, s7
	s_mul_hi_u32 s6, s7, s6
	s_add_i32 s7, s7, s6
	s_mul_hi_u32 s6, s86, s7
	s_mul_i32 s6, s6, s72
	s_sub_i32 s6, s86, s6
	s_sub_i32 s7, s6, s72
	s_cmp_ge_u32 s6, s72
	s_cselect_b32 s6, s7, s6
	s_sub_i32 s7, s6, s72
	s_cmp_ge_u32 s6, s72
	s_cselect_b32 s78, s7, s6
	s_mov_b64 s[6:7], s[78:79]
.LBB36_131:                             ;   in Loop: Header=BB36_7 Depth=1
	s_sub_u32 s30, s86, s6
	s_subb_u32 s31, s65, s7
	v_cmp_gt_i64_e32 vcc, s[30:31], v[0:1]
	s_mov_b64 s[8:9], 0
	s_mov_b64 s[6:7], 0
                                        ; implicit-def: $vgpr48
	s_and_saveexec_b64 s[28:29], vcc
	s_cbranch_execz .LBB36_142
; %bb.132:                              ;   in Loop: Header=BB36_7 Depth=1
	v_mov_b64_e32 v[4:5], v[12:13]
	v_mov_b64_e32 v[10:11], v[0:1]
                                        ; implicit-def: $sgpr34_sgpr35
	s_branch .LBB36_135
.LBB36_133:                             ;   in Loop: Header=BB36_135 Depth=2
	s_or_b64 exec, exec, s[36:37]
	s_waitcnt lgkmcnt(0)
	s_barrier
	ds_read_b32 v32, v3 offset:3072
	s_mov_b64 s[36:37], -1
	s_waitcnt lgkmcnt(0)
	s_barrier
	v_cmp_ne_u32_sdwa s[38:39], v32, v3 src0_sel:WORD_0 src1_sel:DWORD
	s_and_b64 vcc, exec, s[38:39]
	s_mov_b64 s[38:39], -1
	s_cbranch_vccz .LBB36_138
.LBB36_134:                             ;   in Loop: Header=BB36_135 Depth=2
	s_and_b64 s[36:37], exec, s[36:37]
	s_or_b64 s[6:7], s[36:37], s[6:7]
	s_andn2_b64 s[34:35], s[34:35], exec
	s_and_b64 s[36:37], s[38:39], exec
	s_or_b64 s[34:35], s[34:35], s[36:37]
	s_andn2_b64 exec, exec, s[6:7]
	s_cbranch_execz .LBB36_141
.LBB36_135:                             ;   Parent Loop BB36_7 Depth=1
                                        ; =>  This Inner Loop Header: Depth=2
	v_cmp_gt_i64_e32 vcc, s[56:57], v[10:11]
	s_and_saveexec_b64 s[36:37], vcc
	s_cbranch_execz .LBB36_133
; %bb.136:                              ;   in Loop: Header=BB36_135 Depth=2
	global_load_ushort v32, v[4:5], off
	s_waitcnt vmcnt(0)
	v_add_u32_sdwa v33, sext(v32), s75 dst_sel:DWORD dst_unused:UNUSED_PAD src0_sel:WORD_0 src1_sel:DWORD
	v_and_b32_e32 v33, v33, v47
	v_cmp_eq_u32_e32 vcc, v33, v45
	s_and_b64 exec, exec, vcc
	s_cbranch_execz .LBB36_133
; %bb.137:                              ;   in Loop: Header=BB36_135 Depth=2
	v_perm_b32 v32, v32, 1, v46
	ds_write_b32 v3, v32 offset:3072
	s_branch .LBB36_133
.LBB36_138:                             ;   in Loop: Header=BB36_135 Depth=2
	v_lshl_add_u64 v[10:11], v[10:11], 0, s[72:73]
	v_cmp_le_i64_e32 vcc, s[30:31], v[10:11]
	v_lshl_add_u64 v[4:5], v[4:5], 0, s[76:77]
	s_mov_b64 s[38:39], 0
	s_orn2_b64 s[36:37], vcc, exec
	s_branch .LBB36_134
.LBB36_139:                             ;   in Loop: Header=BB36_7 Depth=1
                                        ; implicit-def: $sgpr18_sgpr19
	s_andn2_b64 vcc, exec, s[20:21]
	s_cbranch_vccz .LBB36_87
	s_branch .LBB36_88
.LBB36_140:                             ;   in Loop: Header=BB36_7 Depth=1
                                        ; implicit-def: $sgpr8_sgpr9
	s_branch .LBB36_101
.LBB36_141:                             ;   in Loop: Header=BB36_7 Depth=1
	s_or_b64 exec, exec, s[6:7]
	v_lshrrev_b32_e32 v48, 16, v32
	s_and_b64 s[6:7], s[34:35], exec
.LBB36_142:                             ;   in Loop: Header=BB36_7 Depth=1
	s_or_b64 exec, exec, s[28:29]
.LBB36_143:                             ;   in Loop: Header=BB36_7 Depth=1
	s_and_b64 vcc, exec, s[8:9]
	s_cbranch_vccz .LBB36_157
; %bb.144:                              ;   in Loop: Header=BB36_7 Depth=1
	v_readlane_b32 s2, v67, 20
	s_add_u32 s28, s26, s2
	v_readlane_b32 s2, v67, 21
	s_addc_u32 s3, s27, s2
	s_mov_b32 s2, s79
	s_cmp_lg_u64 s[2:3], 0
	s_cbranch_scc0 .LBB36_186
; %bb.145:                              ;   in Loop: Header=BB36_7 Depth=1
	s_add_u32 s8, s72, 0
	s_addc_u32 s9, 0, 0
	s_xor_b64 s[8:9], s[8:9], 0
	v_cvt_f32_u32_e32 v4, s8
	v_cvt_f32_u32_e32 v5, s9
	s_sub_u32 s2, 0, s8
	s_subb_u32 s29, 0, s9
	v_fmac_f32_e32 v4, 0x4f800000, v5
	v_rcp_f32_e32 v4, v4
	s_nop 0
	v_mul_f32_e32 v4, 0x5f7ffffc, v4
	v_mul_f32_e32 v5, 0x2f800000, v4
	v_trunc_f32_e32 v5, v5
	v_fmac_f32_e32 v4, 0xcf800000, v5
	v_cvt_u32_f32_e32 v5, v5
	v_cvt_u32_f32_e32 v4, v4
	v_readfirstlane_b32 s30, v5
	v_readfirstlane_b32 s24, v4
	s_mul_i32 s25, s2, s30
	s_mul_hi_u32 s34, s2, s24
	s_mul_i32 s31, s29, s24
	s_add_i32 s25, s34, s25
	s_mul_i32 s35, s2, s24
	s_add_i32 s25, s25, s31
	s_mul_i32 s34, s24, s25
	s_mul_hi_u32 s36, s24, s35
	s_mul_hi_u32 s31, s24, s25
	s_add_u32 s34, s36, s34
	s_addc_u32 s31, 0, s31
	s_mul_hi_u32 s37, s30, s35
	s_mul_i32 s35, s30, s35
	s_add_u32 s34, s34, s35
	s_mul_hi_u32 s36, s30, s25
	s_addc_u32 s31, s31, s37
	s_addc_u32 s34, s36, 0
	s_mul_i32 s25, s30, s25
	s_add_u32 s25, s31, s25
	s_addc_u32 s31, 0, s34
	s_add_u32 s34, s24, s25
	s_cselect_b64 s[24:25], -1, 0
	s_cmp_lg_u64 s[24:25], 0
	s_addc_u32 s30, s30, s31
	s_mul_i32 s24, s2, s30
	s_mul_hi_u32 s25, s2, s34
	s_add_i32 s24, s25, s24
	s_mul_i32 s29, s29, s34
	s_add_i32 s24, s24, s29
	s_mul_i32 s2, s2, s34
	s_mul_hi_u32 s29, s30, s2
	s_mul_i32 s31, s30, s2
	s_mul_i32 s36, s34, s24
	s_mul_hi_u32 s2, s34, s2
	s_mul_hi_u32 s35, s34, s24
	s_add_u32 s2, s2, s36
	s_addc_u32 s35, 0, s35
	s_add_u32 s2, s2, s31
	s_mul_hi_u32 s25, s30, s24
	s_addc_u32 s2, s35, s29
	s_addc_u32 s25, s25, 0
	s_mul_i32 s24, s30, s24
	s_add_u32 s2, s2, s24
	s_addc_u32 s29, 0, s25
	s_add_u32 s2, s34, s2
	s_cselect_b64 s[24:25], -1, 0
	s_cmp_lg_u64 s[24:25], 0
	s_addc_u32 s29, s30, s29
	s_ashr_i32 s24, s3, 31
	s_add_u32 s30, s28, s24
	s_mov_b32 s25, s24
	s_addc_u32 s31, s3, s24
	s_xor_b64 s[30:31], s[30:31], s[24:25]
	s_mul_i32 s35, s30, s29
	s_mul_hi_u32 s36, s30, s2
	s_mul_hi_u32 s34, s30, s29
	s_add_u32 s35, s36, s35
	s_addc_u32 s34, 0, s34
	s_mul_hi_u32 s37, s31, s2
	s_mul_i32 s2, s31, s2
	s_add_u32 s2, s35, s2
	s_mul_hi_u32 s36, s31, s29
	s_addc_u32 s2, s34, s37
	s_addc_u32 s34, s36, 0
	s_mul_i32 s29, s31, s29
	s_add_u32 s2, s2, s29
	s_addc_u32 s29, 0, s34
	s_mul_i32 s29, s8, s29
	s_mul_hi_u32 s34, s8, s2
	s_add_i32 s29, s34, s29
	s_mul_i32 s34, s9, s2
	s_add_i32 s29, s29, s34
	s_sub_i32 s36, s31, s29
	s_mul_i32 s2, s8, s2
	s_sub_u32 s2, s30, s2
	s_cselect_b64 s[34:35], -1, 0
	s_cmp_lg_u64 s[34:35], 0
	s_subb_u32 s30, s36, s9
	s_sub_u32 s38, s2, s8
	s_cselect_b64 s[36:37], -1, 0
	s_cmp_lg_u64 s[36:37], 0
	s_subb_u32 s39, s30, 0
	s_cmp_ge_u32 s39, s9
	s_cselect_b32 s40, -1, 0
	s_cmp_ge_u32 s38, s8
	s_cselect_b32 s41, -1, 0
	s_cmp_eq_u32 s39, s9
	s_cselect_b32 s40, s41, s40
	s_cmp_lg_u64 s[36:37], 0
	s_subb_u32 s30, s30, s9
	s_sub_u32 s41, s38, s8
	s_cselect_b64 s[36:37], -1, 0
	s_cmp_lg_u64 s[36:37], 0
	s_subb_u32 s30, s30, 0
	s_cmp_lg_u32 s40, 0
	s_cselect_b32 s36, s41, s38
	s_cselect_b32 s30, s30, s39
	s_cmp_lg_u64 s[34:35], 0
	s_subb_u32 s29, s31, s29
	s_cmp_ge_u32 s29, s9
	s_cselect_b32 s31, -1, 0
	s_cmp_ge_u32 s2, s8
	s_cselect_b32 s8, -1, 0
	s_cmp_eq_u32 s29, s9
	s_cselect_b32 s8, s8, s31
	s_cmp_lg_u32 s8, 0
	s_cselect_b32 s9, s30, s29
	s_cselect_b32 s8, s36, s2
	s_xor_b64 s[8:9], s[8:9], s[24:25]
	s_sub_u32 s8, s8, s24
	s_subb_u32 s9, s9, s24
	s_cbranch_execnz .LBB36_147
.LBB36_146:                             ;   in Loop: Header=BB36_7 Depth=1
	v_cvt_f32_u32_e32 v4, s72
	s_sub_i32 s2, 0, s72
	v_rcp_iflag_f32_e32 v4, v4
	s_nop 0
	v_mul_f32_e32 v4, 0x4f7ffffe, v4
	v_cvt_u32_f32_e32 v4, v4
	s_nop 0
	v_readfirstlane_b32 s8, v4
	s_mul_i32 s2, s2, s8
	s_mul_hi_u32 s2, s8, s2
	s_add_i32 s8, s8, s2
	s_mul_hi_u32 s2, s28, s8
	s_mul_i32 s2, s2, s72
	s_sub_i32 s2, s28, s2
	s_sub_i32 s8, s2, s72
	s_cmp_ge_u32 s2, s72
	s_cselect_b32 s2, s8, s2
	s_sub_i32 s8, s2, s72
	s_cmp_ge_u32 s2, s72
	s_cselect_b32 s78, s8, s2
	s_mov_b64 s[8:9], s[78:79]
.LBB36_147:                             ;   in Loop: Header=BB36_7 Depth=1
	s_sub_u32 s8, s28, s8
	s_subb_u32 s9, s3, s9
	v_cmp_gt_i64_e32 vcc, s[8:9], v[0:1]
                                        ; implicit-def: $vgpr48
	s_and_saveexec_b64 s[2:3], vcc
	s_cbranch_execz .LBB36_156
; %bb.148:                              ;   in Loop: Header=BB36_7 Depth=1
	s_mov_b64 s[24:25], 0
	v_mov_b32_e32 v10, v39
	v_mov_b64_e32 v[4:5], v[0:1]
                                        ; implicit-def: $sgpr28_sgpr29
	s_branch .LBB36_151
.LBB36_149:                             ;   in Loop: Header=BB36_151 Depth=2
	s_or_b64 exec, exec, s[30:31]
	s_waitcnt lgkmcnt(0)
	s_barrier
	ds_read_b32 v11, v3 offset:3072
	s_mov_b64 s[30:31], -1
	s_waitcnt lgkmcnt(0)
	s_barrier
	v_cmp_eq_u32_sdwa s[34:35], v11, v3 src0_sel:WORD_0 src1_sel:DWORD
	s_and_b64 vcc, exec, s[34:35]
	s_mov_b64 s[34:35], -1
	s_cbranch_vccnz .LBB36_154
.LBB36_150:                             ;   in Loop: Header=BB36_151 Depth=2
	s_and_b64 s[30:31], exec, s[30:31]
	s_or_b64 s[24:25], s[30:31], s[24:25]
	s_andn2_b64 s[28:29], s[28:29], exec
	s_and_b64 s[30:31], s[34:35], exec
	s_or_b64 s[28:29], s[28:29], s[30:31]
	s_andn2_b64 exec, exec, s[24:25]
	s_cbranch_execz .LBB36_155
.LBB36_151:                             ;   Parent Loop BB36_7 Depth=1
                                        ; =>  This Inner Loop Header: Depth=2
	v_cmp_gt_u64_e32 vcc, s[26:27], v[4:5]
	s_and_saveexec_b64 s[30:31], vcc
	s_cbranch_execz .LBB36_149
; %bb.152:                              ;   in Loop: Header=BB36_151 Depth=2
	ds_read_u16 v11, v10
	s_waitcnt lgkmcnt(0)
	v_add_u32_sdwa v32, sext(v11), s75 dst_sel:DWORD dst_unused:UNUSED_PAD src0_sel:WORD_0 src1_sel:DWORD
	v_and_b32_e32 v32, v32, v47
	v_cmp_eq_u32_e32 vcc, v32, v45
	s_and_b64 exec, exec, vcc
	s_cbranch_execz .LBB36_149
; %bb.153:                              ;   in Loop: Header=BB36_151 Depth=2
	v_perm_b32 v11, v11, 1, v46
	ds_write_b32 v3, v11 offset:3072
	s_branch .LBB36_149
.LBB36_154:                             ;   in Loop: Header=BB36_151 Depth=2
	v_lshl_add_u64 v[4:5], v[4:5], 0, s[72:73]
	v_cmp_le_i64_e32 vcc, s[8:9], v[4:5]
	v_add_u32_e32 v10, s52, v10
	s_mov_b64 s[34:35], 0
	s_orn2_b64 s[30:31], vcc, exec
	s_branch .LBB36_150
.LBB36_155:                             ;   in Loop: Header=BB36_7 Depth=1
	s_or_b64 exec, exec, s[24:25]
	s_andn2_b64 s[6:7], s[6:7], exec
	s_and_b64 s[8:9], s[28:29], exec
	v_lshrrev_b32_e32 v48, 16, v11
	s_or_b64 s[6:7], s[6:7], s[8:9]
.LBB36_156:                             ;   in Loop: Header=BB36_7 Depth=1
	s_or_b64 exec, exec, s[2:3]
	s_mov_b64 s[2:3], 0
	s_mov_b64 s[24:25], -1
.LBB36_157:                             ;   in Loop: Header=BB36_7 Depth=1
	s_orn2_b64 s[6:7], s[6:7], exec
.LBB36_158:                             ;   in Loop: Header=BB36_7 Depth=1
	s_or_b64 exec, exec, s[12:13]
	s_mov_b64 s[8:9], 0
	s_and_saveexec_b64 s[26:27], s[6:7]
	s_cbranch_execz .LBB36_264
; %bb.159:                              ;   in Loop: Header=BB36_7 Depth=1
	s_xor_b64 s[10:11], s[10:11], -1
	v_mov_b32_e32 v2, 1
	v_mov_b64_e32 v[4:5], 1
	s_and_saveexec_b64 s[6:7], s[10:11]
	s_cbranch_execz .LBB36_169
; %bb.160:                              ;   in Loop: Header=BB36_7 Depth=1
	v_cmp_le_i64_e32 vcc, v[8:9], v[6:7]
	s_and_saveexec_b64 s[8:9], vcc
	s_xor_b64 s[8:9], exec, s[8:9]
	s_cbranch_execz .LBB36_166
; %bb.161:                              ;   in Loop: Header=BB36_7 Depth=1
	ds_read_b64 v[4:5], v3 offset:5120
	v_and_b32_e32 v2, s48, v45
	v_lshl_or_b32 v45, 1, s33, v2
	v_or_b32_e32 v47, s54, v47
	s_waitcnt lgkmcnt(0)
	v_cmp_ne_u64_e32 vcc, 0, v[4:5]
	s_cbranch_vccnz .LBB36_165
; %bb.162:                              ;   in Loop: Header=BB36_7 Depth=1
	s_mov_b64 s[10:11], exec
	v_readlane_b32 s12, v67, 8
	v_readlane_b32 s13, v67, 9
	s_and_b64 s[12:13], s[10:11], s[12:13]
	s_mov_b64 exec, s[12:13]
; %bb.163:                              ;   in Loop: Header=BB36_7 Depth=1
	ds_write_b64 v3, v[6:7] offset:5128
; %bb.164:                              ;   in Loop: Header=BB36_7 Depth=1
	s_or_b64 exec, exec, s[10:11]
	s_waitcnt lgkmcnt(0)
	s_barrier
.LBB36_165:                             ;   in Loop: Header=BB36_7 Depth=1
                                        ; implicit-def: $vgpr4_vgpr5_vgpr6_vgpr7
.LBB36_166:                             ;   in Loop: Header=BB36_7 Depth=1
	s_or_saveexec_b64 s[8:9], s[8:9]
	s_mov_b64 s[10:11], 0
	v_mov_b32_e32 v2, 8
	s_xor_b64 exec, exec, s[8:9]
; %bb.167:                              ;   in Loop: Header=BB36_7 Depth=1
	v_sub_co_u32_e32 v8, vcc, v8, v6
	s_mov_b64 s[10:11], exec
	s_nop 0
	v_subb_co_u32_e32 v9, vcc, v9, v7, vcc
	v_mov_b32_e32 v2, 0
; %bb.168:                              ;   in Loop: Header=BB36_7 Depth=1
	s_or_b64 exec, exec, s[8:9]
	s_and_b64 s[8:9], s[10:11], exec
	v_mov_b64_e32 v[4:5], v[8:9]
.LBB36_169:                             ;   in Loop: Header=BB36_7 Depth=1
	s_or_b64 exec, exec, s[6:7]
	s_mov_b64 s[6:7], -1
                                        ; implicit-def: $sgpr28_sgpr29
                                        ; implicit-def: $sgpr34_sgpr35
	s_and_saveexec_b64 s[12:13], s[8:9]
	s_cbranch_execz .LBB36_263
; %bb.170:                              ;   in Loop: Header=BB36_7 Depth=1
	s_cmp_eq_u64 s[22:23], 1
	s_cselect_b64 s[6:7], -1, 0
	v_cmp_eq_u64_e32 vcc, 1, v[4:5]
	s_and_b64 s[10:11], s[6:7], vcc
	s_mov_b64 s[6:7], -1
                                        ; implicit-def: $sgpr34_sgpr35
                                        ; implicit-def: $sgpr28_sgpr29
	s_and_saveexec_b64 s[36:37], s[10:11]
	s_cbranch_execz .LBB36_204
; %bb.171:                              ;   in Loop: Header=BB36_7 Depth=1
	ds_read_b64 v[6:7], v3 offset:5120
	s_waitcnt lgkmcnt(0)
	s_barrier
	v_readfirstlane_b32 s38, v6
	v_readfirstlane_b32 s39, v7
	s_mov_b64 s[6:7], exec
	v_readlane_b32 s8, v67, 12
	v_readlane_b32 s9, v67, 13
	s_and_b64 s[8:9], s[6:7], s[8:9]
	s_mov_b64 exec, s[8:9]
; %bb.172:                              ;   in Loop: Header=BB36_7 Depth=1
	ds_write_b16 v40, v3
; %bb.173:                              ;   in Loop: Header=BB36_7 Depth=1
	s_or_b64 exec, exec, s[6:7]
	v_and_b32_e32 v6, s48, v45
	v_cmp_gt_i64_e64 s[6:7], s[38:39], 0
	v_lshl_or_b32 v45, 2, s33, v6
	v_or_b32_e32 v47, s54, v47
	s_mov_b64 s[28:29], -1
	s_mov_b64 s[34:35], 0
	s_and_b64 vcc, exec, s[6:7]
	s_mov_b64 s[6:7], 0
	s_mov_b64 s[8:9], -1
	s_waitcnt lgkmcnt(0)
	s_barrier
                                        ; implicit-def: $vgpr48
	s_cbranch_vccnz .LBB36_189
; %bb.174:                              ;   in Loop: Header=BB36_7 Depth=1
	s_mov_b32 s64, s79
	s_cmp_lg_u64 s[64:65], 0
	s_cbranch_scc0 .LBB36_230
; %bb.175:                              ;   in Loop: Header=BB36_7 Depth=1
	s_add_u32 s6, s72, 0
	s_addc_u32 s7, 0, 0
	s_xor_b64 s[6:7], s[6:7], 0
	v_cvt_f32_u32_e32 v6, s6
	v_cvt_f32_u32_e32 v7, s7
	s_sub_u32 s30, 0, s6
	s_subb_u32 s31, 0, s7
	v_fmac_f32_e32 v6, 0x4f800000, v7
	v_rcp_f32_e32 v6, v6
	s_nop 0
	v_mul_f32_e32 v6, 0x5f7ffffc, v6
	v_mul_f32_e32 v7, 0x2f800000, v6
	v_trunc_f32_e32 v7, v7
	v_fmac_f32_e32 v6, 0xcf800000, v7
	v_cvt_u32_f32_e32 v7, v7
	v_cvt_u32_f32_e32 v6, v6
	v_readfirstlane_b32 s40, v7
	v_readfirstlane_b32 s8, v6
	s_mul_i32 s9, s30, s40
	s_mul_hi_u32 s42, s30, s8
	s_mul_i32 s41, s31, s8
	s_add_i32 s9, s42, s9
	s_mul_i32 s43, s30, s8
	s_add_i32 s9, s9, s41
	s_mul_i32 s42, s8, s9
	s_mul_hi_u32 s44, s8, s43
	s_mul_hi_u32 s41, s8, s9
	s_add_u32 s42, s44, s42
	s_addc_u32 s41, 0, s41
	s_mul_hi_u32 s45, s40, s43
	s_mul_i32 s43, s40, s43
	s_add_u32 s42, s42, s43
	s_mul_hi_u32 s44, s40, s9
	s_addc_u32 s41, s41, s45
	s_addc_u32 s42, s44, 0
	s_mul_i32 s9, s40, s9
	s_add_u32 s9, s41, s9
	s_addc_u32 s41, 0, s42
	s_add_u32 s42, s8, s9
	s_cselect_b64 s[8:9], -1, 0
	s_cmp_lg_u64 s[8:9], 0
	s_addc_u32 s40, s40, s41
	s_mul_i32 s8, s30, s40
	s_mul_hi_u32 s9, s30, s42
	s_add_i32 s8, s9, s8
	s_mul_i32 s31, s31, s42
	s_add_i32 s8, s8, s31
	s_mul_i32 s30, s30, s42
	s_mul_hi_u32 s31, s40, s30
	s_mul_i32 s41, s40, s30
	s_mul_i32 s44, s42, s8
	s_mul_hi_u32 s30, s42, s30
	s_mul_hi_u32 s43, s42, s8
	s_add_u32 s30, s30, s44
	s_addc_u32 s43, 0, s43
	s_add_u32 s30, s30, s41
	s_mul_hi_u32 s9, s40, s8
	s_addc_u32 s30, s43, s31
	s_addc_u32 s9, s9, 0
	s_mul_i32 s8, s40, s8
	s_add_u32 s8, s30, s8
	s_addc_u32 s30, 0, s9
	s_add_u32 s41, s42, s8
	s_cselect_b64 s[8:9], -1, 0
	s_cmp_lg_u64 s[8:9], 0
	s_addc_u32 s40, s40, s30
	s_ashr_i32 s8, s65, 31
	s_add_u32 s30, s86, s8
	s_mov_b32 s9, s8
	s_addc_u32 s31, s65, s8
	s_xor_b64 s[30:31], s[30:31], s[8:9]
	s_mul_i32 s43, s30, s40
	s_mul_hi_u32 s44, s30, s41
	s_mul_hi_u32 s42, s30, s40
	s_add_u32 s43, s44, s43
	s_addc_u32 s42, 0, s42
	s_mul_hi_u32 s45, s31, s41
	s_mul_i32 s41, s31, s41
	s_add_u32 s41, s43, s41
	s_mul_hi_u32 s44, s31, s40
	s_addc_u32 s41, s42, s45
	s_addc_u32 s42, s44, 0
	s_mul_i32 s40, s31, s40
	s_add_u32 s40, s41, s40
	s_addc_u32 s41, 0, s42
	s_mul_i32 s41, s6, s41
	s_mul_hi_u32 s42, s6, s40
	s_add_i32 s41, s42, s41
	s_mul_i32 s42, s7, s40
	s_add_i32 s44, s41, s42
	s_sub_i32 s42, s31, s44
	s_mul_i32 s40, s6, s40
	s_sub_u32 s30, s30, s40
	s_cselect_b64 s[40:41], -1, 0
	s_cmp_lg_u64 s[40:41], 0
	s_subb_u32 s45, s42, s7
	s_sub_u32 s46, s30, s6
	s_cselect_b64 s[42:43], -1, 0
	s_cmp_lg_u64 s[42:43], 0
	s_subb_u32 s47, s45, 0
	s_cmp_ge_u32 s47, s7
	s_cselect_b32 s49, -1, 0
	s_cmp_ge_u32 s46, s6
	s_cselect_b32 s50, -1, 0
	s_cmp_eq_u32 s47, s7
	s_cselect_b32 s49, s50, s49
	s_cmp_lg_u64 s[42:43], 0
	s_subb_u32 s45, s45, s7
	s_sub_u32 s50, s46, s6
	s_cselect_b64 s[42:43], -1, 0
	s_cmp_lg_u64 s[42:43], 0
	s_subb_u32 s42, s45, 0
	s_cmp_lg_u32 s49, 0
	s_cselect_b32 s43, s50, s46
	s_cselect_b32 s42, s42, s47
	s_cmp_lg_u64 s[40:41], 0
	s_subb_u32 s31, s31, s44
	s_cmp_ge_u32 s31, s7
	s_cselect_b32 s40, -1, 0
	s_cmp_ge_u32 s30, s6
	s_cselect_b32 s6, -1, 0
	s_cmp_eq_u32 s31, s7
	s_cselect_b32 s6, s6, s40
	s_cmp_lg_u32 s6, 0
	s_cselect_b32 s7, s42, s31
	s_cselect_b32 s6, s43, s30
	s_xor_b64 s[6:7], s[6:7], s[8:9]
	s_sub_u32 s6, s6, s8
	s_subb_u32 s7, s7, s8
	s_cbranch_execnz .LBB36_177
.LBB36_176:                             ;   in Loop: Header=BB36_7 Depth=1
	v_cvt_f32_u32_e32 v6, s72
	s_sub_i32 s6, 0, s72
	v_rcp_iflag_f32_e32 v6, v6
	s_nop 0
	v_mul_f32_e32 v6, 0x4f7ffffe, v6
	v_cvt_u32_f32_e32 v6, v6
	s_nop 0
	v_readfirstlane_b32 s7, v6
	s_mul_i32 s6, s6, s7
	s_mul_hi_u32 s6, s7, s6
	s_add_i32 s7, s7, s6
	s_mul_hi_u32 s6, s86, s7
	s_mul_i32 s6, s6, s72
	s_sub_i32 s6, s86, s6
	s_sub_i32 s7, s6, s72
	s_cmp_ge_u32 s6, s72
	s_cselect_b32 s6, s7, s6
	s_sub_i32 s7, s6, s72
	s_cmp_ge_u32 s6, s72
	s_cselect_b32 s78, s7, s6
	s_mov_b64 s[6:7], s[78:79]
.LBB36_177:                             ;   in Loop: Header=BB36_7 Depth=1
	s_sub_u32 s40, s86, s6
	s_subb_u32 s41, s65, s7
	v_cmp_gt_i64_e32 vcc, s[40:41], v[0:1]
	s_mov_b64 s[8:9], 0
	s_mov_b64 s[6:7], 0
                                        ; implicit-def: $vgpr48
	s_and_saveexec_b64 s[30:31], vcc
	v_readlane_b32 s50, v67, 43
	s_cbranch_execz .LBB36_188
; %bb.178:                              ;   in Loop: Header=BB36_7 Depth=1
	v_mov_b64_e32 v[6:7], v[12:13]
	v_mov_b64_e32 v[8:9], v[0:1]
                                        ; implicit-def: $sgpr42_sgpr43
	s_branch .LBB36_181
.LBB36_179:                             ;   in Loop: Header=BB36_181 Depth=2
	s_or_b64 exec, exec, s[44:45]
	s_waitcnt lgkmcnt(0)
	s_barrier
	ds_read_b32 v10, v3 offset:3072
	s_mov_b64 s[44:45], -1
	s_waitcnt lgkmcnt(0)
	s_barrier
	v_cmp_ne_u32_sdwa s[46:47], v10, v3 src0_sel:WORD_0 src1_sel:DWORD
	s_and_b64 vcc, exec, s[46:47]
	s_mov_b64 s[46:47], -1
	s_cbranch_vccz .LBB36_184
.LBB36_180:                             ;   in Loop: Header=BB36_181 Depth=2
	s_and_b64 s[44:45], exec, s[44:45]
	s_or_b64 s[6:7], s[44:45], s[6:7]
	s_andn2_b64 s[42:43], s[42:43], exec
	s_and_b64 s[44:45], s[46:47], exec
	s_or_b64 s[42:43], s[42:43], s[44:45]
	s_andn2_b64 exec, exec, s[6:7]
	s_cbranch_execz .LBB36_187
.LBB36_181:                             ;   Parent Loop BB36_7 Depth=1
                                        ; =>  This Inner Loop Header: Depth=2
	v_cmp_gt_i64_e32 vcc, s[56:57], v[8:9]
	s_and_saveexec_b64 s[44:45], vcc
	s_cbranch_execz .LBB36_179
; %bb.182:                              ;   in Loop: Header=BB36_181 Depth=2
	global_load_ushort v10, v[6:7], off
	s_waitcnt vmcnt(0)
	v_add_u32_sdwa v11, sext(v10), s75 dst_sel:DWORD dst_unused:UNUSED_PAD src0_sel:WORD_0 src1_sel:DWORD
	v_and_b32_e32 v11, v11, v47
	v_cmp_eq_u32_e32 vcc, v11, v45
	s_and_b64 exec, exec, vcc
	s_cbranch_execz .LBB36_179
; %bb.183:                              ;   in Loop: Header=BB36_181 Depth=2
	v_perm_b32 v10, v10, 1, v46
	ds_write_b32 v3, v10 offset:3072
	s_branch .LBB36_179
.LBB36_184:                             ;   in Loop: Header=BB36_181 Depth=2
	v_lshl_add_u64 v[8:9], v[8:9], 0, s[72:73]
	v_cmp_le_i64_e32 vcc, s[40:41], v[8:9]
	v_lshl_add_u64 v[6:7], v[6:7], 0, s[76:77]
	s_mov_b64 s[46:47], 0
	s_orn2_b64 s[44:45], vcc, exec
	s_branch .LBB36_180
.LBB36_185:                             ;   in Loop: Header=BB36_7 Depth=1
                                        ; implicit-def: $sgpr6_sgpr7
	s_andn2_b64 vcc, exec, s[8:9]
	s_cbranch_vccz .LBB36_130
	s_branch .LBB36_131
.LBB36_186:                             ;   in Loop: Header=BB36_7 Depth=1
                                        ; implicit-def: $sgpr8_sgpr9
	s_branch .LBB36_146
.LBB36_187:                             ;   in Loop: Header=BB36_7 Depth=1
	s_or_b64 exec, exec, s[6:7]
	v_lshrrev_b32_e32 v48, 16, v10
	s_and_b64 s[6:7], s[42:43], exec
.LBB36_188:                             ;   in Loop: Header=BB36_7 Depth=1
	s_or_b64 exec, exec, s[30:31]
.LBB36_189:                             ;   in Loop: Header=BB36_7 Depth=1
	s_and_b64 vcc, exec, s[8:9]
	s_cbranch_vccz .LBB36_203
; %bb.190:                              ;   in Loop: Header=BB36_7 Depth=1
	v_readlane_b32 s8, v67, 20
	s_add_u32 s34, s38, s8
	v_readlane_b32 s8, v67, 21
	s_addc_u32 s9, s39, s8
	s_mov_b32 s8, s79
	s_cmp_lg_u64 s[8:9], 0
	s_cbranch_scc0 .LBB36_231
; %bb.191:                              ;   in Loop: Header=BB36_7 Depth=1
	s_add_u32 s28, s72, 0
	s_addc_u32 s29, 0, 0
	s_xor_b64 s[28:29], s[28:29], 0
	v_cvt_f32_u32_e32 v6, s28
	v_cvt_f32_u32_e32 v7, s29
	s_sub_u32 s8, 0, s28
	s_subb_u32 s35, 0, s29
	v_fmac_f32_e32 v6, 0x4f800000, v7
	v_rcp_f32_e32 v6, v6
	s_nop 0
	v_mul_f32_e32 v6, 0x5f7ffffc, v6
	v_mul_f32_e32 v7, 0x2f800000, v6
	v_trunc_f32_e32 v7, v7
	v_fmac_f32_e32 v6, 0xcf800000, v7
	v_cvt_u32_f32_e32 v7, v7
	v_cvt_u32_f32_e32 v6, v6
	v_readfirstlane_b32 s40, v7
	v_readfirstlane_b32 s30, v6
	s_mul_i32 s31, s8, s40
	s_mul_hi_u32 s42, s8, s30
	s_mul_i32 s41, s35, s30
	s_add_i32 s31, s42, s31
	s_mul_i32 s43, s8, s30
	s_add_i32 s31, s31, s41
	s_mul_i32 s42, s30, s31
	s_mul_hi_u32 s44, s30, s43
	s_mul_hi_u32 s41, s30, s31
	s_add_u32 s42, s44, s42
	s_addc_u32 s41, 0, s41
	s_mul_hi_u32 s45, s40, s43
	s_mul_i32 s43, s40, s43
	s_add_u32 s42, s42, s43
	s_mul_hi_u32 s44, s40, s31
	s_addc_u32 s41, s41, s45
	s_addc_u32 s42, s44, 0
	s_mul_i32 s31, s40, s31
	s_add_u32 s31, s41, s31
	s_addc_u32 s41, 0, s42
	s_add_u32 s42, s30, s31
	s_cselect_b64 s[30:31], -1, 0
	s_cmp_lg_u64 s[30:31], 0
	s_addc_u32 s40, s40, s41
	s_mul_i32 s30, s8, s40
	s_mul_hi_u32 s31, s8, s42
	s_add_i32 s30, s31, s30
	s_mul_i32 s35, s35, s42
	s_add_i32 s30, s30, s35
	s_mul_i32 s8, s8, s42
	s_mul_hi_u32 s35, s40, s8
	s_mul_i32 s41, s40, s8
	s_mul_i32 s44, s42, s30
	s_mul_hi_u32 s8, s42, s8
	s_mul_hi_u32 s43, s42, s30
	s_add_u32 s8, s8, s44
	s_addc_u32 s43, 0, s43
	s_add_u32 s8, s8, s41
	s_mul_hi_u32 s31, s40, s30
	s_addc_u32 s8, s43, s35
	s_addc_u32 s31, s31, 0
	s_mul_i32 s30, s40, s30
	s_add_u32 s8, s8, s30
	s_addc_u32 s35, 0, s31
	s_add_u32 s8, s42, s8
	s_cselect_b64 s[30:31], -1, 0
	s_cmp_lg_u64 s[30:31], 0
	s_addc_u32 s35, s40, s35
	s_ashr_i32 s30, s9, 31
	s_add_u32 s40, s34, s30
	s_mov_b32 s31, s30
	s_addc_u32 s41, s9, s30
	s_xor_b64 s[40:41], s[40:41], s[30:31]
	s_mul_i32 s43, s40, s35
	s_mul_hi_u32 s44, s40, s8
	s_mul_hi_u32 s42, s40, s35
	s_add_u32 s43, s44, s43
	s_addc_u32 s42, 0, s42
	s_mul_hi_u32 s45, s41, s8
	s_mul_i32 s8, s41, s8
	s_add_u32 s8, s43, s8
	s_mul_hi_u32 s44, s41, s35
	s_addc_u32 s8, s42, s45
	s_addc_u32 s42, s44, 0
	s_mul_i32 s35, s41, s35
	s_add_u32 s8, s8, s35
	s_addc_u32 s35, 0, s42
	s_mul_i32 s35, s28, s35
	s_mul_hi_u32 s42, s28, s8
	s_add_i32 s35, s42, s35
	s_mul_i32 s42, s29, s8
	s_add_i32 s35, s35, s42
	s_sub_i32 s44, s41, s35
	s_mul_i32 s8, s28, s8
	s_sub_u32 s8, s40, s8
	s_cselect_b64 s[42:43], -1, 0
	s_cmp_lg_u64 s[42:43], 0
	s_subb_u32 s40, s44, s29
	s_sub_u32 s46, s8, s28
	s_cselect_b64 s[44:45], -1, 0
	s_cmp_lg_u64 s[44:45], 0
	s_subb_u32 s47, s40, 0
	s_cmp_ge_u32 s47, s29
	s_cselect_b32 s49, -1, 0
	s_cmp_ge_u32 s46, s28
	s_cselect_b32 s50, -1, 0
	s_cmp_eq_u32 s47, s29
	s_cselect_b32 s49, s50, s49
	s_cmp_lg_u64 s[44:45], 0
	s_subb_u32 s40, s40, s29
	s_sub_u32 s50, s46, s28
	s_cselect_b64 s[44:45], -1, 0
	s_cmp_lg_u64 s[44:45], 0
	s_subb_u32 s40, s40, 0
	s_cmp_lg_u32 s49, 0
	s_cselect_b32 s44, s50, s46
	s_cselect_b32 s40, s40, s47
	s_cmp_lg_u64 s[42:43], 0
	s_subb_u32 s35, s41, s35
	s_cmp_ge_u32 s35, s29
	s_cselect_b32 s41, -1, 0
	s_cmp_ge_u32 s8, s28
	s_cselect_b32 s28, -1, 0
	s_cmp_eq_u32 s35, s29
	s_cselect_b32 s28, s28, s41
	s_cmp_lg_u32 s28, 0
	s_cselect_b32 s29, s40, s35
	s_cselect_b32 s28, s44, s8
	s_xor_b64 s[28:29], s[28:29], s[30:31]
	s_sub_u32 s28, s28, s30
	v_readlane_b32 s50, v67, 43
	s_subb_u32 s29, s29, s30
	s_cbranch_execnz .LBB36_193
.LBB36_192:                             ;   in Loop: Header=BB36_7 Depth=1
	v_cvt_f32_u32_e32 v6, s72
	s_sub_i32 s8, 0, s72
	v_rcp_iflag_f32_e32 v6, v6
	s_nop 0
	v_mul_f32_e32 v6, 0x4f7ffffe, v6
	v_cvt_u32_f32_e32 v6, v6
	s_nop 0
	v_readfirstlane_b32 s28, v6
	s_mul_i32 s8, s8, s28
	s_mul_hi_u32 s8, s28, s8
	s_add_i32 s28, s28, s8
	s_mul_hi_u32 s8, s34, s28
	s_mul_i32 s8, s8, s72
	s_sub_i32 s8, s34, s8
	s_sub_i32 s28, s8, s72
	s_cmp_ge_u32 s8, s72
	s_cselect_b32 s8, s28, s8
	s_sub_i32 s28, s8, s72
	s_cmp_ge_u32 s8, s72
	s_cselect_b32 s78, s28, s8
	s_mov_b64 s[28:29], s[78:79]
.LBB36_193:                             ;   in Loop: Header=BB36_7 Depth=1
	s_sub_u32 s28, s34, s28
	s_subb_u32 s29, s9, s29
	v_cmp_gt_i64_e32 vcc, s[28:29], v[0:1]
                                        ; implicit-def: $vgpr48
	s_and_saveexec_b64 s[8:9], vcc
	s_cbranch_execz .LBB36_202
; %bb.194:                              ;   in Loop: Header=BB36_7 Depth=1
	s_mov_b64 s[30:31], 0
	v_mov_b32_e32 v8, v39
	v_mov_b64_e32 v[6:7], v[0:1]
                                        ; implicit-def: $sgpr34_sgpr35
	s_branch .LBB36_197
.LBB36_195:                             ;   in Loop: Header=BB36_197 Depth=2
	s_or_b64 exec, exec, s[40:41]
	s_waitcnt lgkmcnt(0)
	s_barrier
	ds_read_b32 v9, v3 offset:3072
	s_mov_b64 s[40:41], -1
	s_waitcnt lgkmcnt(0)
	s_barrier
	v_cmp_eq_u32_sdwa s[42:43], v9, v3 src0_sel:WORD_0 src1_sel:DWORD
	s_and_b64 vcc, exec, s[42:43]
	s_mov_b64 s[42:43], -1
	s_cbranch_vccnz .LBB36_200
.LBB36_196:                             ;   in Loop: Header=BB36_197 Depth=2
	s_and_b64 s[40:41], exec, s[40:41]
	s_or_b64 s[30:31], s[40:41], s[30:31]
	s_andn2_b64 s[34:35], s[34:35], exec
	s_and_b64 s[40:41], s[42:43], exec
	s_or_b64 s[34:35], s[34:35], s[40:41]
	s_andn2_b64 exec, exec, s[30:31]
	s_cbranch_execz .LBB36_201
.LBB36_197:                             ;   Parent Loop BB36_7 Depth=1
                                        ; =>  This Inner Loop Header: Depth=2
	v_cmp_gt_u64_e32 vcc, s[38:39], v[6:7]
	s_and_saveexec_b64 s[40:41], vcc
	s_cbranch_execz .LBB36_195
; %bb.198:                              ;   in Loop: Header=BB36_197 Depth=2
	ds_read_u16 v9, v8
	s_waitcnt lgkmcnt(0)
	v_add_u32_sdwa v10, sext(v9), s75 dst_sel:DWORD dst_unused:UNUSED_PAD src0_sel:WORD_0 src1_sel:DWORD
	v_and_b32_e32 v10, v10, v47
	v_cmp_eq_u32_e32 vcc, v10, v45
	s_and_b64 exec, exec, vcc
	s_cbranch_execz .LBB36_195
; %bb.199:                              ;   in Loop: Header=BB36_197 Depth=2
	v_perm_b32 v9, v9, 1, v46
	ds_write_b32 v3, v9 offset:3072
	s_branch .LBB36_195
.LBB36_200:                             ;   in Loop: Header=BB36_197 Depth=2
	v_lshl_add_u64 v[6:7], v[6:7], 0, s[72:73]
	v_cmp_le_i64_e32 vcc, s[28:29], v[6:7]
	v_add_u32_e32 v8, s52, v8
	s_mov_b64 s[42:43], 0
	s_orn2_b64 s[40:41], vcc, exec
	s_branch .LBB36_196
.LBB36_201:                             ;   in Loop: Header=BB36_7 Depth=1
	s_or_b64 exec, exec, s[30:31]
	s_andn2_b64 s[6:7], s[6:7], exec
	s_and_b64 s[28:29], s[34:35], exec
	v_lshrrev_b32_e32 v48, 16, v9
	s_or_b64 s[6:7], s[6:7], s[28:29]
.LBB36_202:                             ;   in Loop: Header=BB36_7 Depth=1
	s_or_b64 exec, exec, s[8:9]
	s_mov_b64 s[28:29], 0
	s_mov_b64 s[34:35], -1
.LBB36_203:                             ;   in Loop: Header=BB36_7 Depth=1
	s_orn2_b64 s[6:7], s[6:7], exec
.LBB36_204:                             ;   in Loop: Header=BB36_7 Depth=1
	s_or_b64 exec, exec, s[36:37]
	s_mov_b64 s[8:9], 0
	s_and_saveexec_b64 s[36:37], s[6:7]
	s_cbranch_execz .LBB36_262
; %bb.205:                              ;   in Loop: Header=BB36_7 Depth=1
	s_xor_b64 s[10:11], s[10:11], -1
	v_mov_b32_e32 v2, 1
	v_mov_b64_e32 v[6:7], 1
	s_and_saveexec_b64 s[6:7], s[10:11]
	s_cbranch_execz .LBB36_214
; %bb.206:                              ;   in Loop: Header=BB36_7 Depth=1
	v_cmp_ge_i64_e32 vcc, s[22:23], v[4:5]
	s_and_saveexec_b64 s[8:9], vcc
	s_xor_b64 s[8:9], exec, s[8:9]
	s_cbranch_execz .LBB36_211
; %bb.207:                              ;   in Loop: Header=BB36_7 Depth=1
	ds_read_b64 v[6:7], v3 offset:5120
	v_and_b32_e32 v2, s48, v45
	v_lshl_or_b32 v45, 2, s33, v2
	v_or_b32_e32 v47, s54, v47
	s_waitcnt lgkmcnt(0)
	v_cmp_ne_u64_e32 vcc, 0, v[6:7]
	s_cbranch_vccnz .LBB36_211
; %bb.208:                              ;   in Loop: Header=BB36_7 Depth=1
	s_mov_b64 s[10:11], exec
	v_readlane_b32 s30, v67, 8
	v_readlane_b32 s31, v67, 9
	s_and_b64 s[30:31], s[10:11], s[30:31]
	s_mov_b64 exec, s[30:31]
; %bb.209:                              ;   in Loop: Header=BB36_7 Depth=1
	v_mov_b64_e32 v[6:7], s[22:23]
	ds_write_b64 v3, v[6:7] offset:5128
; %bb.210:                              ;   in Loop: Header=BB36_7 Depth=1
	s_or_b64 exec, exec, s[10:11]
	s_waitcnt lgkmcnt(0)
	s_barrier
.LBB36_211:                             ;   in Loop: Header=BB36_7 Depth=1
	s_or_saveexec_b64 s[8:9], s[8:9]
	s_mov_b64 s[10:11], 0
	v_mov_b32_e32 v2, 8
	s_xor_b64 exec, exec, s[8:9]
; %bb.212:                              ;   in Loop: Header=BB36_7 Depth=1
	v_mov_b32_e32 v2, s23
	v_subrev_co_u32_e32 v4, vcc, s22, v4
	s_mov_b64 s[10:11], exec
	s_nop 0
	v_subb_co_u32_e32 v5, vcc, v5, v2, vcc
	v_mov_b32_e32 v2, 0
; %bb.213:                              ;   in Loop: Header=BB36_7 Depth=1
	s_or_b64 exec, exec, s[8:9]
	s_and_b64 s[8:9], s[10:11], exec
	v_mov_b64_e32 v[6:7], v[4:5]
.LBB36_214:                             ;   in Loop: Header=BB36_7 Depth=1
	s_or_b64 exec, exec, s[6:7]
	s_mov_b64 s[6:7], -1
                                        ; implicit-def: $sgpr44_sgpr45
                                        ; implicit-def: $sgpr42_sgpr43
	s_and_saveexec_b64 s[10:11], s[8:9]
	s_cbranch_execz .LBB36_261
; %bb.215:                              ;   in Loop: Header=BB36_7 Depth=1
	s_cmp_eq_u64 s[14:15], 1
	s_cselect_b64 s[6:7], -1, 0
	v_cmp_eq_u64_e32 vcc, 1, v[6:7]
	s_and_b64 s[22:23], s[6:7], vcc
	s_mov_b64 s[8:9], -1
                                        ; implicit-def: $sgpr44_sgpr45
                                        ; implicit-def: $sgpr42_sgpr43
	s_and_saveexec_b64 s[38:39], s[22:23]
	s_cbranch_execz .LBB36_249
; %bb.216:                              ;   in Loop: Header=BB36_7 Depth=1
	ds_read_b64 v[4:5], v3 offset:5120
	s_waitcnt lgkmcnt(0)
	s_barrier
	v_readfirstlane_b32 s40, v4
	v_readfirstlane_b32 s41, v5
	s_mov_b64 s[6:7], exec
	v_readlane_b32 s8, v67, 12
	v_readlane_b32 s9, v67, 13
	s_and_b64 s[8:9], s[6:7], s[8:9]
	s_mov_b64 exec, s[8:9]
; %bb.217:                              ;   in Loop: Header=BB36_7 Depth=1
	ds_write_b16 v40, v3
; %bb.218:                              ;   in Loop: Header=BB36_7 Depth=1
	s_or_b64 exec, exec, s[6:7]
	v_cmp_gt_i64_e64 s[6:7], s[40:41], 0
	v_or_b32_e32 v45, s54, v45
	v_or_b32_e32 v47, s54, v47
	s_mov_b64 s[42:43], -1
	s_mov_b64 s[44:45], 0
	s_and_b64 vcc, exec, s[6:7]
	s_mov_b64 s[6:7], 0
	s_mov_b64 s[8:9], -1
	s_waitcnt lgkmcnt(0)
	s_barrier
                                        ; implicit-def: $vgpr48
	s_cbranch_vccnz .LBB36_234
; %bb.219:                              ;   in Loop: Header=BB36_7 Depth=1
	s_mov_b32 s64, s79
	s_cmp_lg_u64 s[64:65], 0
	s_cbranch_scc0 .LBB36_268
; %bb.220:                              ;   in Loop: Header=BB36_7 Depth=1
	s_add_u32 s6, s72, 0
	s_addc_u32 s7, 0, 0
	s_xor_b64 s[6:7], s[6:7], 0
	v_cvt_f32_u32_e32 v4, s6
	v_cvt_f32_u32_e32 v5, s7
	s_sub_u32 s30, 0, s6
	s_subb_u32 s31, 0, s7
	v_fmac_f32_e32 v4, 0x4f800000, v5
	v_rcp_f32_e32 v4, v4
	s_nop 0
	v_mul_f32_e32 v4, 0x5f7ffffc, v4
	v_mul_f32_e32 v5, 0x2f800000, v4
	v_trunc_f32_e32 v5, v5
	v_fmac_f32_e32 v4, 0xcf800000, v5
	v_cvt_u32_f32_e32 v5, v5
	v_cvt_u32_f32_e32 v4, v4
	v_readfirstlane_b32 s46, v5
	v_readfirstlane_b32 s8, v4
	s_mul_i32 s9, s30, s46
	s_mul_hi_u32 s48, s30, s8
	s_mul_i32 s47, s31, s8
	s_add_i32 s9, s48, s9
	s_mul_i32 s49, s30, s8
	s_add_i32 s9, s9, s47
	s_mul_i32 s48, s8, s9
	s_mul_hi_u32 s50, s8, s49
	s_mul_hi_u32 s47, s8, s9
	s_add_u32 s48, s50, s48
	s_addc_u32 s47, 0, s47
	s_mul_hi_u32 s51, s46, s49
	s_mul_i32 s49, s46, s49
	s_add_u32 s48, s48, s49
	s_mul_hi_u32 s50, s46, s9
	s_addc_u32 s47, s47, s51
	s_addc_u32 s48, s50, 0
	s_mul_i32 s9, s46, s9
	s_add_u32 s9, s47, s9
	s_addc_u32 s47, 0, s48
	s_add_u32 s48, s8, s9
	s_cselect_b64 s[8:9], -1, 0
	s_cmp_lg_u64 s[8:9], 0
	s_addc_u32 s46, s46, s47
	s_mul_i32 s8, s30, s46
	s_mul_hi_u32 s9, s30, s48
	s_add_i32 s8, s9, s8
	s_mul_i32 s31, s31, s48
	s_add_i32 s8, s8, s31
	s_mul_i32 s30, s30, s48
	s_mul_hi_u32 s31, s46, s30
	s_mul_i32 s47, s46, s30
	s_mul_i32 s50, s48, s8
	s_mul_hi_u32 s30, s48, s30
	s_mul_hi_u32 s49, s48, s8
	s_add_u32 s30, s30, s50
	s_addc_u32 s49, 0, s49
	s_add_u32 s30, s30, s47
	s_mul_hi_u32 s9, s46, s8
	s_addc_u32 s30, s49, s31
	s_addc_u32 s9, s9, 0
	s_mul_i32 s8, s46, s8
	s_add_u32 s8, s30, s8
	s_addc_u32 s30, 0, s9
	s_add_u32 s47, s48, s8
	s_cselect_b64 s[8:9], -1, 0
	s_cmp_lg_u64 s[8:9], 0
	s_addc_u32 s46, s46, s30
	s_ashr_i32 s8, s65, 31
	s_add_u32 s30, s86, s8
	s_mov_b32 s9, s8
	s_addc_u32 s31, s65, s8
	s_xor_b64 s[30:31], s[30:31], s[8:9]
	s_mul_i32 s49, s30, s46
	s_mul_hi_u32 s50, s30, s47
	s_mul_hi_u32 s48, s30, s46
	s_add_u32 s49, s50, s49
	s_addc_u32 s48, 0, s48
	s_mul_hi_u32 s51, s31, s47
	s_mul_i32 s47, s31, s47
	s_add_u32 s47, s49, s47
	s_mul_hi_u32 s50, s31, s46
	s_addc_u32 s47, s48, s51
	s_addc_u32 s48, s50, 0
	s_mul_i32 s46, s31, s46
	s_add_u32 s46, s47, s46
	s_addc_u32 s47, 0, s48
	s_mul_i32 s47, s6, s47
	s_mul_hi_u32 s48, s6, s46
	s_add_i32 s47, s48, s47
	s_mul_i32 s48, s7, s46
	s_add_i32 s50, s47, s48
	s_sub_i32 s48, s31, s50
	s_mul_i32 s46, s6, s46
	s_sub_u32 s30, s30, s46
	s_cselect_b64 s[46:47], -1, 0
	s_cmp_lg_u64 s[46:47], 0
	s_subb_u32 s51, s48, s7
	s_sub_u32 s52, s30, s6
	s_cselect_b64 s[48:49], -1, 0
	s_cmp_lg_u64 s[48:49], 0
	s_subb_u32 s53, s51, 0
	s_cmp_ge_u32 s53, s7
	s_cselect_b32 s55, -1, 0
	s_cmp_ge_u32 s52, s6
	s_cselect_b32 s64, -1, 0
	s_cmp_eq_u32 s53, s7
	s_cselect_b32 s55, s64, s55
	s_cmp_lg_u64 s[48:49], 0
	s_subb_u32 s51, s51, s7
	s_sub_u32 s64, s52, s6
	s_cselect_b64 s[48:49], -1, 0
	s_cmp_lg_u64 s[48:49], 0
	s_subb_u32 s48, s51, 0
	s_cmp_lg_u32 s55, 0
	s_cselect_b32 s49, s64, s52
	s_cselect_b32 s48, s48, s53
	s_cmp_lg_u64 s[46:47], 0
	s_subb_u32 s31, s31, s50
	s_cmp_ge_u32 s31, s7
	s_cselect_b32 s46, -1, 0
	s_cmp_ge_u32 s30, s6
	s_cselect_b32 s6, -1, 0
	s_cmp_eq_u32 s31, s7
	s_cselect_b32 s6, s6, s46
	s_cmp_lg_u32 s6, 0
	s_cselect_b32 s7, s48, s31
	s_cselect_b32 s6, s49, s30
	s_xor_b64 s[6:7], s[6:7], s[8:9]
	s_sub_u32 s6, s6, s8
	s_subb_u32 s7, s7, s8
	s_cbranch_execnz .LBB36_222
.LBB36_221:                             ;   in Loop: Header=BB36_7 Depth=1
	v_cvt_f32_u32_e32 v4, s72
	s_sub_i32 s6, 0, s72
	v_rcp_iflag_f32_e32 v4, v4
	s_nop 0
	v_mul_f32_e32 v4, 0x4f7ffffe, v4
	v_cvt_u32_f32_e32 v4, v4
	s_nop 0
	v_readfirstlane_b32 s7, v4
	s_mul_i32 s6, s6, s7
	s_mul_hi_u32 s6, s7, s6
	s_add_i32 s7, s7, s6
	s_mul_hi_u32 s6, s86, s7
	s_mul_i32 s6, s6, s72
	s_sub_i32 s6, s86, s6
	s_sub_i32 s7, s6, s72
	s_cmp_ge_u32 s6, s72
	s_cselect_b32 s6, s7, s6
	s_sub_i32 s7, s6, s72
	s_cmp_ge_u32 s6, s72
	s_cselect_b32 s78, s7, s6
	s_mov_b64 s[6:7], s[78:79]
.LBB36_222:                             ;   in Loop: Header=BB36_7 Depth=1
	s_sub_u32 s46, s86, s6
	s_subb_u32 s47, s65, s7
	v_cmp_gt_i64_e32 vcc, s[46:47], v[0:1]
	s_mov_b64 s[8:9], 0
	s_mov_b64 s[6:7], 0
                                        ; implicit-def: $vgpr48
	s_and_saveexec_b64 s[30:31], vcc
	s_cbranch_execz .LBB36_233
; %bb.223:                              ;   in Loop: Header=BB36_7 Depth=1
	v_mov_b64_e32 v[4:5], v[12:13]
	v_mov_b64_e32 v[8:9], v[0:1]
                                        ; implicit-def: $sgpr48_sgpr49
	s_branch .LBB36_226
.LBB36_224:                             ;   in Loop: Header=BB36_226 Depth=2
	s_or_b64 exec, exec, s[50:51]
	s_waitcnt lgkmcnt(0)
	s_barrier
	ds_read_b32 v10, v3 offset:3072
	s_mov_b64 s[50:51], -1
	s_waitcnt lgkmcnt(0)
	s_barrier
	v_cmp_ne_u32_sdwa s[52:53], v10, v3 src0_sel:WORD_0 src1_sel:DWORD
	s_and_b64 vcc, exec, s[52:53]
	s_mov_b64 s[52:53], -1
	s_cbranch_vccz .LBB36_229
.LBB36_225:                             ;   in Loop: Header=BB36_226 Depth=2
	s_and_b64 s[50:51], exec, s[50:51]
	s_or_b64 s[6:7], s[50:51], s[6:7]
	s_andn2_b64 s[48:49], s[48:49], exec
	s_and_b64 s[50:51], s[52:53], exec
	s_or_b64 s[48:49], s[48:49], s[50:51]
	s_andn2_b64 exec, exec, s[6:7]
	s_cbranch_execz .LBB36_232
.LBB36_226:                             ;   Parent Loop BB36_7 Depth=1
                                        ; =>  This Inner Loop Header: Depth=2
	v_cmp_gt_i64_e32 vcc, s[56:57], v[8:9]
	s_and_saveexec_b64 s[50:51], vcc
	s_cbranch_execz .LBB36_224
; %bb.227:                              ;   in Loop: Header=BB36_226 Depth=2
	global_load_ushort v10, v[4:5], off
	s_waitcnt vmcnt(0)
	v_add_u32_sdwa v11, sext(v10), s75 dst_sel:DWORD dst_unused:UNUSED_PAD src0_sel:WORD_0 src1_sel:DWORD
	v_and_b32_e32 v11, v11, v47
	v_cmp_eq_u32_e32 vcc, v11, v45
	s_and_b64 exec, exec, vcc
	s_cbranch_execz .LBB36_224
; %bb.228:                              ;   in Loop: Header=BB36_226 Depth=2
	v_perm_b32 v10, v10, 1, v46
	ds_write_b32 v3, v10 offset:3072
	s_branch .LBB36_224
.LBB36_229:                             ;   in Loop: Header=BB36_226 Depth=2
	v_lshl_add_u64 v[8:9], v[8:9], 0, s[72:73]
	v_cmp_le_i64_e32 vcc, s[46:47], v[8:9]
	v_lshl_add_u64 v[4:5], v[4:5], 0, s[76:77]
	s_mov_b64 s[52:53], 0
	s_orn2_b64 s[50:51], vcc, exec
	s_branch .LBB36_225
.LBB36_230:                             ;   in Loop: Header=BB36_7 Depth=1
                                        ; implicit-def: $sgpr6_sgpr7
	s_andn2_b64 vcc, exec, s[8:9]
	s_cbranch_vccz .LBB36_176
	s_branch .LBB36_177
.LBB36_231:                             ;   in Loop: Header=BB36_7 Depth=1
                                        ; implicit-def: $sgpr28_sgpr29
	s_branch .LBB36_192
.LBB36_232:                             ;   in Loop: Header=BB36_7 Depth=1
	s_or_b64 exec, exec, s[6:7]
	v_lshrrev_b32_e32 v48, 16, v10
	s_and_b64 s[6:7], s[48:49], exec
.LBB36_233:                             ;   in Loop: Header=BB36_7 Depth=1
	s_or_b64 exec, exec, s[30:31]
	v_readlane_b32 s51, v67, 41
	v_readlane_b32 s52, v67, 42
	s_mov_b32 s53, 0x5040100
	v_readlane_b32 s50, v67, 43
.LBB36_234:                             ;   in Loop: Header=BB36_7 Depth=1
	s_and_b64 vcc, exec, s[8:9]
	s_cbranch_vccz .LBB36_248
; %bb.235:                              ;   in Loop: Header=BB36_7 Depth=1
	v_readlane_b32 s8, v67, 20
	s_add_u32 s44, s40, s8
	v_readlane_b32 s8, v67, 21
	s_addc_u32 s9, s41, s8
	s_mov_b32 s8, s79
	s_cmp_lg_u64 s[8:9], 0
	s_cbranch_scc0 .LBB36_269
; %bb.236:                              ;   in Loop: Header=BB36_7 Depth=1
	s_add_u32 s30, s72, 0
	s_addc_u32 s31, 0, 0
	s_xor_b64 s[30:31], s[30:31], 0
	v_cvt_f32_u32_e32 v4, s30
	v_cvt_f32_u32_e32 v5, s31
	s_sub_u32 s8, 0, s30
	s_subb_u32 s45, 0, s31
	v_fmac_f32_e32 v4, 0x4f800000, v5
	v_rcp_f32_e32 v4, v4
	s_nop 0
	v_mul_f32_e32 v4, 0x5f7ffffc, v4
	v_mul_f32_e32 v5, 0x2f800000, v4
	v_trunc_f32_e32 v5, v5
	v_fmac_f32_e32 v4, 0xcf800000, v5
	v_cvt_u32_f32_e32 v5, v5
	v_cvt_u32_f32_e32 v4, v4
	v_readfirstlane_b32 s46, v5
	v_readfirstlane_b32 s42, v4
	s_mul_i32 s43, s8, s46
	s_mul_hi_u32 s48, s8, s42
	s_mul_i32 s47, s45, s42
	s_add_i32 s43, s48, s43
	s_mul_i32 s49, s8, s42
	s_add_i32 s43, s43, s47
	s_mul_i32 s48, s42, s43
	s_mul_hi_u32 s50, s42, s49
	s_mul_hi_u32 s47, s42, s43
	s_add_u32 s48, s50, s48
	s_addc_u32 s47, 0, s47
	s_mul_hi_u32 s51, s46, s49
	s_mul_i32 s49, s46, s49
	s_add_u32 s48, s48, s49
	s_mul_hi_u32 s50, s46, s43
	s_addc_u32 s47, s47, s51
	s_addc_u32 s48, s50, 0
	s_mul_i32 s43, s46, s43
	s_add_u32 s43, s47, s43
	s_addc_u32 s47, 0, s48
	s_add_u32 s48, s42, s43
	s_cselect_b64 s[42:43], -1, 0
	s_cmp_lg_u64 s[42:43], 0
	s_addc_u32 s46, s46, s47
	s_mul_i32 s42, s8, s46
	s_mul_hi_u32 s43, s8, s48
	s_add_i32 s42, s43, s42
	s_mul_i32 s45, s45, s48
	s_add_i32 s42, s42, s45
	s_mul_i32 s8, s8, s48
	s_mul_hi_u32 s45, s46, s8
	s_mul_i32 s47, s46, s8
	s_mul_i32 s50, s48, s42
	s_mul_hi_u32 s8, s48, s8
	s_mul_hi_u32 s49, s48, s42
	s_add_u32 s8, s8, s50
	s_addc_u32 s49, 0, s49
	s_add_u32 s8, s8, s47
	s_mul_hi_u32 s43, s46, s42
	s_addc_u32 s8, s49, s45
	s_addc_u32 s43, s43, 0
	s_mul_i32 s42, s46, s42
	s_add_u32 s8, s8, s42
	s_addc_u32 s45, 0, s43
	s_add_u32 s8, s48, s8
	s_cselect_b64 s[42:43], -1, 0
	s_cmp_lg_u64 s[42:43], 0
	s_addc_u32 s45, s46, s45
	s_ashr_i32 s42, s9, 31
	s_add_u32 s46, s44, s42
	s_mov_b32 s43, s42
	s_addc_u32 s47, s9, s42
	s_xor_b64 s[46:47], s[46:47], s[42:43]
	s_mul_i32 s49, s46, s45
	s_mul_hi_u32 s50, s46, s8
	s_mul_hi_u32 s48, s46, s45
	s_add_u32 s49, s50, s49
	s_addc_u32 s48, 0, s48
	s_mul_hi_u32 s51, s47, s8
	s_mul_i32 s8, s47, s8
	s_add_u32 s8, s49, s8
	s_mul_hi_u32 s50, s47, s45
	s_addc_u32 s8, s48, s51
	s_addc_u32 s48, s50, 0
	s_mul_i32 s45, s47, s45
	s_add_u32 s8, s8, s45
	s_addc_u32 s45, 0, s48
	s_mul_i32 s45, s30, s45
	s_mul_hi_u32 s48, s30, s8
	s_add_i32 s45, s48, s45
	s_mul_i32 s48, s31, s8
	s_add_i32 s45, s45, s48
	s_sub_i32 s50, s47, s45
	s_mul_i32 s8, s30, s8
	s_sub_u32 s8, s46, s8
	s_cselect_b64 s[48:49], -1, 0
	s_cmp_lg_u64 s[48:49], 0
	s_subb_u32 s46, s50, s31
	s_sub_u32 s52, s8, s30
	s_cselect_b64 s[50:51], -1, 0
	s_cmp_lg_u64 s[50:51], 0
	s_subb_u32 s53, s46, 0
	s_cmp_ge_u32 s53, s31
	s_cselect_b32 s55, -1, 0
	s_cmp_ge_u32 s52, s30
	s_cselect_b32 s64, -1, 0
	s_cmp_eq_u32 s53, s31
	s_cselect_b32 s55, s64, s55
	s_cmp_lg_u64 s[50:51], 0
	s_subb_u32 s46, s46, s31
	s_sub_u32 s64, s52, s30
	s_cselect_b64 s[50:51], -1, 0
	s_cmp_lg_u64 s[50:51], 0
	s_subb_u32 s46, s46, 0
	s_cmp_lg_u32 s55, 0
	s_cselect_b32 s50, s64, s52
	s_cselect_b32 s46, s46, s53
	s_cmp_lg_u64 s[48:49], 0
	s_subb_u32 s45, s47, s45
	s_cmp_ge_u32 s45, s31
	s_cselect_b32 s47, -1, 0
	s_cmp_ge_u32 s8, s30
	s_cselect_b32 s30, -1, 0
	s_cmp_eq_u32 s45, s31
	s_cselect_b32 s30, s30, s47
	s_cmp_lg_u32 s30, 0
	s_cselect_b32 s31, s46, s45
	s_cselect_b32 s30, s50, s8
	s_xor_b64 s[30:31], s[30:31], s[42:43]
	s_sub_u32 s30, s30, s42
	v_readlane_b32 s51, v67, 41
	v_readlane_b32 s52, v67, 42
	s_mov_b32 s53, 0x5040100
	v_readlane_b32 s50, v67, 43
	s_subb_u32 s31, s31, s42
	s_cbranch_execnz .LBB36_238
.LBB36_237:                             ;   in Loop: Header=BB36_7 Depth=1
	v_cvt_f32_u32_e32 v4, s72
	s_sub_i32 s8, 0, s72
	v_rcp_iflag_f32_e32 v4, v4
	s_nop 0
	v_mul_f32_e32 v4, 0x4f7ffffe, v4
	v_cvt_u32_f32_e32 v4, v4
	s_nop 0
	v_readfirstlane_b32 s30, v4
	s_mul_i32 s8, s8, s30
	s_mul_hi_u32 s8, s30, s8
	s_add_i32 s30, s30, s8
	s_mul_hi_u32 s8, s44, s30
	s_mul_i32 s8, s8, s72
	s_sub_i32 s8, s44, s8
	s_sub_i32 s30, s8, s72
	s_cmp_ge_u32 s8, s72
	s_cselect_b32 s8, s30, s8
	s_sub_i32 s30, s8, s72
	s_cmp_ge_u32 s8, s72
	s_cselect_b32 s78, s30, s8
	s_mov_b64 s[30:31], s[78:79]
.LBB36_238:                             ;   in Loop: Header=BB36_7 Depth=1
	s_sub_u32 s30, s44, s30
	s_subb_u32 s31, s9, s31
	v_cmp_gt_i64_e32 vcc, s[30:31], v[0:1]
                                        ; implicit-def: $vgpr48
	s_and_saveexec_b64 s[8:9], vcc
	s_cbranch_execz .LBB36_247
; %bb.239:                              ;   in Loop: Header=BB36_7 Depth=1
	s_mov_b64 s[42:43], 0
	v_mov_b32_e32 v8, v39
	v_mov_b64_e32 v[4:5], v[0:1]
                                        ; implicit-def: $sgpr44_sgpr45
	s_branch .LBB36_242
.LBB36_240:                             ;   in Loop: Header=BB36_242 Depth=2
	s_or_b64 exec, exec, s[46:47]
	s_waitcnt lgkmcnt(0)
	s_barrier
	ds_read_b32 v9, v3 offset:3072
	s_mov_b64 s[46:47], -1
	s_waitcnt lgkmcnt(0)
	s_barrier
	v_cmp_eq_u32_sdwa s[48:49], v9, v3 src0_sel:WORD_0 src1_sel:DWORD
	s_and_b64 vcc, exec, s[48:49]
	s_mov_b64 s[48:49], -1
	s_cbranch_vccnz .LBB36_245
.LBB36_241:                             ;   in Loop: Header=BB36_242 Depth=2
	s_and_b64 s[46:47], exec, s[46:47]
	s_or_b64 s[42:43], s[46:47], s[42:43]
	s_andn2_b64 s[44:45], s[44:45], exec
	s_and_b64 s[46:47], s[48:49], exec
	s_or_b64 s[44:45], s[44:45], s[46:47]
	s_andn2_b64 exec, exec, s[42:43]
	s_cbranch_execz .LBB36_246
.LBB36_242:                             ;   Parent Loop BB36_7 Depth=1
                                        ; =>  This Inner Loop Header: Depth=2
	v_cmp_gt_u64_e32 vcc, s[40:41], v[4:5]
	s_and_saveexec_b64 s[46:47], vcc
	s_cbranch_execz .LBB36_240
; %bb.243:                              ;   in Loop: Header=BB36_242 Depth=2
	ds_read_u16 v9, v8
	s_waitcnt lgkmcnt(0)
	v_add_u32_sdwa v10, sext(v9), s75 dst_sel:DWORD dst_unused:UNUSED_PAD src0_sel:WORD_0 src1_sel:DWORD
	v_and_b32_e32 v10, v10, v47
	v_cmp_eq_u32_e32 vcc, v10, v45
	s_and_b64 exec, exec, vcc
	s_cbranch_execz .LBB36_240
; %bb.244:                              ;   in Loop: Header=BB36_242 Depth=2
	v_perm_b32 v9, v9, 1, v46
	ds_write_b32 v3, v9 offset:3072
	s_branch .LBB36_240
.LBB36_245:                             ;   in Loop: Header=BB36_242 Depth=2
	v_lshl_add_u64 v[4:5], v[4:5], 0, s[72:73]
	v_cmp_le_i64_e32 vcc, s[30:31], v[4:5]
	v_add_u32_e32 v8, s52, v8
	s_mov_b64 s[48:49], 0
	s_orn2_b64 s[46:47], vcc, exec
	s_branch .LBB36_241
.LBB36_246:                             ;   in Loop: Header=BB36_7 Depth=1
	s_or_b64 exec, exec, s[42:43]
	s_andn2_b64 s[6:7], s[6:7], exec
	s_and_b64 s[30:31], s[44:45], exec
	v_lshrrev_b32_e32 v48, 16, v9
	s_or_b64 s[6:7], s[6:7], s[30:31]
.LBB36_247:                             ;   in Loop: Header=BB36_7 Depth=1
	s_or_b64 exec, exec, s[8:9]
	s_mov_b64 s[42:43], 0
	s_mov_b64 s[44:45], -1
.LBB36_248:                             ;   in Loop: Header=BB36_7 Depth=1
	s_orn2_b64 s[8:9], s[6:7], exec
.LBB36_249:                             ;   in Loop: Header=BB36_7 Depth=1
	s_or_b64 exec, exec, s[38:39]
	s_mov_b64 s[30:31], 0
	s_and_saveexec_b64 s[6:7], s[8:9]
	s_cbranch_execz .LBB36_260
; %bb.250:                              ;   in Loop: Header=BB36_7 Depth=1
	s_xor_b64 s[22:23], s[22:23], -1
	v_mov_b64_e32 v[4:5], 1
	v_mov_b32_e32 v2, 1
	s_and_saveexec_b64 s[8:9], s[22:23]
	s_cbranch_execz .LBB36_259
; %bb.251:                              ;   in Loop: Header=BB36_7 Depth=1
	v_cmp_ge_i64_e32 vcc, s[14:15], v[6:7]
	s_and_saveexec_b64 s[22:23], vcc
	s_xor_b64 s[22:23], exec, s[22:23]
	s_cbranch_execz .LBB36_256
; %bb.252:                              ;   in Loop: Header=BB36_7 Depth=1
	ds_read_b64 v[4:5], v3 offset:5120
	v_or_b32_e32 v45, s54, v45
	v_or_b32_e32 v47, s54, v47
	s_waitcnt lgkmcnt(0)
	v_cmp_ne_u64_e32 vcc, 0, v[4:5]
	s_cbranch_vccnz .LBB36_256
; %bb.253:                              ;   in Loop: Header=BB36_7 Depth=1
	s_mov_b64 s[30:31], exec
	v_readlane_b32 s38, v67, 8
	v_readlane_b32 s39, v67, 9
	s_and_b64 s[38:39], s[30:31], s[38:39]
	s_mov_b64 exec, s[38:39]
; %bb.254:                              ;   in Loop: Header=BB36_7 Depth=1
	v_mov_b64_e32 v[4:5], s[14:15]
	ds_write_b64 v3, v[4:5] offset:5128
; %bb.255:                              ;   in Loop: Header=BB36_7 Depth=1
	s_or_b64 exec, exec, s[30:31]
	s_waitcnt lgkmcnt(0)
	s_barrier
.LBB36_256:                             ;   in Loop: Header=BB36_7 Depth=1
	s_andn2_saveexec_b64 s[22:23], s[22:23]
; %bb.257:                              ;   in Loop: Header=BB36_7 Depth=1
	v_mov_b32_e32 v2, s15
	v_subrev_co_u32_e32 v6, vcc, s14, v6
	s_nop 1
	v_subb_co_u32_e32 v7, vcc, v7, v2, vcc
; %bb.258:                              ;   in Loop: Header=BB36_7 Depth=1
	s_or_b64 exec, exec, s[22:23]
	v_mov_b32_e32 v2, 8
	v_mov_b64_e32 v[4:5], v[6:7]
.LBB36_259:                             ;   in Loop: Header=BB36_7 Depth=1
	s_or_b64 exec, exec, s[8:9]
	s_mov_b64 s[30:31], exec
	v_mov_b64_e32 v[6:7], v[4:5]
.LBB36_260:                             ;   in Loop: Header=BB36_7 Depth=1
	s_or_b64 exec, exec, s[6:7]
	s_orn2_b64 s[6:7], s[30:31], exec
.LBB36_261:                             ;   in Loop: Header=BB36_7 Depth=1
	s_or_b64 exec, exec, s[10:11]
	s_andn2_b64 s[8:9], s[34:35], exec
	s_and_b64 s[10:11], s[44:45], exec
	s_or_b64 s[34:35], s[8:9], s[10:11]
	s_andn2_b64 s[8:9], s[28:29], exec
	s_and_b64 s[10:11], s[42:43], exec
	s_or_b64 s[28:29], s[8:9], s[10:11]
	s_and_b64 s[8:9], s[6:7], exec
	v_mov_b64_e32 v[4:5], v[6:7]
.LBB36_262:                             ;   in Loop: Header=BB36_7 Depth=1
	s_or_b64 exec, exec, s[36:37]
	s_orn2_b64 s[6:7], s[8:9], exec
.LBB36_263:                             ;   in Loop: Header=BB36_7 Depth=1
	s_or_b64 exec, exec, s[12:13]
	s_andn2_b64 s[8:9], s[24:25], exec
	s_and_b64 s[10:11], s[34:35], exec
	s_or_b64 s[24:25], s[8:9], s[10:11]
	s_andn2_b64 s[2:3], s[2:3], exec
	s_and_b64 s[8:9], s[28:29], exec
	s_or_b64 s[2:3], s[2:3], s[8:9]
	s_and_b64 s[8:9], s[6:7], exec
	v_mov_b64_e32 v[8:9], v[4:5]
.LBB36_264:                             ;   in Loop: Header=BB36_7 Depth=1
	s_or_b64 exec, exec, s[26:27]
	s_orn2_b64 s[6:7], s[8:9], exec
.LBB36_265:                             ;   in Loop: Header=BB36_7 Depth=1
	s_or_b64 exec, exec, s[20:21]
	s_mov_b64 s[8:9], 0
	s_and_saveexec_b64 s[10:11], s[6:7]
	s_xor_b64 s[6:7], exec, s[10:11]
	s_cbranch_execz .LBB36_5
; %bb.266:                              ;   in Loop: Header=BB36_7 Depth=1
	v_and_b32_e32 v2, 7, v2
	v_cmp_eq_u32_e32 vcc, 0, v2
	s_mov_b64 s[10:11], -1
	s_mov_b64 s[8:9], -1
	s_and_saveexec_b64 s[12:13], vcc
	s_cbranch_execz .LBB36_4
; %bb.267:                              ;   in Loop: Header=BB36_7 Depth=1
	s_xor_b32 s67, s67, 1
	s_add_i32 s14, s33, -2
	s_cmp_eq_u32 s33, 0
	s_cselect_b64 s[10:11], -1, 0
	s_xor_b64 s[8:9], exec, -1
	s_orn2_b64 s[10:11], s[10:11], exec
	s_mov_b32 s33, s14
	s_branch .LBB36_4
.LBB36_268:                             ;   in Loop: Header=BB36_7 Depth=1
                                        ; implicit-def: $sgpr6_sgpr7
	s_andn2_b64 vcc, exec, s[8:9]
	s_cbranch_vccz .LBB36_221
	s_branch .LBB36_222
.LBB36_269:                             ;   in Loop: Header=BB36_7 Depth=1
                                        ; implicit-def: $sgpr30_sgpr31
	s_branch .LBB36_237
.LBB36_270:
	s_or_b64 exec, exec, s[96:97]
	s_xor_b64 s[6:7], s[60:61], -1
	s_xor_b64 s[0:1], s[2:3], -1
	;; [unrolled: 1-line block ×3, first 2 shown]
	s_mov_b64 s[2:3], 0
	s_and_saveexec_b64 s[8:9], s[0:1]
	s_xor_b64 s[0:1], exec, s[8:9]
	s_cbranch_execnz .LBB36_275
; %bb.271:
	s_andn2_saveexec_b64 s[0:1], s[0:1]
	s_cbranch_execnz .LBB36_297
.LBB36_272:
	s_or_b64 exec, exec, s[0:1]
	s_and_saveexec_b64 s[0:1], s[2:3]
.LBB36_273:
	; divergent unreachable
.LBB36_274:
	s_endpgm
.LBB36_275:
	s_and_saveexec_b64 s[2:3], s[6:7]
	s_xor_b64 s[2:3], exec, s[2:3]
	s_cbranch_execz .LBB36_295
; %bb.276:
	s_and_saveexec_b64 s[6:7], s[4:5]
	s_xor_b64 s[4:5], exec, s[6:7]
; %bb.277:
	v_xor_b32_e32 v48, 0xffff8000, v45
; %bb.278:
	s_or_b64 exec, exec, s[4:5]
	s_mov_b64 s[4:5], exec
	v_readlane_b32 s6, v67, 8
	v_readlane_b32 s7, v67, 9
	s_and_b64 s[6:7], s[4:5], s[6:7]
	v_readlane_b32 s24, v67, 10
	v_readlane_b32 s25, v67, 11
	s_mov_b64 exec, s[6:7]
; %bb.279:
	v_mov_b32_e32 v2, 0
	v_mov_b32_e32 v3, s56
	ds_write_b32 v2, v3 offset:5140
; %bb.280:
	s_or_b64 exec, exec, s[4:5]
	s_waitcnt lgkmcnt(0)
	s_barrier
	s_mov_b64 s[4:5], exec
	v_readlane_b32 s6, v67, 16
	v_readlane_b32 s7, v67, 17
	s_and_b64 s[6:7], s[4:5], s[6:7]
	s_mov_b64 exec, s[6:7]
	s_cbranch_execz .LBB36_292
; %bb.281:
	v_mov_b32_e32 v2, 0
	ds_read_b32 v4, v2 offset:5140
	s_mov_b64 s[6:7], 0
                                        ; implicit-def: $sgpr8_sgpr9
                                        ; implicit-def: $sgpr10_sgpr11
                                        ; implicit-def: $sgpr12_sgpr13
	s_waitcnt lgkmcnt(0)
	v_ashrrev_i32_e32 v5, 31, v4
	s_branch .LBB36_284
.LBB36_282:                             ;   in Loop: Header=BB36_284 Depth=1
	s_or_b64 exec, exec, s[20:21]
	s_andn2_b64 s[12:13], s[12:13], exec
	s_and_b64 s[18:19], s[18:19], exec
	s_andn2_b64 s[10:11], s[10:11], exec
	s_and_b64 s[16:17], s[16:17], exec
	s_or_b64 s[12:13], s[12:13], s[18:19]
	s_or_b64 s[10:11], s[10:11], s[16:17]
.LBB36_283:                             ;   in Loop: Header=BB36_284 Depth=1
	s_or_b64 exec, exec, s[14:15]
	s_and_b64 s[14:15], exec, s[10:11]
	s_or_b64 s[6:7], s[14:15], s[6:7]
	s_andn2_b64 s[8:9], s[8:9], exec
	s_and_b64 s[14:15], s[12:13], exec
	s_or_b64 s[8:9], s[8:9], s[14:15]
	s_andn2_b64 exec, exec, s[6:7]
	s_cbranch_execz .LBB36_287
.LBB36_284:                             ; =>This Inner Loop Header: Depth=1
	v_mov_b64_e32 v[2:3], v[0:1]
	v_cmp_lt_i64_e32 vcc, v[2:3], v[4:5]
	s_or_b64 s[12:13], s[12:13], exec
	s_or_b64 s[10:11], s[10:11], exec
                                        ; implicit-def: $vgpr0_vgpr1
	s_and_saveexec_b64 s[14:15], vcc
	s_cbranch_execz .LBB36_283
; %bb.285:                              ;   in Loop: Header=BB36_284 Depth=1
	global_load_ushort v0, v[12:13], off
	s_mov_b64 s[16:17], -1
	s_mov_b64 s[18:19], 0
	s_waitcnt vmcnt(0)
	v_cmp_ne_u16_e32 vcc, v0, v48
                                        ; implicit-def: $vgpr0_vgpr1
	s_and_saveexec_b64 s[20:21], vcc
	s_cbranch_execz .LBB36_282
; %bb.286:                              ;   in Loop: Header=BB36_284 Depth=1
	v_lshl_add_u64 v[0:1], v[2:3], 0, s[72:73]
	v_cmp_le_i64_e32 vcc, s[56:57], v[0:1]
	s_mov_b64 s[18:19], exec
	v_lshl_add_u64 v[12:13], v[12:13], 0, s[76:77]
	s_orn2_b64 s[16:17], vcc, exec
	s_branch .LBB36_282
.LBB36_287:
	s_or_b64 exec, exec, s[6:7]
	s_xor_b64 s[6:7], s[8:9], -1
	s_and_saveexec_b64 s[8:9], s[6:7]
	s_xor_b64 s[8:9], exec, s[8:9]
	s_cbranch_execz .LBB36_292
; %bb.288:
	s_mov_b64 s[6:7], exec
	s_brev_b32 s8, -2
.LBB36_289:                             ; =>This Inner Loop Header: Depth=1
	s_ff1_i32_b64 s9, s[6:7]
	v_readlane_b32 s12, v2, s9
	s_lshl_b64 s[10:11], 1, s9
	s_min_i32 s8, s8, s12
	s_andn2_b64 s[6:7], s[6:7], s[10:11]
	s_cmp_lg_u64 s[6:7], 0
	s_cbranch_scc1 .LBB36_289
; %bb.290:
	v_mbcnt_lo_u32_b32 v0, exec_lo, 0
	v_mbcnt_hi_u32_b32 v0, exec_hi, v0
	v_cmp_eq_u32_e32 vcc, 0, v0
	s_and_saveexec_b64 s[6:7], vcc
	s_xor_b64 s[6:7], exec, s[6:7]
; %bb.291:
	v_mov_b32_e32 v0, 0
	v_mov_b32_e32 v1, s8
	ds_min_i32 v0, v1 offset:5140
.LBB36_292:
	s_or_b64 exec, exec, s[4:5]
	s_waitcnt lgkmcnt(0)
	s_barrier
	s_mov_b64 s[4:5], exec
	v_readlane_b32 s6, v67, 8
	v_readlane_b32 s7, v67, 9
	s_and_b64 s[6:7], s[4:5], s[6:7]
	s_mov_b64 exec, s[6:7]
	s_cbranch_execz .LBB36_294
; %bb.293:
	v_readlane_b32 s8, v67, 4
	v_readlane_b32 s9, v67, 5
	;; [unrolled: 1-line block ×3, first 2 shown]
	s_mul_i32 s6, s9, s24
	s_mul_hi_u32 s7, s8, s24
	v_readlane_b32 s11, v67, 1
	v_mov_b32_e32 v2, 0
	s_add_i32 s7, s7, s6
	s_mul_i32 s6, s8, s24
	s_mul_i32 s8, s11, s24
	s_mul_hi_u32 s9, s10, s24
	ds_read_b32 v0, v2 offset:5140
	s_add_i32 s9, s9, s8
	s_mul_i32 s8, s10, s24
	s_lshl_b64 s[6:7], s[6:7], 1
	v_readlane_b32 s10, v67, 6
	v_readlane_b32 s11, v67, 7
	s_add_u32 s6, s10, s6
	s_addc_u32 s7, s11, s7
	s_lshl_b64 s[8:9], s[8:9], 3
	v_readlane_b32 s10, v67, 2
	v_readlane_b32 s11, v67, 3
	s_add_u32 s8, s10, s8
	s_addc_u32 s9, s11, s9
	s_waitcnt lgkmcnt(0)
	v_ashrrev_i32_e32 v1, 31, v0
	global_store_dwordx2 v2, v[0:1], s[8:9]
	global_store_short v2, v48, s[6:7]
.LBB36_294:
	s_or_b64 exec, exec, s[4:5]
.LBB36_295:
	s_or_saveexec_b64 s[2:3], s[2:3]
	s_mov_b64 s[4:5], 0
	s_xor_b64 exec, exec, s[2:3]
	s_cbranch_execnz .LBB36_298
.LBB36_296:
	s_or_b64 exec, exec, s[2:3]
	s_and_b64 s[2:3], s[4:5], exec
	s_andn2_saveexec_b64 s[0:1], s[0:1]
	s_cbranch_execz .LBB36_272
.LBB36_297:
	s_or_b64 s[2:3], s[2:3], exec
	s_trap 2
	s_or_b64 exec, exec, s[0:1]
	s_and_saveexec_b64 s[0:1], s[2:3]
	s_cbranch_execnz .LBB36_273
	s_branch .LBB36_274
.LBB36_298:
	s_mov_b64 s[4:5], exec
	s_trap 2
	s_branch .LBB36_296
	.section	.rodata,"a",@progbits
	.p2align	6, 0x0
	.amdhsa_kernel _ZN2at6native12_GLOBAL__N_114gatherKthValueIslLi1EEEvNS_4cuda6detail10TensorInfoIKT_T0_EES8_S8_S8_S8_NS5_IS6_S8_EENS5_IlS8_EE
		.amdhsa_group_segment_fixed_size 5144
		.amdhsa_private_segment_fixed_size 0
		.amdhsa_kernarg_size 1536
		.amdhsa_user_sgpr_count 2
		.amdhsa_user_sgpr_dispatch_ptr 0
		.amdhsa_user_sgpr_queue_ptr 0
		.amdhsa_user_sgpr_kernarg_segment_ptr 1
		.amdhsa_user_sgpr_dispatch_id 0
		.amdhsa_user_sgpr_kernarg_preload_length 0
		.amdhsa_user_sgpr_kernarg_preload_offset 0
		.amdhsa_user_sgpr_private_segment_size 0
		.amdhsa_uses_dynamic_stack 0
		.amdhsa_enable_private_segment 0
		.amdhsa_system_sgpr_workgroup_id_x 1
		.amdhsa_system_sgpr_workgroup_id_y 1
		.amdhsa_system_sgpr_workgroup_id_z 1
		.amdhsa_system_sgpr_workgroup_info 0
		.amdhsa_system_vgpr_workitem_id 0
		.amdhsa_next_free_vgpr 68
		.amdhsa_next_free_sgpr 100
		.amdhsa_accum_offset 68
		.amdhsa_reserve_vcc 1
		.amdhsa_float_round_mode_32 0
		.amdhsa_float_round_mode_16_64 0
		.amdhsa_float_denorm_mode_32 3
		.amdhsa_float_denorm_mode_16_64 3
		.amdhsa_dx10_clamp 1
		.amdhsa_ieee_mode 1
		.amdhsa_fp16_overflow 0
		.amdhsa_tg_split 0
		.amdhsa_exception_fp_ieee_invalid_op 0
		.amdhsa_exception_fp_denorm_src 0
		.amdhsa_exception_fp_ieee_div_zero 0
		.amdhsa_exception_fp_ieee_overflow 0
		.amdhsa_exception_fp_ieee_underflow 0
		.amdhsa_exception_fp_ieee_inexact 0
		.amdhsa_exception_int_div_zero 0
	.end_amdhsa_kernel
	.section	.text._ZN2at6native12_GLOBAL__N_114gatherKthValueIslLi1EEEvNS_4cuda6detail10TensorInfoIKT_T0_EES8_S8_S8_S8_NS5_IS6_S8_EENS5_IlS8_EE,"axG",@progbits,_ZN2at6native12_GLOBAL__N_114gatherKthValueIslLi1EEEvNS_4cuda6detail10TensorInfoIKT_T0_EES8_S8_S8_S8_NS5_IS6_S8_EENS5_IlS8_EE,comdat
.Lfunc_end36:
	.size	_ZN2at6native12_GLOBAL__N_114gatherKthValueIslLi1EEEvNS_4cuda6detail10TensorInfoIKT_T0_EES8_S8_S8_S8_NS5_IS6_S8_EENS5_IlS8_EE, .Lfunc_end36-_ZN2at6native12_GLOBAL__N_114gatherKthValueIslLi1EEEvNS_4cuda6detail10TensorInfoIKT_T0_EES8_S8_S8_S8_NS5_IS6_S8_EENS5_IlS8_EE
                                        ; -- End function
	.set _ZN2at6native12_GLOBAL__N_114gatherKthValueIslLi1EEEvNS_4cuda6detail10TensorInfoIKT_T0_EES8_S8_S8_S8_NS5_IS6_S8_EENS5_IlS8_EE.num_vgpr, 68
	.set _ZN2at6native12_GLOBAL__N_114gatherKthValueIslLi1EEEvNS_4cuda6detail10TensorInfoIKT_T0_EES8_S8_S8_S8_NS5_IS6_S8_EENS5_IlS8_EE.num_agpr, 0
	.set _ZN2at6native12_GLOBAL__N_114gatherKthValueIslLi1EEEvNS_4cuda6detail10TensorInfoIKT_T0_EES8_S8_S8_S8_NS5_IS6_S8_EENS5_IlS8_EE.numbered_sgpr, 100
	.set _ZN2at6native12_GLOBAL__N_114gatherKthValueIslLi1EEEvNS_4cuda6detail10TensorInfoIKT_T0_EES8_S8_S8_S8_NS5_IS6_S8_EENS5_IlS8_EE.num_named_barrier, 0
	.set _ZN2at6native12_GLOBAL__N_114gatherKthValueIslLi1EEEvNS_4cuda6detail10TensorInfoIKT_T0_EES8_S8_S8_S8_NS5_IS6_S8_EENS5_IlS8_EE.private_seg_size, 0
	.set _ZN2at6native12_GLOBAL__N_114gatherKthValueIslLi1EEEvNS_4cuda6detail10TensorInfoIKT_T0_EES8_S8_S8_S8_NS5_IS6_S8_EENS5_IlS8_EE.uses_vcc, 1
	.set _ZN2at6native12_GLOBAL__N_114gatherKthValueIslLi1EEEvNS_4cuda6detail10TensorInfoIKT_T0_EES8_S8_S8_S8_NS5_IS6_S8_EENS5_IlS8_EE.uses_flat_scratch, 0
	.set _ZN2at6native12_GLOBAL__N_114gatherKthValueIslLi1EEEvNS_4cuda6detail10TensorInfoIKT_T0_EES8_S8_S8_S8_NS5_IS6_S8_EENS5_IlS8_EE.has_dyn_sized_stack, 0
	.set _ZN2at6native12_GLOBAL__N_114gatherKthValueIslLi1EEEvNS_4cuda6detail10TensorInfoIKT_T0_EES8_S8_S8_S8_NS5_IS6_S8_EENS5_IlS8_EE.has_recursion, 0
	.set _ZN2at6native12_GLOBAL__N_114gatherKthValueIslLi1EEEvNS_4cuda6detail10TensorInfoIKT_T0_EES8_S8_S8_S8_NS5_IS6_S8_EENS5_IlS8_EE.has_indirect_call, 0
	.section	.AMDGPU.csdata,"",@progbits
; Kernel info:
; codeLenInByte = 16532
; TotalNumSgprs: 106
; NumVgprs: 68
; NumAgprs: 0
; TotalNumVgprs: 68
; ScratchSize: 0
; MemoryBound: 0
; FloatMode: 240
; IeeeMode: 1
; LDSByteSize: 5144 bytes/workgroup (compile time only)
; SGPRBlocks: 13
; VGPRBlocks: 8
; NumSGPRsForWavesPerEU: 106
; NumVGPRsForWavesPerEU: 68
; AccumOffset: 68
; Occupancy: 7
; WaveLimiterHint : 1
; COMPUTE_PGM_RSRC2:SCRATCH_EN: 0
; COMPUTE_PGM_RSRC2:USER_SGPR: 2
; COMPUTE_PGM_RSRC2:TRAP_HANDLER: 0
; COMPUTE_PGM_RSRC2:TGID_X_EN: 1
; COMPUTE_PGM_RSRC2:TGID_Y_EN: 1
; COMPUTE_PGM_RSRC2:TGID_Z_EN: 1
; COMPUTE_PGM_RSRC2:TIDIG_COMP_CNT: 0
; COMPUTE_PGM_RSRC3_GFX90A:ACCUM_OFFSET: 16
; COMPUTE_PGM_RSRC3_GFX90A:TG_SPLIT: 0
	.section	.text._ZN2at6native12_GLOBAL__N_114gatherKthValueIslLi2EEEvNS_4cuda6detail10TensorInfoIKT_T0_EES8_S8_S8_S8_NS5_IS6_S8_EENS5_IlS8_EE,"axG",@progbits,_ZN2at6native12_GLOBAL__N_114gatherKthValueIslLi2EEEvNS_4cuda6detail10TensorInfoIKT_T0_EES8_S8_S8_S8_NS5_IS6_S8_EENS5_IlS8_EE,comdat
	.globl	_ZN2at6native12_GLOBAL__N_114gatherKthValueIslLi2EEEvNS_4cuda6detail10TensorInfoIKT_T0_EES8_S8_S8_S8_NS5_IS6_S8_EENS5_IlS8_EE ; -- Begin function _ZN2at6native12_GLOBAL__N_114gatherKthValueIslLi2EEEvNS_4cuda6detail10TensorInfoIKT_T0_EES8_S8_S8_S8_NS5_IS6_S8_EENS5_IlS8_EE
	.p2align	8
	.type	_ZN2at6native12_GLOBAL__N_114gatherKthValueIslLi2EEEvNS_4cuda6detail10TensorInfoIKT_T0_EES8_S8_S8_S8_NS5_IS6_S8_EENS5_IlS8_EE,@function
_ZN2at6native12_GLOBAL__N_114gatherKthValueIslLi2EEEvNS_4cuda6detail10TensorInfoIKT_T0_EES8_S8_S8_S8_NS5_IS6_S8_EENS5_IlS8_EE: ; @_ZN2at6native12_GLOBAL__N_114gatherKthValueIslLi2EEEvNS_4cuda6detail10TensorInfoIKT_T0_EES8_S8_S8_S8_NS5_IS6_S8_EENS5_IlS8_EE
; %bb.0:
	s_load_dwordx2 s[12:13], s[0:1], 0x500
	s_load_dwordx8 s[56:63], s[0:1], 0x1a0
	s_add_u32 s10, s0, 0x500
	s_addc_u32 s11, s1, 0
	s_mov_b32 s29, 0
	s_waitcnt lgkmcnt(0)
	s_mul_i32 s4, s13, s4
	s_add_i32 s3, s4, s3
	s_mul_i32 s3, s3, s12
	s_add_i32 s28, s3, s2
	v_mov_b64_e32 v[2:3], s[28:29]
	v_cmp_le_i64_e32 vcc, s[60:61], v[2:3]
	s_cbranch_vccnz .LBB37_284
; %bb.1:
	s_load_dwordx2 s[8:9], s[0:1], 0x10
	s_load_dwordx2 s[24:25], s[0:1], 0x1d0
	s_mov_b32 s4, s29
                                        ; implicit-def: $vgpr70 : SGPR spill to VGPR lane
	s_waitcnt lgkmcnt(0)
	s_mov_b32 s5, s9
	s_cmp_lg_u64 s[4:5], 0
	v_writelane_b32 v70, s24, 0
	s_nop 1
	v_writelane_b32 v70, s25, 1
	s_cbranch_scc0 .LBB37_297
; %bb.2:
	s_ashr_i32 s4, s9, 31
	s_add_u32 s6, s8, s4
	s_mov_b32 s5, s4
	s_addc_u32 s7, s9, s4
	s_xor_b64 s[14:15], s[6:7], s[4:5]
	v_cvt_f32_u32_e32 v1, s14
	v_cvt_f32_u32_e32 v2, s15
	s_sub_u32 s3, 0, s14
	s_subb_u32 s13, 0, s15
	v_fmamk_f32 v1, v2, 0x4f800000, v1
	v_rcp_f32_e32 v1, v1
	s_nop 0
	v_mul_f32_e32 v1, 0x5f7ffffc, v1
	v_mul_f32_e32 v2, 0x2f800000, v1
	v_trunc_f32_e32 v2, v2
	v_fmamk_f32 v1, v2, 0xcf800000, v1
	v_cvt_u32_f32_e32 v2, v2
	v_cvt_u32_f32_e32 v1, v1
	v_readfirstlane_b32 s18, v2
	v_readfirstlane_b32 s16, v1
	s_mul_i32 s17, s3, s18
	s_mul_hi_u32 s20, s3, s16
	s_mul_i32 s19, s13, s16
	s_add_i32 s17, s20, s17
	s_add_i32 s17, s17, s19
	s_mul_i32 s21, s3, s16
	s_mul_i32 s20, s16, s17
	s_mul_hi_u32 s22, s16, s21
	s_mul_hi_u32 s19, s16, s17
	s_add_u32 s20, s22, s20
	s_addc_u32 s19, 0, s19
	s_mul_hi_u32 s23, s18, s21
	s_mul_i32 s21, s18, s21
	s_add_u32 s20, s20, s21
	s_mul_hi_u32 s22, s18, s17
	s_addc_u32 s19, s19, s23
	s_addc_u32 s20, s22, 0
	s_mul_i32 s17, s18, s17
	s_add_u32 s17, s19, s17
	s_addc_u32 s19, 0, s20
	s_add_u32 s20, s16, s17
	s_cselect_b64 s[16:17], -1, 0
	s_cmp_lg_u64 s[16:17], 0
	s_addc_u32 s18, s18, s19
	s_mul_i32 s16, s3, s18
	s_mul_hi_u32 s17, s3, s20
	s_add_i32 s16, s17, s16
	s_mul_i32 s13, s13, s20
	s_add_i32 s16, s16, s13
	s_mul_i32 s3, s3, s20
	s_mul_hi_u32 s17, s18, s3
	s_mul_i32 s19, s18, s3
	s_mul_i32 s22, s20, s16
	s_mul_hi_u32 s3, s20, s3
	s_mul_hi_u32 s21, s20, s16
	s_add_u32 s3, s3, s22
	s_addc_u32 s21, 0, s21
	s_add_u32 s3, s3, s19
	s_mul_hi_u32 s13, s18, s16
	s_addc_u32 s3, s21, s17
	s_addc_u32 s13, s13, 0
	s_mul_i32 s16, s18, s16
	s_add_u32 s3, s3, s16
	s_addc_u32 s13, 0, s13
	s_add_u32 s3, s20, s3
	s_cselect_b64 s[16:17], -1, 0
	s_cmp_lg_u64 s[16:17], 0
	s_addc_u32 s13, s18, s13
	s_add_u32 s16, s28, 0
	s_addc_u32 s17, 0, 0
	s_xor_b64 s[16:17], s[16:17], 0
	s_mul_i32 s19, s16, s13
	s_mul_hi_u32 s20, s16, s3
	s_mul_hi_u32 s18, s16, s13
	s_add_u32 s19, s20, s19
	s_addc_u32 s18, 0, s18
	s_mul_hi_u32 s21, s17, s3
	s_mul_i32 s3, s17, s3
	s_add_u32 s3, s19, s3
	s_mul_hi_u32 s20, s17, s13
	s_addc_u32 s3, s18, s21
	s_addc_u32 s18, s20, 0
	s_mul_i32 s13, s17, s13
	s_add_u32 s3, s3, s13
	s_addc_u32 s13, 0, s18
	s_mul_i32 s18, s14, s13
	s_mul_hi_u32 s19, s14, s3
	s_add_i32 s18, s19, s18
	s_mul_i32 s19, s15, s3
	s_add_i32 s22, s18, s19
	s_sub_i32 s20, s17, s22
	s_mul_i32 s18, s14, s3
	s_sub_u32 s16, s16, s18
	s_cselect_b64 s[18:19], -1, 0
	s_cmp_lg_u64 s[18:19], 0
	s_subb_u32 s23, s20, s15
	s_sub_u32 s24, s16, s14
	s_cselect_b64 s[20:21], -1, 0
	s_cmp_lg_u64 s[20:21], 0
	s_subb_u32 s20, s23, 0
	s_cmp_ge_u32 s20, s15
	s_cselect_b32 s21, -1, 0
	s_cmp_ge_u32 s24, s14
	s_cselect_b32 s23, -1, 0
	s_cmp_eq_u32 s20, s15
	s_cselect_b32 s20, s23, s21
	s_add_u32 s21, s3, 1
	s_addc_u32 s23, s13, 0
	s_add_u32 s24, s3, 2
	s_addc_u32 s25, s13, 0
	s_cmp_lg_u32 s20, 0
	s_cselect_b32 s20, s24, s21
	s_cselect_b32 s21, s25, s23
	s_cmp_lg_u64 s[18:19], 0
	s_subb_u32 s17, s17, s22
	s_cmp_ge_u32 s17, s15
	s_cselect_b32 s18, -1, 0
	s_cmp_ge_u32 s16, s14
	s_cselect_b32 s14, -1, 0
	s_cmp_eq_u32 s17, s15
	s_cselect_b32 s14, s14, s18
	s_load_dwordx2 s[24:25], s[0:1], 0x1d0
	s_cmp_lg_u32 s14, 0
	s_cselect_b32 s15, s21, s13
	s_cselect_b32 s14, s20, s3
	s_xor_b64 s[4:5], 0, s[4:5]
	s_xor_b64 s[14:15], s[14:15], s[4:5]
	s_sub_u32 s16, s14, s4
	s_subb_u32 s17, s15, s5
	s_cbranch_execnz .LBB37_4
.LBB37_3:
	v_cvt_f32_u32_e32 v1, s8
	s_sub_i32 s3, 0, s8
	s_mov_b32 s17, 0
	v_rcp_iflag_f32_e32 v1, v1
	s_nop 0
	v_mul_f32_e32 v1, 0x4f7ffffe, v1
	v_cvt_u32_f32_e32 v1, v1
	s_nop 0
	v_readfirstlane_b32 s4, v1
	s_mul_i32 s3, s3, s4
	s_mul_hi_u32 s3, s4, s3
	s_add_i32 s4, s4, s3
	s_mul_hi_u32 s3, s28, s4
	s_mul_i32 s5, s3, s8
	s_sub_i32 s5, s28, s5
	s_add_i32 s4, s3, 1
	s_sub_i32 s6, s5, s8
	s_cmp_ge_u32 s5, s8
	s_cselect_b32 s3, s4, s3
	s_cselect_b32 s5, s6, s5
	s_add_i32 s4, s3, 1
	s_cmp_ge_u32 s5, s8
	s_cselect_b32 s16, s4, s3
.LBB37_4:
	s_load_dwordx2 s[30:31], s[0:1], 0x370
	s_mov_b32 s4, 0
	s_waitcnt lgkmcnt(0)
	s_mov_b32 s5, s25
	s_cmp_lg_u64 s[4:5], 0
	s_cbranch_scc0 .LBB37_298
; %bb.5:
	s_ashr_i32 s4, s25, 31
	s_add_u32 s6, s24, s4
	s_mov_b32 s5, s4
	s_addc_u32 s7, s25, s4
	s_xor_b64 s[14:15], s[6:7], s[4:5]
	v_cvt_f32_u32_e32 v1, s14
	v_cvt_f32_u32_e32 v2, s15
	s_sub_u32 s3, 0, s14
	s_subb_u32 s13, 0, s15
	v_fmamk_f32 v1, v2, 0x4f800000, v1
	v_rcp_f32_e32 v1, v1
	s_nop 0
	v_mul_f32_e32 v1, 0x5f7ffffc, v1
	v_mul_f32_e32 v2, 0x2f800000, v1
	v_trunc_f32_e32 v2, v2
	v_fmamk_f32 v1, v2, 0xcf800000, v1
	v_cvt_u32_f32_e32 v2, v2
	v_cvt_u32_f32_e32 v1, v1
	v_readfirstlane_b32 s20, v2
	v_readfirstlane_b32 s18, v1
	s_mul_i32 s19, s3, s20
	s_mul_hi_u32 s22, s3, s18
	s_mul_i32 s21, s13, s18
	s_add_i32 s19, s22, s19
	s_add_i32 s19, s19, s21
	s_mul_i32 s23, s3, s18
	s_mul_i32 s22, s18, s19
	s_mul_hi_u32 s24, s18, s23
	s_mul_hi_u32 s21, s18, s19
	s_add_u32 s22, s24, s22
	s_addc_u32 s21, 0, s21
	s_mul_hi_u32 s25, s20, s23
	s_mul_i32 s23, s20, s23
	s_add_u32 s22, s22, s23
	s_mul_hi_u32 s24, s20, s19
	s_addc_u32 s21, s21, s25
	s_addc_u32 s22, s24, 0
	s_mul_i32 s19, s20, s19
	s_add_u32 s19, s21, s19
	s_addc_u32 s21, 0, s22
	s_add_u32 s22, s18, s19
	s_cselect_b64 s[18:19], -1, 0
	s_cmp_lg_u64 s[18:19], 0
	s_addc_u32 s20, s20, s21
	s_mul_i32 s18, s3, s20
	s_mul_hi_u32 s19, s3, s22
	s_add_i32 s18, s19, s18
	s_mul_i32 s13, s13, s22
	s_add_i32 s18, s18, s13
	s_mul_i32 s3, s3, s22
	s_mul_hi_u32 s19, s20, s3
	s_mul_i32 s21, s20, s3
	s_mul_i32 s24, s22, s18
	s_mul_hi_u32 s3, s22, s3
	s_mul_hi_u32 s23, s22, s18
	s_add_u32 s3, s3, s24
	s_addc_u32 s23, 0, s23
	s_add_u32 s3, s3, s21
	s_mul_hi_u32 s13, s20, s18
	s_addc_u32 s3, s23, s19
	s_addc_u32 s13, s13, 0
	s_mul_i32 s18, s20, s18
	s_add_u32 s3, s3, s18
	s_addc_u32 s13, 0, s13
	s_add_u32 s3, s22, s3
	s_cselect_b64 s[18:19], -1, 0
	s_cmp_lg_u64 s[18:19], 0
	s_addc_u32 s13, s20, s13
	s_add_u32 s18, s28, 0
	s_addc_u32 s19, 0, 0
	s_xor_b64 s[18:19], s[18:19], 0
	s_mul_i32 s21, s18, s13
	s_mul_hi_u32 s22, s18, s3
	s_mul_hi_u32 s20, s18, s13
	s_add_u32 s21, s22, s21
	s_addc_u32 s20, 0, s20
	s_mul_hi_u32 s23, s19, s3
	s_mul_i32 s3, s19, s3
	s_add_u32 s3, s21, s3
	s_mul_hi_u32 s22, s19, s13
	s_addc_u32 s3, s20, s23
	s_addc_u32 s20, s22, 0
	s_mul_i32 s13, s19, s13
	s_add_u32 s3, s3, s13
	s_addc_u32 s13, 0, s20
	s_mul_i32 s20, s14, s13
	s_mul_hi_u32 s21, s14, s3
	s_add_i32 s20, s21, s20
	s_mul_i32 s21, s15, s3
	s_add_i32 s24, s20, s21
	s_sub_i32 s22, s19, s24
	s_mul_i32 s20, s14, s3
	s_sub_u32 s18, s18, s20
	s_cselect_b64 s[20:21], -1, 0
	s_cmp_lg_u64 s[20:21], 0
	s_subb_u32 s25, s22, s15
	s_sub_u32 s26, s18, s14
	s_cselect_b64 s[22:23], -1, 0
	s_cmp_lg_u64 s[22:23], 0
	s_subb_u32 s22, s25, 0
	s_cmp_ge_u32 s22, s15
	s_cselect_b32 s23, -1, 0
	s_cmp_ge_u32 s26, s14
	s_cselect_b32 s25, -1, 0
	s_cmp_eq_u32 s22, s15
	s_cselect_b32 s22, s25, s23
	s_add_u32 s23, s3, 1
	s_addc_u32 s25, s13, 0
	s_add_u32 s26, s3, 2
	s_addc_u32 s27, s13, 0
	s_cmp_lg_u32 s22, 0
	s_cselect_b32 s22, s26, s23
	s_cselect_b32 s23, s27, s25
	s_cmp_lg_u64 s[20:21], 0
	s_subb_u32 s19, s19, s24
	s_cmp_ge_u32 s19, s15
	s_cselect_b32 s20, -1, 0
	s_cmp_ge_u32 s18, s14
	s_cselect_b32 s14, -1, 0
	s_cmp_eq_u32 s19, s15
	s_cselect_b32 s14, s14, s20
	s_load_dwordx2 s[24:25], s[0:1], 0x1d0
	s_cmp_lg_u32 s14, 0
	s_cselect_b32 s15, s23, s13
	s_cselect_b32 s14, s22, s3
	s_xor_b64 s[4:5], 0, s[4:5]
	s_xor_b64 s[14:15], s[14:15], s[4:5]
	s_sub_u32 s14, s14, s4
	s_subb_u32 s15, s15, s5
	s_cbranch_execnz .LBB37_7
.LBB37_6:
	s_waitcnt lgkmcnt(0)
	v_cvt_f32_u32_e32 v1, s24
	s_sub_i32 s3, 0, s24
	s_mov_b32 s15, 0
	v_rcp_iflag_f32_e32 v1, v1
	s_nop 0
	v_mul_f32_e32 v1, 0x4f7ffffe, v1
	v_cvt_u32_f32_e32 v1, v1
	s_nop 0
	v_readfirstlane_b32 s4, v1
	s_mul_i32 s3, s3, s4
	s_mul_hi_u32 s3, s4, s3
	s_add_i32 s4, s4, s3
	s_mul_hi_u32 s3, s28, s4
	s_mul_i32 s5, s3, s24
	s_sub_i32 s5, s28, s5
	s_add_i32 s4, s3, 1
	s_sub_i32 s6, s5, s24
	s_cmp_ge_u32 s5, s24
	s_cselect_b32 s3, s4, s3
	s_cselect_b32 s5, s6, s5
	s_add_i32 s4, s3, 1
	s_cmp_ge_u32 s5, s24
	s_cselect_b32 s14, s4, s3
.LBB37_7:
	s_mov_b32 s4, 0
	s_mov_b32 s5, s31
	v_writelane_b32 v70, s14, 2
	s_cmp_lg_u64 s[4:5], 0
	s_nop 0
	v_writelane_b32 v70, s15, 3
	s_cbranch_scc0 .LBB37_299
; %bb.8:
	s_ashr_i32 s6, s31, 31
	s_add_u32 s4, s30, s6
	s_mov_b32 s7, s6
	s_addc_u32 s5, s31, s6
	s_xor_b64 s[14:15], s[4:5], s[6:7]
	v_cvt_f32_u32_e32 v1, s14
	v_cvt_f32_u32_e32 v2, s15
	s_sub_u32 s3, 0, s14
	s_subb_u32 s13, 0, s15
	v_fmamk_f32 v1, v2, 0x4f800000, v1
	v_rcp_f32_e32 v1, v1
	s_nop 0
	v_mul_f32_e32 v1, 0x5f7ffffc, v1
	v_mul_f32_e32 v2, 0x2f800000, v1
	v_trunc_f32_e32 v2, v2
	v_fmamk_f32 v1, v2, 0xcf800000, v1
	v_cvt_u32_f32_e32 v2, v2
	v_cvt_u32_f32_e32 v1, v1
	v_readfirstlane_b32 s20, v2
	v_readfirstlane_b32 s18, v1
	s_mul_i32 s19, s3, s20
	s_mul_hi_u32 s22, s3, s18
	s_mul_i32 s21, s13, s18
	s_add_i32 s19, s22, s19
	s_add_i32 s19, s19, s21
	s_mul_i32 s23, s3, s18
	s_mul_i32 s22, s18, s19
	s_waitcnt lgkmcnt(0)
	s_mul_hi_u32 s24, s18, s23
	s_mul_hi_u32 s21, s18, s19
	s_add_u32 s22, s24, s22
	s_addc_u32 s21, 0, s21
	s_mul_hi_u32 s25, s20, s23
	s_mul_i32 s23, s20, s23
	s_add_u32 s22, s22, s23
	s_mul_hi_u32 s24, s20, s19
	s_addc_u32 s21, s21, s25
	s_addc_u32 s22, s24, 0
	s_mul_i32 s19, s20, s19
	s_add_u32 s19, s21, s19
	s_addc_u32 s21, 0, s22
	s_add_u32 s22, s18, s19
	s_cselect_b64 s[18:19], -1, 0
	s_cmp_lg_u64 s[18:19], 0
	s_addc_u32 s20, s20, s21
	s_mul_i32 s18, s3, s20
	s_mul_hi_u32 s19, s3, s22
	s_add_i32 s18, s19, s18
	s_mul_i32 s13, s13, s22
	s_add_i32 s18, s18, s13
	s_mul_i32 s3, s3, s22
	s_mul_hi_u32 s19, s20, s3
	s_mul_i32 s21, s20, s3
	s_mul_i32 s24, s22, s18
	s_mul_hi_u32 s3, s22, s3
	s_mul_hi_u32 s23, s22, s18
	s_add_u32 s3, s3, s24
	s_addc_u32 s23, 0, s23
	s_add_u32 s3, s3, s21
	s_mul_hi_u32 s13, s20, s18
	s_addc_u32 s3, s23, s19
	s_addc_u32 s13, s13, 0
	s_mul_i32 s18, s20, s18
	s_add_u32 s3, s3, s18
	s_addc_u32 s13, 0, s13
	s_add_u32 s3, s22, s3
	s_cselect_b64 s[18:19], -1, 0
	s_cmp_lg_u64 s[18:19], 0
	s_addc_u32 s13, s20, s13
	s_add_u32 s18, s28, 0
	s_addc_u32 s19, 0, 0
	s_xor_b64 s[18:19], s[18:19], 0
	s_mul_i32 s21, s18, s13
	s_mul_hi_u32 s22, s18, s3
	s_mul_hi_u32 s20, s18, s13
	s_add_u32 s21, s22, s21
	s_addc_u32 s20, 0, s20
	s_mul_hi_u32 s23, s19, s3
	s_mul_i32 s3, s19, s3
	s_add_u32 s3, s21, s3
	s_mul_hi_u32 s22, s19, s13
	s_addc_u32 s3, s20, s23
	s_addc_u32 s20, s22, 0
	s_mul_i32 s13, s19, s13
	s_add_u32 s3, s3, s13
	s_addc_u32 s13, 0, s20
	s_mul_i32 s20, s14, s13
	s_mul_hi_u32 s21, s14, s3
	s_add_i32 s20, s21, s20
	s_mul_i32 s21, s15, s3
	s_add_i32 s24, s20, s21
	s_sub_i32 s22, s19, s24
	s_mul_i32 s20, s14, s3
	s_sub_u32 s18, s18, s20
	s_cselect_b64 s[20:21], -1, 0
	s_cmp_lg_u64 s[20:21], 0
	s_subb_u32 s25, s22, s15
	s_sub_u32 s26, s18, s14
	s_cselect_b64 s[22:23], -1, 0
	s_cmp_lg_u64 s[22:23], 0
	s_subb_u32 s22, s25, 0
	s_cmp_ge_u32 s22, s15
	s_cselect_b32 s23, -1, 0
	s_cmp_ge_u32 s26, s14
	s_cselect_b32 s25, -1, 0
	s_cmp_eq_u32 s22, s15
	s_cselect_b32 s22, s25, s23
	s_add_u32 s23, s3, 1
	s_addc_u32 s25, s13, 0
	s_add_u32 s26, s3, 2
	s_addc_u32 s27, s13, 0
	s_cmp_lg_u32 s22, 0
	s_cselect_b32 s22, s26, s23
	s_cselect_b32 s23, s27, s25
	s_cmp_lg_u64 s[20:21], 0
	s_subb_u32 s19, s19, s24
	s_cmp_ge_u32 s19, s15
	s_cselect_b32 s20, -1, 0
	s_cmp_ge_u32 s18, s14
	s_cselect_b32 s14, -1, 0
	s_cmp_eq_u32 s19, s15
	s_cselect_b32 s14, s14, s20
	s_cmp_lg_u32 s14, 0
	s_cselect_b32 s15, s23, s13
	s_cselect_b32 s14, s22, s3
	s_xor_b64 s[6:7], 0, s[6:7]
	s_xor_b64 s[14:15], s[14:15], s[6:7]
	s_sub_u32 s6, s14, s6
	s_subb_u32 s7, s15, s7
	v_writelane_b32 v70, s6, 4
	s_nop 1
	v_writelane_b32 v70, s7, 5
	s_load_dwordx2 s[14:15], s[0:1], 0x0
	s_cbranch_execnz .LBB37_10
.LBB37_9:
	v_cvt_f32_u32_e32 v1, s30
	s_sub_i32 s3, 0, s30
	s_mov_b32 s7, 0
	v_rcp_iflag_f32_e32 v1, v1
	s_nop 0
	v_mul_f32_e32 v1, 0x4f7ffffe, v1
	v_cvt_u32_f32_e32 v1, v1
	s_nop 0
	v_readfirstlane_b32 s4, v1
	s_mul_i32 s3, s3, s4
	s_mul_hi_u32 s3, s4, s3
	s_add_i32 s4, s4, s3
	s_mul_hi_u32 s3, s28, s4
	s_mul_i32 s5, s3, s30
	s_sub_i32 s5, s28, s5
	s_add_i32 s4, s3, 1
	s_sub_i32 s6, s5, s30
	s_cmp_ge_u32 s5, s30
	s_cselect_b32 s3, s4, s3
	s_cselect_b32 s5, s6, s5
	s_add_i32 s4, s3, 1
	s_cmp_ge_u32 s5, s30
	s_cselect_b32 s6, s4, s3
	v_writelane_b32 v70, s6, 4
	s_nop 1
	v_writelane_b32 v70, s7, 5
.LBB37_10:
	s_load_dwordx2 s[4:5], s[0:1], 0x360
	v_writelane_b32 v70, s30, 6
	s_mov_b32 s87, 0
	v_cmp_eq_u32_e64 s[20:21], 0, v0
	v_writelane_b32 v70, s31, 7
	s_waitcnt lgkmcnt(0)
	v_writelane_b32 v70, s4, 8
	s_nop 1
	v_writelane_b32 v70, s5, 9
	s_load_dwordx2 s[4:5], s[0:1], 0x1c0
	s_waitcnt lgkmcnt(0)
	v_writelane_b32 v70, s4, 10
	s_nop 1
	v_writelane_b32 v70, s5, 11
	s_load_dwordx4 s[4:7], s[0:1], 0xd0
	s_mov_b64 s[18:19], exec
	v_writelane_b32 v70, s20, 12
	s_nop 1
	v_writelane_b32 v70, s21, 13
	s_and_b64 s[20:21], s[18:19], s[20:21]
	s_mov_b64 exec, s[20:21]
	s_cbranch_execz .LBB37_12
; %bb.11:
	v_mov_b32_e32 v2, 0
	v_mov_b32_e32 v4, s56
	;; [unrolled: 1-line block ×4, first 2 shown]
	ds_write_b32 v2, v2 offset:5136
	ds_write_b128 v2, v[2:5] offset:5120
.LBB37_12:
	s_or_b64 exec, exec, s[18:19]
	s_load_dwordx4 s[20:23], s[0:1], 0x430
                                        ; kill: killed $sgpr0 killed $sgpr1
	v_mbcnt_lo_u32_b32 v1, -1, 0
	v_mbcnt_hi_u32_b32 v40, -1, v1
	v_cmp_gt_u32_e32 vcc, 64, v0
	v_mov_b64_e32 v[4:5], 0x600
	s_waitcnt lgkmcnt(0)
	v_writelane_b32 v70, s20, 14
	v_mov_b32_e32 v3, 0
	v_mov_b32_e32 v1, v3
	v_writelane_b32 v70, s21, 15
	v_writelane_b32 v70, s22, 16
	;; [unrolled: 1-line block ×3, first 2 shown]
	s_load_dwordx4 s[20:23], s[0:1], 0x290
	s_mul_i32 s0, s16, s9
	s_mul_hi_u32 s1, s16, s8
	s_add_i32 s0, s1, s0
	s_mul_i32 s1, s17, s8
	s_add_i32 s0, s0, s1
	s_mul_i32 s1, s16, s8
	s_sub_u32 s3, s28, s1
	s_subb_u32 s0, 0, s0
	s_mul_i32 s1, s3, s7
	s_mul_hi_u32 s7, s3, s6
	s_add_i32 s1, s7, s1
	s_mul_i32 s0, s0, s6
	s_add_i32 s1, s1, s0
	s_mul_i32 s0, s3, s6
	s_mul_i32 s3, s16, s5
	s_mul_hi_u32 s5, s16, s4
	s_add_i32 s3, s5, s3
	s_mul_i32 s5, s17, s4
	s_waitcnt lgkmcnt(0)
	v_writelane_b32 v70, s20, 18
	s_add_i32 s5, s3, s5
	s_mul_i32 s4, s16, s4
	v_writelane_b32 v70, s21, 19
	s_lshl_b64 s[6:7], s[4:5], 1
	v_writelane_b32 v70, s22, 20
	s_add_u32 s3, s14, s6
	v_writelane_b32 v70, s23, 21
	s_mov_b32 s8, s28
	s_addc_u32 s4, s15, s7
	s_lshl_b64 s[16:17], s[0:1], 1
	v_writelane_b32 v70, s8, 22
	s_add_u32 s50, s3, s16
	v_cmp_gt_i32_e64 s[0:1], 4, v40
	v_writelane_b32 v70, s9, 23
	s_addc_u32 s51, s4, s17
	s_and_b64 s[0:1], vcc, s[0:1]
	v_writelane_b32 v70, s0, 24
	s_barrier
	s_nop 0
	v_writelane_b32 v70, s1, 25
	v_cmp_gt_u32_e64 s[0:1], 2, v0
	v_lshlrev_b64 v[8:9], v40, -1
	s_nop 0
	v_writelane_b32 v70, s0, 26
	v_not_b32_e32 v18, v8
	v_mov_b32_e32 v8, s57
	v_writelane_b32 v70, s1, 27
	v_cmp_gt_i64_e64 s[0:1], s[56:57], v[4:5]
	v_not_b32_e32 v19, v9
	v_mov_b32_e32 v11, -1
	v_writelane_b32 v70, s0, 28
	v_not_b32_e32 v10, v0
	v_lshlrev_b32_e32 v45, 3, v0
	v_writelane_b32 v70, s1, 29
	v_mad_u64_u32 v[4:5], s[0:1], s62, v0, 0
	v_mov_b32_e32 v2, v5
	v_mad_u64_u32 v[6:7], s[0:1], s63, v0, v[2:3]
	v_cmp_gt_i64_e64 s[0:1], s[56:57], v[0:1]
	v_lshlrev_b32_e32 v2, 2, v40
	v_and_b32_e32 v43, 0x100, v2
	v_writelane_b32 v70, s0, 30
	v_lshrrev_b32_e32 v2, 1, v0
	v_and_b32_e32 v2, 0x1e0, v2
	v_writelane_b32 v70, s1, 31
	s_load_dword s0, s[10:11], 0xc
	v_or_b32_e32 v44, 0xc00, v2
	v_add_u32_e32 v2, 2, v0
	v_cmp_gt_i64_e32 vcc, s[56:57], v[2:3]
	v_mov_b32_e32 v5, v6
	s_waitcnt lgkmcnt(0)
	s_and_b32 s84, s0, 0xffff
	s_bfe_u32 s0, s0, 0xa0006
	s_cmp_gt_u32 s84, 63
	s_cselect_b64 s[8:9], -1, 0
	s_add_u32 s1, s84, -1
	v_writelane_b32 v70, s8, 32
	s_addc_u32 s3, 0, -1
	v_cndmask_b32_e32 v9, 0, v8, vcc
	v_mov_b32_e32 v8, s56
	v_writelane_b32 v70, s9, 33
	s_add_u32 s53, s1, s56
	v_cndmask_b32_e32 v8, v2, v8, vcc
	v_writelane_b32 v70, s1, 34
	s_addc_u32 s89, s3, s57
	v_lshl_add_u64 v[8:9], v[8:9], 0, v[10:11]
	v_writelane_b32 v70, s3, 35
	s_cmp_lt_u32 s2, s12
	v_cmp_lt_u64_e64 s[2:3], 3, v[8:9]
	s_cselect_b32 s1, 12, 18
	s_add_u32 s54, s10, s1
	v_writelane_b32 v70, s2, 36
	s_mov_b32 s1, s63
	v_and_b32_e32 v20, -4, v8
	v_writelane_b32 v70, s3, 37
	v_mov_b32_e32 v21, v9
	v_writelane_b32 v70, s1, 38
	v_writelane_b32 v70, s1, 39
	v_cmp_ne_u64_e64 s[2:3], v[8:9], v[20:21]
	s_addc_u32 s55, s11, 0
	s_add_i32 s1, s0, -1
	v_writelane_b32 v70, s2, 40
	s_and_b32 s1, s1, 0xffff
	v_or_b32_e32 v8, 6, v45
	v_writelane_b32 v70, s3, 41
	s_bfe_u32 s2, s84, 0x30006
	s_cmp_gt_u32 s1, 6
	s_cselect_b64 s[18:19], -1, 0
	v_writelane_b32 v70, s18, 42
	s_and_b32 s77, s0, 0x3f8
	s_cmp_lg_u32 s2, 0
	v_writelane_b32 v70, s19, 43
	v_writelane_b32 v70, s2, 44
	s_cselect_b64 s[0:1], -1, 0
	v_writelane_b32 v70, s0, 45
	v_lshlrev_b64 v[6:7], 1, v[4:5]
	v_lshl_add_u64 v[14:15], s[50:51], 0, v[6:7]
	v_writelane_b32 v70, s1, 46
	s_add_u32 s0, s6, s16
	s_addc_u32 s1, s7, s17
	s_add_u32 s2, s14, s0
	s_addc_u32 s3, s15, s1
	s_lshl_b64 s[0:1], s[62:63], 1
	v_writelane_b32 v70, s0, 47
	v_cmp_eq_u32_e64 s[4:5], 0, v40
	s_mov_b32 s99, s63
	v_writelane_b32 v70, s1, 48
	v_mad_u64_u32 v[24:25], s[0:1], s62, v8, 0
	v_mov_b32_e32 v2, v25
	v_writelane_b32 v70, s2, 49
	v_mad_u64_u32 v[8:9], s[0:1], s63, v8, v[2:3]
	s_nop 0
	v_writelane_b32 v70, s3, 50
	v_mov_b32_e32 v25, v8
	v_or_b32_e32 v8, 4, v45
	v_writelane_b32 v70, s54, 51
	v_mad_u64_u32 v[26:27], s[0:1], s62, v8, 0
	s_nop 0
	v_writelane_b32 v70, s55, 52
	v_mov_b32_e32 v2, v27
	v_writelane_b32 v70, s50, 53
	v_mad_u64_u32 v[8:9], s[0:1], s63, v8, v[2:3]
	s_nop 0
	v_writelane_b32 v70, s51, 54
	v_mov_b32_e32 v27, v8
	v_or_b32_e32 v8, 2, v45
	v_writelane_b32 v70, s4, 55
	v_mad_u64_u32 v[28:29], s[0:1], s62, v8, 0
	s_nop 0
	v_writelane_b32 v70, s5, 56
	v_mov_b32_e32 v2, v29
	s_lshl_b32 s98, s84, 1
	v_writelane_b32 v70, s99, 57
	v_mad_u64_u32 v[8:9], s[0:1], s63, v8, v[2:3]
	v_writelane_b32 v70, s98, 58
	s_mov_b32 s76, s62
	s_mul_i32 s0, s63, s84
	s_mul_hi_u32 s1, s62, s84
	v_writelane_b32 v70, s77, 59
	v_lshlrev_b32_e32 v41, 1, v0
	s_mov_b32 s94, s62
	v_mov_b32_e32 v2, 0xc00
	s_add_i32 s1, s1, s0
	s_mul_i32 s0, s62, s84
	v_writelane_b32 v70, s76, 60
	v_add_u32_e32 v42, 0xc00, v41
	v_lshlrev_b32_e32 v16, 2, v0
	v_mov_b32_e32 v17, v3
	s_mov_b32 s85, s87
	v_lshl_add_u64 v[22:23], v[20:21], 0, v[0:1]
	s_mov_b32 s95, s62
	s_mov_b32 s88, s63
	;; [unrolled: 1-line block ×3, first 2 shown]
	s_lshl_b64 s[68:69], s[62:63], 3
	v_mov_b32_e32 v29, v8
	v_lshlrev_b64 v[30:31], 3, v[4:5]
	v_lshl_add_u64 v[32:33], s[56:57], 0, v[0:1]
	v_lshl_or_b32 v46, v40, 3, v2
	v_lshl_add_u64 v[12:13], s[2:3], 0, v[6:7]
	s_lshl_b64 s[92:93], s[0:1], 1
	s_mov_b32 s33, 14
	s_mov_b64 s[70:71], 0
	v_mov_b64_e32 v[34:35], s[58:59]
	s_mov_b32 s91, 0x8000
	s_mov_b32 s59, 0x5040100
	v_mov_b64_e32 v[52:53], s[56:57]
	v_mov_b32_e32 v48, 0x5040100
	v_mov_b32_e32 v50, 0
	s_mov_b32 s58, 0
	v_mov_b32_e32 v47, 0
	v_mov_b32_e32 v49, 0
	v_writelane_b32 v70, s94, 61
                                        ; implicit-def: $sgpr80_sgpr81
                                        ; implicit-def: $sgpr10_sgpr11
                                        ; implicit-def: $sgpr8_sgpr9
                                        ; implicit-def: $sgpr12_sgpr13
                                        ; implicit-def: $sgpr60_sgpr61
                                        ; implicit-def: $sgpr82_sgpr83
	v_writelane_b32 v70, s90, 62
	s_branch .LBB37_16
.LBB37_13:                              ;   in Loop: Header=BB37_16 Depth=1
	s_or_b64 exec, exec, s[18:19]
	s_and_b64 s[14:15], s[14:15], exec
	s_andn2_b64 s[24:25], s[24:25], exec
	s_andn2_b64 s[0:1], s[0:1], exec
	s_orn2_b64 s[18:19], s[6:7], exec
.LBB37_14:                              ;   in Loop: Header=BB37_16 Depth=1
	s_or_b64 exec, exec, s[2:3]
	s_andn2_b64 s[2:3], s[82:83], exec
	s_and_b64 s[6:7], s[14:15], exec
	s_or_b64 s[82:83], s[2:3], s[6:7]
	s_andn2_b64 s[2:3], s[74:75], exec
	s_and_b64 s[6:7], s[24:25], exec
	s_or_b64 s[74:75], s[2:3], s[6:7]
	;; [unrolled: 3-line block ×3, first 2 shown]
	s_orn2_b64 s[0:1], s[18:19], exec
.LBB37_15:                              ;   in Loop: Header=BB37_16 Depth=1
	s_or_b64 exec, exec, s[16:17]
	s_and_b64 s[0:1], exec, s[0:1]
	s_or_b64 s[70:71], s[0:1], s[70:71]
	s_andn2_b64 s[0:1], s[8:9], exec
	s_and_b64 s[2:3], s[82:83], exec
	s_or_b64 s[8:9], s[0:1], s[2:3]
	s_andn2_b64 s[0:1], s[10:11], exec
	s_and_b64 s[2:3], s[74:75], exec
	;; [unrolled: 3-line block ×3, first 2 shown]
	s_mov_b64 s[60:61], s[74:75]
	s_mov_b64 s[12:13], s[66:67]
	s_or_b64 s[80:81], s[0:1], s[2:3]
	v_mov_b64_e32 v[34:35], v[8:9]
	s_andn2_b64 exec, exec, s[70:71]
	s_cbranch_execz .LBB37_280
.LBB37_16:                              ; =>This Loop Header: Depth=1
                                        ;     Child Loop BB37_21 Depth 2
                                        ;     Child Loop BB37_35 Depth 2
	;; [unrolled: 1-line block ×17, first 2 shown]
	ds_read_b128 v[4:7], v3 offset:5120
	s_waitcnt lgkmcnt(0)
	v_readfirstlane_b32 s75, v5
	v_readfirstlane_b32 s74, v4
	s_nop 1
	v_cmp_gt_i64_e64 s[0:1], s[74:75], 0
	s_and_b64 vcc, exec, s[0:1]
	s_cbranch_vccnz .LBB37_48
; %bb.17:                               ;   in Loop: Header=BB37_16 Depth=1
	v_readlane_b32 s0, v70, 28
	v_readlane_b32 s1, v70, 29
	s_and_b64 vcc, exec, s[0:1]
	s_cbranch_vccz .LBB37_29
; %bb.18:                               ;   in Loop: Header=BB37_16 Depth=1
	s_mov_b64 s[0:1], 0x601
	v_cmp_gt_i64_e32 vcc, s[0:1], v[6:7]
	s_mov_b64 s[6:7], 0
	s_mov_b64 s[0:1], 0
	s_cbranch_vccz .LBB37_30
; %bb.19:                               ;   in Loop: Header=BB37_16 Depth=1
	global_load_ushort v6, v3, s[54:55]
	global_load_ushort v8, v[14:15], off
	v_readlane_b32 s0, v70, 49
	v_readlane_b32 s1, v70, 50
	;; [unrolled: 1-line block ×4, first 2 shown]
	v_mov_b64_e32 v[4:5], s[0:1]
	s_mov_b64 s[14:15], 0
	s_waitcnt vmcnt(1)
	v_and_b32_e32 v2, 0xffff, v6
	v_readfirstlane_b32 s0, v6
	v_lshl_add_u64 v[6:7], v[0:1], 0, v[2:3]
	s_and_b32 s2, 0xffff, s0
	v_mad_u64_u32 v[4:5], s[0:1], s16, v6, v[4:5]
	v_mul_lo_u32 v7, s16, v7
	v_mul_lo_u32 v9, s17, v6
	s_mul_i32 s0, s17, s2
	s_mul_hi_u32 s1, s16, s2
	s_mul_i32 s16, s16, s2
	v_add3_u32 v5, v9, v5, v7
	s_add_i32 s17, s1, s0
	v_mov_b64_e32 v[6:7], v[0:1]
	s_branch .LBB37_21
.LBB37_20:                              ;   in Loop: Header=BB37_21 Depth=2
	s_or_b64 exec, exec, s[2:3]
	v_lshl_add_u64 v[4:5], v[4:5], 0, s[16:17]
	v_mov_b32_e32 v8, v9
	s_andn2_b64 exec, exec, s[14:15]
	s_cbranch_execz .LBB37_83
.LBB37_21:                              ;   Parent Loop BB37_16 Depth=1
                                        ; =>  This Inner Loop Header: Depth=2
	v_lshl_add_u64 v[6:7], v[6:7], 0, v[2:3]
	v_cmp_gt_i64_e64 s[0:1], s[56:57], v[6:7]
	v_cmp_le_i64_e32 vcc, s[56:57], v[6:7]
	s_waitcnt lgkmcnt(0)
	v_mov_b32_e32 v10, 0
	v_mov_b32_e32 v9, 0
	s_and_saveexec_b64 s[2:3], s[0:1]
	s_cbranch_execz .LBB37_23
; %bb.22:                               ;   in Loop: Header=BB37_21 Depth=2
	global_load_ushort v9, v[4:5], off
.LBB37_23:                              ;   in Loop: Header=BB37_21 Depth=2
	s_or_b64 exec, exec, s[2:3]
	s_waitcnt vmcnt(0)
	v_add_u32_sdwa v11, sext(v8), s91 dst_sel:DWORD dst_unused:UNUSED_PAD src0_sel:WORD_0 src1_sel:DWORD
	v_and_b32_e32 v11, v11, v49
	v_cmp_eq_u32_e64 s[0:1], v11, v47
	s_cmp_lg_u64 s[0:1], 0
	s_cselect_b64 s[2:3], -1, 0
	s_and_b64 s[2:3], s[4:5], s[2:3]
	s_and_saveexec_b64 s[18:19], s[2:3]
	s_cbranch_execz .LBB37_27
; %bb.24:                               ;   in Loop: Header=BB37_21 Depth=2
	s_mov_b64 s[22:23], exec
	v_mbcnt_lo_u32_b32 v10, s22, 0
	v_mbcnt_hi_u32_b32 v10, s23, v10
	s_bcnt1_i32_b64 s24, s[0:1]
	v_cmp_eq_u32_e64 s[2:3], 0, v10
                                        ; implicit-def: $vgpr11
	s_and_saveexec_b64 s[20:21], s[2:3]
; %bb.25:                               ;   in Loop: Header=BB37_21 Depth=2
	s_bcnt1_i32_b64 s2, s[22:23]
	s_mul_i32 s2, s24, s2
	v_mov_b32_e32 v11, s2
	ds_add_rtn_u32 v11, v3, v11 offset:5136
; %bb.26:                               ;   in Loop: Header=BB37_21 Depth=2
	s_or_b64 exec, exec, s[20:21]
	s_waitcnt lgkmcnt(0)
	v_readfirstlane_b32 s2, v11
	s_nop 1
	v_mov_b32_e32 v11, s2
	v_mad_u32_u24 v10, s24, v10, v11
.LBB37_27:                              ;   in Loop: Header=BB37_21 Depth=2
	s_or_b64 exec, exec, s[18:19]
	ds_bpermute_b32 v10, v43, v10
	s_and_b64 s[2:3], exec, vcc
	s_or_b64 s[14:15], s[2:3], s[14:15]
	s_and_saveexec_b64 s[2:3], s[0:1]
	s_cbranch_execz .LBB37_20
; %bb.28:                               ;   in Loop: Header=BB37_21 Depth=2
	v_and_b32_e32 v36, s0, v18
	v_and_b32_e32 v11, s1, v19
	v_bcnt_u32_b32 v36, v36, 0
	v_bcnt_u32_b32 v11, v11, v36
	v_lshlrev_b32_e32 v11, 1, v11
	s_waitcnt lgkmcnt(0)
	v_lshl_add_u32 v10, v10, 1, v11
	ds_write_b16 v10, v8
	s_branch .LBB37_20
.LBB37_29:                              ;   in Loop: Header=BB37_16 Depth=1
	s_mov_b64 s[6:7], -1
	s_mov_b64 s[0:1], 0
.LBB37_30:                              ;   in Loop: Header=BB37_16 Depth=1
	s_and_b64 vcc, exec, s[6:7]
	s_cbranch_vccz .LBB37_46
.LBB37_31:                              ;   in Loop: Header=BB37_16 Depth=1
	s_mov_b64 s[0:1], exec
	v_readlane_b32 s2, v70, 30
	v_readlane_b32 s3, v70, 31
	s_and_b64 s[2:3], s[0:1], s[2:3]
	s_mov_b64 exec, s[2:3]
	s_cbranch_execz .LBB37_43
; %bb.32:                               ;   in Loop: Header=BB37_16 Depth=1
	global_load_ushort v2, v3, s[54:55]
	global_load_ushort v38, v[14:15], off
	v_mov_b32_e32 v8, v0
	s_waitcnt vmcnt(1)
	v_readfirstlane_b32 s6, v2
	v_add_u32_sdwa v2, v2, v0 dst_sel:DWORD dst_unused:UNUSED_PAD src0_sel:WORD_0 src1_sel:DWORD
	v_cmp_gt_i64_e32 vcc, s[56:57], v[2:3]
	s_and_saveexec_b64 s[2:3], vcc
	s_cbranch_execz .LBB37_42
; %bb.33:                               ;   in Loop: Header=BB37_16 Depth=1
	s_and_b32 s86, s6, 0xffff
	s_cmp_eq_u32 s86, 1
	v_readlane_b32 s14, v70, 36
	s_cselect_b64 s[6:7], -1, 0
	v_readlane_b32 s15, v70, 37
	s_and_b64 s[16:17], s[14:15], s[6:7]
	s_mov_b64 s[14:15], -1
	v_mov_b64_e32 v[6:7], v[0:1]
	v_mov_b64_e32 v[4:5], v[2:3]
                                        ; implicit-def: $vgpr8_vgpr9
	s_and_saveexec_b64 s[6:7], s[16:17]
	s_cbranch_execz .LBB37_37
; %bb.34:                               ;   in Loop: Header=BB37_16 Depth=1
	v_lshl_add_u64 v[8:9], v[2:3], 0, 3
	v_lshl_add_u64 v[6:7], v[2:3], 0, 2
	;; [unrolled: 1-line block ×3, first 2 shown]
	v_mov_b64_e32 v[10:11], v[8:9]
	s_waitcnt vmcnt(0)
	v_lshlrev_b32_e32 v51, 16, v38
	s_mov_b64 s[14:15], 0
	v_mov_b64_e32 v[36:37], v[20:21]
	v_mov_b32_e32 v39, v41
	v_mov_b64_e32 v[8:9], v[6:7]
	v_mov_b64_e32 v[6:7], v[4:5]
	;; [unrolled: 1-line block ×3, first 2 shown]
	v_readlane_b32 s18, v70, 38
	v_readlane_b32 s19, v70, 39
.LBB37_35:                              ;   Parent Loop BB37_16 Depth=1
                                        ; =>  This Inner Loop Header: Depth=2
	v_mul_lo_u32 v38, v11, s76
	v_mul_lo_u32 v62, v10, s99
	v_mad_u64_u32 v[54:55], s[16:17], v10, s76, 0
	v_mul_lo_u32 v63, v9, s94
	v_mul_lo_u32 v64, v8, s19
	v_mad_u64_u32 v[56:57], s[16:17], v8, s94, 0
	;; [unrolled: 3-line block ×4, first 2 shown]
	v_add3_u32 v55, v55, v62, v38
	v_add3_u32 v57, v57, v64, v63
	;; [unrolled: 1-line block ×4, first 2 shown]
	v_lshl_add_u64 v[56:57], v[56:57], 1, s[50:51]
	v_lshl_add_u64 v[54:55], v[54:55], 1, s[50:51]
	;; [unrolled: 1-line block ×4, first 2 shown]
	global_load_ushort v56, v[56:57], off
	s_nop 0
	global_load_ushort v38, v[54:55], off
	s_nop 0
	global_load_ushort v54, v[58:59], off
	global_load_ushort v57, v[60:61], off
	v_lshl_add_u64 v[36:37], v[36:37], 0, -4
	v_cmp_eq_u64_e32 vcc, 0, v[36:37]
	v_lshl_add_u64 v[10:11], v[10:11], 0, 4
	v_lshl_add_u64 v[8:9], v[8:9], 0, 4
	v_lshl_add_u64 v[6:7], v[6:7], 0, 4
	v_lshl_add_u64 v[4:5], v[4:5], 0, 4
	s_or_b64 s[14:15], vcc, s[14:15]
	s_waitcnt vmcnt(2)
	v_perm_b32 v58, v38, v56, s59
	s_waitcnt vmcnt(1)
	v_perm_b32 v55, v56, v54, s59
	s_waitcnt vmcnt(0)
	v_alignbit_b32 v54, v57, v51, 16
	ds_write_b64 v39, v[54:55]
	v_add_u32_e32 v39, 8, v39
	v_mov_b32_e32 v51, v58
	s_andn2_b64 exec, exec, s[14:15]
	s_cbranch_execnz .LBB37_35
; %bb.36:                               ;   in Loop: Header=BB37_16 Depth=1
	s_or_b64 exec, exec, s[14:15]
	v_readlane_b32 s14, v70, 40
	v_lshl_add_u64 v[4:5], v[2:3], 0, v[20:21]
	v_readlane_b32 s15, v70, 41
	v_lshl_add_u64 v[8:9], v[4:5], 0, -1
	s_orn2_b64 s[14:15], s[14:15], exec
	v_mov_b64_e32 v[6:7], v[22:23]
.LBB37_37:                              ;   in Loop: Header=BB37_16 Depth=1
	s_or_b64 exec, exec, s[6:7]
	s_and_saveexec_b64 s[6:7], s[14:15]
	s_cbranch_execz .LBB37_41
; %bb.38:                               ;   in Loop: Header=BB37_16 Depth=1
	v_readlane_b32 s18, v70, 49
	v_readlane_b32 s19, v70, 50
	;; [unrolled: 1-line block ×4, first 2 shown]
	v_mov_b64_e32 v[8:9], s[18:19]
	v_mad_u64_u32 v[8:9], s[18:19], s20, v4, v[8:9]
	s_sub_u32 s14, 0, s86
	v_mul_lo_u32 v2, s20, v5
	v_mul_lo_u32 v7, s21, v4
	s_mul_i32 s18, s21, s86
	s_mul_hi_u32 s19, s20, s86
	s_mov_b64 s[16:17], 0
	s_subb_u32 s15, 0, 0
	v_add3_u32 v9, v7, v9, v2
	s_add_i32 s19, s19, s18
	s_mul_i32 s18, s20, s86
.LBB37_39:                              ;   Parent Loop BB37_16 Depth=1
                                        ; =>  This Inner Loop Header: Depth=2
	global_load_ushort v2, v[8:9], off
	v_mov_b64_e32 v[10:11], v[4:5]
	v_lshlrev_b32_e32 v4, 1, v6
	s_waitcnt vmcnt(1)
	ds_write_b16 v4, v38
	v_lshl_add_u64 v[4:5], v[10:11], 0, s[86:87]
	v_cmp_le_i64_e32 vcc, s[56:57], v[4:5]
	v_lshl_add_u64 v[8:9], v[8:9], 0, s[18:19]
	v_mov_b64_e32 v[6:7], v[10:11]
	s_or_b64 s[16:17], vcc, s[16:17]
	s_waitcnt vmcnt(0)
	v_mov_b32_e32 v38, v2
	s_andn2_b64 exec, exec, s[16:17]
	s_cbranch_execnz .LBB37_39
; %bb.40:                               ;   in Loop: Header=BB37_16 Depth=1
	s_or_b64 exec, exec, s[16:17]
	v_lshl_add_u64 v[8:9], s[14:15], 0, v[4:5]
	v_mov_b32_e32 v38, v2
.LBB37_41:                              ;   in Loop: Header=BB37_16 Depth=1
	s_or_b64 exec, exec, s[6:7]
.LBB37_42:                              ;   in Loop: Header=BB37_16 Depth=1
	s_or_b64 exec, exec, s[2:3]
	v_lshlrev_b32_e32 v2, 1, v8
	s_waitcnt vmcnt(0)
	ds_write_b16 v2, v38
.LBB37_43:                              ;   in Loop: Header=BB37_16 Depth=1
	s_or_b64 exec, exec, s[0:1]
	s_waitcnt lgkmcnt(0)
	s_barrier
	s_mov_b64 s[0:1], exec
	v_readlane_b32 s2, v70, 12
	v_readlane_b32 s3, v70, 13
	s_and_b64 s[2:3], s[0:1], s[2:3]
	s_mov_b64 exec, s[2:3]
; %bb.44:                               ;   in Loop: Header=BB37_16 Depth=1
	ds_write_b64 v3, v[52:53] offset:5120
; %bb.45:                               ;   in Loop: Header=BB37_16 Depth=1
	s_or_b64 exec, exec, s[0:1]
	s_mov_b64 s[0:1], -1
	s_waitcnt lgkmcnt(0)
	s_barrier
.LBB37_46:                              ;   in Loop: Header=BB37_16 Depth=1
	s_and_b64 vcc, exec, s[0:1]
	s_cbranch_vccz .LBB37_48
; %bb.47:                               ;   in Loop: Header=BB37_16 Depth=1
	ds_read_b64 v[4:5], v3 offset:5120
	s_waitcnt lgkmcnt(0)
	v_readfirstlane_b32 s74, v4
.LBB37_48:                              ;   in Loop: Header=BB37_16 Depth=1
	s_cmp_lt_i32 s74, 1
	s_mov_b64 s[0:1], -1
                                        ; implicit-def: $vgpr4_vgpr5
                                        ; implicit-def: $vgpr8_vgpr9
	s_cbranch_scc1 .LBB37_58
; %bb.49:                               ;   in Loop: Header=BB37_16 Depth=1
	s_and_b64 vcc, exec, s[0:1]
	s_cbranch_vccnz .LBB37_74
.LBB37_50:                              ;   in Loop: Header=BB37_16 Depth=1
	s_lshl_b32 s2, s58, 6
	s_and_saveexec_b64 s[0:1], s[4:5]
	s_cbranch_execz .LBB37_52
.LBB37_51:                              ;   in Loop: Header=BB37_16 Depth=1
	v_lshl_add_u32 v2, s2, 3, v44
	ds_write_b128 v2, v[4:7]
	ds_write_b128 v2, v[8:11] offset:16
.LBB37_52:                              ;   in Loop: Header=BB37_16 Depth=1
	s_or_b64 exec, exec, s[0:1]
	s_waitcnt lgkmcnt(0)
	s_barrier
	s_mov_b64 s[0:1], exec
	v_readlane_b32 s6, v70, 24
	v_readlane_b32 s7, v70, 25
	s_and_b64 s[6:7], s[0:1], s[6:7]
	s_mov_b64 exec, s[6:7]
	s_cbranch_execz .LBB37_91
; %bb.53:                               ;   in Loop: Header=BB37_16 Depth=1
	v_readlane_b32 s6, v70, 32
	v_readlane_b32 s7, v70, 33
	s_andn2_b64 vcc, exec, s[6:7]
	v_mov_b64_e32 v[4:5], 0
	s_cbranch_vccnz .LBB37_90
; %bb.54:                               ;   in Loop: Header=BB37_16 Depth=1
	v_readlane_b32 s6, v70, 42
	v_readlane_b32 s7, v70, 43
	s_andn2_b64 vcc, exec, s[6:7]
	s_cbranch_vccnz .LBB37_86
; %bb.55:                               ;   in Loop: Header=BB37_16 Depth=1
	v_lshl_add_u32 v2, s58, 9, v46
	v_mov_b64_e32 v[4:5], 0
	s_mov_b32 s3, 0
.LBB37_56:                              ;   Parent Loop BB37_16 Depth=1
                                        ; =>  This Inner Loop Header: Depth=2
	ds_read2_b64 v[6:9], v2 offset1:4
	ds_read2_b64 v[36:39], v2 offset0:8 offset1:12
	ds_read2_b64 v[54:57], v2 offset0:16 offset1:20
	;; [unrolled: 1-line block ×3, first 2 shown]
	s_add_i32 s3, s3, 8
	s_waitcnt lgkmcnt(3)
	v_lshl_add_u64 v[4:5], v[6:7], 0, v[4:5]
	v_lshl_add_u64 v[4:5], v[8:9], 0, v[4:5]
	s_waitcnt lgkmcnt(2)
	v_lshl_add_u64 v[4:5], v[36:37], 0, v[4:5]
	v_lshl_add_u64 v[4:5], v[38:39], 0, v[4:5]
	;; [unrolled: 3-line block ×3, first 2 shown]
	s_waitcnt lgkmcnt(0)
	v_lshl_add_u64 v[4:5], v[58:59], 0, v[4:5]
	v_add_u32_e32 v2, 0x100, v2
	s_cmp_eq_u32 s77, s3
	v_lshl_add_u64 v[4:5], v[60:61], 0, v[4:5]
	s_cbranch_scc0 .LBB37_56
; %bb.57:                               ;   in Loop: Header=BB37_16 Depth=1
	s_mov_b32 s3, s77
	s_branch .LBB37_87
.LBB37_58:                              ;   in Loop: Header=BB37_16 Depth=1
	global_load_ushort v2, v3, s[54:55]
	s_mov_b64 s[96:97], s[80:81]
	s_mov_b32 s0, s87
	s_mov_b64 s[78:79], s[82:83]
	s_waitcnt vmcnt(0)
	v_readfirstlane_b32 s1, v2
	s_and_b32 s80, s1, 0xffff
	s_lshl_b32 s86, s80, 2
	s_mov_b32 s1, s57
	s_cmp_lg_u64 s[0:1], 0
	s_cbranch_scc0 .LBB37_60
; %bb.59:                               ;   in Loop: Header=BB37_16 Depth=1
	s_add_u32 s0, s86, 0
	s_addc_u32 s1, 0, 0
	s_xor_b64 s[0:1], s[0:1], 0
	v_cvt_f32_u32_e32 v2, s0
	v_cvt_f32_u32_e32 v4, s1
	s_sub_u32 s6, 0, s0
	s_subb_u32 s7, 0, s1
	v_fmac_f32_e32 v2, 0x4f800000, v4
	v_rcp_f32_e32 v2, v2
	s_nop 0
	v_mul_f32_e32 v2, 0x5f7ffffc, v2
	v_mul_f32_e32 v4, 0x2f800000, v2
	v_trunc_f32_e32 v4, v4
	v_fmac_f32_e32 v2, 0xcf800000, v4
	v_cvt_u32_f32_e32 v4, v4
	v_cvt_u32_f32_e32 v2, v2
	v_readfirstlane_b32 s14, v4
	v_readfirstlane_b32 s2, v2
	s_mul_i32 s3, s6, s14
	s_mul_hi_u32 s16, s6, s2
	s_mul_i32 s15, s7, s2
	s_add_i32 s3, s16, s3
	s_mul_i32 s17, s6, s2
	s_add_i32 s3, s3, s15
	s_mul_i32 s16, s2, s3
	s_mul_hi_u32 s18, s2, s17
	s_mul_hi_u32 s15, s2, s3
	s_add_u32 s16, s18, s16
	s_addc_u32 s15, 0, s15
	s_mul_hi_u32 s19, s14, s17
	s_mul_i32 s17, s14, s17
	s_add_u32 s16, s16, s17
	s_mul_hi_u32 s18, s14, s3
	s_addc_u32 s15, s15, s19
	s_addc_u32 s16, s18, 0
	s_mul_i32 s3, s14, s3
	s_add_u32 s3, s15, s3
	s_addc_u32 s15, 0, s16
	s_add_u32 s16, s2, s3
	s_cselect_b64 s[2:3], -1, 0
	s_cmp_lg_u64 s[2:3], 0
	s_addc_u32 s14, s14, s15
	s_mul_i32 s2, s6, s14
	s_mul_hi_u32 s3, s6, s16
	s_add_i32 s2, s3, s2
	s_mul_i32 s7, s7, s16
	s_add_i32 s2, s2, s7
	s_mul_i32 s6, s6, s16
	s_mul_hi_u32 s7, s14, s6
	s_mul_i32 s15, s14, s6
	s_mul_i32 s18, s16, s2
	s_mul_hi_u32 s6, s16, s6
	s_mul_hi_u32 s17, s16, s2
	s_add_u32 s6, s6, s18
	s_addc_u32 s17, 0, s17
	s_add_u32 s6, s6, s15
	s_mul_hi_u32 s3, s14, s2
	s_addc_u32 s6, s17, s7
	s_addc_u32 s3, s3, 0
	s_mul_i32 s2, s14, s2
	s_add_u32 s2, s6, s2
	s_addc_u32 s6, 0, s3
	s_add_u32 s15, s16, s2
	s_cselect_b64 s[2:3], -1, 0
	s_cmp_lg_u64 s[2:3], 0
	s_addc_u32 s14, s14, s6
	s_ashr_i32 s2, s57, 31
	s_add_u32 s6, s56, s2
	s_mov_b32 s3, s2
	s_addc_u32 s7, s57, s2
	s_xor_b64 s[6:7], s[6:7], s[2:3]
	s_mul_i32 s17, s6, s14
	s_mul_hi_u32 s18, s6, s15
	s_mul_hi_u32 s16, s6, s14
	s_add_u32 s17, s18, s17
	s_addc_u32 s16, 0, s16
	s_mul_hi_u32 s19, s7, s15
	s_mul_i32 s15, s7, s15
	s_add_u32 s15, s17, s15
	s_mul_hi_u32 s18, s7, s14
	s_addc_u32 s15, s16, s19
	s_addc_u32 s16, s18, 0
	s_mul_i32 s14, s7, s14
	s_add_u32 s14, s15, s14
	s_addc_u32 s15, 0, s16
	s_mul_i32 s15, s0, s15
	s_mul_hi_u32 s16, s0, s14
	s_add_i32 s15, s16, s15
	s_mul_i32 s16, s1, s14
	s_add_i32 s18, s15, s16
	s_sub_i32 s16, s7, s18
	s_mul_i32 s14, s0, s14
	s_sub_u32 s6, s6, s14
	s_cselect_b64 s[14:15], -1, 0
	s_cmp_lg_u64 s[14:15], 0
	s_subb_u32 s19, s16, s1
	s_sub_u32 s20, s6, s0
	s_cselect_b64 s[16:17], -1, 0
	s_cmp_lg_u64 s[16:17], 0
	s_subb_u32 s21, s19, 0
	s_cmp_ge_u32 s21, s1
	s_cselect_b32 s22, -1, 0
	s_cmp_ge_u32 s20, s0
	s_cselect_b32 s23, -1, 0
	s_cmp_eq_u32 s21, s1
	s_cselect_b32 s22, s23, s22
	s_cmp_lg_u64 s[16:17], 0
	s_subb_u32 s19, s19, s1
	s_sub_u32 s23, s20, s0
	s_cselect_b64 s[16:17], -1, 0
	s_cmp_lg_u64 s[16:17], 0
	s_subb_u32 s16, s19, 0
	s_cmp_lg_u32 s22, 0
	s_cselect_b32 s17, s23, s20
	s_cselect_b32 s16, s16, s21
	s_cmp_lg_u64 s[14:15], 0
	s_subb_u32 s7, s7, s18
	s_cmp_ge_u32 s7, s1
	s_cselect_b32 s14, -1, 0
	s_cmp_ge_u32 s6, s0
	s_cselect_b32 s0, -1, 0
	s_cmp_eq_u32 s7, s1
	s_cselect_b32 s0, s0, s14
	s_cmp_lg_u32 s0, 0
	s_cselect_b32 s1, s16, s7
	s_cselect_b32 s0, s17, s6
	s_xor_b64 s[0:1], s[0:1], s[2:3]
	s_sub_u32 s82, s0, s2
	s_subb_u32 s83, s1, s2
	s_mov_b64 s[0:1], 0
	s_branch .LBB37_61
.LBB37_60:                              ;   in Loop: Header=BB37_16 Depth=1
	s_mov_b64 s[0:1], -1
                                        ; implicit-def: $sgpr82_sgpr83
.LBB37_61:                              ;   in Loop: Header=BB37_16 Depth=1
	s_andn2_b64 vcc, exec, s[0:1]
	v_readlane_b32 s2, v70, 38
	v_readlane_b32 s3, v70, 39
	s_cbranch_vccnz .LBB37_63
; %bb.62:                               ;   in Loop: Header=BB37_16 Depth=1
	v_cvt_f32_u32_e32 v2, s86
	s_sub_i32 s0, 0, s86
	s_mov_b32 s83, s87
	v_rcp_iflag_f32_e32 v2, v2
	s_nop 0
	v_mul_f32_e32 v2, 0x4f7ffffe, v2
	v_cvt_u32_f32_e32 v2, v2
	s_nop 0
	v_readfirstlane_b32 s1, v2
	s_mul_i32 s0, s0, s1
	s_mul_hi_u32 s0, s1, s0
	s_add_i32 s1, s1, s0
	s_mul_hi_u32 s0, s56, s1
	s_mul_i32 s0, s0, s86
	s_sub_i32 s0, s56, s0
	s_sub_i32 s1, s0, s86
	s_cmp_ge_u32 s0, s86
	s_cselect_b32 s0, s1, s0
	s_sub_i32 s1, s0, s86
	s_cmp_ge_u32 s0, s86
	s_cselect_b32 s82, s1, s0
.LBB37_63:                              ;   in Loop: Header=BB37_16 Depth=1
	s_sub_u32 s30, s56, s82
	s_subb_u32 s31, s57, s83
	s_mov_b32 s81, s87
	v_cmp_gt_i64_e32 vcc, s[30:31], v[16:17]
	v_mov_b64_e32 v[4:5], 0
	v_mov_b64_e32 v[6:7], 0
	;; [unrolled: 1-line block ×4, first 2 shown]
	s_and_saveexec_b64 s[72:73], vcc
	s_cbranch_execz .LBB37_67
; %bb.64:                               ;   in Loop: Header=BB37_16 Depth=1
	s_mov_b32 s90, s88
	v_writelane_b32 v70, s88, 63
                                        ; implicit-def: $vgpr69 : SGPR spill to VGPR lane
	s_mov_b32 s59, s95
	v_readlane_b32 s0, v70, 26
	v_readlane_b32 s1, v70, 27
	;; [unrolled: 1-line block ×4, first 2 shown]
	s_mul_i32 s0, s69, s80
	s_mul_hi_u32 s1, s68, s80
	v_writelane_b32 v69, s89, 0
	s_mov_b32 s99, s53
	s_mov_b64 s[66:67], s[92:93]
	s_add_i32 s75, s1, s0
	s_mov_b64 s[14:15], 0
	s_mov_b64 s[88:89], s[50:51]
	;; [unrolled: 1-line block ×6, first 2 shown]
	v_mov_b64_e32 v[36:37], v[16:17]
.LBB37_65:                              ;   Parent Loop BB37_16 Depth=1
                                        ; =>  This Inner Loop Header: Depth=2
	v_lshl_add_u64 v[4:5], s[88:89], 0, v[30:31]
	v_lshl_add_u64 v[6:7], s[88:89], 0, v[28:29]
	;; [unrolled: 1-line block ×4, first 2 shown]
	global_load_sshort v2, v[4:5], off
	s_nop 0
	global_load_sshort v4, v[6:7], off
	global_load_sshort v5, v[8:9], off
	s_nop 0
	global_load_sshort v6, v[10:11], off
	s_mul_i32 s98, s68, s80
	v_lshl_add_u64 v[36:37], v[36:37], 0, s[86:87]
	v_cmp_le_i64_e32 vcc, s[30:31], v[36:37]
	s_waitcnt vmcnt(3)
	v_add_u32_e32 v2, 0x8000, v2
	s_waitcnt vmcnt(2)
	v_add_u32_e32 v4, 0x8000, v4
	v_and_b32_e32 v7, v2, v49
	v_bfe_u32 v2, v2, s33, 2
	s_waitcnt vmcnt(1)
	v_add_u32_e32 v5, 0x8000, v5
	v_and_b32_e32 v8, v4, v49
	v_bfe_u32 v4, v4, s33, 2
	v_cmp_eq_u32_e64 s[0:1], v7, v47
	v_cmp_eq_u32_e64 s[20:21], 0, v2
	s_waitcnt vmcnt(0)
	v_add_u32_e32 v6, 0x8000, v6
	v_and_b32_e32 v9, v5, v49
	v_bfe_u32 v5, v5, s33, 2
	v_cmp_eq_u32_e64 s[2:3], v8, v47
	v_cmp_eq_u32_e64 s[22:23], 0, v4
	s_and_b64 s[20:21], s[0:1], s[20:21]
	v_and_b32_e32 v10, v6, v49
	v_bfe_u32 v6, v6, s33, 2
	v_cmp_eq_u32_e64 s[16:17], v9, v47
	v_cmp_eq_u32_e64 s[24:25], 0, v5
	;; [unrolled: 1-line block ×5, first 2 shown]
	v_cndmask_b32_e64 v2, 0, 1, s[20:21]
	s_and_b64 s[20:21], s[2:3], s[22:23]
	v_cmp_eq_u32_e64 s[18:19], v10, v47
	v_cmp_eq_u32_e64 s[26:27], 0, v6
	;; [unrolled: 1-line block ×5, first 2 shown]
	v_cndmask_b32_e64 v4, 0, 1, s[20:21]
	s_and_b64 s[20:21], s[16:17], s[24:25]
	v_cmp_eq_u32_e64 s[36:37], 1, v5
	v_cmp_eq_u32_e64 s[44:45], 2, v5
	;; [unrolled: 1-line block ×3, first 2 shown]
	v_cndmask_b32_e64 v5, 0, 1, s[20:21]
	s_and_b64 s[20:21], s[18:19], s[26:27]
	v_cmp_eq_u32_e64 s[38:39], 1, v6
	v_cmp_eq_u32_e64 s[46:47], 2, v6
	;; [unrolled: 1-line block ×3, first 2 shown]
	v_cndmask_b32_e64 v6, 0, 1, s[20:21]
	v_cmp_ne_u32_e64 s[20:21], 0, v2
	v_cmp_ne_u32_e64 s[22:23], 0, v4
	v_cmp_ne_u32_e64 s[24:25], 0, v5
	v_cmp_ne_u32_e64 s[26:27], 0, v6
	s_bcnt1_i32_b64 s20, s[20:21]
	s_bcnt1_i32_b64 s21, s[22:23]
	s_bcnt1_i32_b64 s22, s[24:25]
	s_bcnt1_i32_b64 s23, s[26:27]
	s_add_u32 s20, s20, s92
	s_addc_u32 s24, 0, s93
	s_add_u32 s20, s20, s21
	s_addc_u32 s21, s24, 0
	s_add_u32 s20, s20, s22
	s_addc_u32 s21, s21, 0
	s_add_u32 s92, s20, s23
	s_addc_u32 s93, s21, 0
	s_and_b64 s[20:21], s[0:1], s[28:29]
	v_cndmask_b32_e64 v2, 0, 1, s[20:21]
	s_and_b64 s[20:21], s[2:3], s[34:35]
	v_cndmask_b32_e64 v6, 0, 1, s[20:21]
	s_and_b64 s[20:21], s[16:17], s[36:37]
	v_cndmask_b32_e64 v7, 0, 1, s[20:21]
	s_and_b64 s[20:21], s[18:19], s[38:39]
	v_cndmask_b32_e64 v8, 0, 1, s[20:21]
	v_cmp_ne_u32_e64 s[20:21], 0, v2
	v_cmp_ne_u32_e64 s[22:23], 0, v6
	v_cmp_ne_u32_e64 s[24:25], 0, v7
	v_cmp_ne_u32_e64 s[26:27], 0, v8
	s_bcnt1_i32_b64 s20, s[20:21]
	s_bcnt1_i32_b64 s21, s[22:23]
	s_bcnt1_i32_b64 s22, s[24:25]
	s_bcnt1_i32_b64 s23, s[26:27]
	s_add_u32 s6, s20, s6
	s_addc_u32 s7, 0, s7
	s_add_u32 s6, s6, s21
	s_addc_u32 s7, s7, 0
	s_add_u32 s6, s6, s22
	s_addc_u32 s7, s7, 0
	s_add_u32 s6, s6, s23
	s_addc_u32 s7, s7, 0
	s_and_b64 s[20:21], s[0:1], s[40:41]
	v_cndmask_b32_e64 v2, 0, 1, s[20:21]
	s_and_b64 s[20:21], s[2:3], s[42:43]
	v_cndmask_b32_e64 v8, 0, 1, s[20:21]
	s_and_b64 s[20:21], s[16:17], s[44:45]
	v_cndmask_b32_e64 v9, 0, 1, s[20:21]
	s_and_b64 s[20:21], s[18:19], s[46:47]
	;; [unrolled: 24-line block ×3, first 2 shown]
	v_cndmask_b32_e64 v38, 0, 1, s[0:1]
	v_cmp_ne_u32_e64 s[0:1], 0, v2
	v_cmp_ne_u32_e64 s[2:3], 0, v10
	;; [unrolled: 1-line block ×4, first 2 shown]
	s_bcnt1_i32_b64 s0, s[0:1]
	s_bcnt1_i32_b64 s1, s[2:3]
	;; [unrolled: 1-line block ×4, first 2 shown]
	s_add_u32 s0, s0, s94
	s_addc_u32 s16, 0, s95
	s_add_u32 s0, s0, s1
	s_addc_u32 s1, s16, 0
	;; [unrolled: 2-line block ×5, first 2 shown]
	v_mov_b64_e32 v[4:5], s[92:93]
	v_mov_b64_e32 v[6:7], s[6:7]
	;; [unrolled: 1-line block ×3, first 2 shown]
	s_or_b64 s[14:15], vcc, s[14:15]
	v_mov_b64_e32 v[10:11], s[94:95]
	s_andn2_b64 exec, exec, s[14:15]
	s_cbranch_execnz .LBB37_65
; %bb.66:                               ;   in Loop: Header=BB37_16 Depth=1
	s_or_b64 exec, exec, s[14:15]
	v_readlane_b32 s88, v70, 63
	v_readlane_b32 s54, v70, 51
	v_readlane_b32 s50, v70, 53
	s_mov_b64 s[92:93], s[66:67]
	s_mov_b32 s53, s99
	v_readlane_b32 s89, v69, 0
	v_readlane_b32 s55, v70, 52
	s_mov_b32 s95, s59
	s_mov_b32 s88, s90
	v_readlane_b32 s90, v70, 62
	v_readlane_b32 s94, v70, 61
	;; [unrolled: 1-line block ×9, first 2 shown]
.LBB37_67:                              ;   in Loop: Header=BB37_16 Depth=1
	s_or_b64 exec, exec, s[72:73]
	v_lshl_add_u64 v[36:37], s[30:31], 0, v[0:1]
	v_cmp_gt_i64_e32 vcc, s[56:57], v[36:37]
	s_and_saveexec_b64 s[2:3], vcc
	s_cbranch_execz .LBB37_73
; %bb.68:                               ;   in Loop: Header=BB37_16 Depth=1
	v_mul_lo_u32 v2, v37, s62
	v_mul_lo_u32 v51, v36, s63
	v_mad_u64_u32 v[38:39], s[0:1], v36, s62, 0
	v_add3_u32 v39, v39, v51, v2
	v_lshl_add_u64 v[38:39], v[38:39], 1, s[50:51]
	global_load_ushort v2, v[38:39], off
	v_lshl_add_u64 v[38:39], v[32:33], 0, s[80:81]
	v_mov_b32_e32 v51, s83
	v_subrev_co_u32_e32 v54, vcc, s82, v38
	v_readlane_b32 s0, v70, 49
	s_nop 0
	v_subb_co_u32_e32 v38, vcc, v39, v51, vcc
	v_readlane_b32 s4, v70, 47
	v_readlane_b32 s1, v70, 50
	;; [unrolled: 1-line block ×3, first 2 shown]
	v_mul_lo_u32 v51, s4, v38
	v_mov_b64_e32 v[38:39], s[0:1]
	v_mad_u64_u32 v[38:39], s[0:1], s4, v54, v[38:39]
	v_mul_lo_u32 v55, s5, v54
	s_mul_i32 s0, s5, s80
	s_mul_hi_u32 s1, s4, s80
	v_add3_u32 v39, v55, v39, v51
	s_add_i32 s7, s1, s0
	s_mul_i32 s6, s4, s80
	s_mov_b64 s[14:15], 0
	s_branch .LBB37_70
.LBB37_69:                              ;   in Loop: Header=BB37_70 Depth=2
	s_or_b64 exec, exec, s[16:17]
	s_waitcnt vmcnt(0)
	v_add_u32_sdwa v2, sext(v2), s91 dst_sel:DWORD dst_unused:UNUSED_PAD src0_sel:WORD_0 src1_sel:DWORD
	s_and_b64 s[0:1], exec, vcc
	v_and_b32_e32 v54, v2, v49
	v_bfe_u32 v2, v2, s33, 2
	s_or_b64 s[14:15], s[0:1], s[14:15]
	v_cmp_eq_u32_e32 vcc, v54, v47
	v_cmp_eq_u32_e64 s[0:1], 0, v2
	s_and_b64 s[0:1], vcc, s[0:1]
	v_lshl_add_u64 v[38:39], v[38:39], 0, s[6:7]
	v_cndmask_b32_e64 v54, 0, 1, s[0:1]
	v_cmp_ne_u32_e64 s[0:1], 0, v54
	s_bcnt1_i32_b64 s86, s[0:1]
	v_cmp_eq_u32_e64 s[0:1], 1, v2
	s_and_b64 s[0:1], vcc, s[0:1]
	v_lshl_add_u64 v[4:5], s[86:87], 0, v[4:5]
	v_cndmask_b32_e64 v54, 0, 1, s[0:1]
	v_cmp_ne_u32_e64 s[0:1], 0, v54
	s_bcnt1_i32_b64 s86, s[0:1]
	v_cmp_eq_u32_e64 s[0:1], 2, v2
	s_and_b64 s[0:1], vcc, s[0:1]
	v_lshl_add_u64 v[6:7], s[86:87], 0, v[6:7]
	v_cndmask_b32_e64 v54, 0, 1, s[0:1]
	v_cmp_ne_u32_e64 s[0:1], 0, v54
	s_bcnt1_i32_b64 s86, s[0:1]
	v_cmp_eq_u32_e64 s[0:1], 3, v2
	s_and_b64 s[0:1], vcc, s[0:1]
	v_lshl_add_u64 v[8:9], s[86:87], 0, v[8:9]
	v_cndmask_b32_e64 v2, 0, 1, s[0:1]
	v_cmp_ne_u32_e32 vcc, 0, v2
	s_bcnt1_i32_b64 s86, vcc
	v_lshl_add_u64 v[10:11], s[86:87], 0, v[10:11]
	v_mov_b32_e32 v2, v51
	s_andn2_b64 exec, exec, s[14:15]
	s_cbranch_execz .LBB37_72
.LBB37_70:                              ;   Parent Loop BB37_16 Depth=1
                                        ; =>  This Inner Loop Header: Depth=2
	v_lshl_add_u64 v[36:37], v[36:37], 0, s[80:81]
	v_cmp_gt_i64_e64 s[0:1], s[56:57], v[36:37]
	v_cmp_le_i64_e32 vcc, s[56:57], v[36:37]
	v_mov_b32_e32 v51, 0
	s_and_saveexec_b64 s[16:17], s[0:1]
	s_cbranch_execz .LBB37_69
; %bb.71:                               ;   in Loop: Header=BB37_70 Depth=2
	global_load_ushort v51, v[38:39], off
	s_branch .LBB37_69
.LBB37_72:                              ;   in Loop: Header=BB37_16 Depth=1
	s_or_b64 exec, exec, s[14:15]
.LBB37_73:                              ;   in Loop: Header=BB37_16 Depth=1
	s_or_b64 exec, exec, s[2:3]
	v_readlane_b32 s4, v70, 55
	v_readlane_b32 s5, v70, 56
	s_mov_b32 s59, 0x5040100
	s_mov_b64 s[80:81], s[96:97]
	s_mov_b64 s[82:83], s[78:79]
	s_branch .LBB37_50
.LBB37_74:                              ;   in Loop: Header=BB37_16 Depth=1
	global_load_ushort v2, v3, s[54:55]
	v_mov_b64_e32 v[8:9], 0
	s_waitcnt vmcnt(0)
	v_readfirstlane_b32 s0, v2
	s_and_b32 s75, 0xffff, s0
	s_lshl_b32 s86, s75, 2
	v_cvt_f32_u32_e32 v4, s86
	s_sub_i32 s0, 0, s86
	v_rcp_iflag_f32_e32 v6, v4
	v_mov_b64_e32 v[4:5], 0
	v_mul_f32_e32 v6, 0x4f7ffffe, v6
	v_cvt_u32_f32_e32 v10, v6
	v_mov_b64_e32 v[6:7], 0
	v_readfirstlane_b32 s1, v10
	s_mul_i32 s0, s0, s1
	s_mul_hi_u32 s0, s1, s0
	s_add_i32 s1, s1, s0
	s_mul_hi_u32 s0, s74, s1
	s_mul_i32 s1, s0, s86
	s_sub_i32 s1, s74, s1
	s_add_i32 s2, s0, 1
	s_sub_i32 s3, s1, s86
	s_cmp_ge_u32 s1, s86
	s_cselect_b32 s0, s2, s0
	s_cselect_b32 s1, s3, s1
	s_add_i32 s2, s0, 1
	s_cmp_ge_u32 s1, s86
	s_cselect_b32 s0, s2, s0
	s_mul_hi_u32 s7, s75, s0
	s_mul_i32 s6, s75, s0
	s_lshl_b64 s[14:15], s[6:7], 2
	v_cmp_gt_u64_e32 vcc, s[14:15], v[16:17]
	v_mov_b64_e32 v[10:11], 0
	s_and_saveexec_b64 s[30:31], vcc
	s_cbranch_execz .LBB37_78
; %bb.75:                               ;   in Loop: Header=BB37_16 Depth=1
	s_mov_b32 s79, s88
	s_mov_b32 s78, s53
	s_mov_b64 s[66:67], s[82:83]
	s_mov_b64 s[96:97], s[10:11]
	;; [unrolled: 1-line block ×4, first 2 shown]
	s_mov_b32 s5, s89
	s_lshl_b32 s7, s75, 3
	s_mov_b64 s[64:65], 0
	v_mov_b32_e32 v38, v45
	s_mov_b64 s[72:73], 0
	s_mov_b64 s[80:81], 0
	;; [unrolled: 1-line block ×4, first 2 shown]
	v_mov_b64_e32 v[36:37], v[16:17]
.LBB37_76:                              ;   Parent Loop BB37_16 Depth=1
                                        ; =>  This Inner Loop Header: Depth=2
	ds_read_b64 v[4:5], v38
	v_lshl_add_u64 v[36:37], v[36:37], 0, s[86:87]
	v_cmp_le_u64_e32 vcc, s[14:15], v[36:37]
	v_add_u32_e32 v38, s7, v38
	s_waitcnt lgkmcnt(0)
	v_add_u32_sdwa v6, sext(v4), s91 dst_sel:DWORD dst_unused:UNUSED_PAD src0_sel:WORD_0 src1_sel:DWORD
	v_add_u32_sdwa v4, sext(v4), s91 dst_sel:DWORD dst_unused:UNUSED_PAD src0_sel:WORD_1 src1_sel:DWORD
	v_and_b32_e32 v8, v6, v49
	v_bfe_u32 v6, v6, s33, 2
	v_add_u32_sdwa v7, sext(v5), s91 dst_sel:DWORD dst_unused:UNUSED_PAD src0_sel:WORD_0 src1_sel:DWORD
	v_and_b32_e32 v9, v4, v49
	v_bfe_u32 v4, v4, s33, 2
	v_cmp_eq_u32_e64 s[20:21], v8, v47
	v_cmp_eq_u32_e64 s[2:3], 0, v6
	v_add_u32_sdwa v5, sext(v5), s91 dst_sel:DWORD dst_unused:UNUSED_PAD src0_sel:WORD_1 src1_sel:DWORD
	v_and_b32_e32 v10, v7, v49
	v_bfe_u32 v7, v7, s33, 2
	v_cmp_eq_u32_e64 s[18:19], v9, v47
	v_cmp_eq_u32_e64 s[34:35], 0, v4
	s_and_b64 s[2:3], s[20:21], s[2:3]
	v_and_b32_e32 v11, v5, v49
	v_bfe_u32 v5, v5, s33, 2
	v_cmp_eq_u32_e64 s[16:17], v10, v47
	v_cmp_eq_u32_e64 s[36:37], 0, v7
	;; [unrolled: 1-line block ×5, first 2 shown]
	v_cndmask_b32_e64 v4, 0, 1, s[2:3]
	s_and_b64 s[2:3], s[18:19], s[34:35]
	v_cmp_eq_u32_e64 s[0:1], v11, v47
	v_cmp_eq_u32_e64 s[38:39], 0, v5
	;; [unrolled: 1-line block ×5, first 2 shown]
	v_cndmask_b32_e64 v5, 0, 1, s[2:3]
	s_and_b64 s[2:3], s[16:17], s[36:37]
	v_cmp_eq_u32_e64 s[40:41], 1, v6
	v_cmp_eq_u32_e64 s[48:49], 2, v6
	;; [unrolled: 1-line block ×3, first 2 shown]
	v_cndmask_b32_e64 v6, 0, 1, s[2:3]
	s_and_b64 s[2:3], s[0:1], s[38:39]
	v_cmp_eq_u32_e64 s[44:45], 1, v7
	v_cmp_eq_u32_e64 s[52:53], 2, v7
	;; [unrolled: 1-line block ×3, first 2 shown]
	v_cndmask_b32_e64 v7, 0, 1, s[2:3]
	v_cmp_ne_u32_e64 s[2:3], 0, v4
	v_cmp_ne_u32_e64 s[34:35], 0, v5
	;; [unrolled: 1-line block ×4, first 2 shown]
	s_bcnt1_i32_b64 s2, s[2:3]
	s_bcnt1_i32_b64 s3, s[34:35]
	;; [unrolled: 1-line block ×4, first 2 shown]
	s_add_u32 s2, s2, s88
	s_addc_u32 s36, 0, s89
	s_add_u32 s2, s2, s3
	s_addc_u32 s3, s36, 0
	;; [unrolled: 2-line block ×4, first 2 shown]
	s_and_b64 s[2:3], s[20:21], s[40:41]
	v_cndmask_b32_e64 v6, 0, 1, s[2:3]
	s_and_b64 s[2:3], s[18:19], s[42:43]
	v_cndmask_b32_e64 v7, 0, 1, s[2:3]
	;; [unrolled: 2-line block ×4, first 2 shown]
	v_cmp_ne_u32_e64 s[2:3], 0, v6
	v_cmp_ne_u32_e64 s[34:35], 0, v7
	;; [unrolled: 1-line block ×4, first 2 shown]
	s_bcnt1_i32_b64 s2, s[2:3]
	s_bcnt1_i32_b64 s3, s[34:35]
	;; [unrolled: 1-line block ×4, first 2 shown]
	s_add_u32 s2, s2, s82
	s_addc_u32 s36, 0, s83
	s_add_u32 s2, s2, s3
	s_addc_u32 s3, s36, 0
	;; [unrolled: 2-line block ×4, first 2 shown]
	s_and_b64 s[2:3], s[20:21], s[48:49]
	v_cndmask_b32_e64 v8, 0, 1, s[2:3]
	s_and_b64 s[2:3], s[18:19], s[50:51]
	v_cndmask_b32_e64 v9, 0, 1, s[2:3]
	;; [unrolled: 2-line block ×4, first 2 shown]
	v_cmp_ne_u32_e64 s[2:3], 0, v8
	v_cmp_ne_u32_e64 s[34:35], 0, v9
	;; [unrolled: 1-line block ×4, first 2 shown]
	s_bcnt1_i32_b64 s2, s[2:3]
	s_bcnt1_i32_b64 s3, s[34:35]
	;; [unrolled: 1-line block ×4, first 2 shown]
	s_add_u32 s2, s2, s80
	s_addc_u32 s36, 0, s81
	s_add_u32 s2, s2, s3
	s_addc_u32 s3, s36, 0
	;; [unrolled: 2-line block ×4, first 2 shown]
	s_and_b64 s[2:3], s[20:21], s[28:29]
	v_cndmask_b32_e64 v10, 0, 1, s[2:3]
	s_and_b64 s[2:3], s[18:19], s[26:27]
	v_cndmask_b32_e64 v11, 0, 1, s[2:3]
	s_and_b64 s[2:3], s[16:17], s[24:25]
	s_and_b64 s[0:1], s[0:1], s[22:23]
	v_cndmask_b32_e64 v39, 0, 1, s[2:3]
	v_cndmask_b32_e64 v51, 0, 1, s[0:1]
	v_cmp_ne_u32_e64 s[0:1], 0, v10
	v_cmp_ne_u32_e64 s[2:3], 0, v11
	;; [unrolled: 1-line block ×4, first 2 shown]
	s_bcnt1_i32_b64 s0, s[0:1]
	s_bcnt1_i32_b64 s1, s[2:3]
	;; [unrolled: 1-line block ×4, first 2 shown]
	s_add_u32 s0, s0, s72
	s_addc_u32 s16, 0, s73
	s_add_u32 s0, s0, s1
	s_addc_u32 s1, s16, 0
	;; [unrolled: 2-line block ×4, first 2 shown]
	v_mov_b64_e32 v[4:5], s[88:89]
	v_mov_b64_e32 v[6:7], s[82:83]
	;; [unrolled: 1-line block ×3, first 2 shown]
	s_or_b64 s[64:65], vcc, s[64:65]
	v_mov_b64_e32 v[10:11], s[72:73]
	s_andn2_b64 exec, exec, s[64:65]
	s_cbranch_execnz .LBB37_76
; %bb.77:                               ;   in Loop: Header=BB37_16 Depth=1
	s_or_b64 exec, exec, s[64:65]
	s_mov_b32 s89, s5
	v_readlane_b32 s54, v70, 51
	v_readlane_b32 s50, v70, 53
	;; [unrolled: 1-line block ×6, first 2 shown]
	s_mov_b32 s59, 0x5040100
	s_mov_b64 s[80:81], s[8:9]
	s_mov_b64 s[8:9], s[10:11]
	;; [unrolled: 1-line block ×4, first 2 shown]
	s_mov_b32 s53, s78
	s_mov_b32 s88, s79
.LBB37_78:                              ;   in Loop: Header=BB37_16 Depth=1
	s_or_b64 exec, exec, s[30:31]
	s_and_b32 s22, s74, 0x7fffffff
	s_mov_b32 s23, s87
	v_lshl_add_u64 v[36:37], s[14:15], 0, v[0:1]
	v_and_b32_e32 v2, 0xffff, v2
	v_cmp_gt_u64_e32 vcc, s[22:23], v[36:37]
	s_and_saveexec_b64 s[14:15], vcc
	s_cbranch_execz .LBB37_82
; %bb.79:                               ;   in Loop: Header=BB37_16 Depth=1
	v_lshl_add_u32 v38, s6, 3, v41
	s_lshl_b32 s24, s75, 1
	s_mov_b64 s[6:7], 0
.LBB37_80:                              ;   Parent Loop BB37_16 Depth=1
                                        ; =>  This Inner Loop Header: Depth=2
	ds_read_i16 v39, v38
	v_lshl_add_u64 v[36:37], v[36:37], 0, v[2:3]
	v_cmp_le_u64_e32 vcc, s[22:23], v[36:37]
	v_add_u32_e32 v38, s24, v38
	s_waitcnt lgkmcnt(0)
	v_add_u32_e32 v39, 0x8000, v39
	v_and_b32_e32 v51, v39, v49
	v_bfe_u32 v39, v39, s33, 2
	v_cmp_eq_u32_e64 s[0:1], v51, v47
	v_cmp_eq_u32_e64 s[2:3], 0, v39
	;; [unrolled: 1-line block ×3, first 2 shown]
	s_and_b64 s[2:3], s[0:1], s[2:3]
	v_cmp_eq_u32_e64 s[18:19], 2, v39
	v_cmp_eq_u32_e64 s[20:21], 3, v39
	v_cndmask_b32_e64 v39, 0, 1, s[2:3]
	s_and_b64 s[2:3], s[0:1], s[16:17]
	v_cndmask_b32_e64 v51, 0, 1, s[2:3]
	s_and_b64 s[2:3], s[0:1], s[18:19]
	s_and_b64 s[0:1], s[0:1], s[20:21]
	v_cndmask_b32_e64 v55, 0, 1, s[0:1]
	v_cmp_ne_u32_e64 s[0:1], 0, v39
	v_cndmask_b32_e64 v54, 0, 1, s[2:3]
	v_cmp_ne_u32_e64 s[2:3], 0, v51
	s_bcnt1_i32_b64 s86, s[0:1]
	v_cmp_ne_u32_e64 s[16:17], 0, v54
	v_lshl_add_u64 v[4:5], s[86:87], 0, v[4:5]
	s_bcnt1_i32_b64 s86, s[2:3]
	v_cmp_ne_u32_e64 s[18:19], 0, v55
	v_lshl_add_u64 v[6:7], s[86:87], 0, v[6:7]
	s_bcnt1_i32_b64 s86, s[16:17]
	v_lshl_add_u64 v[8:9], s[86:87], 0, v[8:9]
	s_bcnt1_i32_b64 s86, s[18:19]
	s_or_b64 s[6:7], vcc, s[6:7]
	v_lshl_add_u64 v[10:11], s[86:87], 0, v[10:11]
	s_andn2_b64 exec, exec, s[6:7]
	s_cbranch_execnz .LBB37_80
; %bb.81:                               ;   in Loop: Header=BB37_16 Depth=1
	s_or_b64 exec, exec, s[6:7]
.LBB37_82:                              ;   in Loop: Header=BB37_16 Depth=1
	s_or_b64 exec, exec, s[14:15]
	s_lshl_b32 s2, s58, 6
	s_and_saveexec_b64 s[0:1], s[4:5]
	s_cbranch_execnz .LBB37_51
	s_branch .LBB37_52
.LBB37_83:                              ;   in Loop: Header=BB37_16 Depth=1
	s_or_b64 exec, exec, s[14:15]
	s_waitcnt lgkmcnt(0)
	s_barrier
	s_mov_b64 s[0:1], exec
	v_readlane_b32 s2, v70, 12
	v_readlane_b32 s3, v70, 13
	s_and_b64 s[2:3], s[0:1], s[2:3]
	s_mov_b64 exec, s[2:3]
	s_cbranch_execz .LBB37_85
; %bb.84:                               ;   in Loop: Header=BB37_16 Depth=1
	ds_read_b32 v4, v3 offset:5136
	s_waitcnt lgkmcnt(0)
	v_ashrrev_i32_e32 v5, 31, v4
	ds_write_b64 v3, v[4:5] offset:5120
.LBB37_85:                              ;   in Loop: Header=BB37_16 Depth=1
	s_or_b64 exec, exec, s[0:1]
	s_waitcnt lgkmcnt(0)
	s_barrier
	s_mov_b64 s[0:1], -1
	s_and_b64 vcc, exec, s[6:7]
	s_cbranch_vccnz .LBB37_31
	s_branch .LBB37_46
.LBB37_86:                              ;   in Loop: Header=BB37_16 Depth=1
	s_mov_b32 s3, 0
	v_mov_b64_e32 v[4:5], 0
.LBB37_87:                              ;   in Loop: Header=BB37_16 Depth=1
	v_readlane_b32 s6, v70, 45
	v_readlane_b32 s7, v70, 46
	s_andn2_b64 vcc, exec, s[6:7]
	s_cbranch_vccnz .LBB37_90
; %bb.88:                               ;   in Loop: Header=BB37_16 Depth=1
	s_lshl_b32 s6, s58, 9
	s_lshl_b32 s3, s3, 5
	s_add_i32 s6, s6, s3
	v_add_u32_e32 v2, s6, v46
	v_readlane_b32 s3, v70, 44
.LBB37_89:                              ;   Parent Loop BB37_16 Depth=1
                                        ; =>  This Inner Loop Header: Depth=2
	ds_read_b64 v[6:7], v2
	s_add_i32 s3, s3, -1
	v_add_u32_e32 v2, 32, v2
	s_cmp_lg_u32 s3, 0
	s_waitcnt lgkmcnt(0)
	v_lshl_add_u64 v[4:5], v[6:7], 0, v[4:5]
	s_cbranch_scc1 .LBB37_89
.LBB37_90:                              ;   in Loop: Header=BB37_16 Depth=1
	v_add_lshl_u32 v2, s2, v40, 3
	ds_write_b64 v2, v[4:5] offset:3072
.LBB37_91:                              ;   in Loop: Header=BB37_16 Depth=1
	s_or_b64 exec, exec, s[0:1]
	s_lshl_b32 s0, s2, 3
	v_mov_b32_e32 v2, s0
	s_waitcnt lgkmcnt(0)
	s_barrier
	ds_read_b128 v[8:11], v2 offset:3088
	ds_read_b128 v[4:7], v2 offset:3072
	s_lshl_b32 s72, 3, s33
	v_cmp_eq_u64_e64 s[0:1], 1, v[34:35]
	s_not_b32 s52, s72
	s_waitcnt lgkmcnt(1)
	v_readfirstlane_b32 s22, v8
	s_waitcnt lgkmcnt(0)
	v_cmp_eq_u64_e32 vcc, 1, v[4:5]
	v_readfirstlane_b32 s23, v9
	v_readfirstlane_b32 s2, v10
	;; [unrolled: 1-line block ×3, first 2 shown]
	s_and_b64 s[18:19], vcc, s[0:1]
	s_mov_b64 s[0:1], -1
	s_mov_b64 s[20:21], -1
                                        ; implicit-def: $sgpr14_sgpr15
                                        ; implicit-def: $sgpr6_sgpr7
	s_and_saveexec_b64 s[16:17], s[18:19]
	s_cbranch_execz .LBB37_123
; %bb.92:                               ;   in Loop: Header=BB37_16 Depth=1
	ds_read_b64 v[8:9], v3 offset:5120
	s_waitcnt lgkmcnt(0)
	s_barrier
	v_readfirstlane_b32 s20, v8
	v_readfirstlane_b32 s21, v9
	s_mov_b64 s[6:7], exec
	v_readlane_b32 s14, v70, 26
	v_readlane_b32 s15, v70, 27
	s_and_b64 s[14:15], s[6:7], s[14:15]
	s_mov_b64 exec, s[14:15]
; %bb.93:                               ;   in Loop: Header=BB37_16 Depth=1
	ds_write_b16 v42, v3
; %bb.94:                               ;   in Loop: Header=BB37_16 Depth=1
	s_or_b64 exec, exec, s[6:7]
	v_cmp_lt_i64_e64 s[24:25], s[20:21], 1
	v_and_b32_e32 v47, s52, v47
	v_or_b32_e32 v49, s72, v49
	s_mov_b64 s[6:7], -1
	s_mov_b64 s[14:15], 0
	s_and_b64 vcc, exec, s[24:25]
	s_mov_b64 s[24:25], 0
	s_mov_b64 s[26:27], -1
	s_waitcnt lgkmcnt(0)
	s_barrier
                                        ; implicit-def: $vgpr50
	s_cbranch_vccz .LBB37_108
; %bb.95:                               ;   in Loop: Header=BB37_16 Depth=1
	s_mov_b32 s42, s88
	s_mov_b32 s88, s87
	s_cmp_lg_u64 s[88:89], 0
	s_cbranch_scc0 .LBB37_149
; %bb.96:                               ;   in Loop: Header=BB37_16 Depth=1
	s_add_u32 s24, s84, 0
	s_addc_u32 s25, 0, 0
	s_xor_b64 s[24:25], s[24:25], 0
	v_cvt_f32_u32_e32 v2, s24
	v_cvt_f32_u32_e32 v8, s25
	s_sub_u32 s28, 0, s24
	s_subb_u32 s29, 0, s25
	v_fmac_f32_e32 v2, 0x4f800000, v8
	v_rcp_f32_e32 v2, v2
	s_nop 0
	v_mul_f32_e32 v2, 0x5f7ffffc, v2
	v_mul_f32_e32 v8, 0x2f800000, v2
	v_trunc_f32_e32 v8, v8
	v_fmac_f32_e32 v2, 0xcf800000, v8
	v_cvt_u32_f32_e32 v8, v8
	v_cvt_u32_f32_e32 v2, v2
	v_readfirstlane_b32 s30, v8
	v_readfirstlane_b32 s26, v2
	s_mul_i32 s27, s28, s30
	s_mul_hi_u32 s34, s28, s26
	s_mul_i32 s31, s29, s26
	s_add_i32 s27, s34, s27
	s_mul_i32 s35, s28, s26
	s_add_i32 s27, s27, s31
	s_mul_i32 s34, s26, s27
	s_mul_hi_u32 s36, s26, s35
	s_mul_hi_u32 s31, s26, s27
	s_add_u32 s34, s36, s34
	s_addc_u32 s31, 0, s31
	s_mul_hi_u32 s37, s30, s35
	s_mul_i32 s35, s30, s35
	s_add_u32 s34, s34, s35
	s_mul_hi_u32 s36, s30, s27
	s_addc_u32 s31, s31, s37
	s_addc_u32 s34, s36, 0
	s_mul_i32 s27, s30, s27
	s_add_u32 s27, s31, s27
	s_addc_u32 s31, 0, s34
	s_add_u32 s34, s26, s27
	s_cselect_b64 s[26:27], -1, 0
	s_cmp_lg_u64 s[26:27], 0
	s_addc_u32 s30, s30, s31
	s_mul_i32 s26, s28, s30
	s_mul_hi_u32 s27, s28, s34
	s_add_i32 s26, s27, s26
	s_mul_i32 s29, s29, s34
	s_add_i32 s26, s26, s29
	s_mul_i32 s28, s28, s34
	s_mul_hi_u32 s29, s30, s28
	s_mul_i32 s31, s30, s28
	s_mul_i32 s36, s34, s26
	s_mul_hi_u32 s28, s34, s28
	s_mul_hi_u32 s35, s34, s26
	s_add_u32 s28, s28, s36
	s_addc_u32 s35, 0, s35
	s_add_u32 s28, s28, s31
	s_mul_hi_u32 s27, s30, s26
	s_addc_u32 s28, s35, s29
	s_addc_u32 s27, s27, 0
	s_mul_i32 s26, s30, s26
	s_add_u32 s26, s28, s26
	s_addc_u32 s28, 0, s27
	s_add_u32 s31, s34, s26
	s_cselect_b64 s[26:27], -1, 0
	s_cmp_lg_u64 s[26:27], 0
	s_addc_u32 s30, s30, s28
	s_ashr_i32 s26, s89, 31
	s_add_u32 s28, s53, s26
	s_mov_b32 s27, s26
	s_addc_u32 s29, s89, s26
	s_xor_b64 s[28:29], s[28:29], s[26:27]
	s_mul_i32 s35, s28, s30
	s_mul_hi_u32 s36, s28, s31
	s_mul_hi_u32 s34, s28, s30
	s_add_u32 s35, s36, s35
	s_addc_u32 s34, 0, s34
	s_mul_hi_u32 s37, s29, s31
	s_mul_i32 s31, s29, s31
	s_add_u32 s31, s35, s31
	s_mul_hi_u32 s36, s29, s30
	s_addc_u32 s31, s34, s37
	s_addc_u32 s34, s36, 0
	s_mul_i32 s30, s29, s30
	s_add_u32 s30, s31, s30
	s_addc_u32 s31, 0, s34
	s_mul_i32 s31, s24, s31
	s_mul_hi_u32 s34, s24, s30
	s_add_i32 s31, s34, s31
	s_mul_i32 s34, s25, s30
	s_add_i32 s36, s31, s34
	s_sub_i32 s34, s29, s36
	s_mul_i32 s30, s24, s30
	s_sub_u32 s28, s28, s30
	s_cselect_b64 s[30:31], -1, 0
	s_cmp_lg_u64 s[30:31], 0
	s_subb_u32 s37, s34, s25
	s_sub_u32 s38, s28, s24
	s_cselect_b64 s[34:35], -1, 0
	s_cmp_lg_u64 s[34:35], 0
	s_subb_u32 s39, s37, 0
	s_cmp_ge_u32 s39, s25
	s_cselect_b32 s40, -1, 0
	s_cmp_ge_u32 s38, s24
	s_cselect_b32 s41, -1, 0
	s_cmp_eq_u32 s39, s25
	s_cselect_b32 s40, s41, s40
	s_cmp_lg_u64 s[34:35], 0
	s_subb_u32 s37, s37, s25
	s_sub_u32 s41, s38, s24
	s_cselect_b64 s[34:35], -1, 0
	s_cmp_lg_u64 s[34:35], 0
	s_subb_u32 s34, s37, 0
	s_cmp_lg_u32 s40, 0
	s_cselect_b32 s35, s41, s38
	s_cselect_b32 s34, s34, s39
	s_cmp_lg_u64 s[30:31], 0
	s_subb_u32 s29, s29, s36
	s_cmp_ge_u32 s29, s25
	s_cselect_b32 s30, -1, 0
	s_cmp_ge_u32 s28, s24
	s_cselect_b32 s24, -1, 0
	s_cmp_eq_u32 s29, s25
	s_cselect_b32 s24, s24, s30
	s_cmp_lg_u32 s24, 0
	s_cselect_b32 s25, s34, s29
	s_cselect_b32 s24, s35, s28
	s_xor_b64 s[24:25], s[24:25], s[26:27]
	s_sub_u32 s24, s24, s26
	s_subb_u32 s25, s25, s26
	s_mov_b32 s88, s42
	s_cbranch_execnz .LBB37_98
.LBB37_97:                              ;   in Loop: Header=BB37_16 Depth=1
	v_cvt_f32_u32_e32 v2, s84
	s_sub_i32 s24, 0, s84
	v_rcp_iflag_f32_e32 v2, v2
	s_nop 0
	v_mul_f32_e32 v2, 0x4f7ffffe, v2
	v_cvt_u32_f32_e32 v2, v2
	s_nop 0
	v_readfirstlane_b32 s25, v2
	s_mul_i32 s24, s24, s25
	s_mul_hi_u32 s24, s25, s24
	s_add_i32 s25, s25, s24
	s_mul_hi_u32 s24, s53, s25
	s_mul_i32 s24, s24, s84
	s_sub_i32 s24, s53, s24
	s_sub_i32 s25, s24, s84
	s_cmp_ge_u32 s24, s84
	s_cselect_b32 s24, s25, s24
	s_sub_i32 s25, s24, s84
	s_cmp_ge_u32 s24, s84
	s_cselect_b32 s86, s25, s24
	s_mov_b64 s[24:25], s[86:87]
.LBB37_98:                              ;   in Loop: Header=BB37_16 Depth=1
	s_sub_u32 s30, s53, s24
	s_subb_u32 s31, s89, s25
	v_cmp_gt_i64_e32 vcc, s[30:31], v[0:1]
	s_mov_b64 s[26:27], 0
	s_mov_b64 s[24:25], 0
                                        ; implicit-def: $vgpr50
	s_and_saveexec_b64 s[28:29], vcc
	s_cbranch_execz .LBB37_107
; %bb.99:                               ;   in Loop: Header=BB37_16 Depth=1
	v_mov_b64_e32 v[8:9], v[12:13]
	v_mov_b64_e32 v[10:11], v[0:1]
                                        ; implicit-def: $sgpr34_sgpr35
	s_branch .LBB37_102
.LBB37_100:                             ;   in Loop: Header=BB37_102 Depth=2
	s_or_b64 exec, exec, s[36:37]
	s_waitcnt lgkmcnt(0)
	s_barrier
	ds_read_b32 v2, v3 offset:3072
	s_mov_b64 s[36:37], -1
	s_waitcnt lgkmcnt(0)
	s_barrier
	v_cmp_ne_u32_sdwa s[38:39], v2, v3 src0_sel:WORD_0 src1_sel:DWORD
	s_and_b64 vcc, exec, s[38:39]
	s_mov_b64 s[38:39], -1
	s_cbranch_vccz .LBB37_105
.LBB37_101:                             ;   in Loop: Header=BB37_102 Depth=2
	s_and_b64 s[36:37], exec, s[36:37]
	s_or_b64 s[24:25], s[36:37], s[24:25]
	s_andn2_b64 s[34:35], s[34:35], exec
	s_and_b64 s[36:37], s[38:39], exec
	s_or_b64 s[34:35], s[34:35], s[36:37]
	s_andn2_b64 exec, exec, s[24:25]
	s_cbranch_execz .LBB37_106
.LBB37_102:                             ;   Parent Loop BB37_16 Depth=1
                                        ; =>  This Inner Loop Header: Depth=2
	v_cmp_gt_i64_e32 vcc, s[56:57], v[10:11]
	s_and_saveexec_b64 s[36:37], vcc
	s_cbranch_execz .LBB37_100
; %bb.103:                              ;   in Loop: Header=BB37_102 Depth=2
	global_load_ushort v2, v[8:9], off
	s_waitcnt vmcnt(0)
	v_add_u32_sdwa v36, sext(v2), s91 dst_sel:DWORD dst_unused:UNUSED_PAD src0_sel:WORD_0 src1_sel:DWORD
	v_and_b32_e32 v36, v36, v49
	v_cmp_eq_u32_e32 vcc, v36, v47
	s_and_b64 exec, exec, vcc
	s_cbranch_execz .LBB37_100
; %bb.104:                              ;   in Loop: Header=BB37_102 Depth=2
	v_perm_b32 v2, v2, 1, v48
	ds_write_b32 v3, v2 offset:3072
	s_branch .LBB37_100
.LBB37_105:                             ;   in Loop: Header=BB37_102 Depth=2
	v_lshl_add_u64 v[10:11], v[10:11], 0, s[84:85]
	v_cmp_le_i64_e32 vcc, s[30:31], v[10:11]
	v_lshl_add_u64 v[8:9], v[8:9], 0, s[92:93]
	s_mov_b64 s[38:39], 0
	s_orn2_b64 s[36:37], vcc, exec
	s_branch .LBB37_101
.LBB37_106:                             ;   in Loop: Header=BB37_16 Depth=1
	s_or_b64 exec, exec, s[24:25]
	v_lshrrev_b32_e32 v50, 16, v2
	s_and_b64 s[24:25], s[34:35], exec
.LBB37_107:                             ;   in Loop: Header=BB37_16 Depth=1
	s_or_b64 exec, exec, s[28:29]
.LBB37_108:                             ;   in Loop: Header=BB37_16 Depth=1
	s_and_b64 vcc, exec, s[26:27]
	s_cbranch_vccz .LBB37_122
; %bb.109:                              ;   in Loop: Header=BB37_16 Depth=1
	v_readlane_b32 s6, v70, 34
	s_add_u32 s28, s20, s6
	v_readlane_b32 s6, v70, 35
	s_addc_u32 s7, s21, s6
	s_mov_b32 s6, s87
	s_cmp_lg_u64 s[6:7], 0
	s_cbranch_scc0 .LBB37_150
; %bb.110:                              ;   in Loop: Header=BB37_16 Depth=1
	s_add_u32 s14, s84, 0
	s_addc_u32 s15, 0, 0
	s_xor_b64 s[14:15], s[14:15], 0
	v_cvt_f32_u32_e32 v2, s14
	v_cvt_f32_u32_e32 v8, s15
	s_sub_u32 s6, 0, s14
	s_subb_u32 s29, 0, s15
	v_fmac_f32_e32 v2, 0x4f800000, v8
	v_rcp_f32_e32 v2, v2
	s_nop 0
	v_mul_f32_e32 v2, 0x5f7ffffc, v2
	v_mul_f32_e32 v8, 0x2f800000, v2
	v_trunc_f32_e32 v8, v8
	v_fmac_f32_e32 v2, 0xcf800000, v8
	v_cvt_u32_f32_e32 v8, v8
	v_cvt_u32_f32_e32 v2, v2
	v_readfirstlane_b32 s30, v8
	v_readfirstlane_b32 s26, v2
	s_mul_i32 s27, s6, s30
	s_mul_hi_u32 s34, s6, s26
	s_mul_i32 s31, s29, s26
	s_add_i32 s27, s34, s27
	s_mul_i32 s35, s6, s26
	s_add_i32 s27, s27, s31
	s_mul_i32 s34, s26, s27
	s_mul_hi_u32 s36, s26, s35
	s_mul_hi_u32 s31, s26, s27
	s_add_u32 s34, s36, s34
	s_addc_u32 s31, 0, s31
	s_mul_hi_u32 s37, s30, s35
	s_mul_i32 s35, s30, s35
	s_add_u32 s34, s34, s35
	s_mul_hi_u32 s36, s30, s27
	s_addc_u32 s31, s31, s37
	s_addc_u32 s34, s36, 0
	s_mul_i32 s27, s30, s27
	s_add_u32 s27, s31, s27
	s_addc_u32 s31, 0, s34
	s_add_u32 s34, s26, s27
	s_cselect_b64 s[26:27], -1, 0
	s_cmp_lg_u64 s[26:27], 0
	s_addc_u32 s30, s30, s31
	s_mul_i32 s26, s6, s30
	s_mul_hi_u32 s27, s6, s34
	s_add_i32 s26, s27, s26
	s_mul_i32 s29, s29, s34
	s_add_i32 s26, s26, s29
	s_mul_i32 s6, s6, s34
	s_mul_hi_u32 s29, s30, s6
	s_mul_i32 s31, s30, s6
	s_mul_i32 s36, s34, s26
	s_mul_hi_u32 s6, s34, s6
	s_mul_hi_u32 s35, s34, s26
	s_add_u32 s6, s6, s36
	s_addc_u32 s35, 0, s35
	s_add_u32 s6, s6, s31
	s_mul_hi_u32 s27, s30, s26
	s_addc_u32 s6, s35, s29
	s_addc_u32 s27, s27, 0
	s_mul_i32 s26, s30, s26
	s_add_u32 s6, s6, s26
	s_addc_u32 s29, 0, s27
	s_add_u32 s6, s34, s6
	s_cselect_b64 s[26:27], -1, 0
	s_cmp_lg_u64 s[26:27], 0
	s_addc_u32 s29, s30, s29
	s_ashr_i32 s26, s7, 31
	s_add_u32 s30, s28, s26
	s_mov_b32 s27, s26
	s_addc_u32 s31, s7, s26
	s_xor_b64 s[30:31], s[30:31], s[26:27]
	s_mul_i32 s35, s30, s29
	s_mul_hi_u32 s36, s30, s6
	s_mul_hi_u32 s34, s30, s29
	s_add_u32 s35, s36, s35
	s_addc_u32 s34, 0, s34
	s_mul_hi_u32 s37, s31, s6
	s_mul_i32 s6, s31, s6
	s_add_u32 s6, s35, s6
	s_mul_hi_u32 s36, s31, s29
	s_addc_u32 s6, s34, s37
	s_addc_u32 s34, s36, 0
	s_mul_i32 s29, s31, s29
	s_add_u32 s6, s6, s29
	s_addc_u32 s29, 0, s34
	s_mul_i32 s29, s14, s29
	s_mul_hi_u32 s34, s14, s6
	s_add_i32 s29, s34, s29
	s_mul_i32 s34, s15, s6
	s_add_i32 s29, s29, s34
	s_sub_i32 s36, s31, s29
	s_mul_i32 s6, s14, s6
	s_sub_u32 s6, s30, s6
	s_cselect_b64 s[34:35], -1, 0
	s_cmp_lg_u64 s[34:35], 0
	s_subb_u32 s30, s36, s15
	s_sub_u32 s38, s6, s14
	s_cselect_b64 s[36:37], -1, 0
	s_cmp_lg_u64 s[36:37], 0
	s_subb_u32 s39, s30, 0
	s_cmp_ge_u32 s39, s15
	s_cselect_b32 s40, -1, 0
	s_cmp_ge_u32 s38, s14
	s_cselect_b32 s41, -1, 0
	s_cmp_eq_u32 s39, s15
	s_cselect_b32 s40, s41, s40
	s_cmp_lg_u64 s[36:37], 0
	s_subb_u32 s30, s30, s15
	s_sub_u32 s41, s38, s14
	s_cselect_b64 s[36:37], -1, 0
	s_cmp_lg_u64 s[36:37], 0
	s_subb_u32 s30, s30, 0
	s_cmp_lg_u32 s40, 0
	s_cselect_b32 s36, s41, s38
	s_cselect_b32 s30, s30, s39
	s_cmp_lg_u64 s[34:35], 0
	s_subb_u32 s29, s31, s29
	s_cmp_ge_u32 s29, s15
	s_cselect_b32 s31, -1, 0
	s_cmp_ge_u32 s6, s14
	s_cselect_b32 s14, -1, 0
	s_cmp_eq_u32 s29, s15
	s_cselect_b32 s14, s14, s31
	s_cmp_lg_u32 s14, 0
	s_cselect_b32 s15, s30, s29
	s_cselect_b32 s14, s36, s6
	s_xor_b64 s[14:15], s[14:15], s[26:27]
	s_sub_u32 s14, s14, s26
	s_subb_u32 s15, s15, s26
	s_cbranch_execnz .LBB37_112
.LBB37_111:                             ;   in Loop: Header=BB37_16 Depth=1
	v_cvt_f32_u32_e32 v2, s84
	s_sub_i32 s6, 0, s84
	v_rcp_iflag_f32_e32 v2, v2
	s_nop 0
	v_mul_f32_e32 v2, 0x4f7ffffe, v2
	v_cvt_u32_f32_e32 v2, v2
	s_nop 0
	v_readfirstlane_b32 s14, v2
	s_mul_i32 s6, s6, s14
	s_mul_hi_u32 s6, s14, s6
	s_add_i32 s14, s14, s6
	s_mul_hi_u32 s6, s28, s14
	s_mul_i32 s6, s6, s84
	s_sub_i32 s6, s28, s6
	s_sub_i32 s14, s6, s84
	s_cmp_ge_u32 s6, s84
	s_cselect_b32 s6, s14, s6
	s_sub_i32 s14, s6, s84
	s_cmp_ge_u32 s6, s84
	s_cselect_b32 s86, s14, s6
	s_mov_b64 s[14:15], s[86:87]
.LBB37_112:                             ;   in Loop: Header=BB37_16 Depth=1
	s_sub_u32 s14, s28, s14
	s_subb_u32 s15, s7, s15
	v_cmp_gt_i64_e32 vcc, s[14:15], v[0:1]
                                        ; implicit-def: $vgpr50
	s_and_saveexec_b64 s[6:7], vcc
	s_cbranch_execz .LBB37_121
; %bb.113:                              ;   in Loop: Header=BB37_16 Depth=1
	s_mov_b64 s[26:27], 0
	v_mov_b32_e32 v2, v41
	v_mov_b64_e32 v[8:9], v[0:1]
                                        ; implicit-def: $sgpr28_sgpr29
	s_branch .LBB37_116
.LBB37_114:                             ;   in Loop: Header=BB37_116 Depth=2
	s_or_b64 exec, exec, s[30:31]
	s_waitcnt lgkmcnt(0)
	s_barrier
	ds_read_b32 v10, v3 offset:3072
	s_mov_b64 s[30:31], -1
	s_waitcnt lgkmcnt(0)
	s_barrier
	v_cmp_ne_u32_sdwa s[34:35], v10, v3 src0_sel:WORD_0 src1_sel:DWORD
	s_and_b64 vcc, exec, s[34:35]
	s_mov_b64 s[34:35], -1
	s_cbranch_vccz .LBB37_119
.LBB37_115:                             ;   in Loop: Header=BB37_116 Depth=2
	s_and_b64 s[30:31], exec, s[30:31]
	s_or_b64 s[26:27], s[30:31], s[26:27]
	s_andn2_b64 s[28:29], s[28:29], exec
	s_and_b64 s[30:31], s[34:35], exec
	s_or_b64 s[28:29], s[28:29], s[30:31]
	s_andn2_b64 exec, exec, s[26:27]
	s_cbranch_execz .LBB37_120
.LBB37_116:                             ;   Parent Loop BB37_16 Depth=1
                                        ; =>  This Inner Loop Header: Depth=2
	v_cmp_gt_u64_e32 vcc, s[20:21], v[8:9]
	s_and_saveexec_b64 s[30:31], vcc
	s_cbranch_execz .LBB37_114
; %bb.117:                              ;   in Loop: Header=BB37_116 Depth=2
	ds_read_u16 v10, v2
	s_waitcnt lgkmcnt(0)
	v_add_u32_sdwa v11, sext(v10), s91 dst_sel:DWORD dst_unused:UNUSED_PAD src0_sel:WORD_0 src1_sel:DWORD
	v_and_b32_e32 v11, v11, v49
	v_cmp_eq_u32_e32 vcc, v11, v47
	s_and_b64 exec, exec, vcc
	s_cbranch_execz .LBB37_114
; %bb.118:                              ;   in Loop: Header=BB37_116 Depth=2
	v_perm_b32 v10, v10, 1, v48
	ds_write_b32 v3, v10 offset:3072
	s_branch .LBB37_114
.LBB37_119:                             ;   in Loop: Header=BB37_116 Depth=2
	v_lshl_add_u64 v[8:9], v[8:9], 0, s[84:85]
	v_cmp_le_i64_e32 vcc, s[14:15], v[8:9]
	v_add_u32_e32 v2, s98, v2
	s_mov_b64 s[34:35], 0
	s_orn2_b64 s[30:31], vcc, exec
	s_branch .LBB37_115
.LBB37_120:                             ;   in Loop: Header=BB37_16 Depth=1
	s_or_b64 exec, exec, s[26:27]
	s_andn2_b64 s[14:15], s[24:25], exec
	s_and_b64 s[20:21], s[28:29], exec
	v_lshrrev_b32_e32 v50, 16, v10
	s_or_b64 s[24:25], s[14:15], s[20:21]
.LBB37_121:                             ;   in Loop: Header=BB37_16 Depth=1
	s_or_b64 exec, exec, s[6:7]
	s_mov_b64 s[6:7], 0
	s_mov_b64 s[14:15], -1
.LBB37_122:                             ;   in Loop: Header=BB37_16 Depth=1
	s_orn2_b64 s[20:21], s[24:25], exec
.LBB37_123:                             ;   in Loop: Header=BB37_16 Depth=1
	s_or_b64 exec, exec, s[16:17]
	s_andn2_b64 s[16:17], s[60:61], exec
	s_and_b64 s[14:15], s[14:15], exec
	s_or_b64 s[74:75], s[16:17], s[14:15]
	s_andn2_b64 s[14:15], s[12:13], exec
	s_and_b64 s[6:7], s[6:7], exec
	s_andn2_b64 s[82:83], s[82:83], exec
	s_or_b64 s[66:67], s[14:15], s[6:7]
                                        ; implicit-def: $vgpr8_vgpr9
	s_and_saveexec_b64 s[16:17], s[20:21]
	s_cbranch_execz .LBB37_15
; %bb.124:                              ;   in Loop: Header=BB37_16 Depth=1
	s_xor_b64 s[6:7], s[18:19], -1
	v_mov_b32_e32 v2, 1
	s_mov_b64 s[14:15], 0
	v_mov_b64_e32 v[8:9], 1
	s_and_saveexec_b64 s[0:1], s[6:7]
	s_cbranch_execz .LBB37_133
; %bb.125:                              ;   in Loop: Header=BB37_16 Depth=1
	v_cmp_le_i64_e32 vcc, v[34:35], v[4:5]
	s_and_saveexec_b64 s[6:7], vcc
	s_xor_b64 s[6:7], exec, s[6:7]
	s_cbranch_execz .LBB37_130
; %bb.126:                              ;   in Loop: Header=BB37_16 Depth=1
	ds_read_b64 v[8:9], v3 offset:5120
	v_and_b32_e32 v47, s52, v47
	v_or_b32_e32 v49, s72, v49
	s_waitcnt lgkmcnt(0)
	v_cmp_ne_u64_e32 vcc, 0, v[8:9]
	s_cbranch_vccnz .LBB37_130
; %bb.127:                              ;   in Loop: Header=BB37_16 Depth=1
	s_mov_b64 s[14:15], exec
	v_readlane_b32 s18, v70, 12
	v_readlane_b32 s19, v70, 13
	s_and_b64 s[18:19], s[14:15], s[18:19]
	s_mov_b64 exec, s[18:19]
; %bb.128:                              ;   in Loop: Header=BB37_16 Depth=1
	ds_write_b64 v3, v[4:5] offset:5128
; %bb.129:                              ;   in Loop: Header=BB37_16 Depth=1
	s_or_b64 exec, exec, s[14:15]
	s_waitcnt lgkmcnt(0)
	s_barrier
.LBB37_130:                             ;   in Loop: Header=BB37_16 Depth=1
	s_or_saveexec_b64 s[6:7], s[6:7]
	s_mov_b64 s[14:15], 0
	v_mov_b32_e32 v2, 8
	s_xor_b64 exec, exec, s[6:7]
; %bb.131:                              ;   in Loop: Header=BB37_16 Depth=1
	v_sub_co_u32_e32 v34, vcc, v34, v4
	s_mov_b64 s[14:15], exec
	s_nop 0
	v_subb_co_u32_e32 v35, vcc, v35, v5, vcc
	v_mov_b32_e32 v2, 0
; %bb.132:                              ;   in Loop: Header=BB37_16 Depth=1
	s_or_b64 exec, exec, s[6:7]
	s_and_b64 s[14:15], s[14:15], exec
	v_mov_b64_e32 v[8:9], v[34:35]
.LBB37_133:                             ;   in Loop: Header=BB37_16 Depth=1
	s_or_b64 exec, exec, s[0:1]
	s_mov_b64 s[18:19], -1
	s_mov_b64 s[6:7], -1
                                        ; implicit-def: $sgpr0_sgpr1
                                        ; implicit-def: $sgpr24_sgpr25
	s_and_saveexec_b64 s[20:21], s[14:15]
	s_xor_b64 s[20:21], exec, s[20:21]
	s_cbranch_execz .LBB37_275
; %bb.134:                              ;   in Loop: Header=BB37_16 Depth=1
	v_cmp_eq_u64_e32 vcc, 1, v[6:7]
	v_cmp_eq_u64_e64 s[0:1], 1, v[8:9]
	s_and_b64 s[28:29], vcc, s[0:1]
                                        ; implicit-def: $sgpr24_sgpr25
                                        ; implicit-def: $sgpr0_sgpr1
	s_and_saveexec_b64 s[26:27], s[28:29]
	s_cbranch_execz .LBB37_168
; %bb.135:                              ;   in Loop: Header=BB37_16 Depth=1
	ds_read_b64 v[4:5], v3 offset:5120
	s_waitcnt lgkmcnt(0)
	s_barrier
	v_readfirstlane_b32 s34, v4
	v_readfirstlane_b32 s35, v5
	s_mov_b64 s[0:1], exec
	v_readlane_b32 s6, v70, 26
	v_readlane_b32 s7, v70, 27
	s_and_b64 s[6:7], s[0:1], s[6:7]
	s_mov_b64 exec, s[6:7]
; %bb.136:                              ;   in Loop: Header=BB37_16 Depth=1
	ds_write_b16 v42, v3
; %bb.137:                              ;   in Loop: Header=BB37_16 Depth=1
	s_or_b64 exec, exec, s[0:1]
	v_and_b32_e32 v4, s52, v47
	v_cmp_gt_i64_e64 s[6:7], s[34:35], 0
	v_lshl_or_b32 v47, 1, s33, v4
	v_or_b32_e32 v49, s72, v49
	s_mov_b64 s[0:1], -1
	s_mov_b64 s[24:25], 0
	s_and_b64 vcc, exec, s[6:7]
	s_mov_b64 s[6:7], 0
	s_mov_b64 s[14:15], -1
	s_waitcnt lgkmcnt(0)
	s_barrier
                                        ; implicit-def: $vgpr50
	s_cbranch_vccnz .LBB37_153
; %bb.138:                              ;   in Loop: Header=BB37_16 Depth=1
	s_mov_b32 s12, s88
	s_mov_b32 s88, s87
	s_cmp_lg_u64 s[88:89], 0
	s_cbranch_scc0 .LBB37_195
; %bb.139:                              ;   in Loop: Header=BB37_16 Depth=1
	s_add_u32 s6, s84, 0
	s_addc_u32 s7, 0, 0
	s_xor_b64 s[6:7], s[6:7], 0
	v_cvt_f32_u32_e32 v4, s6
	v_cvt_f32_u32_e32 v5, s7
	s_sub_u32 s30, 0, s6
	s_subb_u32 s31, 0, s7
	v_fmac_f32_e32 v4, 0x4f800000, v5
	v_rcp_f32_e32 v4, v4
	s_nop 0
	v_mul_f32_e32 v4, 0x5f7ffffc, v4
	v_mul_f32_e32 v5, 0x2f800000, v4
	v_trunc_f32_e32 v5, v5
	v_fmac_f32_e32 v4, 0xcf800000, v5
	v_cvt_u32_f32_e32 v5, v5
	v_cvt_u32_f32_e32 v4, v4
	v_readfirstlane_b32 s36, v5
	v_readfirstlane_b32 s14, v4
	s_mul_i32 s15, s30, s36
	s_mul_hi_u32 s38, s30, s14
	s_mul_i32 s37, s31, s14
	s_add_i32 s15, s38, s15
	s_mul_i32 s39, s30, s14
	s_add_i32 s15, s15, s37
	s_mul_i32 s38, s14, s15
	s_mul_hi_u32 s40, s14, s39
	s_mul_hi_u32 s37, s14, s15
	s_add_u32 s38, s40, s38
	s_addc_u32 s37, 0, s37
	s_mul_hi_u32 s41, s36, s39
	s_mul_i32 s39, s36, s39
	s_add_u32 s38, s38, s39
	s_mul_hi_u32 s40, s36, s15
	s_addc_u32 s37, s37, s41
	s_addc_u32 s38, s40, 0
	s_mul_i32 s15, s36, s15
	s_add_u32 s15, s37, s15
	s_addc_u32 s37, 0, s38
	s_add_u32 s38, s14, s15
	s_cselect_b64 s[14:15], -1, 0
	s_cmp_lg_u64 s[14:15], 0
	s_addc_u32 s36, s36, s37
	s_mul_i32 s14, s30, s36
	s_mul_hi_u32 s15, s30, s38
	s_add_i32 s14, s15, s14
	s_mul_i32 s31, s31, s38
	s_add_i32 s14, s14, s31
	s_mul_i32 s30, s30, s38
	s_mul_hi_u32 s31, s36, s30
	s_mul_i32 s37, s36, s30
	s_mul_i32 s40, s38, s14
	s_mul_hi_u32 s30, s38, s30
	s_mul_hi_u32 s39, s38, s14
	s_add_u32 s30, s30, s40
	s_addc_u32 s39, 0, s39
	s_add_u32 s30, s30, s37
	s_mul_hi_u32 s15, s36, s14
	s_addc_u32 s30, s39, s31
	s_addc_u32 s15, s15, 0
	s_mul_i32 s14, s36, s14
	s_add_u32 s14, s30, s14
	s_addc_u32 s30, 0, s15
	s_add_u32 s37, s38, s14
	s_cselect_b64 s[14:15], -1, 0
	s_cmp_lg_u64 s[14:15], 0
	s_addc_u32 s36, s36, s30
	s_ashr_i32 s14, s89, 31
	s_add_u32 s30, s53, s14
	s_mov_b32 s15, s14
	s_addc_u32 s31, s89, s14
	s_xor_b64 s[30:31], s[30:31], s[14:15]
	s_mul_i32 s39, s30, s36
	s_mul_hi_u32 s40, s30, s37
	s_mul_hi_u32 s38, s30, s36
	s_add_u32 s39, s40, s39
	s_addc_u32 s38, 0, s38
	s_mul_hi_u32 s41, s31, s37
	s_mul_i32 s37, s31, s37
	s_add_u32 s37, s39, s37
	s_mul_hi_u32 s40, s31, s36
	s_addc_u32 s37, s38, s41
	s_addc_u32 s38, s40, 0
	s_mul_i32 s36, s31, s36
	s_add_u32 s36, s37, s36
	s_addc_u32 s37, 0, s38
	s_mul_i32 s37, s6, s37
	s_mul_hi_u32 s38, s6, s36
	s_add_i32 s37, s38, s37
	s_mul_i32 s38, s7, s36
	s_add_i32 s40, s37, s38
	s_sub_i32 s38, s31, s40
	s_mul_i32 s36, s6, s36
	s_sub_u32 s30, s30, s36
	s_cselect_b64 s[36:37], -1, 0
	s_cmp_lg_u64 s[36:37], 0
	s_subb_u32 s41, s38, s7
	s_sub_u32 s42, s30, s6
	s_cselect_b64 s[38:39], -1, 0
	s_cmp_lg_u64 s[38:39], 0
	s_subb_u32 s43, s41, 0
	s_cmp_ge_u32 s43, s7
	s_cselect_b32 s44, -1, 0
	s_cmp_ge_u32 s42, s6
	s_cselect_b32 s45, -1, 0
	s_cmp_eq_u32 s43, s7
	s_cselect_b32 s44, s45, s44
	s_cmp_lg_u64 s[38:39], 0
	s_subb_u32 s41, s41, s7
	s_sub_u32 s45, s42, s6
	s_cselect_b64 s[38:39], -1, 0
	s_cmp_lg_u64 s[38:39], 0
	s_subb_u32 s38, s41, 0
	s_cmp_lg_u32 s44, 0
	s_cselect_b32 s39, s45, s42
	s_cselect_b32 s38, s38, s43
	s_cmp_lg_u64 s[36:37], 0
	s_subb_u32 s31, s31, s40
	s_cmp_ge_u32 s31, s7
	s_cselect_b32 s36, -1, 0
	s_cmp_ge_u32 s30, s6
	s_cselect_b32 s6, -1, 0
	s_cmp_eq_u32 s31, s7
	s_cselect_b32 s6, s6, s36
	s_cmp_lg_u32 s6, 0
	s_cselect_b32 s7, s38, s31
	s_cselect_b32 s6, s39, s30
	s_xor_b64 s[6:7], s[6:7], s[14:15]
	s_sub_u32 s6, s6, s14
	s_subb_u32 s7, s7, s14
	s_mov_b32 s88, s12
	s_cbranch_execnz .LBB37_141
.LBB37_140:                             ;   in Loop: Header=BB37_16 Depth=1
	v_cvt_f32_u32_e32 v4, s84
	s_sub_i32 s6, 0, s84
	v_rcp_iflag_f32_e32 v4, v4
	s_nop 0
	v_mul_f32_e32 v4, 0x4f7ffffe, v4
	v_cvt_u32_f32_e32 v4, v4
	s_nop 0
	v_readfirstlane_b32 s7, v4
	s_mul_i32 s6, s6, s7
	s_mul_hi_u32 s6, s7, s6
	s_add_i32 s7, s7, s6
	s_mul_hi_u32 s6, s53, s7
	s_mul_i32 s6, s6, s84
	s_sub_i32 s6, s53, s6
	s_sub_i32 s7, s6, s84
	s_cmp_ge_u32 s6, s84
	s_cselect_b32 s6, s7, s6
	s_sub_i32 s7, s6, s84
	s_cmp_ge_u32 s6, s84
	s_cselect_b32 s86, s7, s6
	s_mov_b64 s[6:7], s[86:87]
.LBB37_141:                             ;   in Loop: Header=BB37_16 Depth=1
	s_sub_u32 s36, s53, s6
	s_subb_u32 s37, s89, s7
	v_cmp_gt_i64_e32 vcc, s[36:37], v[0:1]
	s_mov_b64 s[14:15], 0
	s_mov_b64 s[6:7], 0
                                        ; implicit-def: $vgpr50
	s_and_saveexec_b64 s[30:31], vcc
	s_cbranch_execz .LBB37_152
; %bb.142:                              ;   in Loop: Header=BB37_16 Depth=1
	v_mov_b64_e32 v[4:5], v[12:13]
	v_mov_b64_e32 v[10:11], v[0:1]
                                        ; implicit-def: $sgpr38_sgpr39
	s_branch .LBB37_145
.LBB37_143:                             ;   in Loop: Header=BB37_145 Depth=2
	s_or_b64 exec, exec, s[40:41]
	s_waitcnt lgkmcnt(0)
	s_barrier
	ds_read_b32 v34, v3 offset:3072
	s_mov_b64 s[40:41], -1
	s_waitcnt lgkmcnt(0)
	s_barrier
	v_cmp_ne_u32_sdwa s[42:43], v34, v3 src0_sel:WORD_0 src1_sel:DWORD
	s_and_b64 vcc, exec, s[42:43]
	s_mov_b64 s[42:43], -1
	s_cbranch_vccz .LBB37_148
.LBB37_144:                             ;   in Loop: Header=BB37_145 Depth=2
	s_and_b64 s[40:41], exec, s[40:41]
	s_or_b64 s[6:7], s[40:41], s[6:7]
	s_andn2_b64 s[38:39], s[38:39], exec
	s_and_b64 s[40:41], s[42:43], exec
	s_or_b64 s[38:39], s[38:39], s[40:41]
	s_andn2_b64 exec, exec, s[6:7]
	s_cbranch_execz .LBB37_151
.LBB37_145:                             ;   Parent Loop BB37_16 Depth=1
                                        ; =>  This Inner Loop Header: Depth=2
	v_cmp_gt_i64_e32 vcc, s[56:57], v[10:11]
	s_and_saveexec_b64 s[40:41], vcc
	s_cbranch_execz .LBB37_143
; %bb.146:                              ;   in Loop: Header=BB37_145 Depth=2
	global_load_ushort v34, v[4:5], off
	s_waitcnt vmcnt(0)
	v_add_u32_sdwa v35, sext(v34), s91 dst_sel:DWORD dst_unused:UNUSED_PAD src0_sel:WORD_0 src1_sel:DWORD
	v_and_b32_e32 v35, v35, v49
	v_cmp_eq_u32_e32 vcc, v35, v47
	s_and_b64 exec, exec, vcc
	s_cbranch_execz .LBB37_143
; %bb.147:                              ;   in Loop: Header=BB37_145 Depth=2
	v_perm_b32 v34, v34, 1, v48
	ds_write_b32 v3, v34 offset:3072
	s_branch .LBB37_143
.LBB37_148:                             ;   in Loop: Header=BB37_145 Depth=2
	v_lshl_add_u64 v[10:11], v[10:11], 0, s[84:85]
	v_cmp_le_i64_e32 vcc, s[36:37], v[10:11]
	v_lshl_add_u64 v[4:5], v[4:5], 0, s[92:93]
	s_mov_b64 s[42:43], 0
	s_orn2_b64 s[40:41], vcc, exec
	s_branch .LBB37_144
.LBB37_149:                             ;   in Loop: Header=BB37_16 Depth=1
                                        ; implicit-def: $sgpr24_sgpr25
	s_andn2_b64 vcc, exec, s[26:27]
	s_mov_b32 s88, s42
	s_cbranch_vccz .LBB37_97
	s_branch .LBB37_98
.LBB37_150:                             ;   in Loop: Header=BB37_16 Depth=1
                                        ; implicit-def: $sgpr14_sgpr15
	s_branch .LBB37_111
.LBB37_151:                             ;   in Loop: Header=BB37_16 Depth=1
	s_or_b64 exec, exec, s[6:7]
	v_lshrrev_b32_e32 v50, 16, v34
	s_and_b64 s[6:7], s[38:39], exec
.LBB37_152:                             ;   in Loop: Header=BB37_16 Depth=1
	s_or_b64 exec, exec, s[30:31]
.LBB37_153:                             ;   in Loop: Header=BB37_16 Depth=1
	s_and_b64 vcc, exec, s[14:15]
	s_cbranch_vccz .LBB37_167
; %bb.154:                              ;   in Loop: Header=BB37_16 Depth=1
	v_readlane_b32 s0, v70, 34
	s_add_u32 s30, s34, s0
	v_readlane_b32 s0, v70, 35
	s_addc_u32 s1, s35, s0
	s_mov_b32 s0, s87
	s_cmp_lg_u64 s[0:1], 0
	s_cbranch_scc0 .LBB37_196
; %bb.155:                              ;   in Loop: Header=BB37_16 Depth=1
	s_add_u32 s14, s84, 0
	s_addc_u32 s15, 0, 0
	s_xor_b64 s[14:15], s[14:15], 0
	v_cvt_f32_u32_e32 v4, s14
	v_cvt_f32_u32_e32 v5, s15
	s_sub_u32 s0, 0, s14
	s_subb_u32 s31, 0, s15
	v_fmac_f32_e32 v4, 0x4f800000, v5
	v_rcp_f32_e32 v4, v4
	s_nop 0
	v_mul_f32_e32 v4, 0x5f7ffffc, v4
	v_mul_f32_e32 v5, 0x2f800000, v4
	v_trunc_f32_e32 v5, v5
	v_fmac_f32_e32 v4, 0xcf800000, v5
	v_cvt_u32_f32_e32 v5, v5
	v_cvt_u32_f32_e32 v4, v4
	v_readfirstlane_b32 s36, v5
	v_readfirstlane_b32 s24, v4
	s_mul_i32 s25, s0, s36
	s_mul_hi_u32 s38, s0, s24
	s_mul_i32 s37, s31, s24
	s_add_i32 s25, s38, s25
	s_mul_i32 s39, s0, s24
	s_add_i32 s25, s25, s37
	s_mul_i32 s38, s24, s25
	s_mul_hi_u32 s40, s24, s39
	s_mul_hi_u32 s37, s24, s25
	s_add_u32 s38, s40, s38
	s_addc_u32 s37, 0, s37
	s_mul_hi_u32 s41, s36, s39
	s_mul_i32 s39, s36, s39
	s_add_u32 s38, s38, s39
	s_mul_hi_u32 s40, s36, s25
	s_addc_u32 s37, s37, s41
	s_addc_u32 s38, s40, 0
	s_mul_i32 s25, s36, s25
	s_add_u32 s25, s37, s25
	s_addc_u32 s37, 0, s38
	s_add_u32 s38, s24, s25
	s_cselect_b64 s[24:25], -1, 0
	s_cmp_lg_u64 s[24:25], 0
	s_addc_u32 s36, s36, s37
	s_mul_i32 s24, s0, s36
	s_mul_hi_u32 s25, s0, s38
	s_add_i32 s24, s25, s24
	s_mul_i32 s31, s31, s38
	s_add_i32 s24, s24, s31
	s_mul_i32 s0, s0, s38
	s_mul_hi_u32 s31, s36, s0
	s_mul_i32 s37, s36, s0
	s_mul_i32 s40, s38, s24
	s_mul_hi_u32 s0, s38, s0
	s_mul_hi_u32 s39, s38, s24
	s_add_u32 s0, s0, s40
	s_addc_u32 s39, 0, s39
	s_add_u32 s0, s0, s37
	s_mul_hi_u32 s25, s36, s24
	s_addc_u32 s0, s39, s31
	s_addc_u32 s25, s25, 0
	s_mul_i32 s24, s36, s24
	s_add_u32 s0, s0, s24
	s_addc_u32 s31, 0, s25
	s_add_u32 s0, s38, s0
	s_cselect_b64 s[24:25], -1, 0
	s_cmp_lg_u64 s[24:25], 0
	s_addc_u32 s31, s36, s31
	s_ashr_i32 s24, s1, 31
	s_add_u32 s36, s30, s24
	s_mov_b32 s25, s24
	s_addc_u32 s37, s1, s24
	s_xor_b64 s[36:37], s[36:37], s[24:25]
	s_mul_i32 s39, s36, s31
	s_mul_hi_u32 s40, s36, s0
	s_mul_hi_u32 s38, s36, s31
	s_add_u32 s39, s40, s39
	s_addc_u32 s38, 0, s38
	s_mul_hi_u32 s41, s37, s0
	s_mul_i32 s0, s37, s0
	s_add_u32 s0, s39, s0
	s_mul_hi_u32 s40, s37, s31
	s_addc_u32 s0, s38, s41
	s_addc_u32 s38, s40, 0
	s_mul_i32 s31, s37, s31
	s_add_u32 s0, s0, s31
	s_addc_u32 s31, 0, s38
	s_mul_i32 s31, s14, s31
	s_mul_hi_u32 s38, s14, s0
	s_add_i32 s31, s38, s31
	s_mul_i32 s38, s15, s0
	s_add_i32 s31, s31, s38
	s_sub_i32 s40, s37, s31
	s_mul_i32 s0, s14, s0
	s_sub_u32 s0, s36, s0
	s_cselect_b64 s[38:39], -1, 0
	s_cmp_lg_u64 s[38:39], 0
	s_subb_u32 s36, s40, s15
	s_sub_u32 s42, s0, s14
	s_cselect_b64 s[40:41], -1, 0
	s_cmp_lg_u64 s[40:41], 0
	s_subb_u32 s43, s36, 0
	s_cmp_ge_u32 s43, s15
	s_cselect_b32 s44, -1, 0
	s_cmp_ge_u32 s42, s14
	s_cselect_b32 s45, -1, 0
	s_cmp_eq_u32 s43, s15
	s_cselect_b32 s44, s45, s44
	s_cmp_lg_u64 s[40:41], 0
	s_subb_u32 s36, s36, s15
	s_sub_u32 s45, s42, s14
	s_cselect_b64 s[40:41], -1, 0
	s_cmp_lg_u64 s[40:41], 0
	s_subb_u32 s36, s36, 0
	s_cmp_lg_u32 s44, 0
	s_cselect_b32 s40, s45, s42
	s_cselect_b32 s36, s36, s43
	s_cmp_lg_u64 s[38:39], 0
	s_subb_u32 s31, s37, s31
	s_cmp_ge_u32 s31, s15
	s_cselect_b32 s37, -1, 0
	s_cmp_ge_u32 s0, s14
	s_cselect_b32 s14, -1, 0
	s_cmp_eq_u32 s31, s15
	s_cselect_b32 s14, s14, s37
	s_cmp_lg_u32 s14, 0
	s_cselect_b32 s15, s36, s31
	s_cselect_b32 s14, s40, s0
	s_xor_b64 s[14:15], s[14:15], s[24:25]
	s_sub_u32 s14, s14, s24
	s_subb_u32 s15, s15, s24
	s_cbranch_execnz .LBB37_157
.LBB37_156:                             ;   in Loop: Header=BB37_16 Depth=1
	v_cvt_f32_u32_e32 v4, s84
	s_sub_i32 s0, 0, s84
	v_rcp_iflag_f32_e32 v4, v4
	s_nop 0
	v_mul_f32_e32 v4, 0x4f7ffffe, v4
	v_cvt_u32_f32_e32 v4, v4
	s_nop 0
	v_readfirstlane_b32 s14, v4
	s_mul_i32 s0, s0, s14
	s_mul_hi_u32 s0, s14, s0
	s_add_i32 s14, s14, s0
	s_mul_hi_u32 s0, s30, s14
	s_mul_i32 s0, s0, s84
	s_sub_i32 s0, s30, s0
	s_sub_i32 s14, s0, s84
	s_cmp_ge_u32 s0, s84
	s_cselect_b32 s0, s14, s0
	s_sub_i32 s14, s0, s84
	s_cmp_ge_u32 s0, s84
	s_cselect_b32 s86, s14, s0
	s_mov_b64 s[14:15], s[86:87]
.LBB37_157:                             ;   in Loop: Header=BB37_16 Depth=1
	s_sub_u32 s14, s30, s14
	s_subb_u32 s15, s1, s15
	v_cmp_gt_i64_e32 vcc, s[14:15], v[0:1]
                                        ; implicit-def: $vgpr50
	s_and_saveexec_b64 s[0:1], vcc
	s_cbranch_execz .LBB37_166
; %bb.158:                              ;   in Loop: Header=BB37_16 Depth=1
	s_mov_b64 s[24:25], 0
	v_mov_b32_e32 v10, v41
	v_mov_b64_e32 v[4:5], v[0:1]
                                        ; implicit-def: $sgpr30_sgpr31
	s_branch .LBB37_161
.LBB37_159:                             ;   in Loop: Header=BB37_161 Depth=2
	s_or_b64 exec, exec, s[36:37]
	s_waitcnt lgkmcnt(0)
	s_barrier
	ds_read_b32 v11, v3 offset:3072
	s_mov_b64 s[36:37], -1
	s_waitcnt lgkmcnt(0)
	s_barrier
	v_cmp_eq_u32_sdwa s[38:39], v11, v3 src0_sel:WORD_0 src1_sel:DWORD
	s_and_b64 vcc, exec, s[38:39]
	s_mov_b64 s[38:39], -1
	s_cbranch_vccnz .LBB37_164
.LBB37_160:                             ;   in Loop: Header=BB37_161 Depth=2
	s_and_b64 s[36:37], exec, s[36:37]
	s_or_b64 s[24:25], s[36:37], s[24:25]
	s_andn2_b64 s[30:31], s[30:31], exec
	s_and_b64 s[36:37], s[38:39], exec
	s_or_b64 s[30:31], s[30:31], s[36:37]
	s_andn2_b64 exec, exec, s[24:25]
	s_cbranch_execz .LBB37_165
.LBB37_161:                             ;   Parent Loop BB37_16 Depth=1
                                        ; =>  This Inner Loop Header: Depth=2
	v_cmp_gt_u64_e32 vcc, s[34:35], v[4:5]
	s_and_saveexec_b64 s[36:37], vcc
	s_cbranch_execz .LBB37_159
; %bb.162:                              ;   in Loop: Header=BB37_161 Depth=2
	ds_read_u16 v11, v10
	s_waitcnt lgkmcnt(0)
	v_add_u32_sdwa v34, sext(v11), s91 dst_sel:DWORD dst_unused:UNUSED_PAD src0_sel:WORD_0 src1_sel:DWORD
	v_and_b32_e32 v34, v34, v49
	v_cmp_eq_u32_e32 vcc, v34, v47
	s_and_b64 exec, exec, vcc
	s_cbranch_execz .LBB37_159
; %bb.163:                              ;   in Loop: Header=BB37_161 Depth=2
	v_perm_b32 v11, v11, 1, v48
	ds_write_b32 v3, v11 offset:3072
	s_branch .LBB37_159
.LBB37_164:                             ;   in Loop: Header=BB37_161 Depth=2
	v_lshl_add_u64 v[4:5], v[4:5], 0, s[84:85]
	v_cmp_le_i64_e32 vcc, s[14:15], v[4:5]
	v_add_u32_e32 v10, s98, v10
	s_mov_b64 s[38:39], 0
	s_orn2_b64 s[36:37], vcc, exec
	s_branch .LBB37_160
.LBB37_165:                             ;   in Loop: Header=BB37_16 Depth=1
	s_or_b64 exec, exec, s[24:25]
	s_andn2_b64 s[6:7], s[6:7], exec
	s_and_b64 s[14:15], s[30:31], exec
	v_lshrrev_b32_e32 v50, 16, v11
	s_or_b64 s[6:7], s[6:7], s[14:15]
.LBB37_166:                             ;   in Loop: Header=BB37_16 Depth=1
	s_or_b64 exec, exec, s[0:1]
	s_mov_b64 s[0:1], 0
	s_mov_b64 s[24:25], -1
.LBB37_167:                             ;   in Loop: Header=BB37_16 Depth=1
	s_orn2_b64 s[6:7], s[6:7], exec
.LBB37_168:                             ;   in Loop: Header=BB37_16 Depth=1
	s_or_b64 exec, exec, s[26:27]
	s_mov_b64 s[14:15], 0
	s_and_saveexec_b64 s[26:27], s[6:7]
	s_cbranch_execz .LBB37_274
; %bb.169:                              ;   in Loop: Header=BB37_16 Depth=1
	s_xor_b64 s[28:29], s[28:29], -1
	v_mov_b32_e32 v2, 1
	v_mov_b64_e32 v[4:5], 1
	s_and_saveexec_b64 s[6:7], s[28:29]
	s_cbranch_execz .LBB37_179
; %bb.170:                              ;   in Loop: Header=BB37_16 Depth=1
	v_cmp_le_i64_e32 vcc, v[8:9], v[6:7]
	s_and_saveexec_b64 s[14:15], vcc
	s_xor_b64 s[14:15], exec, s[14:15]
	s_cbranch_execz .LBB37_176
; %bb.171:                              ;   in Loop: Header=BB37_16 Depth=1
	ds_read_b64 v[4:5], v3 offset:5120
	v_and_b32_e32 v2, s52, v47
	v_lshl_or_b32 v47, 1, s33, v2
	v_or_b32_e32 v49, s72, v49
	s_waitcnt lgkmcnt(0)
	v_cmp_ne_u64_e32 vcc, 0, v[4:5]
	s_cbranch_vccnz .LBB37_175
; %bb.172:                              ;   in Loop: Header=BB37_16 Depth=1
	s_mov_b64 s[28:29], exec
	v_readlane_b32 s30, v70, 12
	v_readlane_b32 s31, v70, 13
	s_and_b64 s[30:31], s[28:29], s[30:31]
	s_mov_b64 exec, s[30:31]
; %bb.173:                              ;   in Loop: Header=BB37_16 Depth=1
	ds_write_b64 v3, v[6:7] offset:5128
; %bb.174:                              ;   in Loop: Header=BB37_16 Depth=1
	s_or_b64 exec, exec, s[28:29]
	s_waitcnt lgkmcnt(0)
	s_barrier
.LBB37_175:                             ;   in Loop: Header=BB37_16 Depth=1
                                        ; implicit-def: $vgpr4_vgpr5_vgpr6_vgpr7
.LBB37_176:                             ;   in Loop: Header=BB37_16 Depth=1
	s_or_saveexec_b64 s[14:15], s[14:15]
	s_mov_b64 s[28:29], 0
	v_mov_b32_e32 v2, 8
	s_xor_b64 exec, exec, s[14:15]
; %bb.177:                              ;   in Loop: Header=BB37_16 Depth=1
	v_sub_co_u32_e32 v8, vcc, v8, v6
	s_mov_b64 s[28:29], exec
	s_nop 0
	v_subb_co_u32_e32 v9, vcc, v9, v7, vcc
	v_mov_b32_e32 v2, 0
; %bb.178:                              ;   in Loop: Header=BB37_16 Depth=1
	s_or_b64 exec, exec, s[14:15]
	s_and_b64 s[14:15], s[28:29], exec
	v_mov_b64_e32 v[4:5], v[8:9]
.LBB37_179:                             ;   in Loop: Header=BB37_16 Depth=1
	s_or_b64 exec, exec, s[6:7]
	s_mov_b64 s[6:7], -1
                                        ; implicit-def: $sgpr34_sgpr35
                                        ; implicit-def: $sgpr36_sgpr37
	s_and_saveexec_b64 s[28:29], s[14:15]
	s_cbranch_execz .LBB37_273
; %bb.180:                              ;   in Loop: Header=BB37_16 Depth=1
	s_cmp_eq_u64 s[22:23], 1
	s_cselect_b64 s[6:7], -1, 0
	v_cmp_eq_u64_e32 vcc, 1, v[4:5]
	s_and_b64 s[40:41], s[6:7], vcc
	s_mov_b64 s[6:7], -1
                                        ; implicit-def: $sgpr36_sgpr37
                                        ; implicit-def: $sgpr34_sgpr35
	s_and_saveexec_b64 s[38:39], s[40:41]
	s_cbranch_execz .LBB37_214
; %bb.181:                              ;   in Loop: Header=BB37_16 Depth=1
	ds_read_b64 v[6:7], v3 offset:5120
	v_readlane_b32 s12, v70, 26
	v_readlane_b32 s13, v70, 27
	s_waitcnt lgkmcnt(0)
	s_barrier
	v_readfirstlane_b32 s42, v6
	v_readfirstlane_b32 s43, v7
	s_and_saveexec_b64 s[6:7], s[12:13]
; %bb.182:                              ;   in Loop: Header=BB37_16 Depth=1
	ds_write_b16 v42, v3
; %bb.183:                              ;   in Loop: Header=BB37_16 Depth=1
	s_or_b64 exec, exec, s[6:7]
	v_and_b32_e32 v6, s52, v47
	v_cmp_gt_i64_e64 s[6:7], s[42:43], 0
	v_lshl_or_b32 v47, 2, s33, v6
	v_or_b32_e32 v49, s72, v49
	s_mov_b64 s[34:35], -1
	s_mov_b64 s[36:37], 0
	s_and_b64 vcc, exec, s[6:7]
	s_mov_b64 s[6:7], 0
	s_mov_b64 s[14:15], -1
	s_waitcnt lgkmcnt(0)
	s_barrier
                                        ; implicit-def: $vgpr50
	s_cbranch_vccnz .LBB37_199
; %bb.184:                              ;   in Loop: Header=BB37_16 Depth=1
	s_mov_b32 s13, s88
	s_mov_b32 s88, s87
	s_cmp_lg_u64 s[88:89], 0
	s_cbranch_scc0 .LBB37_240
; %bb.185:                              ;   in Loop: Header=BB37_16 Depth=1
	s_add_u32 s6, s84, 0
	s_addc_u32 s7, 0, 0
	s_xor_b64 s[6:7], s[6:7], 0
	v_cvt_f32_u32_e32 v6, s6
	v_cvt_f32_u32_e32 v7, s7
	s_sub_u32 s30, 0, s6
	s_subb_u32 s31, 0, s7
	s_mov_b32 s12, s53
	v_fmac_f32_e32 v6, 0x4f800000, v7
	v_rcp_f32_e32 v6, v6
	s_nop 0
	v_mul_f32_e32 v6, 0x5f7ffffc, v6
	v_mul_f32_e32 v7, 0x2f800000, v6
	v_trunc_f32_e32 v7, v7
	v_fmac_f32_e32 v6, 0xcf800000, v7
	v_cvt_u32_f32_e32 v7, v7
	v_cvt_u32_f32_e32 v6, v6
	v_readfirstlane_b32 s44, v7
	v_readfirstlane_b32 s14, v6
	s_mul_i32 s15, s30, s44
	s_mul_hi_u32 s46, s30, s14
	s_mul_i32 s45, s31, s14
	s_add_i32 s15, s46, s15
	s_mul_i32 s47, s30, s14
	s_add_i32 s15, s15, s45
	s_mul_i32 s46, s14, s15
	s_mul_hi_u32 s48, s14, s47
	s_mul_hi_u32 s45, s14, s15
	s_add_u32 s46, s48, s46
	s_addc_u32 s45, 0, s45
	s_mul_hi_u32 s49, s44, s47
	s_mul_i32 s47, s44, s47
	s_add_u32 s46, s46, s47
	s_mul_hi_u32 s48, s44, s15
	s_addc_u32 s45, s45, s49
	s_addc_u32 s46, s48, 0
	s_mul_i32 s15, s44, s15
	s_add_u32 s15, s45, s15
	s_addc_u32 s45, 0, s46
	s_add_u32 s46, s14, s15
	s_cselect_b64 s[14:15], -1, 0
	s_cmp_lg_u64 s[14:15], 0
	s_addc_u32 s44, s44, s45
	s_mul_i32 s14, s30, s44
	s_mul_hi_u32 s15, s30, s46
	s_add_i32 s14, s15, s14
	s_mul_i32 s31, s31, s46
	s_add_i32 s14, s14, s31
	s_mul_i32 s30, s30, s46
	s_mul_hi_u32 s31, s44, s30
	s_mul_i32 s45, s44, s30
	s_mul_i32 s48, s46, s14
	s_mul_hi_u32 s30, s46, s30
	s_mul_hi_u32 s47, s46, s14
	s_add_u32 s30, s30, s48
	s_addc_u32 s47, 0, s47
	s_add_u32 s30, s30, s45
	s_mul_hi_u32 s15, s44, s14
	s_addc_u32 s30, s47, s31
	s_addc_u32 s15, s15, 0
	s_mul_i32 s14, s44, s14
	s_add_u32 s14, s30, s14
	s_addc_u32 s30, 0, s15
	s_add_u32 s45, s46, s14
	s_cselect_b64 s[14:15], -1, 0
	s_cmp_lg_u64 s[14:15], 0
	s_addc_u32 s44, s44, s30
	s_ashr_i32 s14, s89, 31
	s_add_u32 s30, s53, s14
	s_mov_b32 s15, s14
	s_addc_u32 s31, s89, s14
	s_xor_b64 s[30:31], s[30:31], s[14:15]
	s_mul_i32 s47, s30, s44
	s_mul_hi_u32 s48, s30, s45
	s_mul_hi_u32 s46, s30, s44
	s_add_u32 s47, s48, s47
	s_addc_u32 s46, 0, s46
	s_mul_hi_u32 s49, s31, s45
	s_mul_i32 s45, s31, s45
	s_add_u32 s45, s47, s45
	s_mul_hi_u32 s48, s31, s44
	s_addc_u32 s45, s46, s49
	s_addc_u32 s46, s48, 0
	s_mul_i32 s44, s31, s44
	s_add_u32 s44, s45, s44
	s_addc_u32 s45, 0, s46
	s_mul_i32 s45, s6, s45
	s_mul_hi_u32 s46, s6, s44
	s_add_i32 s45, s46, s45
	s_mul_i32 s46, s7, s44
	s_add_i32 s48, s45, s46
	s_sub_i32 s46, s31, s48
	s_mul_i32 s44, s6, s44
	s_sub_u32 s30, s30, s44
	s_cselect_b64 s[44:45], -1, 0
	s_cmp_lg_u64 s[44:45], 0
	s_subb_u32 s49, s46, s7
	s_sub_u32 s50, s30, s6
	s_cselect_b64 s[46:47], -1, 0
	s_cmp_lg_u64 s[46:47], 0
	s_subb_u32 s51, s49, 0
	s_cmp_ge_u32 s51, s7
	s_cselect_b32 s53, -1, 0
	s_cmp_ge_u32 s50, s6
	s_cselect_b32 s54, -1, 0
	s_cmp_eq_u32 s51, s7
	s_cselect_b32 s53, s54, s53
	s_cmp_lg_u64 s[46:47], 0
	s_subb_u32 s49, s49, s7
	s_sub_u32 s54, s50, s6
	s_cselect_b64 s[46:47], -1, 0
	s_cmp_lg_u64 s[46:47], 0
	s_subb_u32 s46, s49, 0
	s_cmp_lg_u32 s53, 0
	s_cselect_b32 s47, s54, s50
	s_cselect_b32 s46, s46, s51
	s_cmp_lg_u64 s[44:45], 0
	s_subb_u32 s31, s31, s48
	s_cmp_ge_u32 s31, s7
	s_cselect_b32 s44, -1, 0
	s_cmp_ge_u32 s30, s6
	s_cselect_b32 s6, -1, 0
	s_cmp_eq_u32 s31, s7
	s_cselect_b32 s6, s6, s44
	s_cmp_lg_u32 s6, 0
	s_cselect_b32 s7, s46, s31
	s_cselect_b32 s6, s47, s30
	s_xor_b64 s[6:7], s[6:7], s[14:15]
	s_sub_u32 s6, s6, s14
	s_mov_b32 s53, s12
	s_subb_u32 s7, s7, s14
	s_mov_b32 s88, s13
	s_cbranch_execnz .LBB37_187
.LBB37_186:                             ;   in Loop: Header=BB37_16 Depth=1
	v_cvt_f32_u32_e32 v6, s84
	s_sub_i32 s6, 0, s84
	v_rcp_iflag_f32_e32 v6, v6
	s_nop 0
	v_mul_f32_e32 v6, 0x4f7ffffe, v6
	v_cvt_u32_f32_e32 v6, v6
	s_nop 0
	v_readfirstlane_b32 s7, v6
	s_mul_i32 s6, s6, s7
	s_mul_hi_u32 s6, s7, s6
	s_add_i32 s7, s7, s6
	s_mul_hi_u32 s6, s53, s7
	s_mul_i32 s6, s6, s84
	s_sub_i32 s6, s53, s6
	s_sub_i32 s7, s6, s84
	s_cmp_ge_u32 s6, s84
	s_cselect_b32 s6, s7, s6
	s_sub_i32 s7, s6, s84
	s_cmp_ge_u32 s6, s84
	s_cselect_b32 s86, s7, s6
	s_mov_b64 s[6:7], s[86:87]
.LBB37_187:                             ;   in Loop: Header=BB37_16 Depth=1
	s_sub_u32 s44, s53, s6
	s_subb_u32 s45, s89, s7
	v_cmp_gt_i64_e32 vcc, s[44:45], v[0:1]
	s_mov_b64 s[14:15], 0
	s_mov_b64 s[6:7], 0
                                        ; implicit-def: $vgpr50
	s_and_saveexec_b64 s[30:31], vcc
	v_readlane_b32 s54, v70, 51
	v_readlane_b32 s55, v70, 52
	s_cbranch_execz .LBB37_198
; %bb.188:                              ;   in Loop: Header=BB37_16 Depth=1
	v_mov_b64_e32 v[6:7], v[12:13]
	v_mov_b64_e32 v[8:9], v[0:1]
                                        ; implicit-def: $sgpr46_sgpr47
	s_branch .LBB37_191
.LBB37_189:                             ;   in Loop: Header=BB37_191 Depth=2
	s_or_b64 exec, exec, s[48:49]
	s_waitcnt lgkmcnt(0)
	s_barrier
	ds_read_b32 v10, v3 offset:3072
	s_mov_b64 s[48:49], -1
	s_waitcnt lgkmcnt(0)
	s_barrier
	v_cmp_ne_u32_sdwa s[50:51], v10, v3 src0_sel:WORD_0 src1_sel:DWORD
	s_and_b64 vcc, exec, s[50:51]
	s_mov_b64 s[50:51], -1
	s_cbranch_vccz .LBB37_194
.LBB37_190:                             ;   in Loop: Header=BB37_191 Depth=2
	s_and_b64 s[48:49], exec, s[48:49]
	s_or_b64 s[6:7], s[48:49], s[6:7]
	s_andn2_b64 s[46:47], s[46:47], exec
	s_and_b64 s[48:49], s[50:51], exec
	s_or_b64 s[46:47], s[46:47], s[48:49]
	s_andn2_b64 exec, exec, s[6:7]
	s_cbranch_execz .LBB37_197
.LBB37_191:                             ;   Parent Loop BB37_16 Depth=1
                                        ; =>  This Inner Loop Header: Depth=2
	v_cmp_gt_i64_e32 vcc, s[56:57], v[8:9]
	s_and_saveexec_b64 s[48:49], vcc
	s_cbranch_execz .LBB37_189
; %bb.192:                              ;   in Loop: Header=BB37_191 Depth=2
	global_load_ushort v10, v[6:7], off
	s_waitcnt vmcnt(0)
	v_add_u32_sdwa v11, sext(v10), s91 dst_sel:DWORD dst_unused:UNUSED_PAD src0_sel:WORD_0 src1_sel:DWORD
	v_and_b32_e32 v11, v11, v49
	v_cmp_eq_u32_e32 vcc, v11, v47
	s_and_b64 exec, exec, vcc
	s_cbranch_execz .LBB37_189
; %bb.193:                              ;   in Loop: Header=BB37_191 Depth=2
	v_perm_b32 v10, v10, 1, v48
	ds_write_b32 v3, v10 offset:3072
	s_branch .LBB37_189
.LBB37_194:                             ;   in Loop: Header=BB37_191 Depth=2
	v_lshl_add_u64 v[8:9], v[8:9], 0, s[84:85]
	v_cmp_le_i64_e32 vcc, s[44:45], v[8:9]
	v_lshl_add_u64 v[6:7], v[6:7], 0, s[92:93]
	s_mov_b64 s[50:51], 0
	s_orn2_b64 s[48:49], vcc, exec
	s_branch .LBB37_190
.LBB37_195:                             ;   in Loop: Header=BB37_16 Depth=1
                                        ; implicit-def: $sgpr6_sgpr7
	s_andn2_b64 vcc, exec, s[14:15]
	s_mov_b32 s88, s12
	s_cbranch_vccz .LBB37_140
	s_branch .LBB37_141
.LBB37_196:                             ;   in Loop: Header=BB37_16 Depth=1
                                        ; implicit-def: $sgpr14_sgpr15
	s_branch .LBB37_156
.LBB37_197:                             ;   in Loop: Header=BB37_16 Depth=1
	s_or_b64 exec, exec, s[6:7]
	v_lshrrev_b32_e32 v50, 16, v10
	s_and_b64 s[6:7], s[46:47], exec
.LBB37_198:                             ;   in Loop: Header=BB37_16 Depth=1
	s_or_b64 exec, exec, s[30:31]
	v_readlane_b32 s50, v70, 53
	v_readlane_b32 s51, v70, 54
.LBB37_199:                             ;   in Loop: Header=BB37_16 Depth=1
	s_and_b64 vcc, exec, s[14:15]
	s_cbranch_vccz .LBB37_213
; %bb.200:                              ;   in Loop: Header=BB37_16 Depth=1
	v_readlane_b32 s14, v70, 34
	s_add_u32 s36, s42, s14
	v_readlane_b32 s14, v70, 35
	s_addc_u32 s15, s43, s14
	s_mov_b32 s14, s87
	s_mov_b32 s12, s53
	s_cmp_lg_u64 s[14:15], 0
	s_cbranch_scc0 .LBB37_241
; %bb.201:                              ;   in Loop: Header=BB37_16 Depth=1
	s_add_u32 s30, s84, 0
	s_addc_u32 s31, 0, 0
	s_xor_b64 s[30:31], s[30:31], 0
	v_cvt_f32_u32_e32 v6, s30
	v_cvt_f32_u32_e32 v7, s31
	s_sub_u32 s14, 0, s30
	s_subb_u32 s37, 0, s31
	v_fmac_f32_e32 v6, 0x4f800000, v7
	v_rcp_f32_e32 v6, v6
	s_nop 0
	v_mul_f32_e32 v6, 0x5f7ffffc, v6
	v_mul_f32_e32 v7, 0x2f800000, v6
	v_trunc_f32_e32 v7, v7
	v_fmac_f32_e32 v6, 0xcf800000, v7
	v_cvt_u32_f32_e32 v7, v7
	v_cvt_u32_f32_e32 v6, v6
	v_readfirstlane_b32 s44, v7
	v_readfirstlane_b32 s34, v6
	s_mul_i32 s35, s14, s44
	s_mul_hi_u32 s46, s14, s34
	s_mul_i32 s45, s37, s34
	s_add_i32 s35, s46, s35
	s_mul_i32 s47, s14, s34
	s_add_i32 s35, s35, s45
	s_mul_i32 s46, s34, s35
	s_mul_hi_u32 s48, s34, s47
	s_mul_hi_u32 s45, s34, s35
	s_add_u32 s46, s48, s46
	s_addc_u32 s45, 0, s45
	s_mul_hi_u32 s49, s44, s47
	s_mul_i32 s47, s44, s47
	s_add_u32 s46, s46, s47
	s_mul_hi_u32 s48, s44, s35
	s_addc_u32 s45, s45, s49
	s_addc_u32 s46, s48, 0
	s_mul_i32 s35, s44, s35
	s_add_u32 s35, s45, s35
	s_addc_u32 s45, 0, s46
	s_add_u32 s46, s34, s35
	s_cselect_b64 s[34:35], -1, 0
	s_cmp_lg_u64 s[34:35], 0
	s_addc_u32 s44, s44, s45
	s_mul_i32 s34, s14, s44
	s_mul_hi_u32 s35, s14, s46
	s_add_i32 s34, s35, s34
	s_mul_i32 s37, s37, s46
	s_add_i32 s34, s34, s37
	s_mul_i32 s14, s14, s46
	s_mul_hi_u32 s37, s44, s14
	s_mul_i32 s45, s44, s14
	s_mul_i32 s48, s46, s34
	s_mul_hi_u32 s14, s46, s14
	s_mul_hi_u32 s47, s46, s34
	s_add_u32 s14, s14, s48
	s_addc_u32 s47, 0, s47
	s_add_u32 s14, s14, s45
	s_mul_hi_u32 s35, s44, s34
	s_addc_u32 s14, s47, s37
	s_addc_u32 s35, s35, 0
	s_mul_i32 s34, s44, s34
	s_add_u32 s14, s14, s34
	s_addc_u32 s37, 0, s35
	s_add_u32 s14, s46, s14
	s_cselect_b64 s[34:35], -1, 0
	s_cmp_lg_u64 s[34:35], 0
	s_addc_u32 s37, s44, s37
	s_ashr_i32 s34, s15, 31
	s_add_u32 s44, s36, s34
	s_mov_b32 s35, s34
	s_addc_u32 s45, s15, s34
	s_xor_b64 s[44:45], s[44:45], s[34:35]
	s_mul_i32 s47, s44, s37
	s_mul_hi_u32 s48, s44, s14
	s_mul_hi_u32 s46, s44, s37
	s_add_u32 s47, s48, s47
	s_addc_u32 s46, 0, s46
	s_mul_hi_u32 s49, s45, s14
	s_mul_i32 s14, s45, s14
	s_add_u32 s14, s47, s14
	s_mul_hi_u32 s48, s45, s37
	s_addc_u32 s14, s46, s49
	s_addc_u32 s46, s48, 0
	s_mul_i32 s37, s45, s37
	s_add_u32 s14, s14, s37
	s_addc_u32 s37, 0, s46
	s_mul_i32 s37, s30, s37
	s_mul_hi_u32 s46, s30, s14
	s_add_i32 s37, s46, s37
	s_mul_i32 s46, s31, s14
	s_add_i32 s37, s37, s46
	s_sub_i32 s48, s45, s37
	s_mul_i32 s14, s30, s14
	s_sub_u32 s14, s44, s14
	s_cselect_b64 s[46:47], -1, 0
	s_cmp_lg_u64 s[46:47], 0
	s_subb_u32 s44, s48, s31
	s_sub_u32 s50, s14, s30
	s_cselect_b64 s[48:49], -1, 0
	s_cmp_lg_u64 s[48:49], 0
	s_subb_u32 s51, s44, 0
	s_cmp_ge_u32 s51, s31
	s_cselect_b32 s53, -1, 0
	s_cmp_ge_u32 s50, s30
	s_cselect_b32 s54, -1, 0
	s_cmp_eq_u32 s51, s31
	s_cselect_b32 s53, s54, s53
	s_cmp_lg_u64 s[48:49], 0
	s_subb_u32 s44, s44, s31
	s_sub_u32 s54, s50, s30
	s_cselect_b64 s[48:49], -1, 0
	s_cmp_lg_u64 s[48:49], 0
	s_subb_u32 s44, s44, 0
	s_cmp_lg_u32 s53, 0
	s_cselect_b32 s48, s54, s50
	s_cselect_b32 s44, s44, s51
	s_cmp_lg_u64 s[46:47], 0
	s_subb_u32 s37, s45, s37
	s_cmp_ge_u32 s37, s31
	s_cselect_b32 s45, -1, 0
	s_cmp_ge_u32 s14, s30
	s_cselect_b32 s30, -1, 0
	s_cmp_eq_u32 s37, s31
	s_cselect_b32 s30, s30, s45
	s_cmp_lg_u32 s30, 0
	s_cselect_b32 s31, s44, s37
	s_cselect_b32 s30, s48, s14
	s_xor_b64 s[30:31], s[30:31], s[34:35]
	v_readlane_b32 s54, v70, 51
	v_readlane_b32 s50, v70, 53
	s_sub_u32 s30, s30, s34
	v_readlane_b32 s55, v70, 52
	v_readlane_b32 s51, v70, 54
	s_subb_u32 s31, s31, s34
	s_cbranch_execnz .LBB37_203
.LBB37_202:                             ;   in Loop: Header=BB37_16 Depth=1
	v_cvt_f32_u32_e32 v6, s84
	s_sub_i32 s14, 0, s84
	v_rcp_iflag_f32_e32 v6, v6
	s_nop 0
	v_mul_f32_e32 v6, 0x4f7ffffe, v6
	v_cvt_u32_f32_e32 v6, v6
	s_nop 0
	v_readfirstlane_b32 s30, v6
	s_mul_i32 s14, s14, s30
	s_mul_hi_u32 s14, s30, s14
	s_add_i32 s30, s30, s14
	s_mul_hi_u32 s14, s36, s30
	s_mul_i32 s14, s14, s84
	s_sub_i32 s14, s36, s14
	s_sub_i32 s30, s14, s84
	s_cmp_ge_u32 s14, s84
	s_cselect_b32 s14, s30, s14
	s_sub_i32 s30, s14, s84
	s_cmp_ge_u32 s14, s84
	s_cselect_b32 s86, s30, s14
	s_mov_b64 s[30:31], s[86:87]
.LBB37_203:                             ;   in Loop: Header=BB37_16 Depth=1
	s_sub_u32 s30, s36, s30
	s_subb_u32 s31, s15, s31
	v_cmp_gt_i64_e32 vcc, s[30:31], v[0:1]
                                        ; implicit-def: $vgpr50
	s_and_saveexec_b64 s[14:15], vcc
	s_mov_b32 s53, s12
	s_cbranch_execz .LBB37_212
; %bb.204:                              ;   in Loop: Header=BB37_16 Depth=1
	s_mov_b64 s[34:35], 0
	v_mov_b32_e32 v8, v41
	v_mov_b64_e32 v[6:7], v[0:1]
                                        ; implicit-def: $sgpr36_sgpr37
	s_branch .LBB37_207
.LBB37_205:                             ;   in Loop: Header=BB37_207 Depth=2
	s_or_b64 exec, exec, s[44:45]
	s_waitcnt lgkmcnt(0)
	s_barrier
	ds_read_b32 v9, v3 offset:3072
	s_mov_b64 s[44:45], -1
	s_waitcnt lgkmcnt(0)
	s_barrier
	v_cmp_eq_u32_sdwa s[46:47], v9, v3 src0_sel:WORD_0 src1_sel:DWORD
	s_and_b64 vcc, exec, s[46:47]
	s_mov_b64 s[46:47], -1
	s_cbranch_vccnz .LBB37_210
.LBB37_206:                             ;   in Loop: Header=BB37_207 Depth=2
	s_and_b64 s[44:45], exec, s[44:45]
	s_or_b64 s[34:35], s[44:45], s[34:35]
	s_andn2_b64 s[36:37], s[36:37], exec
	s_and_b64 s[44:45], s[46:47], exec
	s_or_b64 s[36:37], s[36:37], s[44:45]
	s_andn2_b64 exec, exec, s[34:35]
	s_cbranch_execz .LBB37_211
.LBB37_207:                             ;   Parent Loop BB37_16 Depth=1
                                        ; =>  This Inner Loop Header: Depth=2
	v_cmp_gt_u64_e32 vcc, s[42:43], v[6:7]
	s_and_saveexec_b64 s[44:45], vcc
	s_cbranch_execz .LBB37_205
; %bb.208:                              ;   in Loop: Header=BB37_207 Depth=2
	ds_read_u16 v9, v8
	s_waitcnt lgkmcnt(0)
	v_add_u32_sdwa v10, sext(v9), s91 dst_sel:DWORD dst_unused:UNUSED_PAD src0_sel:WORD_0 src1_sel:DWORD
	v_and_b32_e32 v10, v10, v49
	v_cmp_eq_u32_e32 vcc, v10, v47
	s_and_b64 exec, exec, vcc
	s_cbranch_execz .LBB37_205
; %bb.209:                              ;   in Loop: Header=BB37_207 Depth=2
	v_perm_b32 v9, v9, 1, v48
	ds_write_b32 v3, v9 offset:3072
	s_branch .LBB37_205
.LBB37_210:                             ;   in Loop: Header=BB37_207 Depth=2
	v_lshl_add_u64 v[6:7], v[6:7], 0, s[84:85]
	v_cmp_le_i64_e32 vcc, s[30:31], v[6:7]
	v_add_u32_e32 v8, s98, v8
	s_mov_b64 s[46:47], 0
	s_orn2_b64 s[44:45], vcc, exec
	s_branch .LBB37_206
.LBB37_211:                             ;   in Loop: Header=BB37_16 Depth=1
	s_or_b64 exec, exec, s[34:35]
	s_andn2_b64 s[6:7], s[6:7], exec
	s_and_b64 s[30:31], s[36:37], exec
	v_lshrrev_b32_e32 v50, 16, v9
	s_or_b64 s[6:7], s[6:7], s[30:31]
.LBB37_212:                             ;   in Loop: Header=BB37_16 Depth=1
	s_or_b64 exec, exec, s[14:15]
	s_mov_b64 s[34:35], 0
	s_mov_b64 s[36:37], -1
.LBB37_213:                             ;   in Loop: Header=BB37_16 Depth=1
	s_orn2_b64 s[6:7], s[6:7], exec
.LBB37_214:                             ;   in Loop: Header=BB37_16 Depth=1
	s_or_b64 exec, exec, s[38:39]
	s_mov_b64 s[14:15], 0
	s_and_saveexec_b64 s[38:39], s[6:7]
	s_cbranch_execz .LBB37_272
; %bb.215:                              ;   in Loop: Header=BB37_16 Depth=1
	s_xor_b64 s[30:31], s[40:41], -1
	v_mov_b32_e32 v2, 1
	v_mov_b64_e32 v[6:7], 1
	s_and_saveexec_b64 s[6:7], s[30:31]
	s_cbranch_execz .LBB37_224
; %bb.216:                              ;   in Loop: Header=BB37_16 Depth=1
	v_cmp_ge_i64_e32 vcc, s[22:23], v[4:5]
	s_and_saveexec_b64 s[14:15], vcc
	s_xor_b64 s[14:15], exec, s[14:15]
	s_cbranch_execz .LBB37_221
; %bb.217:                              ;   in Loop: Header=BB37_16 Depth=1
	ds_read_b64 v[6:7], v3 offset:5120
	v_and_b32_e32 v2, s52, v47
	v_lshl_or_b32 v47, 2, s33, v2
	v_or_b32_e32 v49, s72, v49
	s_waitcnt lgkmcnt(0)
	v_cmp_ne_u64_e32 vcc, 0, v[6:7]
	s_cbranch_vccnz .LBB37_221
; %bb.218:                              ;   in Loop: Header=BB37_16 Depth=1
	s_mov_b64 s[30:31], exec
	v_readlane_b32 s40, v70, 12
	v_readlane_b32 s41, v70, 13
	s_and_b64 s[40:41], s[30:31], s[40:41]
	s_mov_b64 exec, s[40:41]
; %bb.219:                              ;   in Loop: Header=BB37_16 Depth=1
	v_mov_b64_e32 v[6:7], s[22:23]
	ds_write_b64 v3, v[6:7] offset:5128
; %bb.220:                              ;   in Loop: Header=BB37_16 Depth=1
	s_or_b64 exec, exec, s[30:31]
	s_waitcnt lgkmcnt(0)
	s_barrier
.LBB37_221:                             ;   in Loop: Header=BB37_16 Depth=1
	s_or_saveexec_b64 s[14:15], s[14:15]
	s_mov_b64 s[30:31], 0
	v_mov_b32_e32 v2, 8
	s_xor_b64 exec, exec, s[14:15]
; %bb.222:                              ;   in Loop: Header=BB37_16 Depth=1
	v_mov_b32_e32 v2, s23
	v_subrev_co_u32_e32 v4, vcc, s22, v4
	s_mov_b64 s[30:31], exec
	s_nop 0
	v_subb_co_u32_e32 v5, vcc, v5, v2, vcc
	v_mov_b32_e32 v2, 0
; %bb.223:                              ;   in Loop: Header=BB37_16 Depth=1
	s_or_b64 exec, exec, s[14:15]
	s_and_b64 s[14:15], s[30:31], exec
	v_mov_b64_e32 v[6:7], v[4:5]
.LBB37_224:                             ;   in Loop: Header=BB37_16 Depth=1
	s_or_b64 exec, exec, s[6:7]
	s_mov_b64 s[6:7], -1
                                        ; implicit-def: $sgpr46_sgpr47
                                        ; implicit-def: $sgpr30_sgpr31
	s_and_saveexec_b64 s[22:23], s[14:15]
	s_cbranch_execz .LBB37_271
; %bb.225:                              ;   in Loop: Header=BB37_16 Depth=1
	s_cmp_eq_u64 s[2:3], 1
	s_cselect_b64 s[6:7], -1, 0
	v_cmp_eq_u64_e32 vcc, 1, v[6:7]
	s_and_b64 s[40:41], s[6:7], vcc
	s_mov_b64 s[14:15], -1
                                        ; implicit-def: $sgpr46_sgpr47
                                        ; implicit-def: $sgpr30_sgpr31
	s_and_saveexec_b64 s[42:43], s[40:41]
	s_cbranch_execz .LBB37_259
; %bb.226:                              ;   in Loop: Header=BB37_16 Depth=1
	ds_read_b64 v[4:5], v3 offset:5120
	v_readlane_b32 s12, v70, 26
	v_readlane_b32 s13, v70, 27
	s_waitcnt lgkmcnt(0)
	s_barrier
	v_readfirstlane_b32 s44, v4
	v_readfirstlane_b32 s45, v5
	s_and_saveexec_b64 s[6:7], s[12:13]
; %bb.227:                              ;   in Loop: Header=BB37_16 Depth=1
	ds_write_b16 v42, v3
; %bb.228:                              ;   in Loop: Header=BB37_16 Depth=1
	s_or_b64 exec, exec, s[6:7]
	v_cmp_gt_i64_e64 s[6:7], s[44:45], 0
	v_or_b32_e32 v47, s72, v47
	v_or_b32_e32 v49, s72, v49
	s_mov_b64 s[30:31], -1
	s_mov_b64 s[46:47], 0
	s_and_b64 vcc, exec, s[6:7]
	s_mov_b64 s[6:7], 0
	s_waitcnt lgkmcnt(0)
	s_barrier
                                        ; implicit-def: $vgpr50
	s_cbranch_vccnz .LBB37_244
; %bb.229:                              ;   in Loop: Header=BB37_16 Depth=1
	s_mov_b32 s61, s88
	s_mov_b32 s88, s87
	s_mov_b64 s[12:13], s[74:75]
	s_cmp_lg_u64 s[88:89], 0
	s_cbranch_scc0 .LBB37_278
; %bb.230:                              ;   in Loop: Header=BB37_16 Depth=1
	s_add_u32 s6, s84, 0
	s_addc_u32 s7, 0, 0
	s_xor_b64 s[6:7], s[6:7], 0
	v_cvt_f32_u32_e32 v4, s6
	v_cvt_f32_u32_e32 v5, s7
	s_sub_u32 s48, 0, s6
	s_subb_u32 s49, 0, s7
	s_mov_b32 s60, s53
	v_fmac_f32_e32 v4, 0x4f800000, v5
	v_rcp_f32_e32 v4, v4
	s_nop 0
	v_mul_f32_e32 v4, 0x5f7ffffc, v4
	v_mul_f32_e32 v5, 0x2f800000, v4
	v_trunc_f32_e32 v5, v5
	v_fmac_f32_e32 v4, 0xcf800000, v5
	v_cvt_u32_f32_e32 v5, v5
	v_cvt_u32_f32_e32 v4, v4
	v_readfirstlane_b32 s50, v5
	v_readfirstlane_b32 s14, v4
	s_mul_i32 s15, s48, s50
	s_mul_hi_u32 s52, s48, s14
	s_mul_i32 s51, s49, s14
	s_add_i32 s15, s52, s15
	s_mul_i32 s53, s48, s14
	s_add_i32 s15, s15, s51
	s_mul_i32 s52, s14, s15
	s_mul_hi_u32 s54, s14, s53
	s_mul_hi_u32 s51, s14, s15
	s_add_u32 s52, s54, s52
	s_addc_u32 s51, 0, s51
	s_mul_hi_u32 s55, s50, s53
	s_mul_i32 s53, s50, s53
	s_add_u32 s52, s52, s53
	s_mul_hi_u32 s54, s50, s15
	s_addc_u32 s51, s51, s55
	s_addc_u32 s52, s54, 0
	s_mul_i32 s15, s50, s15
	s_add_u32 s15, s51, s15
	s_addc_u32 s51, 0, s52
	s_add_u32 s52, s14, s15
	s_cselect_b64 s[14:15], -1, 0
	s_cmp_lg_u64 s[14:15], 0
	s_addc_u32 s50, s50, s51
	s_mul_i32 s14, s48, s50
	s_mul_hi_u32 s15, s48, s52
	s_add_i32 s14, s15, s14
	s_mul_i32 s49, s49, s52
	s_add_i32 s14, s14, s49
	s_mul_i32 s48, s48, s52
	s_mul_hi_u32 s49, s50, s48
	s_mul_i32 s51, s50, s48
	s_mul_i32 s54, s52, s14
	s_mul_hi_u32 s48, s52, s48
	s_mul_hi_u32 s53, s52, s14
	s_add_u32 s48, s48, s54
	s_addc_u32 s53, 0, s53
	s_add_u32 s48, s48, s51
	s_mul_hi_u32 s15, s50, s14
	s_addc_u32 s48, s53, s49
	s_addc_u32 s15, s15, 0
	s_mul_i32 s14, s50, s14
	s_add_u32 s14, s48, s14
	s_addc_u32 s48, 0, s15
	s_add_u32 s51, s52, s14
	s_cselect_b64 s[14:15], -1, 0
	s_cmp_lg_u64 s[14:15], 0
	s_addc_u32 s50, s50, s48
	s_ashr_i32 s14, s89, 31
	s_add_u32 s48, s60, s14
	s_mov_b32 s15, s14
	s_addc_u32 s49, s89, s14
	s_xor_b64 s[48:49], s[48:49], s[14:15]
	s_mul_i32 s53, s48, s50
	s_mul_hi_u32 s54, s48, s51
	s_mul_hi_u32 s52, s48, s50
	s_add_u32 s53, s54, s53
	s_addc_u32 s52, 0, s52
	s_mul_hi_u32 s55, s49, s51
	s_mul_i32 s51, s49, s51
	s_add_u32 s51, s53, s51
	s_mul_hi_u32 s54, s49, s50
	s_addc_u32 s51, s52, s55
	s_addc_u32 s52, s54, 0
	s_mul_i32 s50, s49, s50
	s_add_u32 s50, s51, s50
	s_addc_u32 s51, 0, s52
	s_mul_i32 s51, s6, s51
	s_mul_hi_u32 s52, s6, s50
	s_add_i32 s51, s52, s51
	s_mul_i32 s52, s7, s50
	s_add_i32 s54, s51, s52
	s_sub_i32 s52, s49, s54
	s_mul_i32 s50, s6, s50
	s_sub_u32 s48, s48, s50
	s_cselect_b64 s[50:51], -1, 0
	s_cmp_lg_u64 s[50:51], 0
	s_subb_u32 s55, s52, s7
	s_sub_u32 s64, s48, s6
	s_cselect_b64 s[52:53], -1, 0
	s_cmp_lg_u64 s[52:53], 0
	s_subb_u32 s65, s55, 0
	s_cmp_ge_u32 s65, s7
	s_cselect_b32 s73, -1, 0
	s_cmp_ge_u32 s64, s6
	s_cselect_b32 s74, -1, 0
	s_cmp_eq_u32 s65, s7
	s_cselect_b32 s73, s74, s73
	s_cmp_lg_u64 s[52:53], 0
	s_subb_u32 s55, s55, s7
	s_sub_u32 s74, s64, s6
	s_cselect_b64 s[52:53], -1, 0
	s_cmp_lg_u64 s[52:53], 0
	s_subb_u32 s52, s55, 0
	s_cmp_lg_u32 s73, 0
	s_cselect_b32 s53, s74, s64
	s_cselect_b32 s52, s52, s65
	s_cmp_lg_u64 s[50:51], 0
	s_subb_u32 s49, s49, s54
	s_cmp_ge_u32 s49, s7
	s_cselect_b32 s50, -1, 0
	s_cmp_ge_u32 s48, s6
	s_cselect_b32 s6, -1, 0
	s_cmp_eq_u32 s49, s7
	s_cselect_b32 s6, s6, s50
	s_cmp_lg_u32 s6, 0
	s_cselect_b32 s7, s52, s49
	s_cselect_b32 s6, s53, s48
	s_xor_b64 s[6:7], s[6:7], s[14:15]
	s_sub_u32 s6, s6, s14
	s_mov_b32 s53, s60
	s_subb_u32 s7, s7, s14
	s_mov_b32 s88, s61
	s_cbranch_execnz .LBB37_232
.LBB37_231:                             ;   in Loop: Header=BB37_16 Depth=1
	v_cvt_f32_u32_e32 v4, s84
	s_sub_i32 s6, 0, s84
	v_rcp_iflag_f32_e32 v4, v4
	s_nop 0
	v_mul_f32_e32 v4, 0x4f7ffffe, v4
	v_cvt_u32_f32_e32 v4, v4
	s_nop 0
	v_readfirstlane_b32 s7, v4
	s_mul_i32 s6, s6, s7
	s_mul_hi_u32 s6, s7, s6
	s_add_i32 s7, s7, s6
	s_mul_hi_u32 s6, s53, s7
	s_mul_i32 s6, s6, s84
	s_sub_i32 s6, s53, s6
	s_sub_i32 s7, s6, s84
	s_cmp_ge_u32 s6, s84
	s_cselect_b32 s6, s7, s6
	s_sub_i32 s7, s6, s84
	s_cmp_ge_u32 s6, s84
	s_cselect_b32 s86, s7, s6
	s_mov_b64 s[6:7], s[86:87]
.LBB37_232:                             ;   in Loop: Header=BB37_16 Depth=1
	s_sub_u32 s50, s53, s6
	s_subb_u32 s51, s89, s7
	s_mov_b32 s60, s53
	v_cmp_gt_i64_e32 vcc, s[50:51], v[0:1]
	s_mov_b64 s[14:15], 0
	s_mov_b64 s[6:7], 0
                                        ; implicit-def: $vgpr50
	s_and_saveexec_b64 s[48:49], vcc
	s_mov_b64 s[74:75], s[12:13]
	s_cbranch_execz .LBB37_243
; %bb.233:                              ;   in Loop: Header=BB37_16 Depth=1
	v_mov_b64_e32 v[4:5], v[12:13]
	v_mov_b64_e32 v[8:9], v[0:1]
                                        ; implicit-def: $sgpr52_sgpr53
	s_branch .LBB37_236
.LBB37_234:                             ;   in Loop: Header=BB37_236 Depth=2
	s_or_b64 exec, exec, s[54:55]
	s_waitcnt lgkmcnt(0)
	s_barrier
	ds_read_b32 v10, v3 offset:3072
	s_mov_b64 s[54:55], -1
	s_waitcnt lgkmcnt(0)
	s_barrier
	v_cmp_ne_u32_sdwa s[64:65], v10, v3 src0_sel:WORD_0 src1_sel:DWORD
	s_and_b64 vcc, exec, s[64:65]
	s_mov_b64 s[64:65], -1
	s_cbranch_vccz .LBB37_239
.LBB37_235:                             ;   in Loop: Header=BB37_236 Depth=2
	s_and_b64 s[54:55], exec, s[54:55]
	s_or_b64 s[6:7], s[54:55], s[6:7]
	s_andn2_b64 s[52:53], s[52:53], exec
	s_and_b64 s[54:55], s[64:65], exec
	s_or_b64 s[52:53], s[52:53], s[54:55]
	s_andn2_b64 exec, exec, s[6:7]
	s_cbranch_execz .LBB37_242
.LBB37_236:                             ;   Parent Loop BB37_16 Depth=1
                                        ; =>  This Inner Loop Header: Depth=2
	v_cmp_gt_i64_e32 vcc, s[56:57], v[8:9]
	s_and_saveexec_b64 s[54:55], vcc
	s_cbranch_execz .LBB37_234
; %bb.237:                              ;   in Loop: Header=BB37_236 Depth=2
	global_load_ushort v10, v[4:5], off
	s_waitcnt vmcnt(0)
	v_add_u32_sdwa v11, sext(v10), s91 dst_sel:DWORD dst_unused:UNUSED_PAD src0_sel:WORD_0 src1_sel:DWORD
	v_and_b32_e32 v11, v11, v49
	v_cmp_eq_u32_e32 vcc, v11, v47
	s_and_b64 exec, exec, vcc
	s_cbranch_execz .LBB37_234
; %bb.238:                              ;   in Loop: Header=BB37_236 Depth=2
	v_perm_b32 v10, v10, 1, v48
	ds_write_b32 v3, v10 offset:3072
	s_branch .LBB37_234
.LBB37_239:                             ;   in Loop: Header=BB37_236 Depth=2
	v_lshl_add_u64 v[8:9], v[8:9], 0, s[84:85]
	v_cmp_le_i64_e32 vcc, s[50:51], v[8:9]
	v_lshl_add_u64 v[4:5], v[4:5], 0, s[92:93]
	s_mov_b64 s[64:65], 0
	s_orn2_b64 s[54:55], vcc, exec
	s_branch .LBB37_235
.LBB37_240:                             ;   in Loop: Header=BB37_16 Depth=1
                                        ; implicit-def: $sgpr6_sgpr7
	s_andn2_b64 vcc, exec, s[14:15]
	s_mov_b32 s88, s13
	s_cbranch_vccz .LBB37_186
	s_branch .LBB37_187
.LBB37_241:                             ;   in Loop: Header=BB37_16 Depth=1
                                        ; implicit-def: $sgpr30_sgpr31
	s_branch .LBB37_202
.LBB37_242:                             ;   in Loop: Header=BB37_16 Depth=1
	s_or_b64 exec, exec, s[6:7]
	v_lshrrev_b32_e32 v50, 16, v10
	s_and_b64 s[6:7], s[52:53], exec
.LBB37_243:                             ;   in Loop: Header=BB37_16 Depth=1
	s_or_b64 exec, exec, s[48:49]
	v_readlane_b32 s54, v70, 51
	v_readlane_b32 s50, v70, 53
	;; [unrolled: 1-line block ×4, first 2 shown]
	s_mov_b32 s53, s60
.LBB37_244:                             ;   in Loop: Header=BB37_16 Depth=1
	s_and_b64 vcc, exec, s[14:15]
	s_cbranch_vccz .LBB37_258
; %bb.245:                              ;   in Loop: Header=BB37_16 Depth=1
	v_readlane_b32 s14, v70, 34
	s_add_u32 s48, s44, s14
	v_readlane_b32 s14, v70, 35
	s_addc_u32 s15, s45, s14
	s_mov_b32 s14, s87
	s_cmp_lg_u64 s[14:15], 0
	s_cbranch_scc0 .LBB37_279
; %bb.246:                              ;   in Loop: Header=BB37_16 Depth=1
	s_add_u32 s30, s84, 0
	s_addc_u32 s31, 0, 0
	s_xor_b64 s[30:31], s[30:31], 0
	v_cvt_f32_u32_e32 v4, s30
	v_cvt_f32_u32_e32 v5, s31
	s_sub_u32 s14, 0, s30
	s_subb_u32 s49, 0, s31
	s_mov_b32 s60, s53
	v_fmac_f32_e32 v4, 0x4f800000, v5
	v_rcp_f32_e32 v4, v4
	s_mov_b64 s[12:13], s[74:75]
	v_mul_f32_e32 v4, 0x5f7ffffc, v4
	v_mul_f32_e32 v5, 0x2f800000, v4
	v_trunc_f32_e32 v5, v5
	v_fmac_f32_e32 v4, 0xcf800000, v5
	v_cvt_u32_f32_e32 v5, v5
	v_cvt_u32_f32_e32 v4, v4
	v_readfirstlane_b32 s50, v5
	v_readfirstlane_b32 s46, v4
	s_mul_i32 s47, s14, s50
	s_mul_hi_u32 s52, s14, s46
	s_mul_i32 s51, s49, s46
	s_add_i32 s47, s52, s47
	s_mul_i32 s53, s14, s46
	s_add_i32 s47, s47, s51
	s_mul_i32 s52, s46, s47
	s_mul_hi_u32 s54, s46, s53
	s_mul_hi_u32 s51, s46, s47
	s_add_u32 s52, s54, s52
	s_addc_u32 s51, 0, s51
	s_mul_hi_u32 s55, s50, s53
	s_mul_i32 s53, s50, s53
	s_add_u32 s52, s52, s53
	s_mul_hi_u32 s54, s50, s47
	s_addc_u32 s51, s51, s55
	s_addc_u32 s52, s54, 0
	s_mul_i32 s47, s50, s47
	s_add_u32 s47, s51, s47
	s_addc_u32 s51, 0, s52
	s_add_u32 s52, s46, s47
	s_cselect_b64 s[46:47], -1, 0
	s_cmp_lg_u64 s[46:47], 0
	s_addc_u32 s50, s50, s51
	s_mul_i32 s46, s14, s50
	s_mul_hi_u32 s47, s14, s52
	s_add_i32 s46, s47, s46
	s_mul_i32 s49, s49, s52
	s_add_i32 s46, s46, s49
	s_mul_i32 s14, s14, s52
	s_mul_hi_u32 s49, s50, s14
	s_mul_i32 s51, s50, s14
	s_mul_i32 s54, s52, s46
	s_mul_hi_u32 s14, s52, s14
	s_mul_hi_u32 s53, s52, s46
	s_add_u32 s14, s14, s54
	s_addc_u32 s53, 0, s53
	s_add_u32 s14, s14, s51
	s_mul_hi_u32 s47, s50, s46
	s_addc_u32 s14, s53, s49
	s_addc_u32 s47, s47, 0
	s_mul_i32 s46, s50, s46
	s_add_u32 s14, s14, s46
	s_addc_u32 s49, 0, s47
	s_add_u32 s14, s52, s14
	s_cselect_b64 s[46:47], -1, 0
	s_cmp_lg_u64 s[46:47], 0
	s_addc_u32 s49, s50, s49
	s_ashr_i32 s46, s15, 31
	s_add_u32 s50, s48, s46
	s_mov_b32 s47, s46
	s_addc_u32 s51, s15, s46
	s_xor_b64 s[50:51], s[50:51], s[46:47]
	s_mul_i32 s53, s50, s49
	s_mul_hi_u32 s54, s50, s14
	s_mul_hi_u32 s52, s50, s49
	s_add_u32 s53, s54, s53
	s_addc_u32 s52, 0, s52
	s_mul_hi_u32 s55, s51, s14
	s_mul_i32 s14, s51, s14
	s_add_u32 s14, s53, s14
	s_mul_hi_u32 s54, s51, s49
	s_addc_u32 s14, s52, s55
	s_addc_u32 s52, s54, 0
	s_mul_i32 s49, s51, s49
	s_add_u32 s14, s14, s49
	s_addc_u32 s49, 0, s52
	s_mul_i32 s49, s30, s49
	s_mul_hi_u32 s52, s30, s14
	s_add_i32 s49, s52, s49
	s_mul_i32 s52, s31, s14
	s_add_i32 s49, s49, s52
	s_sub_i32 s54, s51, s49
	s_mul_i32 s14, s30, s14
	s_sub_u32 s14, s50, s14
	s_cselect_b64 s[52:53], -1, 0
	s_cmp_lg_u64 s[52:53], 0
	s_subb_u32 s50, s54, s31
	s_sub_u32 s64, s14, s30
	s_cselect_b64 s[54:55], -1, 0
	s_cmp_lg_u64 s[54:55], 0
	s_subb_u32 s65, s50, 0
	s_cmp_ge_u32 s65, s31
	s_cselect_b32 s73, -1, 0
	s_cmp_ge_u32 s64, s30
	s_cselect_b32 s74, -1, 0
	s_cmp_eq_u32 s65, s31
	s_cselect_b32 s73, s74, s73
	s_cmp_lg_u64 s[54:55], 0
	s_subb_u32 s50, s50, s31
	s_sub_u32 s74, s64, s30
	s_cselect_b64 s[54:55], -1, 0
	s_cmp_lg_u64 s[54:55], 0
	s_subb_u32 s50, s50, 0
	s_cmp_lg_u32 s73, 0
	s_cselect_b32 s54, s74, s64
	s_cselect_b32 s50, s50, s65
	s_cmp_lg_u64 s[52:53], 0
	s_subb_u32 s49, s51, s49
	s_cmp_ge_u32 s49, s31
	s_cselect_b32 s51, -1, 0
	s_cmp_ge_u32 s14, s30
	s_cselect_b32 s30, -1, 0
	s_cmp_eq_u32 s49, s31
	s_cselect_b32 s30, s30, s51
	s_cmp_lg_u32 s30, 0
	s_cselect_b32 s31, s50, s49
	s_cselect_b32 s30, s54, s14
	s_xor_b64 s[30:31], s[30:31], s[46:47]
	v_readlane_b32 s50, v70, 53
	v_readlane_b32 s54, v70, 51
	s_sub_u32 s30, s30, s46
	s_mov_b64 s[74:75], s[12:13]
	s_mov_b32 s53, s60
	v_readlane_b32 s51, v70, 54
	v_readlane_b32 s55, v70, 52
	s_subb_u32 s31, s31, s46
	s_cbranch_execnz .LBB37_248
.LBB37_247:                             ;   in Loop: Header=BB37_16 Depth=1
	v_cvt_f32_u32_e32 v4, s84
	s_sub_i32 s14, 0, s84
	v_rcp_iflag_f32_e32 v4, v4
	s_nop 0
	v_mul_f32_e32 v4, 0x4f7ffffe, v4
	v_cvt_u32_f32_e32 v4, v4
	s_nop 0
	v_readfirstlane_b32 s30, v4
	s_mul_i32 s14, s14, s30
	s_mul_hi_u32 s14, s30, s14
	s_add_i32 s30, s30, s14
	s_mul_hi_u32 s14, s48, s30
	s_mul_i32 s14, s14, s84
	s_sub_i32 s14, s48, s14
	s_sub_i32 s30, s14, s84
	s_cmp_ge_u32 s14, s84
	s_cselect_b32 s14, s30, s14
	s_sub_i32 s30, s14, s84
	s_cmp_ge_u32 s14, s84
	s_cselect_b32 s86, s30, s14
	s_mov_b64 s[30:31], s[86:87]
.LBB37_248:                             ;   in Loop: Header=BB37_16 Depth=1
	s_sub_u32 s30, s48, s30
	s_subb_u32 s31, s15, s31
	v_cmp_gt_i64_e32 vcc, s[30:31], v[0:1]
                                        ; implicit-def: $vgpr50
	s_and_saveexec_b64 s[14:15], vcc
	s_cbranch_execz .LBB37_257
; %bb.249:                              ;   in Loop: Header=BB37_16 Depth=1
	s_mov_b32 s12, s53
	s_mov_b64 s[46:47], 0
	v_mov_b32_e32 v8, v41
	v_mov_b64_e32 v[4:5], v[0:1]
                                        ; implicit-def: $sgpr48_sgpr49
	s_branch .LBB37_252
.LBB37_250:                             ;   in Loop: Header=BB37_252 Depth=2
	s_or_b64 exec, exec, s[50:51]
	s_waitcnt lgkmcnt(0)
	s_barrier
	ds_read_b32 v9, v3 offset:3072
	s_mov_b64 s[50:51], -1
	s_waitcnt lgkmcnt(0)
	s_barrier
	v_cmp_eq_u32_sdwa s[52:53], v9, v3 src0_sel:WORD_0 src1_sel:DWORD
	s_and_b64 vcc, exec, s[52:53]
	s_mov_b64 s[52:53], -1
	s_cbranch_vccnz .LBB37_255
.LBB37_251:                             ;   in Loop: Header=BB37_252 Depth=2
	s_and_b64 s[50:51], exec, s[50:51]
	s_or_b64 s[46:47], s[50:51], s[46:47]
	s_andn2_b64 s[48:49], s[48:49], exec
	s_and_b64 s[50:51], s[52:53], exec
	s_or_b64 s[48:49], s[48:49], s[50:51]
	s_andn2_b64 exec, exec, s[46:47]
	s_cbranch_execz .LBB37_256
.LBB37_252:                             ;   Parent Loop BB37_16 Depth=1
                                        ; =>  This Inner Loop Header: Depth=2
	v_cmp_gt_u64_e32 vcc, s[44:45], v[4:5]
	s_and_saveexec_b64 s[50:51], vcc
	s_cbranch_execz .LBB37_250
; %bb.253:                              ;   in Loop: Header=BB37_252 Depth=2
	ds_read_u16 v9, v8
	s_waitcnt lgkmcnt(0)
	v_add_u32_sdwa v10, sext(v9), s91 dst_sel:DWORD dst_unused:UNUSED_PAD src0_sel:WORD_0 src1_sel:DWORD
	v_and_b32_e32 v10, v10, v49
	v_cmp_eq_u32_e32 vcc, v10, v47
	s_and_b64 exec, exec, vcc
	s_cbranch_execz .LBB37_250
; %bb.254:                              ;   in Loop: Header=BB37_252 Depth=2
	v_perm_b32 v9, v9, 1, v48
	ds_write_b32 v3, v9 offset:3072
	s_branch .LBB37_250
.LBB37_255:                             ;   in Loop: Header=BB37_252 Depth=2
	v_lshl_add_u64 v[4:5], v[4:5], 0, s[84:85]
	v_cmp_le_i64_e32 vcc, s[30:31], v[4:5]
	v_add_u32_e32 v8, s98, v8
	s_mov_b64 s[52:53], 0
	s_orn2_b64 s[50:51], vcc, exec
	s_branch .LBB37_251
.LBB37_256:                             ;   in Loop: Header=BB37_16 Depth=1
	s_or_b64 exec, exec, s[46:47]
	s_andn2_b64 s[6:7], s[6:7], exec
	s_and_b64 s[30:31], s[48:49], exec
	v_readlane_b32 s50, v70, 53
	v_lshrrev_b32_e32 v50, 16, v9
	s_or_b64 s[6:7], s[6:7], s[30:31]
	v_readlane_b32 s51, v70, 54
	s_mov_b32 s53, s12
.LBB37_257:                             ;   in Loop: Header=BB37_16 Depth=1
	s_or_b64 exec, exec, s[14:15]
	s_mov_b64 s[30:31], 0
	s_mov_b64 s[46:47], -1
.LBB37_258:                             ;   in Loop: Header=BB37_16 Depth=1
	s_orn2_b64 s[14:15], s[6:7], exec
.LBB37_259:                             ;   in Loop: Header=BB37_16 Depth=1
	s_or_b64 exec, exec, s[42:43]
	s_mov_b64 s[42:43], 0
	s_and_saveexec_b64 s[6:7], s[14:15]
	s_cbranch_execz .LBB37_270
; %bb.260:                              ;   in Loop: Header=BB37_16 Depth=1
	s_xor_b64 s[40:41], s[40:41], -1
	v_mov_b64_e32 v[4:5], 1
	v_mov_b32_e32 v2, 1
	s_and_saveexec_b64 s[14:15], s[40:41]
	s_cbranch_execz .LBB37_269
; %bb.261:                              ;   in Loop: Header=BB37_16 Depth=1
	v_cmp_ge_i64_e32 vcc, s[2:3], v[6:7]
	s_and_saveexec_b64 s[40:41], vcc
	s_xor_b64 s[40:41], exec, s[40:41]
	s_cbranch_execz .LBB37_266
; %bb.262:                              ;   in Loop: Header=BB37_16 Depth=1
	ds_read_b64 v[4:5], v3 offset:5120
	v_or_b32_e32 v47, s72, v47
	v_or_b32_e32 v49, s72, v49
	s_waitcnt lgkmcnt(0)
	v_cmp_ne_u64_e32 vcc, 0, v[4:5]
	s_cbranch_vccnz .LBB37_266
; %bb.263:                              ;   in Loop: Header=BB37_16 Depth=1
	s_mov_b64 s[42:43], exec
	v_readlane_b32 s44, v70, 12
	v_readlane_b32 s45, v70, 13
	s_and_b64 s[44:45], s[42:43], s[44:45]
	s_mov_b64 exec, s[44:45]
; %bb.264:                              ;   in Loop: Header=BB37_16 Depth=1
	v_mov_b64_e32 v[4:5], s[2:3]
	ds_write_b64 v3, v[4:5] offset:5128
; %bb.265:                              ;   in Loop: Header=BB37_16 Depth=1
	s_or_b64 exec, exec, s[42:43]
	s_waitcnt lgkmcnt(0)
	s_barrier
.LBB37_266:                             ;   in Loop: Header=BB37_16 Depth=1
	s_andn2_saveexec_b64 s[40:41], s[40:41]
; %bb.267:                              ;   in Loop: Header=BB37_16 Depth=1
	v_mov_b32_e32 v2, s3
	v_subrev_co_u32_e32 v6, vcc, s2, v6
	s_nop 1
	v_subb_co_u32_e32 v7, vcc, v7, v2, vcc
; %bb.268:                              ;   in Loop: Header=BB37_16 Depth=1
	s_or_b64 exec, exec, s[40:41]
	v_mov_b32_e32 v2, 8
	v_mov_b64_e32 v[4:5], v[6:7]
.LBB37_269:                             ;   in Loop: Header=BB37_16 Depth=1
	s_or_b64 exec, exec, s[14:15]
	s_mov_b64 s[42:43], exec
	v_mov_b64_e32 v[6:7], v[4:5]
.LBB37_270:                             ;   in Loop: Header=BB37_16 Depth=1
	s_or_b64 exec, exec, s[6:7]
	s_orn2_b64 s[6:7], s[42:43], exec
.LBB37_271:                             ;   in Loop: Header=BB37_16 Depth=1
	s_or_b64 exec, exec, s[22:23]
	s_andn2_b64 s[2:3], s[36:37], exec
	s_and_b64 s[14:15], s[46:47], exec
	s_or_b64 s[36:37], s[2:3], s[14:15]
	s_andn2_b64 s[2:3], s[34:35], exec
	s_and_b64 s[14:15], s[30:31], exec
	s_or_b64 s[34:35], s[2:3], s[14:15]
	s_and_b64 s[14:15], s[6:7], exec
	v_mov_b64_e32 v[4:5], v[6:7]
.LBB37_272:                             ;   in Loop: Header=BB37_16 Depth=1
	s_or_b64 exec, exec, s[38:39]
	s_orn2_b64 s[6:7], s[14:15], exec
.LBB37_273:                             ;   in Loop: Header=BB37_16 Depth=1
	s_or_b64 exec, exec, s[28:29]
	s_andn2_b64 s[2:3], s[24:25], exec
	s_and_b64 s[14:15], s[36:37], exec
	s_or_b64 s[24:25], s[2:3], s[14:15]
	s_andn2_b64 s[0:1], s[0:1], exec
	s_and_b64 s[2:3], s[34:35], exec
	s_or_b64 s[0:1], s[0:1], s[2:3]
	s_and_b64 s[14:15], s[6:7], exec
	v_mov_b64_e32 v[8:9], v[4:5]
.LBB37_274:                             ;   in Loop: Header=BB37_16 Depth=1
	s_or_b64 exec, exec, s[26:27]
	s_orn2_b64 s[6:7], s[14:15], exec
.LBB37_275:                             ;   in Loop: Header=BB37_16 Depth=1
	s_or_b64 exec, exec, s[20:21]
	s_mov_b64 s[14:15], 0
	s_and_saveexec_b64 s[2:3], s[6:7]
	s_xor_b64 s[2:3], exec, s[2:3]
	s_cbranch_execz .LBB37_14
; %bb.276:                              ;   in Loop: Header=BB37_16 Depth=1
	v_and_b32_e32 v2, 7, v2
	v_cmp_eq_u32_e32 vcc, 0, v2
	s_mov_b64 s[6:7], -1
	s_mov_b64 s[14:15], -1
	s_and_saveexec_b64 s[18:19], vcc
	s_cbranch_execz .LBB37_13
; %bb.277:                              ;   in Loop: Header=BB37_16 Depth=1
	s_xor_b32 s58, s58, 1
	s_add_i32 s20, s33, -2
	s_cmp_eq_u32 s33, 0
	s_cselect_b64 s[6:7], -1, 0
	s_xor_b64 s[14:15], exec, -1
	s_orn2_b64 s[6:7], s[6:7], exec
	s_mov_b32 s33, s20
	s_branch .LBB37_13
.LBB37_278:                             ;   in Loop: Header=BB37_16 Depth=1
                                        ; implicit-def: $sgpr6_sgpr7
	s_andn2_b64 vcc, exec, s[14:15]
	s_mov_b32 s88, s61
	s_cbranch_vccz .LBB37_231
	s_branch .LBB37_232
.LBB37_279:                             ;   in Loop: Header=BB37_16 Depth=1
                                        ; implicit-def: $sgpr30_sgpr31
	s_branch .LBB37_247
.LBB37_280:
	s_or_b64 exec, exec, s[70:71]
	s_xor_b64 s[6:7], s[10:11], -1
	s_xor_b64 s[0:1], s[80:81], -1
	;; [unrolled: 1-line block ×3, first 2 shown]
	s_mov_b64 s[2:3], 0
	s_and_saveexec_b64 s[8:9], s[0:1]
	s_xor_b64 s[0:1], exec, s[8:9]
	s_cbranch_execnz .LBB37_285
; %bb.281:
	s_andn2_saveexec_b64 s[0:1], s[0:1]
	s_cbranch_execnz .LBB37_310
.LBB37_282:
	s_or_b64 exec, exec, s[0:1]
	s_and_saveexec_b64 s[0:1], s[2:3]
.LBB37_283:
	; divergent unreachable
.LBB37_284:
	s_endpgm
.LBB37_285:
	s_and_saveexec_b64 s[2:3], s[6:7]
	s_xor_b64 s[2:3], exec, s[2:3]
	s_cbranch_execz .LBB37_308
; %bb.286:
	s_and_saveexec_b64 s[6:7], s[4:5]
	s_xor_b64 s[4:5], exec, s[6:7]
; %bb.287:
	v_xor_b32_e32 v50, 0xffff8000, v47
; %bb.288:
	s_or_b64 exec, exec, s[4:5]
	s_mov_b64 s[4:5], exec
	v_readlane_b32 s6, v70, 12
	v_readlane_b32 s7, v70, 13
	;; [unrolled: 1-line block ×3, first 2 shown]
	s_and_b64 s[6:7], s[4:5], s[6:7]
	v_readlane_b32 s24, v70, 22
	v_readlane_b32 s27, v70, 7
	;; [unrolled: 1-line block ×3, first 2 shown]
	s_mov_b64 exec, s[6:7]
; %bb.289:
	v_mov_b32_e32 v2, 0
	v_mov_b32_e32 v3, s56
	ds_write_b32 v2, v3 offset:5140
; %bb.290:
	s_or_b64 exec, exec, s[4:5]
	s_waitcnt lgkmcnt(0)
	s_barrier
	s_mov_b64 s[4:5], exec
	v_readlane_b32 s6, v70, 30
	v_readlane_b32 s7, v70, 31
	s_and_b64 s[6:7], s[4:5], s[6:7]
	s_mov_b64 exec, s[6:7]
	s_cbranch_execz .LBB37_305
; %bb.291:
	v_mov_b32_e32 v2, 0
	ds_read_b32 v4, v2 offset:5140
	s_mov_b64 s[6:7], 0
                                        ; implicit-def: $sgpr8_sgpr9
                                        ; implicit-def: $sgpr10_sgpr11
                                        ; implicit-def: $sgpr12_sgpr13
	s_waitcnt lgkmcnt(0)
	v_ashrrev_i32_e32 v5, 31, v4
	s_branch .LBB37_294
.LBB37_292:                             ;   in Loop: Header=BB37_294 Depth=1
	s_or_b64 exec, exec, s[20:21]
	s_andn2_b64 s[12:13], s[12:13], exec
	s_and_b64 s[18:19], s[18:19], exec
	s_andn2_b64 s[10:11], s[10:11], exec
	s_and_b64 s[16:17], s[16:17], exec
	s_or_b64 s[12:13], s[12:13], s[18:19]
	s_or_b64 s[10:11], s[10:11], s[16:17]
.LBB37_293:                             ;   in Loop: Header=BB37_294 Depth=1
	s_or_b64 exec, exec, s[14:15]
	s_and_b64 s[14:15], exec, s[10:11]
	s_or_b64 s[6:7], s[14:15], s[6:7]
	s_andn2_b64 s[8:9], s[8:9], exec
	s_and_b64 s[14:15], s[12:13], exec
	s_or_b64 s[8:9], s[8:9], s[14:15]
	s_andn2_b64 exec, exec, s[6:7]
	s_cbranch_execz .LBB37_300
.LBB37_294:                             ; =>This Inner Loop Header: Depth=1
	v_mov_b64_e32 v[2:3], v[0:1]
	v_cmp_lt_i64_e32 vcc, v[2:3], v[4:5]
	s_or_b64 s[12:13], s[12:13], exec
	s_or_b64 s[10:11], s[10:11], exec
                                        ; implicit-def: $vgpr0_vgpr1
	s_and_saveexec_b64 s[14:15], vcc
	s_cbranch_execz .LBB37_293
; %bb.295:                              ;   in Loop: Header=BB37_294 Depth=1
	global_load_ushort v0, v[12:13], off
	s_mov_b64 s[16:17], -1
	s_mov_b64 s[18:19], 0
	s_waitcnt vmcnt(0)
	v_cmp_ne_u16_e32 vcc, v0, v50
                                        ; implicit-def: $vgpr0_vgpr1
	s_and_saveexec_b64 s[20:21], vcc
	s_cbranch_execz .LBB37_292
; %bb.296:                              ;   in Loop: Header=BB37_294 Depth=1
	v_lshl_add_u64 v[0:1], v[2:3], 0, s[84:85]
	v_cmp_le_i64_e32 vcc, s[56:57], v[0:1]
	s_mov_b64 s[18:19], exec
	v_lshl_add_u64 v[12:13], v[12:13], 0, s[92:93]
	s_orn2_b64 s[16:17], vcc, exec
	s_branch .LBB37_292
.LBB37_297:
                                        ; implicit-def: $sgpr16_sgpr17
	s_branch .LBB37_3
.LBB37_298:
                                        ; implicit-def: $sgpr14_sgpr15
	s_branch .LBB37_6
.LBB37_299:
                                        ; implicit-def: $sgpr6_sgpr7
                                        ; kill: killed $sgpr6_sgpr7
	s_load_dwordx2 s[14:15], s[0:1], 0x0
	s_branch .LBB37_9
.LBB37_300:
	s_or_b64 exec, exec, s[6:7]
	s_xor_b64 s[6:7], s[8:9], -1
	s_and_saveexec_b64 s[8:9], s[6:7]
	s_xor_b64 s[8:9], exec, s[8:9]
	s_cbranch_execz .LBB37_305
; %bb.301:
	s_mov_b64 s[6:7], exec
	s_brev_b32 s8, -2
.LBB37_302:                             ; =>This Inner Loop Header: Depth=1
	s_ff1_i32_b64 s9, s[6:7]
	v_readlane_b32 s12, v2, s9
	s_lshl_b64 s[10:11], 1, s9
	s_min_i32 s8, s8, s12
	s_andn2_b64 s[6:7], s[6:7], s[10:11]
	s_cmp_lg_u64 s[6:7], 0
	s_cbranch_scc1 .LBB37_302
; %bb.303:
	v_mbcnt_lo_u32_b32 v0, exec_lo, 0
	v_mbcnt_hi_u32_b32 v0, exec_hi, v0
	v_cmp_eq_u32_e32 vcc, 0, v0
	s_and_saveexec_b64 s[6:7], vcc
	s_xor_b64 s[6:7], exec, s[6:7]
; %bb.304:
	v_mov_b32_e32 v0, 0
	v_mov_b32_e32 v1, s8
	ds_min_i32 v0, v1 offset:5140
.LBB37_305:
	s_or_b64 exec, exec, s[4:5]
	s_waitcnt lgkmcnt(0)
	s_barrier
	s_mov_b64 s[4:5], exec
	v_readlane_b32 s6, v70, 12
	v_readlane_b32 s7, v70, 13
	s_and_b64 s[6:7], s[4:5], s[6:7]
	s_mov_b64 exec, s[6:7]
	s_cbranch_execz .LBB37_307
; %bb.306:
	v_readlane_b32 s8, v70, 0
	v_readlane_b32 s9, v70, 1
	;; [unrolled: 1-line block ×4, first 2 shown]
	s_mul_i32 s6, s10, s9
	s_mul_hi_u32 s7, s10, s8
	s_add_i32 s6, s7, s6
	s_mul_i32 s7, s11, s8
	s_add_i32 s6, s6, s7
	s_mul_i32 s7, s10, s8
	v_readlane_b32 s12, v70, 18
	s_sub_u32 s8, s24, s7
	v_readlane_b32 s14, v70, 20
	v_readlane_b32 s15, v70, 21
	s_subb_u32 s6, 0, s6
	s_mul_i32 s7, s8, s15
	s_mul_hi_u32 s9, s8, s14
	v_readlane_b32 s13, v70, 19
	s_add_i32 s7, s9, s7
	s_mul_i32 s6, s6, s14
	s_add_i32 s7, s7, s6
	s_mul_i32 s6, s8, s14
	s_mul_i32 s8, s10, s13
	s_mul_hi_u32 s9, s10, s12
	s_add_i32 s8, s9, s8
	s_mul_i32 s9, s11, s12
	v_readlane_b32 s14, v70, 4
	s_add_i32 s9, s8, s9
	s_mul_i32 s8, s10, s12
	v_readlane_b32 s15, v70, 5
	s_mul_i32 s10, s14, s27
	s_mul_hi_u32 s11, s14, s26
	s_add_i32 s10, s11, s10
	s_mul_i32 s11, s15, s26
	s_add_i32 s10, s10, s11
	s_mul_i32 s11, s14, s26
	v_readlane_b32 s16, v70, 14
	s_sub_u32 s12, s24, s11
	v_readlane_b32 s18, v70, 16
	v_readlane_b32 s19, v70, 17
	s_subb_u32 s10, 0, s10
	s_mul_i32 s11, s12, s19
	s_mul_hi_u32 s13, s12, s18
	v_readlane_b32 s17, v70, 15
	s_add_i32 s11, s13, s11
	s_mul_i32 s10, s10, s18
	s_add_i32 s11, s11, s10
	s_mul_i32 s10, s12, s18
	s_mul_i32 s12, s14, s17
	s_mul_hi_u32 s13, s14, s16
	s_add_i32 s12, s13, s12
	s_mul_i32 s13, s15, s16
	s_add_i32 s13, s12, s13
	s_mul_i32 s12, s14, s16
	s_lshl_b64 s[8:9], s[8:9], 1
	v_readlane_b32 s14, v70, 10
	v_readlane_b32 s15, v70, 11
	s_add_u32 s8, s14, s8
	s_addc_u32 s9, s15, s9
	s_lshl_b64 s[6:7], s[6:7], 1
	v_mov_b32_e32 v2, 0
	s_add_u32 s6, s8, s6
	ds_read_b32 v0, v2 offset:5140
	s_addc_u32 s7, s9, s7
	s_lshl_b64 s[8:9], s[12:13], 3
	v_readlane_b32 s12, v70, 8
	v_readlane_b32 s13, v70, 9
	s_add_u32 s12, s12, s8
	s_addc_u32 s13, s13, s9
	s_lshl_b64 s[8:9], s[10:11], 3
	s_add_u32 s8, s12, s8
	s_addc_u32 s9, s13, s9
	s_waitcnt lgkmcnt(0)
	v_ashrrev_i32_e32 v1, 31, v0
	global_store_dwordx2 v2, v[0:1], s[8:9]
	global_store_short v2, v50, s[6:7]
.LBB37_307:
	s_or_b64 exec, exec, s[4:5]
.LBB37_308:
	s_or_saveexec_b64 s[2:3], s[2:3]
	s_mov_b64 s[4:5], 0
	s_xor_b64 exec, exec, s[2:3]
	s_cbranch_execnz .LBB37_311
.LBB37_309:
	s_or_b64 exec, exec, s[2:3]
	s_and_b64 s[2:3], s[4:5], exec
	s_andn2_saveexec_b64 s[0:1], s[0:1]
	s_cbranch_execz .LBB37_282
.LBB37_310:
	s_or_b64 s[2:3], s[2:3], exec
	s_trap 2
	s_or_b64 exec, exec, s[0:1]
	s_and_saveexec_b64 s[0:1], s[2:3]
	s_cbranch_execnz .LBB37_283
	s_branch .LBB37_284
.LBB37_311:
	s_mov_b64 s[4:5], exec
	s_trap 2
	s_branch .LBB37_309
	.section	.rodata,"a",@progbits
	.p2align	6, 0x0
	.amdhsa_kernel _ZN2at6native12_GLOBAL__N_114gatherKthValueIslLi2EEEvNS_4cuda6detail10TensorInfoIKT_T0_EES8_S8_S8_S8_NS5_IS6_S8_EENS5_IlS8_EE
		.amdhsa_group_segment_fixed_size 5144
		.amdhsa_private_segment_fixed_size 0
		.amdhsa_kernarg_size 1536
		.amdhsa_user_sgpr_count 2
		.amdhsa_user_sgpr_dispatch_ptr 0
		.amdhsa_user_sgpr_queue_ptr 0
		.amdhsa_user_sgpr_kernarg_segment_ptr 1
		.amdhsa_user_sgpr_dispatch_id 0
		.amdhsa_user_sgpr_kernarg_preload_length 0
		.amdhsa_user_sgpr_kernarg_preload_offset 0
		.amdhsa_user_sgpr_private_segment_size 0
		.amdhsa_uses_dynamic_stack 0
		.amdhsa_enable_private_segment 0
		.amdhsa_system_sgpr_workgroup_id_x 1
		.amdhsa_system_sgpr_workgroup_id_y 1
		.amdhsa_system_sgpr_workgroup_id_z 1
		.amdhsa_system_sgpr_workgroup_info 0
		.amdhsa_system_vgpr_workitem_id 0
		.amdhsa_next_free_vgpr 71
		.amdhsa_next_free_sgpr 100
		.amdhsa_accum_offset 72
		.amdhsa_reserve_vcc 1
		.amdhsa_float_round_mode_32 0
		.amdhsa_float_round_mode_16_64 0
		.amdhsa_float_denorm_mode_32 3
		.amdhsa_float_denorm_mode_16_64 3
		.amdhsa_dx10_clamp 1
		.amdhsa_ieee_mode 1
		.amdhsa_fp16_overflow 0
		.amdhsa_tg_split 0
		.amdhsa_exception_fp_ieee_invalid_op 0
		.amdhsa_exception_fp_denorm_src 0
		.amdhsa_exception_fp_ieee_div_zero 0
		.amdhsa_exception_fp_ieee_overflow 0
		.amdhsa_exception_fp_ieee_underflow 0
		.amdhsa_exception_fp_ieee_inexact 0
		.amdhsa_exception_int_div_zero 0
	.end_amdhsa_kernel
	.section	.text._ZN2at6native12_GLOBAL__N_114gatherKthValueIslLi2EEEvNS_4cuda6detail10TensorInfoIKT_T0_EES8_S8_S8_S8_NS5_IS6_S8_EENS5_IlS8_EE,"axG",@progbits,_ZN2at6native12_GLOBAL__N_114gatherKthValueIslLi2EEEvNS_4cuda6detail10TensorInfoIKT_T0_EES8_S8_S8_S8_NS5_IS6_S8_EENS5_IlS8_EE,comdat
.Lfunc_end37:
	.size	_ZN2at6native12_GLOBAL__N_114gatherKthValueIslLi2EEEvNS_4cuda6detail10TensorInfoIKT_T0_EES8_S8_S8_S8_NS5_IS6_S8_EENS5_IlS8_EE, .Lfunc_end37-_ZN2at6native12_GLOBAL__N_114gatherKthValueIslLi2EEEvNS_4cuda6detail10TensorInfoIKT_T0_EES8_S8_S8_S8_NS5_IS6_S8_EENS5_IlS8_EE
                                        ; -- End function
	.set _ZN2at6native12_GLOBAL__N_114gatherKthValueIslLi2EEEvNS_4cuda6detail10TensorInfoIKT_T0_EES8_S8_S8_S8_NS5_IS6_S8_EENS5_IlS8_EE.num_vgpr, 71
	.set _ZN2at6native12_GLOBAL__N_114gatherKthValueIslLi2EEEvNS_4cuda6detail10TensorInfoIKT_T0_EES8_S8_S8_S8_NS5_IS6_S8_EENS5_IlS8_EE.num_agpr, 0
	.set _ZN2at6native12_GLOBAL__N_114gatherKthValueIslLi2EEEvNS_4cuda6detail10TensorInfoIKT_T0_EES8_S8_S8_S8_NS5_IS6_S8_EENS5_IlS8_EE.numbered_sgpr, 100
	.set _ZN2at6native12_GLOBAL__N_114gatherKthValueIslLi2EEEvNS_4cuda6detail10TensorInfoIKT_T0_EES8_S8_S8_S8_NS5_IS6_S8_EENS5_IlS8_EE.num_named_barrier, 0
	.set _ZN2at6native12_GLOBAL__N_114gatherKthValueIslLi2EEEvNS_4cuda6detail10TensorInfoIKT_T0_EES8_S8_S8_S8_NS5_IS6_S8_EENS5_IlS8_EE.private_seg_size, 0
	.set _ZN2at6native12_GLOBAL__N_114gatherKthValueIslLi2EEEvNS_4cuda6detail10TensorInfoIKT_T0_EES8_S8_S8_S8_NS5_IS6_S8_EENS5_IlS8_EE.uses_vcc, 1
	.set _ZN2at6native12_GLOBAL__N_114gatherKthValueIslLi2EEEvNS_4cuda6detail10TensorInfoIKT_T0_EES8_S8_S8_S8_NS5_IS6_S8_EENS5_IlS8_EE.uses_flat_scratch, 0
	.set _ZN2at6native12_GLOBAL__N_114gatherKthValueIslLi2EEEvNS_4cuda6detail10TensorInfoIKT_T0_EES8_S8_S8_S8_NS5_IS6_S8_EENS5_IlS8_EE.has_dyn_sized_stack, 0
	.set _ZN2at6native12_GLOBAL__N_114gatherKthValueIslLi2EEEvNS_4cuda6detail10TensorInfoIKT_T0_EES8_S8_S8_S8_NS5_IS6_S8_EENS5_IlS8_EE.has_recursion, 0
	.set _ZN2at6native12_GLOBAL__N_114gatherKthValueIslLi2EEEvNS_4cuda6detail10TensorInfoIKT_T0_EES8_S8_S8_S8_NS5_IS6_S8_EENS5_IlS8_EE.has_indirect_call, 0
	.section	.AMDGPU.csdata,"",@progbits
; Kernel info:
; codeLenInByte = 19424
; TotalNumSgprs: 106
; NumVgprs: 71
; NumAgprs: 0
; TotalNumVgprs: 71
; ScratchSize: 0
; MemoryBound: 0
; FloatMode: 240
; IeeeMode: 1
; LDSByteSize: 5144 bytes/workgroup (compile time only)
; SGPRBlocks: 13
; VGPRBlocks: 8
; NumSGPRsForWavesPerEU: 106
; NumVGPRsForWavesPerEU: 71
; AccumOffset: 72
; Occupancy: 7
; WaveLimiterHint : 1
; COMPUTE_PGM_RSRC2:SCRATCH_EN: 0
; COMPUTE_PGM_RSRC2:USER_SGPR: 2
; COMPUTE_PGM_RSRC2:TRAP_HANDLER: 0
; COMPUTE_PGM_RSRC2:TGID_X_EN: 1
; COMPUTE_PGM_RSRC2:TGID_Y_EN: 1
; COMPUTE_PGM_RSRC2:TGID_Z_EN: 1
; COMPUTE_PGM_RSRC2:TIDIG_COMP_CNT: 0
; COMPUTE_PGM_RSRC3_GFX90A:ACCUM_OFFSET: 17
; COMPUTE_PGM_RSRC3_GFX90A:TG_SPLIT: 0
	.section	.text._ZN2at6native12_GLOBAL__N_114gatherKthValueIslLi3EEEvNS_4cuda6detail10TensorInfoIKT_T0_EES8_S8_S8_S8_NS5_IS6_S8_EENS5_IlS8_EE,"axG",@progbits,_ZN2at6native12_GLOBAL__N_114gatherKthValueIslLi3EEEvNS_4cuda6detail10TensorInfoIKT_T0_EES8_S8_S8_S8_NS5_IS6_S8_EENS5_IlS8_EE,comdat
	.globl	_ZN2at6native12_GLOBAL__N_114gatherKthValueIslLi3EEEvNS_4cuda6detail10TensorInfoIKT_T0_EES8_S8_S8_S8_NS5_IS6_S8_EENS5_IlS8_EE ; -- Begin function _ZN2at6native12_GLOBAL__N_114gatherKthValueIslLi3EEEvNS_4cuda6detail10TensorInfoIKT_T0_EES8_S8_S8_S8_NS5_IS6_S8_EENS5_IlS8_EE
	.p2align	8
	.type	_ZN2at6native12_GLOBAL__N_114gatherKthValueIslLi3EEEvNS_4cuda6detail10TensorInfoIKT_T0_EES8_S8_S8_S8_NS5_IS6_S8_EENS5_IlS8_EE,@function
_ZN2at6native12_GLOBAL__N_114gatherKthValueIslLi3EEEvNS_4cuda6detail10TensorInfoIKT_T0_EES8_S8_S8_S8_NS5_IS6_S8_EENS5_IlS8_EE: ; @_ZN2at6native12_GLOBAL__N_114gatherKthValueIslLi3EEEvNS_4cuda6detail10TensorInfoIKT_T0_EES8_S8_S8_S8_NS5_IS6_S8_EENS5_IlS8_EE
; %bb.0:
	s_load_dwordx2 s[14:15], s[0:1], 0x500
	s_load_dwordx8 s[56:63], s[0:1], 0x1a0
	s_add_u32 s12, s0, 0x500
	s_addc_u32 s13, s1, 0
	s_mov_b32 s43, 0
	s_waitcnt lgkmcnt(0)
	s_mul_i32 s4, s15, s4
	s_add_i32 s3, s4, s3
	s_mul_i32 s3, s3, s14
	s_add_i32 s42, s3, s2
	v_mov_b64_e32 v[2:3], s[42:43]
	v_cmp_le_i64_e32 vcc, s[60:61], v[2:3]
	s_cbranch_vccnz .LBB38_300
; %bb.1:
	s_load_dwordx4 s[4:7], s[0:1], 0x10
	s_mov_b32 s8, s43
	s_waitcnt lgkmcnt(0)
	s_mov_b32 s9, s7
	s_cmp_lg_u64 s[8:9], 0
	s_cbranch_scc0 .LBB38_18
; %bb.2:
	s_ashr_i32 s8, s7, 31
	s_add_u32 s10, s6, s8
	s_mov_b32 s9, s8
	s_addc_u32 s11, s7, s8
	s_xor_b64 s[16:17], s[10:11], s[8:9]
	v_cvt_f32_u32_e32 v1, s16
	v_cvt_f32_u32_e32 v2, s17
	s_sub_u32 s3, 0, s16
	s_subb_u32 s15, 0, s17
	v_fmamk_f32 v1, v2, 0x4f800000, v1
	v_rcp_f32_e32 v1, v1
	s_nop 0
	v_mul_f32_e32 v1, 0x5f7ffffc, v1
	v_mul_f32_e32 v2, 0x2f800000, v1
	v_trunc_f32_e32 v2, v2
	v_fmamk_f32 v1, v2, 0xcf800000, v1
	v_cvt_u32_f32_e32 v2, v2
	v_cvt_u32_f32_e32 v1, v1
	v_readfirstlane_b32 s20, v2
	v_readfirstlane_b32 s18, v1
	s_mul_i32 s19, s3, s20
	s_mul_hi_u32 s22, s3, s18
	s_mul_i32 s21, s15, s18
	s_add_i32 s19, s22, s19
	s_add_i32 s19, s19, s21
	s_mul_i32 s23, s3, s18
	s_mul_i32 s22, s18, s19
	s_mul_hi_u32 s24, s18, s23
	s_mul_hi_u32 s21, s18, s19
	s_add_u32 s22, s24, s22
	s_addc_u32 s21, 0, s21
	s_mul_hi_u32 s25, s20, s23
	s_mul_i32 s23, s20, s23
	s_add_u32 s22, s22, s23
	s_mul_hi_u32 s24, s20, s19
	s_addc_u32 s21, s21, s25
	s_addc_u32 s22, s24, 0
	s_mul_i32 s19, s20, s19
	s_add_u32 s19, s21, s19
	s_addc_u32 s21, 0, s22
	s_add_u32 s22, s18, s19
	s_cselect_b64 s[18:19], -1, 0
	s_cmp_lg_u64 s[18:19], 0
	s_addc_u32 s20, s20, s21
	s_mul_i32 s18, s3, s20
	s_mul_hi_u32 s19, s3, s22
	s_add_i32 s18, s19, s18
	s_mul_i32 s15, s15, s22
	s_add_i32 s18, s18, s15
	s_mul_i32 s3, s3, s22
	s_mul_hi_u32 s19, s20, s3
	s_mul_i32 s21, s20, s3
	s_mul_i32 s24, s22, s18
	s_mul_hi_u32 s3, s22, s3
	s_mul_hi_u32 s23, s22, s18
	s_add_u32 s3, s3, s24
	s_addc_u32 s23, 0, s23
	s_add_u32 s3, s3, s21
	s_mul_hi_u32 s15, s20, s18
	s_addc_u32 s3, s23, s19
	s_addc_u32 s15, s15, 0
	s_mul_i32 s18, s20, s18
	s_add_u32 s3, s3, s18
	s_addc_u32 s15, 0, s15
	s_add_u32 s3, s22, s3
	s_cselect_b64 s[18:19], -1, 0
	s_cmp_lg_u64 s[18:19], 0
	s_addc_u32 s15, s20, s15
	s_add_u32 s18, s42, 0
	s_addc_u32 s19, 0, 0
	s_xor_b64 s[18:19], s[18:19], 0
	s_mul_i32 s21, s18, s15
	s_mul_hi_u32 s22, s18, s3
	s_mul_hi_u32 s20, s18, s15
	s_add_u32 s21, s22, s21
	s_addc_u32 s20, 0, s20
	s_mul_hi_u32 s23, s19, s3
	s_mul_i32 s3, s19, s3
	s_add_u32 s3, s21, s3
	s_mul_hi_u32 s22, s19, s15
	s_addc_u32 s3, s20, s23
	s_addc_u32 s20, s22, 0
	s_mul_i32 s15, s19, s15
	s_add_u32 s3, s3, s15
	s_addc_u32 s15, 0, s20
	s_mul_i32 s20, s16, s15
	s_mul_hi_u32 s21, s16, s3
	s_add_i32 s20, s21, s20
	s_mul_i32 s21, s17, s3
	s_add_i32 s24, s20, s21
	s_sub_i32 s22, s19, s24
	s_mul_i32 s20, s16, s3
	s_sub_u32 s18, s18, s20
	s_cselect_b64 s[20:21], -1, 0
	s_cmp_lg_u64 s[20:21], 0
	s_subb_u32 s25, s22, s17
	s_sub_u32 s26, s18, s16
	s_cselect_b64 s[22:23], -1, 0
	s_cmp_lg_u64 s[22:23], 0
	s_subb_u32 s22, s25, 0
	s_cmp_ge_u32 s22, s17
	s_cselect_b32 s23, -1, 0
	s_cmp_ge_u32 s26, s16
	s_cselect_b32 s25, -1, 0
	s_cmp_eq_u32 s22, s17
	s_cselect_b32 s22, s25, s23
	s_add_u32 s23, s3, 1
	s_addc_u32 s25, s15, 0
	s_add_u32 s26, s3, 2
	s_addc_u32 s27, s15, 0
	s_cmp_lg_u32 s22, 0
	s_cselect_b32 s22, s26, s23
	s_cselect_b32 s23, s27, s25
	s_cmp_lg_u64 s[20:21], 0
	s_subb_u32 s19, s19, s24
	s_cmp_ge_u32 s19, s17
	s_cselect_b32 s20, -1, 0
	s_cmp_ge_u32 s18, s16
	s_cselect_b32 s16, -1, 0
	s_cmp_eq_u32 s19, s17
	s_cselect_b32 s16, s16, s20
	s_cmp_lg_u32 s16, 0
	s_cselect_b32 s17, s23, s15
	s_cselect_b32 s16, s22, s3
	s_xor_b64 s[8:9], 0, s[8:9]
	s_xor_b64 s[16:17], s[16:17], s[8:9]
	s_sub_u32 s16, s16, s8
	s_subb_u32 s17, s17, s9
	s_cbranch_execnz .LBB38_4
.LBB38_3:
	v_cvt_f32_u32_e32 v1, s6
	s_sub_i32 s3, 0, s6
	s_mov_b32 s17, 0
	v_rcp_iflag_f32_e32 v1, v1
	s_nop 0
	v_mul_f32_e32 v1, 0x4f7ffffe, v1
	v_cvt_u32_f32_e32 v1, v1
	s_nop 0
	v_readfirstlane_b32 s8, v1
	s_mul_i32 s3, s3, s8
	s_mul_hi_u32 s3, s8, s3
	s_add_i32 s8, s8, s3
	s_mul_hi_u32 s3, s42, s8
	s_mul_i32 s9, s3, s6
	s_sub_i32 s9, s42, s9
	s_add_i32 s8, s3, 1
	s_sub_i32 s10, s9, s6
	s_cmp_ge_u32 s9, s6
	s_cselect_b32 s3, s8, s3
	s_cselect_b32 s9, s10, s9
	s_add_i32 s8, s3, 1
	s_cmp_ge_u32 s9, s6
	s_cselect_b32 s16, s8, s3
.LBB38_4:
	s_or_b64 s[8:9], s[16:17], s[4:5]
	s_mov_b32 s8, 0
	s_cmp_lg_u64 s[8:9], 0
	s_cbranch_scc0 .LBB38_19
; %bb.5:
	s_ashr_i32 s10, s5, 31
	s_add_u32 s8, s4, s10
	s_mov_b32 s11, s10
	s_addc_u32 s9, s5, s10
	s_xor_b64 s[18:19], s[8:9], s[10:11]
	v_cvt_f32_u32_e32 v1, s18
	v_cvt_f32_u32_e32 v2, s19
	s_sub_u32 s3, 0, s18
	s_subb_u32 s15, 0, s19
	v_fmamk_f32 v1, v2, 0x4f800000, v1
	v_rcp_f32_e32 v1, v1
	s_nop 0
	v_mul_f32_e32 v1, 0x5f7ffffc, v1
	v_mul_f32_e32 v2, 0x2f800000, v1
	v_trunc_f32_e32 v2, v2
	v_fmamk_f32 v1, v2, 0xcf800000, v1
	v_cvt_u32_f32_e32 v2, v2
	v_cvt_u32_f32_e32 v1, v1
	v_readfirstlane_b32 s22, v2
	v_readfirstlane_b32 s20, v1
	s_mul_i32 s21, s3, s22
	s_mul_hi_u32 s24, s3, s20
	s_mul_i32 s23, s15, s20
	s_add_i32 s21, s24, s21
	s_add_i32 s21, s21, s23
	s_mul_i32 s25, s3, s20
	s_mul_i32 s24, s20, s21
	s_mul_hi_u32 s26, s20, s25
	s_mul_hi_u32 s23, s20, s21
	s_add_u32 s24, s26, s24
	s_addc_u32 s23, 0, s23
	s_mul_hi_u32 s27, s22, s25
	s_mul_i32 s25, s22, s25
	s_add_u32 s24, s24, s25
	s_mul_hi_u32 s26, s22, s21
	s_addc_u32 s23, s23, s27
	s_addc_u32 s24, s26, 0
	s_mul_i32 s21, s22, s21
	s_add_u32 s21, s23, s21
	s_addc_u32 s23, 0, s24
	s_add_u32 s24, s20, s21
	s_cselect_b64 s[20:21], -1, 0
	s_cmp_lg_u64 s[20:21], 0
	s_addc_u32 s22, s22, s23
	s_mul_i32 s20, s3, s22
	s_mul_hi_u32 s21, s3, s24
	s_add_i32 s20, s21, s20
	s_mul_i32 s15, s15, s24
	s_add_i32 s20, s20, s15
	s_mul_i32 s3, s3, s24
	s_mul_hi_u32 s21, s22, s3
	s_mul_i32 s23, s22, s3
	s_mul_i32 s26, s24, s20
	s_mul_hi_u32 s3, s24, s3
	s_mul_hi_u32 s25, s24, s20
	s_add_u32 s3, s3, s26
	s_addc_u32 s25, 0, s25
	s_add_u32 s3, s3, s23
	s_mul_hi_u32 s15, s22, s20
	s_addc_u32 s3, s25, s21
	s_addc_u32 s15, s15, 0
	s_mul_i32 s20, s22, s20
	s_add_u32 s3, s3, s20
	s_addc_u32 s15, 0, s15
	s_add_u32 s3, s24, s3
	s_cselect_b64 s[20:21], -1, 0
	s_cmp_lg_u64 s[20:21], 0
	s_addc_u32 s15, s22, s15
	s_ashr_i32 s20, s17, 31
	s_add_u32 s22, s16, s20
	s_mov_b32 s21, s20
	s_addc_u32 s23, s17, s20
	s_xor_b64 s[22:23], s[22:23], s[20:21]
	s_mul_i32 s25, s22, s15
	s_mul_hi_u32 s26, s22, s3
	s_mul_hi_u32 s24, s22, s15
	s_add_u32 s25, s26, s25
	s_addc_u32 s24, 0, s24
	s_mul_hi_u32 s27, s23, s3
	s_mul_i32 s3, s23, s3
	s_add_u32 s3, s25, s3
	s_mul_hi_u32 s26, s23, s15
	s_addc_u32 s3, s24, s27
	s_addc_u32 s24, s26, 0
	s_mul_i32 s15, s23, s15
	s_add_u32 s3, s3, s15
	s_addc_u32 s15, 0, s24
	s_mul_i32 s24, s18, s15
	s_mul_hi_u32 s25, s18, s3
	s_add_i32 s24, s25, s24
	s_mul_i32 s25, s19, s3
	s_add_i32 s28, s24, s25
	s_sub_i32 s26, s23, s28
	s_mul_i32 s24, s18, s3
	s_sub_u32 s22, s22, s24
	s_cselect_b64 s[24:25], -1, 0
	s_cmp_lg_u64 s[24:25], 0
	s_subb_u32 s29, s26, s19
	s_sub_u32 s30, s22, s18
	s_cselect_b64 s[26:27], -1, 0
	s_cmp_lg_u64 s[26:27], 0
	s_subb_u32 s26, s29, 0
	s_cmp_ge_u32 s26, s19
	s_cselect_b32 s27, -1, 0
	s_cmp_ge_u32 s30, s18
	s_cselect_b32 s29, -1, 0
	s_cmp_eq_u32 s26, s19
	s_cselect_b32 s26, s29, s27
	s_add_u32 s27, s3, 1
	s_addc_u32 s29, s15, 0
	s_add_u32 s30, s3, 2
	s_addc_u32 s31, s15, 0
	s_cmp_lg_u32 s26, 0
	s_cselect_b32 s26, s30, s27
	s_cselect_b32 s27, s31, s29
	s_cmp_lg_u64 s[24:25], 0
	s_subb_u32 s23, s23, s28
	s_cmp_ge_u32 s23, s19
	s_cselect_b32 s24, -1, 0
	s_cmp_ge_u32 s22, s18
	s_cselect_b32 s18, -1, 0
	s_cmp_eq_u32 s23, s19
	s_cselect_b32 s18, s18, s24
	s_cmp_lg_u32 s18, 0
	s_cselect_b32 s19, s27, s15
	s_cselect_b32 s18, s26, s3
	s_xor_b64 s[10:11], s[20:21], s[10:11]
	s_xor_b64 s[18:19], s[18:19], s[10:11]
	s_sub_u32 s18, s18, s10
	s_subb_u32 s19, s19, s11
	s_load_dwordx4 s[24:27], s[0:1], 0x1d0
	s_cbranch_execnz .LBB38_7
.LBB38_6:
	v_cvt_f32_u32_e32 v1, s4
	s_sub_i32 s3, 0, s4
	s_mov_b32 s19, 0
	v_rcp_iflag_f32_e32 v1, v1
	s_nop 0
	v_mul_f32_e32 v1, 0x4f7ffffe, v1
	v_cvt_u32_f32_e32 v1, v1
	s_nop 0
	v_readfirstlane_b32 s8, v1
	s_mul_i32 s3, s3, s8
	s_mul_hi_u32 s3, s8, s3
	s_add_i32 s8, s8, s3
	s_mul_hi_u32 s3, s16, s8
	s_mul_i32 s9, s3, s4
	s_sub_i32 s9, s16, s9
	s_add_i32 s8, s3, 1
	s_sub_i32 s10, s9, s4
	s_cmp_ge_u32 s9, s4
	s_cselect_b32 s3, s8, s3
	s_cselect_b32 s9, s10, s9
	s_add_i32 s8, s3, 1
	s_cmp_ge_u32 s9, s4
	s_cselect_b32 s18, s8, s3
.LBB38_7:
                                        ; implicit-def: $vgpr70 : SGPR spill to VGPR lane
	s_waitcnt lgkmcnt(0)
	s_mov_b32 s9, s27
	v_writelane_b32 v70, s24, 0
	s_mov_b32 s8, 0
	s_cmp_lg_u64 s[8:9], 0
	v_writelane_b32 v70, s25, 1
	v_writelane_b32 v70, s26, 2
	;; [unrolled: 1-line block ×3, first 2 shown]
	s_cbranch_scc0 .LBB38_20
; %bb.8:
	s_ashr_i32 s8, s27, 31
	s_add_u32 s10, s26, s8
	s_mov_b32 s9, s8
	s_addc_u32 s11, s27, s8
	s_xor_b64 s[20:21], s[10:11], s[8:9]
	v_cvt_f32_u32_e32 v1, s20
	v_cvt_f32_u32_e32 v2, s21
	s_sub_u32 s3, 0, s20
	s_subb_u32 s15, 0, s21
	v_fmamk_f32 v1, v2, 0x4f800000, v1
	v_rcp_f32_e32 v1, v1
	s_nop 0
	v_mul_f32_e32 v1, 0x5f7ffffc, v1
	v_mul_f32_e32 v2, 0x2f800000, v1
	v_trunc_f32_e32 v2, v2
	v_fmamk_f32 v1, v2, 0xcf800000, v1
	v_cvt_u32_f32_e32 v2, v2
	v_cvt_u32_f32_e32 v1, v1
	v_readfirstlane_b32 s24, v2
	v_readfirstlane_b32 s22, v1
	s_mul_i32 s23, s3, s24
	s_mul_hi_u32 s26, s3, s22
	s_mul_i32 s25, s15, s22
	s_add_i32 s23, s26, s23
	s_add_i32 s23, s23, s25
	s_mul_i32 s27, s3, s22
	s_mul_i32 s26, s22, s23
	s_mul_hi_u32 s28, s22, s27
	s_mul_hi_u32 s25, s22, s23
	s_add_u32 s26, s28, s26
	s_addc_u32 s25, 0, s25
	s_mul_hi_u32 s29, s24, s27
	s_mul_i32 s27, s24, s27
	s_add_u32 s26, s26, s27
	s_mul_hi_u32 s28, s24, s23
	s_addc_u32 s25, s25, s29
	s_addc_u32 s26, s28, 0
	s_mul_i32 s23, s24, s23
	s_add_u32 s23, s25, s23
	s_addc_u32 s25, 0, s26
	s_add_u32 s26, s22, s23
	s_cselect_b64 s[22:23], -1, 0
	s_cmp_lg_u64 s[22:23], 0
	s_addc_u32 s24, s24, s25
	s_mul_i32 s22, s3, s24
	s_mul_hi_u32 s23, s3, s26
	s_add_i32 s22, s23, s22
	s_mul_i32 s15, s15, s26
	s_add_i32 s22, s22, s15
	s_mul_i32 s3, s3, s26
	s_mul_hi_u32 s23, s24, s3
	s_mul_i32 s25, s24, s3
	s_mul_i32 s28, s26, s22
	s_mul_hi_u32 s3, s26, s3
	s_mul_hi_u32 s27, s26, s22
	s_add_u32 s3, s3, s28
	s_addc_u32 s27, 0, s27
	s_add_u32 s3, s3, s25
	s_mul_hi_u32 s15, s24, s22
	s_addc_u32 s3, s27, s23
	s_addc_u32 s15, s15, 0
	s_mul_i32 s22, s24, s22
	s_add_u32 s3, s3, s22
	s_addc_u32 s15, 0, s15
	s_add_u32 s3, s26, s3
	s_cselect_b64 s[22:23], -1, 0
	s_cmp_lg_u64 s[22:23], 0
	s_addc_u32 s15, s24, s15
	s_add_u32 s22, s42, 0
	s_addc_u32 s23, 0, 0
	s_xor_b64 s[22:23], s[22:23], 0
	s_mul_i32 s25, s22, s15
	s_mul_hi_u32 s26, s22, s3
	s_mul_hi_u32 s24, s22, s15
	s_add_u32 s25, s26, s25
	s_addc_u32 s24, 0, s24
	s_mul_hi_u32 s27, s23, s3
	s_mul_i32 s3, s23, s3
	s_add_u32 s3, s25, s3
	s_mul_hi_u32 s26, s23, s15
	s_addc_u32 s3, s24, s27
	s_addc_u32 s24, s26, 0
	s_mul_i32 s15, s23, s15
	s_add_u32 s3, s3, s15
	s_addc_u32 s15, 0, s24
	s_mul_i32 s24, s20, s15
	s_mul_hi_u32 s25, s20, s3
	s_add_i32 s24, s25, s24
	s_mul_i32 s25, s21, s3
	s_add_i32 s28, s24, s25
	s_sub_i32 s26, s23, s28
	s_mul_i32 s24, s20, s3
	s_sub_u32 s22, s22, s24
	s_cselect_b64 s[24:25], -1, 0
	s_cmp_lg_u64 s[24:25], 0
	s_subb_u32 s29, s26, s21
	s_sub_u32 s30, s22, s20
	s_cselect_b64 s[26:27], -1, 0
	s_cmp_lg_u64 s[26:27], 0
	s_subb_u32 s26, s29, 0
	s_cmp_ge_u32 s26, s21
	s_cselect_b32 s27, -1, 0
	s_cmp_ge_u32 s30, s20
	s_cselect_b32 s29, -1, 0
	s_cmp_eq_u32 s26, s21
	s_cselect_b32 s26, s29, s27
	s_add_u32 s27, s3, 1
	s_addc_u32 s29, s15, 0
	s_add_u32 s30, s3, 2
	s_addc_u32 s31, s15, 0
	s_cmp_lg_u32 s26, 0
	s_cselect_b32 s26, s30, s27
	s_cselect_b32 s27, s31, s29
	s_cmp_lg_u64 s[24:25], 0
	s_subb_u32 s23, s23, s28
	s_cmp_ge_u32 s23, s21
	s_cselect_b32 s24, -1, 0
	s_cmp_ge_u32 s22, s20
	s_cselect_b32 s20, -1, 0
	s_cmp_eq_u32 s23, s21
	s_cselect_b32 s20, s20, s24
	s_cmp_lg_u32 s20, 0
	s_cselect_b32 s21, s27, s15
	s_cselect_b32 s20, s26, s3
	s_load_dwordx4 s[24:27], s[0:1], 0x1d0
	s_xor_b64 s[8:9], 0, s[8:9]
	s_xor_b64 s[20:21], s[20:21], s[8:9]
	s_sub_u32 s30, s20, s8
	s_subb_u32 s31, s21, s9
	s_cbranch_execnz .LBB38_10
.LBB38_9:
	s_waitcnt lgkmcnt(0)
	v_cvt_f32_u32_e32 v1, s26
	s_sub_i32 s3, 0, s26
	s_mov_b32 s31, 0
	v_rcp_iflag_f32_e32 v1, v1
	s_nop 0
	v_mul_f32_e32 v1, 0x4f7ffffe, v1
	v_cvt_u32_f32_e32 v1, v1
	s_nop 0
	v_readfirstlane_b32 s8, v1
	s_mul_i32 s3, s3, s8
	s_mul_hi_u32 s3, s8, s3
	s_add_i32 s8, s8, s3
	s_mul_hi_u32 s3, s42, s8
	s_mul_i32 s9, s3, s26
	s_sub_i32 s9, s42, s9
	s_add_i32 s8, s3, 1
	s_sub_i32 s10, s9, s26
	s_cmp_ge_u32 s9, s26
	s_cselect_b32 s3, s8, s3
	s_cselect_b32 s9, s10, s9
	s_add_i32 s8, s3, 1
	s_cmp_ge_u32 s9, s26
	s_cselect_b32 s30, s8, s3
.LBB38_10:
	s_waitcnt lgkmcnt(0)
	s_or_b64 s[8:9], s[30:31], s[24:25]
	s_mov_b32 s8, 0
	s_cmp_lg_u64 s[8:9], 0
	v_writelane_b32 v70, s30, 4
	s_nop 1
	v_writelane_b32 v70, s31, 5
	s_cbranch_scc0 .LBB38_21
; %bb.11:
	s_ashr_i32 s10, s25, 31
	s_add_u32 s8, s24, s10
	s_mov_b32 s11, s10
	s_addc_u32 s9, s25, s10
	s_xor_b64 s[20:21], s[8:9], s[10:11]
	v_cvt_f32_u32_e32 v1, s20
	v_cvt_f32_u32_e32 v2, s21
	s_sub_u32 s3, 0, s20
	s_subb_u32 s15, 0, s21
	v_fmamk_f32 v1, v2, 0x4f800000, v1
	v_rcp_f32_e32 v1, v1
	s_nop 0
	v_mul_f32_e32 v1, 0x5f7ffffc, v1
	v_mul_f32_e32 v2, 0x2f800000, v1
	v_trunc_f32_e32 v2, v2
	v_fmamk_f32 v1, v2, 0xcf800000, v1
	v_cvt_u32_f32_e32 v2, v2
	v_cvt_u32_f32_e32 v1, v1
	v_readfirstlane_b32 s24, v2
	v_readfirstlane_b32 s22, v1
	s_mul_i32 s23, s3, s24
	s_mul_hi_u32 s26, s3, s22
	s_mul_i32 s25, s15, s22
	s_add_i32 s23, s26, s23
	s_add_i32 s23, s23, s25
	s_mul_i32 s27, s3, s22
	s_mul_i32 s26, s22, s23
	s_mul_hi_u32 s28, s22, s27
	s_mul_hi_u32 s25, s22, s23
	s_add_u32 s26, s28, s26
	s_addc_u32 s25, 0, s25
	s_mul_hi_u32 s29, s24, s27
	s_mul_i32 s27, s24, s27
	s_add_u32 s26, s26, s27
	s_mul_hi_u32 s28, s24, s23
	s_addc_u32 s25, s25, s29
	s_addc_u32 s26, s28, 0
	s_mul_i32 s23, s24, s23
	s_add_u32 s23, s25, s23
	s_addc_u32 s25, 0, s26
	s_add_u32 s26, s22, s23
	s_cselect_b64 s[22:23], -1, 0
	s_cmp_lg_u64 s[22:23], 0
	s_addc_u32 s24, s24, s25
	s_mul_i32 s22, s3, s24
	s_mul_hi_u32 s23, s3, s26
	s_add_i32 s22, s23, s22
	s_mul_i32 s15, s15, s26
	s_add_i32 s22, s22, s15
	s_mul_i32 s3, s3, s26
	s_mul_hi_u32 s23, s24, s3
	s_mul_i32 s25, s24, s3
	s_mul_i32 s28, s26, s22
	s_mul_hi_u32 s3, s26, s3
	s_mul_hi_u32 s27, s26, s22
	s_add_u32 s3, s3, s28
	s_addc_u32 s27, 0, s27
	s_add_u32 s3, s3, s25
	s_mul_hi_u32 s15, s24, s22
	s_addc_u32 s3, s27, s23
	s_addc_u32 s15, s15, 0
	s_mul_i32 s22, s24, s22
	s_add_u32 s3, s3, s22
	s_addc_u32 s15, 0, s15
	s_add_u32 s3, s26, s3
	s_cselect_b64 s[22:23], -1, 0
	s_cmp_lg_u64 s[22:23], 0
	s_addc_u32 s15, s24, s15
	s_ashr_i32 s22, s31, 31
	s_add_u32 s24, s30, s22
	s_mov_b32 s23, s22
	s_addc_u32 s25, s31, s22
	s_xor_b64 s[24:25], s[24:25], s[22:23]
	s_mul_i32 s27, s24, s15
	s_mul_hi_u32 s28, s24, s3
	s_mul_hi_u32 s26, s24, s15
	s_add_u32 s27, s28, s27
	s_addc_u32 s26, 0, s26
	s_mul_hi_u32 s29, s25, s3
	s_mul_i32 s3, s25, s3
	s_add_u32 s3, s27, s3
	s_mul_hi_u32 s28, s25, s15
	s_addc_u32 s3, s26, s29
	s_addc_u32 s26, s28, 0
	s_mul_i32 s15, s25, s15
	s_add_u32 s3, s3, s15
	s_addc_u32 s15, 0, s26
	s_mul_i32 s26, s20, s15
	s_mul_hi_u32 s27, s20, s3
	s_add_i32 s26, s27, s26
	s_mul_i32 s27, s21, s3
	s_add_i32 s30, s26, s27
	s_sub_i32 s28, s25, s30
	s_mul_i32 s26, s20, s3
	s_sub_u32 s24, s24, s26
	s_cselect_b64 s[26:27], -1, 0
	s_cmp_lg_u64 s[26:27], 0
	s_subb_u32 s31, s28, s21
	s_sub_u32 s33, s24, s20
	s_cselect_b64 s[28:29], -1, 0
	s_cmp_lg_u64 s[28:29], 0
	s_subb_u32 s28, s31, 0
	s_cmp_ge_u32 s28, s21
	s_cselect_b32 s29, -1, 0
	s_cmp_ge_u32 s33, s20
	s_cselect_b32 s31, -1, 0
	s_cmp_eq_u32 s28, s21
	s_cselect_b32 s28, s31, s29
	s_add_u32 s29, s3, 1
	s_addc_u32 s31, s15, 0
	s_add_u32 s33, s3, 2
	s_addc_u32 s34, s15, 0
	s_cmp_lg_u32 s28, 0
	s_cselect_b32 s28, s33, s29
	s_cselect_b32 s29, s34, s31
	s_cmp_lg_u64 s[26:27], 0
	s_subb_u32 s25, s25, s30
	s_cmp_ge_u32 s25, s21
	s_cselect_b32 s26, -1, 0
	s_cmp_ge_u32 s24, s20
	s_cselect_b32 s20, -1, 0
	s_cmp_eq_u32 s25, s21
	s_cselect_b32 s20, s20, s26
	s_load_dwordx4 s[24:27], s[0:1], 0x1d0
	s_cmp_lg_u32 s20, 0
	s_cselect_b32 s21, s29, s15
	s_cselect_b32 s20, s28, s3
	s_xor_b64 s[10:11], s[22:23], s[10:11]
	s_xor_b64 s[20:21], s[20:21], s[10:11]
	s_sub_u32 s20, s20, s10
	s_subb_u32 s21, s21, s11
	s_load_dwordx4 s[44:47], s[0:1], 0x370
	s_cbranch_execnz .LBB38_13
.LBB38_12:
	s_waitcnt lgkmcnt(0)
	v_cvt_f32_u32_e32 v1, s24
	s_sub_i32 s3, 0, s24
	v_readlane_b32 s10, v70, 4
	s_mov_b32 s21, 0
	v_rcp_iflag_f32_e32 v1, v1
	v_readlane_b32 s11, v70, 5
	v_mul_f32_e32 v1, 0x4f7ffffe, v1
	v_cvt_u32_f32_e32 v1, v1
	s_nop 0
	v_readfirstlane_b32 s8, v1
	s_mul_i32 s3, s3, s8
	s_mul_hi_u32 s3, s8, s3
	s_add_i32 s8, s8, s3
	s_mul_hi_u32 s3, s10, s8
	s_mul_i32 s9, s3, s24
	s_sub_i32 s9, s10, s9
	s_add_i32 s8, s3, 1
	s_sub_i32 s10, s9, s24
	s_cmp_ge_u32 s9, s24
	s_cselect_b32 s3, s8, s3
	s_cselect_b32 s9, s10, s9
	s_add_i32 s8, s3, 1
	s_cmp_ge_u32 s9, s24
	s_cselect_b32 s20, s8, s3
.LBB38_13:
	s_mov_b32 s8, 0
	s_waitcnt lgkmcnt(0)
	s_mov_b32 s9, s47
	v_writelane_b32 v70, s20, 6
	s_cmp_lg_u64 s[8:9], 0
	s_nop 0
	v_writelane_b32 v70, s21, 7
	s_cbranch_scc0 .LBB38_22
; %bb.14:
	s_ashr_i32 s8, s47, 31
	s_add_u32 s10, s46, s8
	s_mov_b32 s9, s8
	s_addc_u32 s11, s47, s8
	s_xor_b64 s[20:21], s[10:11], s[8:9]
	v_cvt_f32_u32_e32 v1, s20
	v_cvt_f32_u32_e32 v2, s21
	s_sub_u32 s3, 0, s20
	s_subb_u32 s15, 0, s21
	v_fmamk_f32 v1, v2, 0x4f800000, v1
	v_rcp_f32_e32 v1, v1
	s_nop 0
	v_mul_f32_e32 v1, 0x5f7ffffc, v1
	v_mul_f32_e32 v2, 0x2f800000, v1
	v_trunc_f32_e32 v2, v2
	v_fmamk_f32 v1, v2, 0xcf800000, v1
	v_cvt_u32_f32_e32 v2, v2
	v_cvt_u32_f32_e32 v1, v1
	v_readfirstlane_b32 s24, v2
	v_readfirstlane_b32 s22, v1
	s_mul_i32 s23, s3, s24
	s_mul_hi_u32 s26, s3, s22
	s_mul_i32 s25, s15, s22
	s_add_i32 s23, s26, s23
	s_add_i32 s23, s23, s25
	s_mul_i32 s27, s3, s22
	s_mul_i32 s26, s22, s23
	s_mul_hi_u32 s28, s22, s27
	s_mul_hi_u32 s25, s22, s23
	s_add_u32 s26, s28, s26
	s_addc_u32 s25, 0, s25
	s_mul_hi_u32 s29, s24, s27
	s_mul_i32 s27, s24, s27
	s_add_u32 s26, s26, s27
	s_mul_hi_u32 s28, s24, s23
	s_addc_u32 s25, s25, s29
	s_addc_u32 s26, s28, 0
	s_mul_i32 s23, s24, s23
	s_add_u32 s23, s25, s23
	s_addc_u32 s25, 0, s26
	s_add_u32 s26, s22, s23
	s_cselect_b64 s[22:23], -1, 0
	s_cmp_lg_u64 s[22:23], 0
	s_addc_u32 s24, s24, s25
	s_mul_i32 s22, s3, s24
	s_mul_hi_u32 s23, s3, s26
	s_add_i32 s22, s23, s22
	s_mul_i32 s15, s15, s26
	s_add_i32 s22, s22, s15
	s_mul_i32 s3, s3, s26
	s_mul_hi_u32 s23, s24, s3
	s_mul_i32 s25, s24, s3
	s_mul_i32 s28, s26, s22
	s_mul_hi_u32 s3, s26, s3
	s_mul_hi_u32 s27, s26, s22
	s_add_u32 s3, s3, s28
	s_addc_u32 s27, 0, s27
	s_add_u32 s3, s3, s25
	s_mul_hi_u32 s15, s24, s22
	s_addc_u32 s3, s27, s23
	s_addc_u32 s15, s15, 0
	s_mul_i32 s22, s24, s22
	s_add_u32 s3, s3, s22
	s_addc_u32 s15, 0, s15
	s_add_u32 s3, s26, s3
	s_cselect_b64 s[22:23], -1, 0
	s_cmp_lg_u64 s[22:23], 0
	s_addc_u32 s15, s24, s15
	s_add_u32 s22, s42, 0
	s_addc_u32 s23, 0, 0
	s_xor_b64 s[22:23], s[22:23], 0
	s_mul_i32 s25, s22, s15
	s_mul_hi_u32 s26, s22, s3
	s_mul_hi_u32 s24, s22, s15
	s_add_u32 s25, s26, s25
	s_addc_u32 s24, 0, s24
	s_mul_hi_u32 s27, s23, s3
	s_mul_i32 s3, s23, s3
	s_add_u32 s3, s25, s3
	s_mul_hi_u32 s26, s23, s15
	s_addc_u32 s3, s24, s27
	s_addc_u32 s24, s26, 0
	s_mul_i32 s15, s23, s15
	s_add_u32 s3, s3, s15
	s_addc_u32 s15, 0, s24
	s_mul_i32 s24, s20, s15
	s_mul_hi_u32 s25, s20, s3
	s_add_i32 s24, s25, s24
	s_mul_i32 s25, s21, s3
	s_add_i32 s28, s24, s25
	s_sub_i32 s26, s23, s28
	s_mul_i32 s24, s20, s3
	s_sub_u32 s22, s22, s24
	s_cselect_b64 s[24:25], -1, 0
	s_cmp_lg_u64 s[24:25], 0
	s_subb_u32 s29, s26, s21
	s_sub_u32 s30, s22, s20
	s_cselect_b64 s[26:27], -1, 0
	s_cmp_lg_u64 s[26:27], 0
	s_subb_u32 s26, s29, 0
	s_cmp_ge_u32 s26, s21
	s_cselect_b32 s27, -1, 0
	s_cmp_ge_u32 s30, s20
	s_cselect_b32 s29, -1, 0
	s_cmp_eq_u32 s26, s21
	s_cselect_b32 s26, s29, s27
	s_add_u32 s27, s3, 1
	s_addc_u32 s29, s15, 0
	s_add_u32 s30, s3, 2
	s_addc_u32 s31, s15, 0
	s_cmp_lg_u32 s26, 0
	s_cselect_b32 s26, s30, s27
	s_cselect_b32 s27, s31, s29
	s_cmp_lg_u64 s[24:25], 0
	s_subb_u32 s23, s23, s28
	s_cmp_ge_u32 s23, s21
	s_cselect_b32 s24, -1, 0
	s_cmp_ge_u32 s22, s20
	s_cselect_b32 s20, -1, 0
	s_cmp_eq_u32 s23, s21
	s_cselect_b32 s20, s20, s24
	s_cmp_lg_u32 s20, 0
	s_cselect_b32 s21, s27, s15
	s_cselect_b32 s20, s26, s3
	s_xor_b64 s[8:9], 0, s[8:9]
	s_xor_b64 s[20:21], s[20:21], s[8:9]
	s_sub_u32 s48, s20, s8
	s_subb_u32 s49, s21, s9
	s_cbranch_execnz .LBB38_16
.LBB38_15:
	v_cvt_f32_u32_e32 v1, s46
	s_sub_i32 s3, 0, s46
	s_mov_b32 s49, 0
	v_rcp_iflag_f32_e32 v1, v1
	s_nop 0
	v_mul_f32_e32 v1, 0x4f7ffffe, v1
	v_cvt_u32_f32_e32 v1, v1
	s_nop 0
	v_readfirstlane_b32 s8, v1
	s_mul_i32 s3, s3, s8
	s_mul_hi_u32 s3, s8, s3
	s_add_i32 s8, s8, s3
	s_mul_hi_u32 s3, s42, s8
	s_mul_i32 s9, s3, s46
	s_sub_i32 s9, s42, s9
	s_add_i32 s8, s3, 1
	s_sub_i32 s10, s9, s46
	s_cmp_ge_u32 s9, s46
	s_cselect_b32 s3, s8, s3
	s_cselect_b32 s9, s10, s9
	s_add_i32 s8, s3, 1
	s_cmp_ge_u32 s9, s46
	s_cselect_b32 s48, s8, s3
.LBB38_16:
	s_load_dwordx2 s[20:21], s[0:1], 0xe0
	s_load_dwordx4 s[8:11], s[0:1], 0xd0
	s_or_b64 s[22:23], s[48:49], s[44:45]
	s_mov_b32 s22, 0
	s_cmp_lg_u64 s[22:23], 0
	s_cbranch_scc0 .LBB38_23
; %bb.17:
	s_ashr_i32 s22, s45, 31
	s_add_u32 s24, s44, s22
	s_mov_b32 s23, s22
	s_addc_u32 s25, s45, s22
	s_xor_b64 s[26:27], s[24:25], s[22:23]
	v_cvt_f32_u32_e32 v1, s26
	v_cvt_f32_u32_e32 v2, s27
	s_sub_u32 s3, 0, s26
	s_subb_u32 s15, 0, s27
	s_mov_b64 s[24:25], 0
	v_fmamk_f32 v1, v2, 0x4f800000, v1
	v_rcp_f32_e32 v1, v1
	s_nop 0
	v_mul_f32_e32 v1, 0x5f7ffffc, v1
	v_mul_f32_e32 v2, 0x2f800000, v1
	v_trunc_f32_e32 v2, v2
	v_fmamk_f32 v1, v2, 0xcf800000, v1
	v_cvt_u32_f32_e32 v2, v2
	v_cvt_u32_f32_e32 v1, v1
	v_readfirstlane_b32 s30, v2
	v_readfirstlane_b32 s28, v1
	s_mul_i32 s29, s3, s30
	s_mul_hi_u32 s33, s3, s28
	s_mul_i32 s31, s15, s28
	s_add_i32 s29, s33, s29
	s_add_i32 s29, s29, s31
	s_mul_i32 s34, s3, s28
	s_mul_i32 s33, s28, s29
	s_mul_hi_u32 s35, s28, s34
	s_mul_hi_u32 s31, s28, s29
	s_add_u32 s33, s35, s33
	s_addc_u32 s31, 0, s31
	s_mul_hi_u32 s36, s30, s34
	s_mul_i32 s34, s30, s34
	s_add_u32 s33, s33, s34
	s_mul_hi_u32 s35, s30, s29
	s_addc_u32 s31, s31, s36
	s_addc_u32 s33, s35, 0
	s_mul_i32 s29, s30, s29
	s_add_u32 s29, s31, s29
	s_addc_u32 s31, 0, s33
	s_add_u32 s33, s28, s29
	s_cselect_b64 s[28:29], -1, 0
	s_cmp_lg_u64 s[28:29], 0
	s_addc_u32 s30, s30, s31
	s_mul_i32 s28, s3, s30
	s_mul_hi_u32 s29, s3, s33
	s_add_i32 s28, s29, s28
	s_mul_i32 s15, s15, s33
	s_add_i32 s28, s28, s15
	s_mul_i32 s3, s3, s33
	s_mul_hi_u32 s29, s30, s3
	s_mul_i32 s31, s30, s3
	s_mul_i32 s35, s33, s28
	s_mul_hi_u32 s3, s33, s3
	s_mul_hi_u32 s34, s33, s28
	s_add_u32 s3, s3, s35
	s_addc_u32 s34, 0, s34
	s_add_u32 s3, s3, s31
	s_mul_hi_u32 s15, s30, s28
	s_addc_u32 s3, s34, s29
	s_addc_u32 s15, s15, 0
	s_mul_i32 s28, s30, s28
	s_add_u32 s3, s3, s28
	s_addc_u32 s15, 0, s15
	s_add_u32 s3, s33, s3
	s_cselect_b64 s[28:29], -1, 0
	s_cmp_lg_u64 s[28:29], 0
	s_addc_u32 s15, s30, s15
	s_ashr_i32 s28, s49, 31
	s_add_u32 s30, s48, s28
	s_mov_b32 s29, s28
	s_addc_u32 s31, s49, s28
	s_xor_b64 s[30:31], s[30:31], s[28:29]
	s_mul_i32 s34, s30, s15
	s_mul_hi_u32 s35, s30, s3
	s_mul_hi_u32 s33, s30, s15
	s_add_u32 s34, s35, s34
	s_addc_u32 s33, 0, s33
	s_mul_hi_u32 s36, s31, s3
	s_mul_i32 s3, s31, s3
	s_add_u32 s3, s34, s3
	s_mul_hi_u32 s35, s31, s15
	s_addc_u32 s3, s33, s36
	s_addc_u32 s33, s35, 0
	s_mul_i32 s15, s31, s15
	s_add_u32 s3, s3, s15
	s_addc_u32 s15, 0, s33
	s_mul_i32 s33, s26, s15
	s_mul_hi_u32 s34, s26, s3
	s_add_i32 s33, s34, s33
	s_mul_i32 s34, s27, s3
	s_add_i32 s33, s33, s34
	s_sub_i32 s36, s31, s33
	s_mul_i32 s34, s26, s3
	s_sub_u32 s30, s30, s34
	s_cselect_b64 s[34:35], -1, 0
	s_cmp_lg_u64 s[34:35], 0
	s_subb_u32 s38, s36, s27
	s_sub_u32 s39, s30, s26
	s_cselect_b64 s[36:37], -1, 0
	s_cmp_lg_u64 s[36:37], 0
	s_subb_u32 s36, s38, 0
	s_cmp_ge_u32 s36, s27
	s_cselect_b32 s37, -1, 0
	s_cmp_ge_u32 s39, s26
	s_cselect_b32 s38, -1, 0
	s_cmp_eq_u32 s36, s27
	s_cselect_b32 s36, s38, s37
	s_add_u32 s37, s3, 1
	s_addc_u32 s38, s15, 0
	s_add_u32 s39, s3, 2
	s_addc_u32 s40, s15, 0
	s_cmp_lg_u32 s36, 0
	s_cselect_b32 s36, s39, s37
	s_cselect_b32 s37, s40, s38
	s_cmp_lg_u64 s[34:35], 0
	s_subb_u32 s31, s31, s33
	s_cmp_ge_u32 s31, s27
	s_cselect_b32 s33, -1, 0
	s_cmp_ge_u32 s30, s26
	s_cselect_b32 s26, -1, 0
	s_cmp_eq_u32 s31, s27
	s_cselect_b32 s26, s26, s33
	s_cmp_lg_u32 s26, 0
	s_cselect_b32 s27, s37, s15
	s_cselect_b32 s26, s36, s3
	s_xor_b64 s[22:23], s[28:29], s[22:23]
	s_xor_b64 s[26:27], s[26:27], s[22:23]
	s_sub_u32 s22, s26, s22
	s_subb_u32 s23, s27, s23
	v_writelane_b32 v70, s22, 20
	s_nop 1
	v_writelane_b32 v70, s23, 21
	s_branch .LBB38_24
.LBB38_18:
                                        ; implicit-def: $sgpr16_sgpr17
	s_branch .LBB38_3
.LBB38_19:
                                        ; implicit-def: $sgpr18_sgpr19
	s_load_dwordx4 s[24:27], s[0:1], 0x1d0
	s_branch .LBB38_6
.LBB38_20:
                                        ; implicit-def: $sgpr30_sgpr31
	s_branch .LBB38_9
.LBB38_21:
                                        ; implicit-def: $sgpr20_sgpr21
	s_load_dwordx4 s[44:47], s[0:1], 0x370
	s_branch .LBB38_12
.LBB38_22:
                                        ; implicit-def: $sgpr48_sgpr49
	s_branch .LBB38_15
.LBB38_23:
	s_mov_b64 s[24:25], -1
                                        ; implicit-def: $sgpr22_sgpr23
                                        ; kill: killed $sgpr22_sgpr23
.LBB38_24:
	s_load_dwordx2 s[22:23], s[0:1], 0x440
	s_load_dwordx4 s[28:31], s[0:1], 0x430
	s_andn2_b64 vcc, exec, s[24:25]
	s_waitcnt lgkmcnt(0)
	v_writelane_b32 v70, s22, 8
	s_nop 1
	v_writelane_b32 v70, s23, 9
	s_load_dwordx2 s[22:23], s[0:1], 0x2a0
	v_writelane_b32 v70, s28, 10
	s_nop 1
	v_writelane_b32 v70, s29, 11
	v_writelane_b32 v70, s30, 12
	;; [unrolled: 1-line block ×3, first 2 shown]
	s_load_dwordx4 s[28:31], s[0:1], 0x290
	s_waitcnt lgkmcnt(0)
	v_writelane_b32 v70, s22, 14
	s_nop 1
	v_writelane_b32 v70, s23, 15
	s_load_dwordx2 s[22:23], s[0:1], 0x0
	v_writelane_b32 v70, s28, 16
	s_nop 1
	v_writelane_b32 v70, s29, 17
	v_writelane_b32 v70, s30, 18
	;; [unrolled: 1-line block ×3, first 2 shown]
	s_cbranch_vccnz .LBB38_26
; %bb.25:
	v_cvt_f32_u32_e32 v1, s44
	s_sub_i32 s3, 0, s44
	s_mov_b32 s27, 0
	v_rcp_iflag_f32_e32 v1, v1
	s_nop 0
	v_mul_f32_e32 v1, 0x4f7ffffe, v1
	v_cvt_u32_f32_e32 v1, v1
	s_nop 0
	v_readfirstlane_b32 s15, v1
	s_mul_i32 s3, s3, s15
	s_mul_hi_u32 s3, s15, s3
	s_add_i32 s15, s15, s3
	s_mul_hi_u32 s3, s48, s15
	s_mul_i32 s24, s3, s44
	s_sub_i32 s24, s48, s24
	s_add_i32 s15, s3, 1
	s_sub_i32 s25, s24, s44
	s_cmp_ge_u32 s24, s44
	s_cselect_b32 s3, s15, s3
	s_cselect_b32 s24, s25, s24
	s_add_i32 s15, s3, 1
	s_cmp_ge_u32 s24, s44
	s_cselect_b32 s26, s15, s3
	v_writelane_b32 v70, s26, 20
	s_nop 1
	v_writelane_b32 v70, s27, 21
.LBB38_26:
	v_writelane_b32 v70, s48, 22
	s_load_dwordx2 s[24:25], s[0:1], 0x360
	s_mov_b32 s99, 0
	v_writelane_b32 v70, s49, 23
	v_writelane_b32 v70, s44, 24
	s_load_dwordx2 s[0:1], s[0:1], 0x1c0
	s_nop 0
	v_writelane_b32 v70, s45, 25
	v_writelane_b32 v70, s46, 26
	;; [unrolled: 1-line block ×3, first 2 shown]
	s_waitcnt lgkmcnt(0)
	v_writelane_b32 v70, s24, 28
	s_nop 1
	v_writelane_b32 v70, s25, 29
	v_writelane_b32 v70, s0, 30
	v_cmp_eq_u32_e64 s[24:25], 0, v0
	s_nop 0
	v_writelane_b32 v70, s1, 31
	s_mov_b64 s[0:1], exec
	v_writelane_b32 v70, s24, 32
	s_nop 1
	v_writelane_b32 v70, s25, 33
	s_and_b64 s[24:25], s[0:1], s[24:25]
	s_mov_b64 exec, s[24:25]
	s_cbranch_execz .LBB38_28
; %bb.27:
	v_mov_b32_e32 v2, 0
	v_mov_b32_e32 v4, s56
	;; [unrolled: 1-line block ×4, first 2 shown]
	ds_write_b32 v2, v2 offset:5136
	ds_write_b128 v2, v[2:5] offset:5120
.LBB38_28:
	s_or_b64 exec, exec, s[0:1]
	s_mul_i32 s0, s18, s5
	s_mul_hi_u32 s1, s18, s4
	s_add_i32 s0, s1, s0
	s_mul_i32 s1, s19, s4
	s_add_i32 s0, s0, s1
	s_mul_i32 s1, s18, s4
	s_sub_u32 s1, s16, s1
	s_subb_u32 s0, s17, s0
	s_mul_i32 s3, s1, s11
	s_mul_hi_u32 s4, s1, s10
	s_add_i32 s3, s4, s3
	s_mul_i32 s0, s0, s10
	s_add_i32 s5, s3, s0
	s_mul_i32 s4, s1, s10
	s_mul_i32 s0, s18, s9
	s_mul_hi_u32 s1, s18, s8
	s_mul_i32 s3, s16, s7
	s_mul_hi_u32 s7, s16, s6
	s_add_i32 s0, s1, s0
	s_mul_i32 s1, s19, s8
	s_add_i32 s3, s7, s3
	s_mul_i32 s7, s17, s6
	;; [unrolled: 2-line block ×4, first 2 shown]
	s_mov_b32 s8, s42
	v_writelane_b32 v70, s8, 34
	s_sub_u32 s6, s42, s6
	s_subb_u32 s3, 0, s3
	v_writelane_b32 v70, s9, 35
	s_mul_i32 s7, s6, s21
	s_mul_hi_u32 s8, s6, s20
	s_add_i32 s7, s8, s7
	s_mul_i32 s3, s3, s20
	s_add_i32 s7, s7, s3
	s_lshl_b64 s[0:1], s[0:1], 1
	s_add_u32 s3, s22, s0
	s_addc_u32 s8, s23, s1
	s_lshl_b64 s[10:11], s[4:5], 1
	s_mul_i32 s6, s6, s20
	s_add_u32 s3, s3, s10
	s_addc_u32 s4, s8, s11
	s_lshl_b64 s[16:17], s[6:7], 1
	v_mbcnt_lo_u32_b32 v1, -1, 0
	s_add_u32 s8, s3, s16
	v_mbcnt_hi_u32_b32 v40, -1, v1
	s_addc_u32 s9, s4, s17
	v_cmp_eq_u32_e64 s[4:5], 0, v40
	v_cmp_gt_u32_e32 vcc, 64, v0
	v_cmp_gt_i32_e64 s[6:7], 4, v40
	v_writelane_b32 v70, s4, 36
	s_and_b64 s[94:95], vcc, s[6:7]
	v_cmp_gt_u32_e64 s[6:7], 2, v0
	v_writelane_b32 v70, s5, 37
	v_mov_b64_e32 v[4:5], 0x600
	v_writelane_b32 v70, s6, 38
	s_waitcnt lgkmcnt(0)
	s_barrier
	v_writelane_b32 v70, s7, 39
	v_cmp_gt_i64_e64 s[6:7], s[56:57], v[4:5]
	s_load_dword s3, s[12:13], 0xc
	v_mov_b32_e32 v3, 0
	v_writelane_b32 v70, s6, 40
	v_mov_b32_e32 v1, v3
	v_lshlrev_b64 v[8:9], v40, -1
	v_writelane_b32 v70, s7, 41
	v_mad_u64_u32 v[6:7], s[6:7], s62, v0, 0
	v_mov_b32_e32 v2, v7
	v_mad_u64_u32 v[4:5], s[6:7], s63, v0, v[2:3]
	v_writelane_b32 v70, s8, 42
	v_cmp_gt_i64_e64 s[6:7], s[56:57], v[0:1]
	v_lshlrev_b32_e32 v2, 2, v40
	v_writelane_b32 v70, s9, 43
	s_waitcnt lgkmcnt(0)
	s_and_b32 s96, s3, 0xffff
	s_bfe_u32 s3, s3, 0xa0006
	v_writelane_b32 v70, s6, 44
	v_and_b32_e32 v43, 0x100, v2
	s_cmp_gt_u32 s96, 63
	v_lshrrev_b32_e32 v2, 1, v0
	v_writelane_b32 v70, s7, 45
	s_cselect_b64 s[6:7], -1, 0
	v_and_b32_e32 v2, 0x1e0, v2
	v_writelane_b32 v70, s6, 46
	v_or_b32_e32 v44, 0xc00, v2
	v_add_u32_e32 v2, 2, v0
	v_not_b32_e32 v18, v8
	v_writelane_b32 v70, s7, 47
	s_add_u32 s6, s96, -1
	v_mov_b32_e32 v8, s57
	v_cmp_gt_i64_e32 vcc, s[56:57], v[2:3]
	v_not_b32_e32 v19, v9
	s_addc_u32 s7, 0, -1
	v_cndmask_b32_e32 v9, 0, v8, vcc
	v_mov_b32_e32 v8, s56
	s_add_u32 s74, s6, s56
	v_cndmask_b32_e32 v8, v2, v8, vcc
	v_mov_b32_e32 v11, -1
	v_not_b32_e32 v10, v0
	v_writelane_b32 v70, s6, 48
	s_addc_u32 s77, s7, s57
	v_lshl_add_u64 v[8:9], v[8:9], 0, v[10:11]
	v_writelane_b32 v70, s7, 49
	s_cmp_lt_u32 s2, s14
	v_cmp_lt_u64_e64 s[6:7], 3, v[8:9]
	s_cselect_b32 s2, 12, 18
	s_add_u32 s78, s12, s2
	v_writelane_b32 v70, s6, 50
	s_mov_b32 s2, s62
	v_and_b32_e32 v20, -4, v8
	v_writelane_b32 v70, s7, 51
	v_mov_b32_e32 v21, v9
	v_writelane_b32 v70, s2, 52
	s_mov_b32 s2, s63
	v_writelane_b32 v70, s2, 53
	v_cmp_ne_u64_e64 s[6:7], v[8:9], v[20:21]
	s_addc_u32 s79, s13, 0
	s_add_i32 s2, s3, -1
	v_writelane_b32 v70, s6, 54
	s_and_b32 s2, s2, 0xffff
	v_lshlrev_b32_e32 v45, 3, v0
	v_writelane_b32 v70, s7, 55
	s_bfe_u32 s6, s96, 0x30006
	s_cmp_gt_u32 s2, 6
	s_cselect_b64 s[12:13], -1, 0
	s_and_b32 s73, s3, 0x3f8
	s_cmp_lg_u32 s6, 0
	v_writelane_b32 v70, s12, 56
	s_cselect_b64 s[2:3], -1, 0
	s_add_u32 s0, s0, s16
	v_writelane_b32 v70, s13, 57
	s_addc_u32 s1, s1, s17
	v_writelane_b32 v70, s6, 58
	s_add_u32 s0, s0, s10
	v_writelane_b32 v70, s2, 59
	s_addc_u32 s1, s1, s11
	v_or_b32_e32 v8, 6, v45
	v_writelane_b32 v70, s3, 60
	s_add_u32 s2, s22, s0
	s_addc_u32 s3, s23, s1
	s_lshl_b64 s[0:1], s[62:63], 1
	v_writelane_b32 v70, s0, 61
                                        ; implicit-def: $vgpr69 : SGPR spill to VGPR lane
	s_mov_b32 s75, s62
	s_mov_b32 s88, s63
	v_writelane_b32 v70, s1, 62
	v_mad_u64_u32 v[24:25], s[0:1], s62, v8, 0
	v_mov_b32_e32 v2, v25
	v_mad_u64_u32 v[8:9], s[0:1], s63, v8, v[2:3]
	v_mov_b32_e32 v25, v8
	v_or_b32_e32 v8, 4, v45
	v_mad_u64_u32 v[26:27], s[0:1], s62, v8, 0
	v_mov_b32_e32 v2, v27
	v_mad_u64_u32 v[8:9], s[0:1], s63, v8, v[2:3]
	v_writelane_b32 v70, s2, 63
	v_mov_b32_e32 v27, v8
	v_or_b32_e32 v8, 2, v45
	v_writelane_b32 v69, s3, 0
	v_writelane_b32 v69, s78, 1
	v_mad_u64_u32 v[28:29], s[0:1], s62, v8, 0
	s_nop 0
	v_writelane_b32 v69, s79, 2
	v_mov_b32_e32 v2, v29
	v_writelane_b32 v69, s75, 3
	s_mov_b32 s89, s62
	v_mad_u64_u32 v[8:9], s[0:1], s63, v8, v[2:3]
	v_writelane_b32 v69, s88, 4
	v_mov_b32_e32 v7, v4
	s_mov_b32 s55, s63
	s_mul_i32 s0, s63, s96
	s_mul_hi_u32 s1, s62, s96
	v_writelane_b32 v69, s89, 5
	v_lshlrev_b32_e32 v41, 1, v0
	v_lshlrev_b64 v[4:5], 1, v[6:7]
	s_mov_b32 s54, s63
	v_mov_b32_e32 v2, 0xc00
	s_add_i32 s1, s1, s0
	s_mul_i32 s0, s62, s96
	v_writelane_b32 v69, s55, 6
	v_add_u32_e32 v42, 0xc00, v41
	v_lshl_add_u64 v[14:15], s[8:9], 0, v[4:5]
	v_lshlrev_b32_e32 v16, 2, v0
	v_mov_b32_e32 v17, v3
	s_mov_b32 s97, s99
	v_lshl_add_u64 v[22:23], v[20:21], 0, v[0:1]
	s_mov_b32 s69, s62
	s_lshl_b64 s[82:83], s[62:63], 3
	v_mov_b32_e32 v29, v8
	v_lshlrev_b64 v[30:31], 3, v[6:7]
	v_lshl_add_u64 v[32:33], s[56:57], 0, v[0:1]
	v_lshl_or_b32 v46, v40, 3, v2
	v_lshl_add_u64 v[12:13], s[2:3], 0, v[4:5]
	s_lshl_b64 s[90:91], s[0:1], 1
	s_lshl_b32 s92, s96, 1
	s_mov_b32 s33, 14
	s_mov_b64 s[86:87], 0
	v_mov_b64_e32 v[34:35], s[58:59]
	s_mov_b32 s93, 0x8000
	s_mov_b32 s50, 0x5040100
	v_mov_b64_e32 v[52:53], s[56:57]
	v_mov_b32_e32 v48, 0x5040100
	v_mov_b32_e32 v50, 0
	;; [unrolled: 1-line block ×4, first 2 shown]
	s_mov_b32 s72, 0
	v_writelane_b32 v69, s54, 7
                                        ; implicit-def: $sgpr58_sgpr59
                                        ; implicit-def: $sgpr80_sgpr81
                                        ; implicit-def: $sgpr84_sgpr85
                                        ; implicit-def: $sgpr30_sgpr31
                                        ; implicit-def: $sgpr4_sgpr5
                                        ; implicit-def: $sgpr70_sgpr71
	v_writelane_b32 v69, s69, 8
	s_branch .LBB38_32
.LBB38_29:                              ;   in Loop: Header=BB38_32 Depth=1
	s_or_b64 exec, exec, s[14:15]
	s_and_b64 s[6:7], s[6:7], exec
	s_andn2_b64 s[24:25], s[24:25], exec
	s_andn2_b64 s[2:3], s[2:3], exec
	s_orn2_b64 s[18:19], s[12:13], exec
.LBB38_30:                              ;   in Loop: Header=BB38_32 Depth=1
	s_or_b64 exec, exec, s[0:1]
	s_andn2_b64 s[0:1], s[70:71], exec
	s_and_b64 s[6:7], s[6:7], exec
	s_or_b64 s[70:71], s[0:1], s[6:7]
	s_andn2_b64 s[0:1], s[8:9], exec
	s_and_b64 s[6:7], s[24:25], exec
	s_or_b64 s[8:9], s[0:1], s[6:7]
	;; [unrolled: 3-line block ×3, first 2 shown]
	s_orn2_b64 s[2:3], s[18:19], exec
.LBB38_31:                              ;   in Loop: Header=BB38_32 Depth=1
	s_or_b64 exec, exec, s[16:17]
	s_and_b64 s[0:1], exec, s[2:3]
	s_or_b64 s[86:87], s[0:1], s[86:87]
	s_andn2_b64 s[0:1], s[84:85], exec
	s_and_b64 s[2:3], s[70:71], exec
	s_or_b64 s[84:85], s[0:1], s[2:3]
	s_andn2_b64 s[0:1], s[80:81], exec
	s_and_b64 s[2:3], s[8:9], exec
	;; [unrolled: 3-line block ×3, first 2 shown]
	s_mov_b64 s[4:5], s[8:9]
	s_or_b64 s[58:59], s[0:1], s[2:3]
	v_mov_b64_e32 v[34:35], v[8:9]
	s_andn2_b64 exec, exec, s[86:87]
	s_cbranch_execz .LBB38_296
.LBB38_32:                              ; =>This Loop Header: Depth=1
                                        ;     Child Loop BB38_37 Depth 2
                                        ;     Child Loop BB38_51 Depth 2
	;; [unrolled: 1-line block ×17, first 2 shown]
	ds_read_b128 v[4:7], v3 offset:5120
	s_waitcnt lgkmcnt(0)
	v_readfirstlane_b32 s65, v5
	v_readfirstlane_b32 s64, v4
	s_nop 1
	v_cmp_gt_i64_e64 s[0:1], s[64:65], 0
	s_and_b64 vcc, exec, s[0:1]
	s_cbranch_vccnz .LBB38_64
; %bb.33:                               ;   in Loop: Header=BB38_32 Depth=1
	v_readlane_b32 s0, v70, 40
	v_readlane_b32 s1, v70, 41
	s_and_b64 vcc, exec, s[0:1]
	s_cbranch_vccz .LBB38_45
; %bb.34:                               ;   in Loop: Header=BB38_32 Depth=1
	s_mov_b64 s[0:1], 0x601
	v_cmp_gt_i64_e32 vcc, s[0:1], v[6:7]
	s_mov_b64 s[0:1], 0
	s_mov_b64 s[2:3], 0
	s_cbranch_vccz .LBB38_46
; %bb.35:                               ;   in Loop: Header=BB38_32 Depth=1
	global_load_ushort v6, v3, s[78:79]
	global_load_ushort v8, v[14:15], off
	v_readlane_b32 s2, v70, 63
	v_readlane_b32 s3, v69, 0
	;; [unrolled: 1-line block ×4, first 2 shown]
	v_mov_b64_e32 v[4:5], s[2:3]
	s_mov_b64 s[6:7], 0
	s_waitcnt vmcnt(1)
	v_and_b32_e32 v2, 0xffff, v6
	v_readfirstlane_b32 s2, v6
	v_lshl_add_u64 v[6:7], v[0:1], 0, v[2:3]
	s_and_b32 s12, 0xffff, s2
	v_mad_u64_u32 v[4:5], s[2:3], s10, v6, v[4:5]
	v_mul_lo_u32 v7, s10, v7
	v_mul_lo_u32 v9, s11, v6
	s_mul_i32 s2, s11, s12
	s_mul_hi_u32 s3, s10, s12
	s_mul_i32 s12, s10, s12
	v_add3_u32 v5, v9, v5, v7
	s_add_i32 s13, s3, s2
	v_mov_b64_e32 v[6:7], v[0:1]
	s_branch .LBB38_37
.LBB38_36:                              ;   in Loop: Header=BB38_37 Depth=2
	s_or_b64 exec, exec, s[2:3]
	v_lshl_add_u64 v[4:5], v[4:5], 0, s[12:13]
	v_mov_b32_e32 v8, v9
	s_andn2_b64 exec, exec, s[6:7]
	s_cbranch_execz .LBB38_99
.LBB38_37:                              ;   Parent Loop BB38_32 Depth=1
                                        ; =>  This Inner Loop Header: Depth=2
	v_lshl_add_u64 v[6:7], v[6:7], 0, v[2:3]
	v_cmp_gt_i64_e64 s[2:3], s[56:57], v[6:7]
	v_cmp_le_i64_e32 vcc, s[56:57], v[6:7]
	s_waitcnt lgkmcnt(0)
	v_mov_b32_e32 v10, 0
	v_mov_b32_e32 v9, 0
	s_and_saveexec_b64 s[14:15], s[2:3]
	s_cbranch_execz .LBB38_39
; %bb.38:                               ;   in Loop: Header=BB38_37 Depth=2
	global_load_ushort v9, v[4:5], off
.LBB38_39:                              ;   in Loop: Header=BB38_37 Depth=2
	s_or_b64 exec, exec, s[14:15]
	s_waitcnt vmcnt(0)
	v_add_u32_sdwa v11, sext(v8), s93 dst_sel:DWORD dst_unused:UNUSED_PAD src0_sel:WORD_0 src1_sel:DWORD
	v_and_b32_e32 v11, v11, v49
	v_cmp_eq_u32_e64 s[14:15], v11, v47
	s_cmp_lg_u64 s[14:15], 0
	v_readlane_b32 s8, v70, 36
	s_cselect_b64 s[2:3], -1, 0
	v_readlane_b32 s9, v70, 37
	s_and_b64 s[2:3], s[8:9], s[2:3]
	s_and_saveexec_b64 s[16:17], s[2:3]
	s_cbranch_execz .LBB38_43
; %bb.40:                               ;   in Loop: Header=BB38_37 Depth=2
	s_mov_b64 s[20:21], exec
	v_mbcnt_lo_u32_b32 v10, s20, 0
	v_mbcnt_hi_u32_b32 v10, s21, v10
	s_bcnt1_i32_b64 s22, s[14:15]
	v_cmp_eq_u32_e64 s[2:3], 0, v10
                                        ; implicit-def: $vgpr11
	s_and_saveexec_b64 s[18:19], s[2:3]
; %bb.41:                               ;   in Loop: Header=BB38_37 Depth=2
	s_bcnt1_i32_b64 s2, s[20:21]
	s_mul_i32 s2, s22, s2
	v_mov_b32_e32 v11, s2
	ds_add_rtn_u32 v11, v3, v11 offset:5136
; %bb.42:                               ;   in Loop: Header=BB38_37 Depth=2
	s_or_b64 exec, exec, s[18:19]
	s_waitcnt lgkmcnt(0)
	v_readfirstlane_b32 s2, v11
	s_nop 1
	v_mov_b32_e32 v11, s2
	v_mad_u32_u24 v10, s22, v10, v11
.LBB38_43:                              ;   in Loop: Header=BB38_37 Depth=2
	s_or_b64 exec, exec, s[16:17]
	ds_bpermute_b32 v10, v43, v10
	s_and_b64 s[2:3], exec, vcc
	s_or_b64 s[6:7], s[2:3], s[6:7]
	s_and_saveexec_b64 s[2:3], s[14:15]
	s_cbranch_execz .LBB38_36
; %bb.44:                               ;   in Loop: Header=BB38_37 Depth=2
	v_and_b32_e32 v36, s14, v18
	v_and_b32_e32 v11, s15, v19
	v_bcnt_u32_b32 v36, v36, 0
	v_bcnt_u32_b32 v11, v11, v36
	v_lshlrev_b32_e32 v11, 1, v11
	s_waitcnt lgkmcnt(0)
	v_lshl_add_u32 v10, v10, 1, v11
	ds_write_b16 v10, v8
	s_branch .LBB38_36
.LBB38_45:                              ;   in Loop: Header=BB38_32 Depth=1
	s_mov_b64 s[0:1], -1
	s_mov_b64 s[2:3], 0
.LBB38_46:                              ;   in Loop: Header=BB38_32 Depth=1
	s_and_b64 vcc, exec, s[0:1]
	s_cbranch_vccz .LBB38_62
.LBB38_47:                              ;   in Loop: Header=BB38_32 Depth=1
	s_mov_b64 s[0:1], exec
	v_readlane_b32 s2, v70, 44
	v_readlane_b32 s3, v70, 45
	s_and_b64 s[2:3], s[0:1], s[2:3]
	s_mov_b64 exec, s[2:3]
	s_cbranch_execz .LBB38_59
; %bb.48:                               ;   in Loop: Header=BB38_32 Depth=1
	global_load_ushort v2, v3, s[78:79]
	global_load_ushort v38, v[14:15], off
	v_mov_b32_e32 v8, v0
	s_waitcnt vmcnt(1)
	v_readfirstlane_b32 s6, v2
	v_add_u32_sdwa v2, v2, v0 dst_sel:DWORD dst_unused:UNUSED_PAD src0_sel:WORD_0 src1_sel:DWORD
	v_cmp_gt_i64_e32 vcc, s[56:57], v[2:3]
	s_and_saveexec_b64 s[2:3], vcc
	s_cbranch_execz .LBB38_58
; %bb.49:                               ;   in Loop: Header=BB38_32 Depth=1
	s_and_b32 s98, s6, 0xffff
	s_cmp_eq_u32 s98, 1
	v_readlane_b32 s10, v70, 50
	s_cselect_b64 s[6:7], -1, 0
	v_readlane_b32 s11, v70, 51
	s_and_b64 s[14:15], s[10:11], s[6:7]
	s_mov_b64 s[12:13], -1
	v_mov_b64_e32 v[6:7], v[0:1]
	v_mov_b64_e32 v[4:5], v[2:3]
                                        ; implicit-def: $vgpr8_vgpr9
	s_and_saveexec_b64 s[6:7], s[14:15]
	v_readlane_b32 s10, v70, 52
	v_readlane_b32 s11, v70, 53
	s_cbranch_execz .LBB38_53
; %bb.50:                               ;   in Loop: Header=BB38_32 Depth=1
	v_lshl_add_u64 v[8:9], v[2:3], 0, 3
	v_lshl_add_u64 v[6:7], v[2:3], 0, 2
	;; [unrolled: 1-line block ×3, first 2 shown]
	v_mov_b64_e32 v[10:11], v[8:9]
	v_readlane_b32 s8, v70, 42
	s_waitcnt vmcnt(0)
	v_lshlrev_b32_e32 v51, 16, v38
	s_mov_b64 s[12:13], 0
	v_mov_b64_e32 v[36:37], v[20:21]
	v_mov_b32_e32 v39, v41
	v_mov_b64_e32 v[8:9], v[6:7]
	v_mov_b64_e32 v[6:7], v[4:5]
	v_mov_b64_e32 v[4:5], v[2:3]
	v_readlane_b32 s9, v70, 43
.LBB38_51:                              ;   Parent Loop BB38_32 Depth=1
                                        ; =>  This Inner Loop Header: Depth=2
	v_mul_lo_u32 v38, v11, s69
	v_mul_lo_u32 v62, v10, s54
	v_mad_u64_u32 v[54:55], s[14:15], v10, s69, 0
	v_mul_lo_u32 v63, v9, s89
	v_mul_lo_u32 v64, v8, s55
	v_mad_u64_u32 v[56:57], s[14:15], v8, s89, 0
	;; [unrolled: 3-line block ×4, first 2 shown]
	v_add3_u32 v55, v55, v62, v38
	v_add3_u32 v57, v57, v64, v63
	;; [unrolled: 1-line block ×4, first 2 shown]
	v_lshl_add_u64 v[56:57], v[56:57], 1, s[8:9]
	v_lshl_add_u64 v[54:55], v[54:55], 1, s[8:9]
	;; [unrolled: 1-line block ×4, first 2 shown]
	global_load_ushort v56, v[56:57], off
	s_nop 0
	global_load_ushort v38, v[54:55], off
	s_nop 0
	global_load_ushort v54, v[58:59], off
	global_load_ushort v57, v[60:61], off
	v_lshl_add_u64 v[36:37], v[36:37], 0, -4
	v_cmp_eq_u64_e32 vcc, 0, v[36:37]
	v_lshl_add_u64 v[10:11], v[10:11], 0, 4
	v_lshl_add_u64 v[8:9], v[8:9], 0, 4
	;; [unrolled: 1-line block ×4, first 2 shown]
	s_or_b64 s[12:13], vcc, s[12:13]
	s_waitcnt vmcnt(2)
	v_perm_b32 v58, v38, v56, s50
	s_waitcnt vmcnt(1)
	v_perm_b32 v55, v56, v54, s50
	s_waitcnt vmcnt(0)
	v_alignbit_b32 v54, v57, v51, 16
	ds_write_b64 v39, v[54:55]
	v_add_u32_e32 v39, 8, v39
	v_mov_b32_e32 v51, v58
	s_andn2_b64 exec, exec, s[12:13]
	s_cbranch_execnz .LBB38_51
; %bb.52:                               ;   in Loop: Header=BB38_32 Depth=1
	s_or_b64 exec, exec, s[12:13]
	v_readlane_b32 s10, v70, 54
	v_lshl_add_u64 v[4:5], v[2:3], 0, v[20:21]
	v_readlane_b32 s11, v70, 55
	v_lshl_add_u64 v[8:9], v[4:5], 0, -1
	s_orn2_b64 s[12:13], s[10:11], exec
	v_mov_b64_e32 v[6:7], v[22:23]
.LBB38_53:                              ;   in Loop: Header=BB38_32 Depth=1
	s_or_b64 exec, exec, s[6:7]
	s_and_saveexec_b64 s[6:7], s[12:13]
	s_cbranch_execz .LBB38_57
; %bb.54:                               ;   in Loop: Header=BB38_32 Depth=1
	v_readlane_b32 s10, v70, 63
	v_readlane_b32 s11, v69, 0
	s_sub_u32 s12, 0, s98
	s_mov_b64 s[14:15], 0
	v_mov_b64_e32 v[8:9], s[10:11]
	v_readlane_b32 s10, v70, 61
	v_readlane_b32 s11, v70, 62
	s_subb_u32 s13, 0, 0
	v_mad_u64_u32 v[8:9], s[16:17], s10, v4, v[8:9]
	v_mul_lo_u32 v2, s10, v5
	v_mul_lo_u32 v7, s11, v4
	s_mul_i32 s16, s11, s98
	s_mul_hi_u32 s17, s10, s98
	v_add3_u32 v9, v7, v9, v2
	s_add_i32 s17, s17, s16
	s_mul_i32 s16, s10, s98
.LBB38_55:                              ;   Parent Loop BB38_32 Depth=1
                                        ; =>  This Inner Loop Header: Depth=2
	global_load_ushort v2, v[8:9], off
	v_mov_b64_e32 v[10:11], v[4:5]
	v_lshlrev_b32_e32 v4, 1, v6
	s_waitcnt vmcnt(1)
	ds_write_b16 v4, v38
	v_lshl_add_u64 v[4:5], v[10:11], 0, s[98:99]
	v_cmp_le_i64_e32 vcc, s[56:57], v[4:5]
	v_lshl_add_u64 v[8:9], v[8:9], 0, s[16:17]
	v_mov_b64_e32 v[6:7], v[10:11]
	s_or_b64 s[14:15], vcc, s[14:15]
	s_waitcnt vmcnt(0)
	v_mov_b32_e32 v38, v2
	s_andn2_b64 exec, exec, s[14:15]
	s_cbranch_execnz .LBB38_55
; %bb.56:                               ;   in Loop: Header=BB38_32 Depth=1
	s_or_b64 exec, exec, s[14:15]
	v_lshl_add_u64 v[8:9], s[12:13], 0, v[4:5]
	v_mov_b32_e32 v38, v2
.LBB38_57:                              ;   in Loop: Header=BB38_32 Depth=1
	s_or_b64 exec, exec, s[6:7]
.LBB38_58:                              ;   in Loop: Header=BB38_32 Depth=1
	s_or_b64 exec, exec, s[2:3]
	v_lshlrev_b32_e32 v2, 1, v8
	s_waitcnt vmcnt(0)
	ds_write_b16 v2, v38
.LBB38_59:                              ;   in Loop: Header=BB38_32 Depth=1
	s_or_b64 exec, exec, s[0:1]
	s_waitcnt lgkmcnt(0)
	s_barrier
	s_mov_b64 s[0:1], exec
	v_readlane_b32 s2, v70, 32
	v_readlane_b32 s3, v70, 33
	s_and_b64 s[2:3], s[0:1], s[2:3]
	s_mov_b64 exec, s[2:3]
; %bb.60:                               ;   in Loop: Header=BB38_32 Depth=1
	ds_write_b64 v3, v[52:53] offset:5120
; %bb.61:                               ;   in Loop: Header=BB38_32 Depth=1
	s_or_b64 exec, exec, s[0:1]
	s_mov_b64 s[2:3], -1
	s_waitcnt lgkmcnt(0)
	s_barrier
.LBB38_62:                              ;   in Loop: Header=BB38_32 Depth=1
	s_and_b64 vcc, exec, s[2:3]
	s_cbranch_vccz .LBB38_64
; %bb.63:                               ;   in Loop: Header=BB38_32 Depth=1
	ds_read_b64 v[4:5], v3 offset:5120
	s_waitcnt lgkmcnt(0)
	v_readfirstlane_b32 s64, v4
.LBB38_64:                              ;   in Loop: Header=BB38_32 Depth=1
	s_cmp_lt_i32 s64, 1
	s_mov_b64 s[0:1], -1
                                        ; implicit-def: $vgpr4_vgpr5
                                        ; implicit-def: $vgpr8_vgpr9
	s_cbranch_scc0 .LBB38_81
; %bb.65:                               ;   in Loop: Header=BB38_32 Depth=1
	global_load_ushort v2, v3, s[78:79]
	s_mov_b32 s0, s99
	s_mov_b64 s[8:9], s[80:81]
	s_mov_b64 s[60:61], s[58:59]
	;; [unrolled: 1-line block ×4, first 2 shown]
	s_waitcnt vmcnt(0)
	v_readfirstlane_b32 s1, v2
	s_and_b32 s66, s1, 0xffff
	s_lshl_b32 s98, s66, 2
	s_mov_b32 s1, s57
	s_cmp_lg_u64 s[0:1], 0
	s_cbranch_scc0 .LBB38_67
; %bb.66:                               ;   in Loop: Header=BB38_32 Depth=1
	s_add_u32 s0, s98, 0
	s_addc_u32 s1, 0, 0
	s_xor_b64 s[0:1], s[0:1], 0
	v_cvt_f32_u32_e32 v2, s0
	v_cvt_f32_u32_e32 v4, s1
	s_sub_u32 s6, 0, s0
	s_subb_u32 s7, 0, s1
	v_fmac_f32_e32 v2, 0x4f800000, v4
	v_rcp_f32_e32 v2, v2
	s_nop 0
	v_mul_f32_e32 v2, 0x5f7ffffc, v2
	v_mul_f32_e32 v4, 0x2f800000, v2
	v_trunc_f32_e32 v4, v4
	v_fmac_f32_e32 v2, 0xcf800000, v4
	v_cvt_u32_f32_e32 v4, v4
	v_cvt_u32_f32_e32 v2, v2
	v_readfirstlane_b32 s12, v4
	v_readfirstlane_b32 s2, v2
	s_mul_i32 s3, s6, s12
	s_mul_hi_u32 s14, s6, s2
	s_mul_i32 s13, s7, s2
	s_add_i32 s3, s14, s3
	s_mul_i32 s15, s6, s2
	s_add_i32 s3, s3, s13
	s_mul_i32 s14, s2, s3
	s_mul_hi_u32 s16, s2, s15
	s_mul_hi_u32 s13, s2, s3
	s_add_u32 s14, s16, s14
	s_addc_u32 s13, 0, s13
	s_mul_hi_u32 s17, s12, s15
	s_mul_i32 s15, s12, s15
	s_add_u32 s14, s14, s15
	s_mul_hi_u32 s16, s12, s3
	s_addc_u32 s13, s13, s17
	s_addc_u32 s14, s16, 0
	s_mul_i32 s3, s12, s3
	s_add_u32 s3, s13, s3
	s_addc_u32 s13, 0, s14
	s_add_u32 s14, s2, s3
	s_cselect_b64 s[2:3], -1, 0
	s_cmp_lg_u64 s[2:3], 0
	s_addc_u32 s12, s12, s13
	s_mul_i32 s2, s6, s12
	s_mul_hi_u32 s3, s6, s14
	s_add_i32 s2, s3, s2
	s_mul_i32 s7, s7, s14
	s_add_i32 s2, s2, s7
	s_mul_i32 s6, s6, s14
	s_mul_hi_u32 s7, s12, s6
	s_mul_i32 s13, s12, s6
	s_mul_i32 s16, s14, s2
	s_mul_hi_u32 s6, s14, s6
	s_mul_hi_u32 s15, s14, s2
	s_add_u32 s6, s6, s16
	s_addc_u32 s15, 0, s15
	s_add_u32 s6, s6, s13
	s_mul_hi_u32 s3, s12, s2
	s_addc_u32 s6, s15, s7
	s_addc_u32 s3, s3, 0
	s_mul_i32 s2, s12, s2
	s_add_u32 s2, s6, s2
	s_addc_u32 s6, 0, s3
	s_add_u32 s13, s14, s2
	s_cselect_b64 s[2:3], -1, 0
	s_cmp_lg_u64 s[2:3], 0
	s_addc_u32 s12, s12, s6
	s_ashr_i32 s2, s57, 31
	s_add_u32 s6, s56, s2
	s_mov_b32 s3, s2
	s_addc_u32 s7, s57, s2
	s_xor_b64 s[6:7], s[6:7], s[2:3]
	s_mul_i32 s15, s6, s12
	s_mul_hi_u32 s16, s6, s13
	s_mul_hi_u32 s14, s6, s12
	s_add_u32 s15, s16, s15
	s_addc_u32 s14, 0, s14
	s_mul_hi_u32 s17, s7, s13
	s_mul_i32 s13, s7, s13
	s_add_u32 s13, s15, s13
	s_mul_hi_u32 s16, s7, s12
	s_addc_u32 s13, s14, s17
	s_addc_u32 s14, s16, 0
	s_mul_i32 s12, s7, s12
	s_add_u32 s12, s13, s12
	s_addc_u32 s13, 0, s14
	s_mul_i32 s13, s0, s13
	s_mul_hi_u32 s14, s0, s12
	s_add_i32 s13, s14, s13
	s_mul_i32 s14, s1, s12
	s_add_i32 s16, s13, s14
	s_sub_i32 s14, s7, s16
	s_mul_i32 s12, s0, s12
	s_sub_u32 s6, s6, s12
	s_cselect_b64 s[12:13], -1, 0
	s_cmp_lg_u64 s[12:13], 0
	s_subb_u32 s17, s14, s1
	s_sub_u32 s18, s6, s0
	s_cselect_b64 s[14:15], -1, 0
	s_cmp_lg_u64 s[14:15], 0
	s_subb_u32 s19, s17, 0
	s_cmp_ge_u32 s19, s1
	s_cselect_b32 s20, -1, 0
	s_cmp_ge_u32 s18, s0
	s_cselect_b32 s21, -1, 0
	s_cmp_eq_u32 s19, s1
	s_cselect_b32 s20, s21, s20
	s_cmp_lg_u64 s[14:15], 0
	s_subb_u32 s17, s17, s1
	s_sub_u32 s21, s18, s0
	s_cselect_b64 s[14:15], -1, 0
	s_cmp_lg_u64 s[14:15], 0
	s_subb_u32 s14, s17, 0
	s_cmp_lg_u32 s20, 0
	s_cselect_b32 s15, s21, s18
	s_cselect_b32 s14, s14, s19
	s_cmp_lg_u64 s[12:13], 0
	s_subb_u32 s7, s7, s16
	s_cmp_ge_u32 s7, s1
	s_cselect_b32 s12, -1, 0
	s_cmp_ge_u32 s6, s0
	s_cselect_b32 s0, -1, 0
	s_cmp_eq_u32 s7, s1
	s_cselect_b32 s0, s0, s12
	s_cmp_lg_u32 s0, 0
	s_cselect_b32 s1, s14, s7
	s_cselect_b32 s0, s15, s6
	s_xor_b64 s[0:1], s[0:1], s[2:3]
	s_sub_u32 s80, s0, s2
	s_subb_u32 s81, s1, s2
	s_mov_b64 s[0:1], 0
	s_branch .LBB38_68
.LBB38_67:                              ;   in Loop: Header=BB38_32 Depth=1
	s_mov_b64 s[0:1], -1
                                        ; implicit-def: $sgpr80_sgpr81
.LBB38_68:                              ;   in Loop: Header=BB38_32 Depth=1
	v_readlane_b32 s2, v70, 42
	v_readlane_b32 s3, v70, 43
	s_andn2_b64 vcc, exec, s[0:1]
	s_cbranch_vccnz .LBB38_70
; %bb.69:                               ;   in Loop: Header=BB38_32 Depth=1
	v_cvt_f32_u32_e32 v2, s98
	s_sub_i32 s0, 0, s98
	s_mov_b32 s81, s99
	v_rcp_iflag_f32_e32 v2, v2
	s_nop 0
	v_mul_f32_e32 v2, 0x4f7ffffe, v2
	v_cvt_u32_f32_e32 v2, v2
	s_nop 0
	v_readfirstlane_b32 s1, v2
	s_mul_i32 s0, s0, s1
	s_mul_hi_u32 s0, s1, s0
	s_add_i32 s1, s1, s0
	s_mul_hi_u32 s0, s56, s1
	s_mul_i32 s0, s0, s98
	s_sub_i32 s0, s56, s0
	s_sub_i32 s1, s0, s98
	s_cmp_ge_u32 s0, s98
	s_cselect_b32 s0, s1, s0
	s_sub_i32 s1, s0, s98
	s_cmp_ge_u32 s0, s98
	s_cselect_b32 s80, s1, s0
.LBB38_70:                              ;   in Loop: Header=BB38_32 Depth=1
	s_sub_u32 s68, s56, s80
	s_subb_u32 s69, s57, s81
	s_mov_b32 s67, s99
	v_cmp_gt_i64_e32 vcc, s[68:69], v[16:17]
	v_mov_b64_e32 v[4:5], 0
	v_mov_b64_e32 v[6:7], 0
	v_mov_b64_e32 v[8:9], 0
	v_mov_b64_e32 v[10:11], 0
	s_and_saveexec_b64 s[70:71], vcc
	s_cbranch_execz .LBB38_74
; %bb.71:                               ;   in Loop: Header=BB38_32 Depth=1
	s_mul_i32 s0, s83, s66
	s_mul_hi_u32 s1, s82, s66
	s_mov_b32 s79, s77
	s_mov_b32 s75, s74
	s_mov_b64 s[76:77], s[94:95]
	s_mov_b64 s[10:11], s[90:91]
	s_add_i32 s65, s1, s0
	s_mov_b64 s[0:1], 0
	s_mov_b64 s[90:91], s[2:3]
	;; [unrolled: 1-line block ×6, first 2 shown]
	v_mov_b64_e32 v[36:37], v[16:17]
.LBB38_72:                              ;   Parent Loop BB38_32 Depth=1
                                        ; =>  This Inner Loop Header: Depth=2
	v_lshl_add_u64 v[4:5], s[90:91], 0, v[30:31]
	v_lshl_add_u64 v[6:7], s[90:91], 0, v[28:29]
	;; [unrolled: 1-line block ×4, first 2 shown]
	global_load_sshort v2, v[4:5], off
	s_nop 0
	global_load_sshort v4, v[6:7], off
	global_load_sshort v5, v[8:9], off
	s_nop 0
	global_load_sshort v6, v[10:11], off
	s_mul_i32 s74, s82, s66
	v_lshl_add_u64 v[36:37], v[36:37], 0, s[98:99]
	v_cmp_le_i64_e32 vcc, s[68:69], v[36:37]
	s_waitcnt vmcnt(3)
	v_add_u32_e32 v2, 0x8000, v2
	s_waitcnt vmcnt(2)
	v_add_u32_e32 v4, 0x8000, v4
	v_and_b32_e32 v7, v2, v49
	v_bfe_u32 v2, v2, s33, 2
	s_waitcnt vmcnt(1)
	v_add_u32_e32 v5, 0x8000, v5
	v_and_b32_e32 v8, v4, v49
	v_bfe_u32 v4, v4, s33, 2
	v_cmp_eq_u32_e64 s[2:3], v7, v47
	v_cmp_eq_u32_e64 s[20:21], 0, v2
	s_waitcnt vmcnt(0)
	v_add_u32_e32 v6, 0x8000, v6
	v_and_b32_e32 v9, v5, v49
	v_bfe_u32 v5, v5, s33, 2
	v_cmp_eq_u32_e64 s[14:15], v8, v47
	v_cmp_eq_u32_e64 s[22:23], 0, v4
	s_and_b64 s[20:21], s[2:3], s[20:21]
	v_and_b32_e32 v10, v6, v49
	v_bfe_u32 v6, v6, s33, 2
	v_cmp_eq_u32_e64 s[16:17], v9, v47
	v_cmp_eq_u32_e64 s[24:25], 0, v5
	;; [unrolled: 1-line block ×5, first 2 shown]
	v_cndmask_b32_e64 v2, 0, 1, s[20:21]
	s_and_b64 s[20:21], s[14:15], s[22:23]
	v_cmp_eq_u32_e64 s[18:19], v10, v47
	v_cmp_eq_u32_e64 s[26:27], 0, v6
	v_cmp_eq_u32_e64 s[34:35], 1, v4
	v_cmp_eq_u32_e64 s[42:43], 2, v4
	v_cmp_eq_u32_e64 s[50:51], 3, v4
	v_cndmask_b32_e64 v4, 0, 1, s[20:21]
	s_and_b64 s[20:21], s[16:17], s[24:25]
	v_cmp_eq_u32_e64 s[36:37], 1, v5
	v_cmp_eq_u32_e64 s[44:45], 2, v5
	;; [unrolled: 1-line block ×3, first 2 shown]
	v_cndmask_b32_e64 v5, 0, 1, s[20:21]
	s_and_b64 s[20:21], s[18:19], s[26:27]
	v_cmp_eq_u32_e64 s[38:39], 1, v6
	v_cmp_eq_u32_e64 s[46:47], 2, v6
	;; [unrolled: 1-line block ×3, first 2 shown]
	v_cndmask_b32_e64 v6, 0, 1, s[20:21]
	v_cmp_ne_u32_e64 s[20:21], 0, v2
	v_cmp_ne_u32_e64 s[22:23], 0, v4
	v_cmp_ne_u32_e64 s[24:25], 0, v5
	v_cmp_ne_u32_e64 s[26:27], 0, v6
	s_bcnt1_i32_b64 s20, s[20:21]
	s_bcnt1_i32_b64 s21, s[22:23]
	s_bcnt1_i32_b64 s22, s[24:25]
	s_bcnt1_i32_b64 s23, s[26:27]
	s_add_u32 s20, s20, s88
	s_addc_u32 s24, 0, s89
	s_add_u32 s20, s20, s21
	s_addc_u32 s21, s24, 0
	s_add_u32 s20, s20, s22
	s_addc_u32 s21, s21, 0
	s_add_u32 s88, s20, s23
	s_addc_u32 s89, s21, 0
	s_and_b64 s[20:21], s[2:3], s[28:29]
	v_cndmask_b32_e64 v2, 0, 1, s[20:21]
	s_and_b64 s[20:21], s[14:15], s[34:35]
	v_cndmask_b32_e64 v6, 0, 1, s[20:21]
	s_and_b64 s[20:21], s[16:17], s[36:37]
	v_cndmask_b32_e64 v7, 0, 1, s[20:21]
	s_and_b64 s[20:21], s[18:19], s[38:39]
	v_cndmask_b32_e64 v8, 0, 1, s[20:21]
	v_cmp_ne_u32_e64 s[20:21], 0, v2
	v_cmp_ne_u32_e64 s[22:23], 0, v6
	v_cmp_ne_u32_e64 s[24:25], 0, v7
	v_cmp_ne_u32_e64 s[26:27], 0, v8
	s_bcnt1_i32_b64 s20, s[20:21]
	s_bcnt1_i32_b64 s21, s[22:23]
	s_bcnt1_i32_b64 s22, s[24:25]
	s_bcnt1_i32_b64 s23, s[26:27]
	s_add_u32 s6, s20, s6
	s_addc_u32 s7, 0, s7
	s_add_u32 s6, s6, s21
	s_addc_u32 s7, s7, 0
	s_add_u32 s6, s6, s22
	s_addc_u32 s7, s7, 0
	s_add_u32 s6, s6, s23
	s_addc_u32 s7, s7, 0
	s_and_b64 s[20:21], s[2:3], s[40:41]
	v_cndmask_b32_e64 v2, 0, 1, s[20:21]
	s_and_b64 s[20:21], s[14:15], s[42:43]
	v_cndmask_b32_e64 v8, 0, 1, s[20:21]
	s_and_b64 s[20:21], s[16:17], s[44:45]
	v_cndmask_b32_e64 v9, 0, 1, s[20:21]
	s_and_b64 s[20:21], s[18:19], s[46:47]
	;; [unrolled: 24-line block ×3, first 2 shown]
	v_cndmask_b32_e64 v38, 0, 1, s[2:3]
	v_cmp_ne_u32_e64 s[2:3], 0, v2
	v_cmp_ne_u32_e64 s[14:15], 0, v10
	;; [unrolled: 1-line block ×4, first 2 shown]
	s_bcnt1_i32_b64 s2, s[2:3]
	s_bcnt1_i32_b64 s3, s[14:15]
	;; [unrolled: 1-line block ×4, first 2 shown]
	s_add_u32 s2, s2, s94
	s_addc_u32 s16, 0, s95
	s_add_u32 s2, s2, s3
	s_addc_u32 s3, s16, 0
	;; [unrolled: 2-line block ×5, first 2 shown]
	v_mov_b64_e32 v[4:5], s[88:89]
	v_mov_b64_e32 v[6:7], s[6:7]
	v_mov_b64_e32 v[8:9], s[12:13]
	s_or_b64 s[0:1], vcc, s[0:1]
	v_mov_b64_e32 v[10:11], s[94:95]
	s_andn2_b64 exec, exec, s[0:1]
	s_cbranch_execnz .LBB38_72
; %bb.73:                               ;   in Loop: Header=BB38_32 Depth=1
	s_or_b64 exec, exec, s[0:1]
	s_mov_b64 s[94:95], s[76:77]
	s_mov_b32 s77, s79
	v_readlane_b32 s78, v69, 1
	s_mov_b64 s[90:91], s[10:11]
	s_mov_b32 s74, s75
	v_readlane_b32 s79, v69, 2
	v_readlane_b32 s75, v69, 3
	;; [unrolled: 1-line block ×6, first 2 shown]
	s_mov_b32 s50, 0x5040100
.LBB38_74:                              ;   in Loop: Header=BB38_32 Depth=1
	s_or_b64 exec, exec, s[70:71]
	v_lshl_add_u64 v[36:37], s[68:69], 0, v[0:1]
	v_cmp_gt_i64_e32 vcc, s[56:57], v[36:37]
	s_and_saveexec_b64 s[0:1], vcc
	v_readlane_b32 s69, v69, 8
	s_cbranch_execz .LBB38_80
; %bb.75:                               ;   in Loop: Header=BB38_32 Depth=1
	v_mad_u64_u32 v[38:39], s[2:3], v36, s62, 0
	v_mul_lo_u32 v2, v37, s62
	v_mul_lo_u32 v51, v36, s63
	v_readlane_b32 s2, v70, 42
	v_add3_u32 v39, v39, v51, v2
	v_readlane_b32 s3, v70, 43
	v_mov_b32_e32 v51, s81
	v_readlane_b32 s6, v70, 61
	v_lshl_add_u64 v[38:39], v[38:39], 1, s[2:3]
	global_load_ushort v2, v[38:39], off
	v_lshl_add_u64 v[38:39], v[32:33], 0, s[66:67]
	v_subrev_co_u32_e32 v54, vcc, s80, v38
	v_readlane_b32 s2, v70, 63
	s_nop 0
	v_subb_co_u32_e32 v38, vcc, v39, v51, vcc
	v_readlane_b32 s3, v69, 0
	v_mul_lo_u32 v51, s6, v38
	v_readlane_b32 s7, v70, 62
	v_mov_b64_e32 v[38:39], s[2:3]
	v_mad_u64_u32 v[38:39], s[2:3], s6, v54, v[38:39]
	v_mul_lo_u32 v55, s7, v54
	s_mul_i32 s2, s7, s66
	s_mul_hi_u32 s3, s6, s66
	v_add3_u32 v39, v55, v39, v51
	s_add_i32 s7, s3, s2
	s_mul_i32 s6, s6, s66
	s_mov_b64 s[12:13], 0
	s_branch .LBB38_77
.LBB38_76:                              ;   in Loop: Header=BB38_77 Depth=2
	s_or_b64 exec, exec, s[14:15]
	s_waitcnt vmcnt(0)
	v_add_u32_sdwa v2, sext(v2), s93 dst_sel:DWORD dst_unused:UNUSED_PAD src0_sel:WORD_0 src1_sel:DWORD
	s_and_b64 s[2:3], exec, vcc
	v_and_b32_e32 v54, v2, v49
	v_bfe_u32 v2, v2, s33, 2
	s_or_b64 s[12:13], s[2:3], s[12:13]
	v_cmp_eq_u32_e32 vcc, v54, v47
	v_cmp_eq_u32_e64 s[2:3], 0, v2
	s_and_b64 s[2:3], vcc, s[2:3]
	v_lshl_add_u64 v[38:39], v[38:39], 0, s[6:7]
	v_cndmask_b32_e64 v54, 0, 1, s[2:3]
	v_cmp_ne_u32_e64 s[2:3], 0, v54
	s_bcnt1_i32_b64 s98, s[2:3]
	v_cmp_eq_u32_e64 s[2:3], 1, v2
	s_and_b64 s[2:3], vcc, s[2:3]
	v_lshl_add_u64 v[4:5], s[98:99], 0, v[4:5]
	v_cndmask_b32_e64 v54, 0, 1, s[2:3]
	v_cmp_ne_u32_e64 s[2:3], 0, v54
	s_bcnt1_i32_b64 s98, s[2:3]
	;; [unrolled: 6-line block ×3, first 2 shown]
	v_cmp_eq_u32_e64 s[2:3], 3, v2
	s_and_b64 s[2:3], vcc, s[2:3]
	v_lshl_add_u64 v[8:9], s[98:99], 0, v[8:9]
	v_cndmask_b32_e64 v2, 0, 1, s[2:3]
	v_cmp_ne_u32_e32 vcc, 0, v2
	s_bcnt1_i32_b64 s98, vcc
	v_lshl_add_u64 v[10:11], s[98:99], 0, v[10:11]
	v_mov_b32_e32 v2, v51
	s_andn2_b64 exec, exec, s[12:13]
	s_cbranch_execz .LBB38_79
.LBB38_77:                              ;   Parent Loop BB38_32 Depth=1
                                        ; =>  This Inner Loop Header: Depth=2
	v_lshl_add_u64 v[36:37], v[36:37], 0, s[66:67]
	v_cmp_gt_i64_e64 s[2:3], s[56:57], v[36:37]
	v_cmp_le_i64_e32 vcc, s[56:57], v[36:37]
	v_mov_b32_e32 v51, 0
	s_and_saveexec_b64 s[14:15], s[2:3]
	s_cbranch_execz .LBB38_76
; %bb.78:                               ;   in Loop: Header=BB38_77 Depth=2
	global_load_ushort v51, v[38:39], off
	s_branch .LBB38_76
.LBB38_79:                              ;   in Loop: Header=BB38_32 Depth=1
	s_or_b64 exec, exec, s[12:13]
.LBB38_80:                              ;   in Loop: Header=BB38_32 Depth=1
	s_or_b64 exec, exec, s[0:1]
	s_mov_b64 s[0:1], 0
	s_mov_b64 s[70:71], s[30:31]
	;; [unrolled: 1-line block ×5, first 2 shown]
.LBB38_81:                              ;   in Loop: Header=BB38_32 Depth=1
	s_and_b64 vcc, exec, s[0:1]
	s_cbranch_vccz .LBB38_91
; %bb.82:                               ;   in Loop: Header=BB38_32 Depth=1
	global_load_ushort v2, v3, s[78:79]
	v_mov_b64_e32 v[8:9], 0
	s_waitcnt vmcnt(0)
	v_readfirstlane_b32 s0, v2
	s_and_b32 s65, 0xffff, s0
	s_lshl_b32 s98, s65, 2
	v_cvt_f32_u32_e32 v4, s98
	s_sub_i32 s0, 0, s98
	v_rcp_iflag_f32_e32 v6, v4
	v_mov_b64_e32 v[4:5], 0
	v_mul_f32_e32 v6, 0x4f7ffffe, v6
	v_cvt_u32_f32_e32 v10, v6
	v_mov_b64_e32 v[6:7], 0
	v_readfirstlane_b32 s1, v10
	s_mul_i32 s0, s0, s1
	s_mul_hi_u32 s0, s1, s0
	s_add_i32 s1, s1, s0
	s_mul_hi_u32 s0, s64, s1
	s_mul_i32 s1, s0, s98
	s_sub_i32 s1, s64, s1
	s_add_i32 s2, s0, 1
	s_sub_i32 s3, s1, s98
	s_cmp_ge_u32 s1, s98
	s_cselect_b32 s0, s2, s0
	s_cselect_b32 s1, s3, s1
	s_add_i32 s2, s0, 1
	s_cmp_ge_u32 s1, s98
	s_cselect_b32 s0, s2, s0
	s_mul_hi_u32 s1, s65, s0
	s_mul_i32 s0, s65, s0
	s_lshl_b64 s[6:7], s[0:1], 2
	v_cmp_gt_u64_e32 vcc, s[6:7], v[16:17]
	v_mov_b64_e32 v[10:11], 0
	s_and_saveexec_b64 s[12:13], vcc
	s_cbranch_execz .LBB38_86
; %bb.83:                               ;   in Loop: Header=BB38_32 Depth=1
	s_mov_b64 s[8:9], s[80:81]
	s_mov_b64 s[60:61], s[58:59]
	;; [unrolled: 1-line block ×4, first 2 shown]
	s_lshl_b32 s1, s65, 3
	s_mov_b64 s[66:67], 0
	v_mov_b32_e32 v38, v45
	s_mov_b64 s[68:69], 0
	s_mov_b64 s[70:71], 0
	;; [unrolled: 1-line block ×4, first 2 shown]
	v_mov_b64_e32 v[36:37], v[16:17]
.LBB38_84:                              ;   Parent Loop BB38_32 Depth=1
                                        ; =>  This Inner Loop Header: Depth=2
	ds_read_b64 v[4:5], v38
	v_lshl_add_u64 v[36:37], v[36:37], 0, s[98:99]
	v_cmp_le_u64_e32 vcc, s[6:7], v[36:37]
	v_add_u32_e32 v38, s1, v38
	s_waitcnt lgkmcnt(0)
	v_add_u32_sdwa v6, sext(v4), s93 dst_sel:DWORD dst_unused:UNUSED_PAD src0_sel:WORD_0 src1_sel:DWORD
	v_add_u32_sdwa v4, sext(v4), s93 dst_sel:DWORD dst_unused:UNUSED_PAD src0_sel:WORD_1 src1_sel:DWORD
	v_and_b32_e32 v8, v6, v49
	v_bfe_u32 v6, v6, s33, 2
	v_add_u32_sdwa v7, sext(v5), s93 dst_sel:DWORD dst_unused:UNUSED_PAD src0_sel:WORD_0 src1_sel:DWORD
	v_and_b32_e32 v9, v4, v49
	v_bfe_u32 v4, v4, s33, 2
	v_cmp_eq_u32_e64 s[20:21], v8, v47
	v_cmp_eq_u32_e64 s[2:3], 0, v6
	v_add_u32_sdwa v5, sext(v5), s93 dst_sel:DWORD dst_unused:UNUSED_PAD src0_sel:WORD_1 src1_sel:DWORD
	v_and_b32_e32 v10, v7, v49
	v_bfe_u32 v7, v7, s33, 2
	v_cmp_eq_u32_e64 s[18:19], v9, v47
	v_cmp_eq_u32_e64 s[34:35], 0, v4
	s_and_b64 s[2:3], s[20:21], s[2:3]
	v_and_b32_e32 v11, v5, v49
	v_bfe_u32 v5, v5, s33, 2
	v_cmp_eq_u32_e64 s[16:17], v10, v47
	v_cmp_eq_u32_e64 s[36:37], 0, v7
	;; [unrolled: 1-line block ×5, first 2 shown]
	v_cndmask_b32_e64 v4, 0, 1, s[2:3]
	s_and_b64 s[2:3], s[18:19], s[34:35]
	v_cmp_eq_u32_e64 s[14:15], v11, v47
	v_cmp_eq_u32_e64 s[38:39], 0, v5
	;; [unrolled: 1-line block ×5, first 2 shown]
	v_cndmask_b32_e64 v5, 0, 1, s[2:3]
	s_and_b64 s[2:3], s[16:17], s[36:37]
	v_cmp_eq_u32_e64 s[40:41], 1, v6
	v_cmp_eq_u32_e64 s[48:49], 2, v6
	;; [unrolled: 1-line block ×3, first 2 shown]
	v_cndmask_b32_e64 v6, 0, 1, s[2:3]
	s_and_b64 s[2:3], s[14:15], s[38:39]
	v_cmp_eq_u32_e64 s[44:45], 1, v7
	v_cmp_eq_u32_e64 s[52:53], 2, v7
	;; [unrolled: 1-line block ×3, first 2 shown]
	v_cndmask_b32_e64 v7, 0, 1, s[2:3]
	v_cmp_ne_u32_e64 s[2:3], 0, v4
	v_cmp_ne_u32_e64 s[34:35], 0, v5
	v_cmp_ne_u32_e64 s[36:37], 0, v6
	v_cmp_ne_u32_e64 s[38:39], 0, v7
	s_bcnt1_i32_b64 s2, s[2:3]
	s_bcnt1_i32_b64 s3, s[34:35]
	s_bcnt1_i32_b64 s34, s[36:37]
	s_bcnt1_i32_b64 s35, s[38:39]
	s_add_u32 s2, s2, s88
	s_addc_u32 s36, 0, s89
	s_add_u32 s2, s2, s3
	s_addc_u32 s3, s36, 0
	s_add_u32 s2, s2, s34
	s_addc_u32 s3, s3, 0
	s_add_u32 s88, s2, s35
	s_addc_u32 s89, s3, 0
	s_and_b64 s[2:3], s[20:21], s[40:41]
	v_cndmask_b32_e64 v6, 0, 1, s[2:3]
	s_and_b64 s[2:3], s[18:19], s[42:43]
	v_cndmask_b32_e64 v7, 0, 1, s[2:3]
	s_and_b64 s[2:3], s[16:17], s[44:45]
	v_cndmask_b32_e64 v8, 0, 1, s[2:3]
	s_and_b64 s[2:3], s[14:15], s[46:47]
	v_cndmask_b32_e64 v9, 0, 1, s[2:3]
	v_cmp_ne_u32_e64 s[2:3], 0, v6
	v_cmp_ne_u32_e64 s[34:35], 0, v7
	v_cmp_ne_u32_e64 s[36:37], 0, v8
	v_cmp_ne_u32_e64 s[38:39], 0, v9
	s_bcnt1_i32_b64 s2, s[2:3]
	s_bcnt1_i32_b64 s3, s[34:35]
	s_bcnt1_i32_b64 s34, s[36:37]
	s_bcnt1_i32_b64 s35, s[38:39]
	s_add_u32 s2, s2, s80
	s_addc_u32 s36, 0, s81
	s_add_u32 s2, s2, s3
	s_addc_u32 s3, s36, 0
	s_add_u32 s2, s2, s34
	s_addc_u32 s3, s3, 0
	s_add_u32 s80, s2, s35
	s_addc_u32 s81, s3, 0
	s_and_b64 s[2:3], s[20:21], s[48:49]
	v_cndmask_b32_e64 v8, 0, 1, s[2:3]
	s_and_b64 s[2:3], s[18:19], s[50:51]
	v_cndmask_b32_e64 v9, 0, 1, s[2:3]
	s_and_b64 s[2:3], s[16:17], s[52:53]
	v_cndmask_b32_e64 v10, 0, 1, s[2:3]
	s_and_b64 s[2:3], s[14:15], s[54:55]
	;; [unrolled: 24-line block ×3, first 2 shown]
	v_cndmask_b32_e64 v51, 0, 1, s[2:3]
	v_cmp_ne_u32_e64 s[2:3], 0, v10
	v_cmp_ne_u32_e64 s[14:15], 0, v11
	;; [unrolled: 1-line block ×4, first 2 shown]
	s_bcnt1_i32_b64 s2, s[2:3]
	s_bcnt1_i32_b64 s3, s[14:15]
	;; [unrolled: 1-line block ×4, first 2 shown]
	s_add_u32 s2, s2, s68
	s_addc_u32 s16, 0, s69
	s_add_u32 s2, s2, s3
	s_addc_u32 s3, s16, 0
	;; [unrolled: 2-line block ×4, first 2 shown]
	v_mov_b64_e32 v[4:5], s[88:89]
	v_mov_b64_e32 v[6:7], s[80:81]
	;; [unrolled: 1-line block ×3, first 2 shown]
	s_or_b64 s[66:67], vcc, s[66:67]
	v_mov_b64_e32 v[10:11], s[68:69]
	s_andn2_b64 exec, exec, s[66:67]
	s_cbranch_execnz .LBB38_84
; %bb.85:                               ;   in Loop: Header=BB38_32 Depth=1
	s_or_b64 exec, exec, s[66:67]
	v_readlane_b32 s78, v69, 1
	v_readlane_b32 s79, v69, 2
	;; [unrolled: 1-line block ×7, first 2 shown]
	s_mov_b32 s50, 0x5040100
	v_readlane_b32 s69, v69, 8
	s_mov_b64 s[70:71], s[30:31]
	s_mov_b64 s[30:31], s[58:59]
	;; [unrolled: 1-line block ×4, first 2 shown]
.LBB38_86:                              ;   in Loop: Header=BB38_32 Depth=1
	s_or_b64 exec, exec, s[12:13]
	s_and_b32 s12, s64, 0x7fffffff
	s_mov_b32 s13, s99
	v_lshl_add_u64 v[36:37], s[6:7], 0, v[0:1]
	v_and_b32_e32 v2, 0xffff, v2
	v_cmp_gt_u64_e32 vcc, s[12:13], v[36:37]
	s_and_saveexec_b64 s[6:7], vcc
	s_cbranch_execz .LBB38_90
; %bb.87:                               ;   in Loop: Header=BB38_32 Depth=1
	v_lshl_add_u32 v38, s0, 3, v41
	s_lshl_b32 s22, s65, 1
	s_mov_b64 s[0:1], 0
.LBB38_88:                              ;   Parent Loop BB38_32 Depth=1
                                        ; =>  This Inner Loop Header: Depth=2
	ds_read_i16 v39, v38
	v_lshl_add_u64 v[36:37], v[36:37], 0, v[2:3]
	v_cmp_le_u64_e32 vcc, s[12:13], v[36:37]
	v_add_u32_e32 v38, s22, v38
	s_waitcnt lgkmcnt(0)
	v_add_u32_e32 v39, 0x8000, v39
	v_and_b32_e32 v51, v39, v49
	v_bfe_u32 v39, v39, s33, 2
	v_cmp_eq_u32_e64 s[2:3], v51, v47
	v_cmp_eq_u32_e64 s[14:15], 0, v39
	;; [unrolled: 1-line block ×3, first 2 shown]
	s_and_b64 s[14:15], s[2:3], s[14:15]
	v_cmp_eq_u32_e64 s[18:19], 2, v39
	v_cmp_eq_u32_e64 s[20:21], 3, v39
	v_cndmask_b32_e64 v39, 0, 1, s[14:15]
	s_and_b64 s[14:15], s[2:3], s[16:17]
	v_cndmask_b32_e64 v51, 0, 1, s[14:15]
	s_and_b64 s[14:15], s[2:3], s[18:19]
	s_and_b64 s[2:3], s[2:3], s[20:21]
	v_cndmask_b32_e64 v55, 0, 1, s[2:3]
	v_cmp_ne_u32_e64 s[2:3], 0, v39
	v_cndmask_b32_e64 v54, 0, 1, s[14:15]
	v_cmp_ne_u32_e64 s[14:15], 0, v51
	s_bcnt1_i32_b64 s98, s[2:3]
	v_cmp_ne_u32_e64 s[16:17], 0, v54
	v_lshl_add_u64 v[4:5], s[98:99], 0, v[4:5]
	s_bcnt1_i32_b64 s98, s[14:15]
	v_cmp_ne_u32_e64 s[18:19], 0, v55
	v_lshl_add_u64 v[6:7], s[98:99], 0, v[6:7]
	s_bcnt1_i32_b64 s98, s[16:17]
	v_lshl_add_u64 v[8:9], s[98:99], 0, v[8:9]
	s_bcnt1_i32_b64 s98, s[18:19]
	s_or_b64 s[0:1], vcc, s[0:1]
	v_lshl_add_u64 v[10:11], s[98:99], 0, v[10:11]
	s_andn2_b64 exec, exec, s[0:1]
	s_cbranch_execnz .LBB38_88
; %bb.89:                               ;   in Loop: Header=BB38_32 Depth=1
	s_or_b64 exec, exec, s[0:1]
.LBB38_90:                              ;   in Loop: Header=BB38_32 Depth=1
	s_or_b64 exec, exec, s[6:7]
.LBB38_91:                              ;   in Loop: Header=BB38_32 Depth=1
	s_lshl_b32 s2, s72, 6
	s_mov_b64 s[0:1], exec
	v_readlane_b32 s6, v70, 36
	v_readlane_b32 s7, v70, 37
	s_and_b64 s[6:7], s[0:1], s[6:7]
	s_mov_b64 exec, s[6:7]
	s_cbranch_execz .LBB38_93
; %bb.92:                               ;   in Loop: Header=BB38_32 Depth=1
	v_lshl_add_u32 v2, s2, 3, v44
	ds_write_b128 v2, v[4:7]
	ds_write_b128 v2, v[8:11] offset:16
.LBB38_93:                              ;   in Loop: Header=BB38_32 Depth=1
	s_or_b64 exec, exec, s[0:1]
	s_waitcnt lgkmcnt(0)
	s_barrier
	s_and_saveexec_b64 s[0:1], s[94:95]
	s_cbranch_execz .LBB38_107
; %bb.94:                               ;   in Loop: Header=BB38_32 Depth=1
	v_readlane_b32 s6, v70, 46
	v_readlane_b32 s7, v70, 47
	s_andn2_b64 vcc, exec, s[6:7]
	v_mov_b64_e32 v[4:5], 0
	s_cbranch_vccnz .LBB38_106
; %bb.95:                               ;   in Loop: Header=BB38_32 Depth=1
	v_readlane_b32 s6, v70, 56
	v_readlane_b32 s7, v70, 57
	s_andn2_b64 vcc, exec, s[6:7]
	s_cbranch_vccnz .LBB38_102
; %bb.96:                               ;   in Loop: Header=BB38_32 Depth=1
	v_lshl_add_u32 v2, s72, 9, v46
	v_mov_b64_e32 v[4:5], 0
	s_mov_b32 s3, 0
.LBB38_97:                              ;   Parent Loop BB38_32 Depth=1
                                        ; =>  This Inner Loop Header: Depth=2
	ds_read2_b64 v[6:9], v2 offset1:4
	ds_read2_b64 v[36:39], v2 offset0:8 offset1:12
	ds_read2_b64 v[54:57], v2 offset0:16 offset1:20
	;; [unrolled: 1-line block ×3, first 2 shown]
	s_add_i32 s3, s3, 8
	s_waitcnt lgkmcnt(3)
	v_lshl_add_u64 v[4:5], v[6:7], 0, v[4:5]
	v_lshl_add_u64 v[4:5], v[8:9], 0, v[4:5]
	s_waitcnt lgkmcnt(2)
	v_lshl_add_u64 v[4:5], v[36:37], 0, v[4:5]
	v_lshl_add_u64 v[4:5], v[38:39], 0, v[4:5]
	;; [unrolled: 3-line block ×3, first 2 shown]
	s_waitcnt lgkmcnt(0)
	v_lshl_add_u64 v[4:5], v[58:59], 0, v[4:5]
	v_add_u32_e32 v2, 0x100, v2
	s_cmp_eq_u32 s73, s3
	v_lshl_add_u64 v[4:5], v[60:61], 0, v[4:5]
	s_cbranch_scc0 .LBB38_97
; %bb.98:                               ;   in Loop: Header=BB38_32 Depth=1
	s_mov_b32 s3, s73
	s_branch .LBB38_103
.LBB38_99:                              ;   in Loop: Header=BB38_32 Depth=1
	s_or_b64 exec, exec, s[6:7]
	s_waitcnt lgkmcnt(0)
	s_barrier
	s_mov_b64 s[2:3], exec
	v_readlane_b32 s6, v70, 32
	v_readlane_b32 s7, v70, 33
	s_and_b64 s[6:7], s[2:3], s[6:7]
	s_mov_b64 exec, s[6:7]
	s_cbranch_execz .LBB38_101
; %bb.100:                              ;   in Loop: Header=BB38_32 Depth=1
	ds_read_b32 v4, v3 offset:5136
	s_waitcnt lgkmcnt(0)
	v_ashrrev_i32_e32 v5, 31, v4
	ds_write_b64 v3, v[4:5] offset:5120
.LBB38_101:                             ;   in Loop: Header=BB38_32 Depth=1
	s_or_b64 exec, exec, s[2:3]
	s_waitcnt lgkmcnt(0)
	s_barrier
	s_mov_b64 s[2:3], -1
	s_and_b64 vcc, exec, s[0:1]
	s_cbranch_vccnz .LBB38_47
	s_branch .LBB38_62
.LBB38_102:                             ;   in Loop: Header=BB38_32 Depth=1
	s_mov_b32 s3, 0
	v_mov_b64_e32 v[4:5], 0
.LBB38_103:                             ;   in Loop: Header=BB38_32 Depth=1
	v_readlane_b32 s6, v70, 59
	v_readlane_b32 s7, v70, 60
	s_andn2_b64 vcc, exec, s[6:7]
	s_cbranch_vccnz .LBB38_106
; %bb.104:                              ;   in Loop: Header=BB38_32 Depth=1
	s_lshl_b32 s6, s72, 9
	s_lshl_b32 s3, s3, 5
	s_add_i32 s6, s6, s3
	v_add_u32_e32 v2, s6, v46
	v_readlane_b32 s3, v70, 58
.LBB38_105:                             ;   Parent Loop BB38_32 Depth=1
                                        ; =>  This Inner Loop Header: Depth=2
	ds_read_b64 v[6:7], v2
	s_add_i32 s3, s3, -1
	v_add_u32_e32 v2, 32, v2
	s_cmp_lg_u32 s3, 0
	s_waitcnt lgkmcnt(0)
	v_lshl_add_u64 v[4:5], v[6:7], 0, v[4:5]
	s_cbranch_scc1 .LBB38_105
.LBB38_106:                             ;   in Loop: Header=BB38_32 Depth=1
	v_add_lshl_u32 v2, s2, v40, 3
	ds_write_b64 v2, v[4:5] offset:3072
.LBB38_107:                             ;   in Loop: Header=BB38_32 Depth=1
	s_or_b64 exec, exec, s[0:1]
	s_lshl_b32 s0, s2, 3
	v_mov_b32_e32 v2, s0
	s_waitcnt lgkmcnt(0)
	s_barrier
	ds_read_b128 v[8:11], v2 offset:3088
	ds_read_b128 v[4:7], v2 offset:3072
	s_lshl_b32 s66, 3, s33
	v_cmp_eq_u64_e64 s[2:3], 1, v[34:35]
	s_not_b32 s52, s66
	s_waitcnt lgkmcnt(1)
	v_readfirstlane_b32 s22, v8
	s_waitcnt lgkmcnt(0)
	v_cmp_eq_u64_e32 vcc, 1, v[4:5]
	v_readfirstlane_b32 s23, v9
	v_readfirstlane_b32 s14, v10
	;; [unrolled: 1-line block ×3, first 2 shown]
	s_and_b64 s[18:19], vcc, s[2:3]
	s_mov_b64 s[2:3], -1
	s_mov_b64 s[12:13], -1
                                        ; implicit-def: $sgpr6_sgpr7
                                        ; implicit-def: $sgpr0_sgpr1
	s_and_saveexec_b64 s[16:17], s[18:19]
	s_cbranch_execz .LBB38_139
; %bb.108:                              ;   in Loop: Header=BB38_32 Depth=1
	ds_read_b64 v[8:9], v3 offset:5120
	s_waitcnt lgkmcnt(0)
	s_barrier
	v_readfirstlane_b32 s20, v8
	v_readfirstlane_b32 s21, v9
	s_mov_b64 s[0:1], exec
	v_readlane_b32 s6, v70, 38
	v_readlane_b32 s7, v70, 39
	s_and_b64 s[6:7], s[0:1], s[6:7]
	s_mov_b64 exec, s[6:7]
; %bb.109:                              ;   in Loop: Header=BB38_32 Depth=1
	ds_write_b16 v42, v3
; %bb.110:                              ;   in Loop: Header=BB38_32 Depth=1
	s_or_b64 exec, exec, s[0:1]
	v_cmp_lt_i64_e64 s[12:13], s[20:21], 1
	v_and_b32_e32 v47, s52, v47
	v_or_b32_e32 v49, s66, v49
	s_mov_b64 s[0:1], -1
	s_mov_b64 s[6:7], 0
	s_and_b64 vcc, exec, s[12:13]
	s_mov_b64 s[12:13], 0
	s_mov_b64 s[24:25], -1
	s_waitcnt lgkmcnt(0)
	s_barrier
                                        ; implicit-def: $vgpr50
	s_cbranch_vccz .LBB38_124
; %bb.111:                              ;   in Loop: Header=BB38_32 Depth=1
	s_mov_b32 s76, s99
	s_cmp_lg_u64 s[76:77], 0
	s_cbranch_scc0 .LBB38_165
; %bb.112:                              ;   in Loop: Header=BB38_32 Depth=1
	s_add_u32 s12, s96, 0
	s_addc_u32 s13, 0, 0
	s_xor_b64 s[12:13], s[12:13], 0
	v_cvt_f32_u32_e32 v2, s12
	v_cvt_f32_u32_e32 v8, s13
	s_sub_u32 s26, 0, s12
	s_subb_u32 s27, 0, s13
	v_fmac_f32_e32 v2, 0x4f800000, v8
	v_rcp_f32_e32 v2, v2
	s_nop 0
	v_mul_f32_e32 v2, 0x5f7ffffc, v2
	v_mul_f32_e32 v8, 0x2f800000, v2
	v_trunc_f32_e32 v8, v8
	v_fmac_f32_e32 v2, 0xcf800000, v8
	v_cvt_u32_f32_e32 v8, v8
	v_cvt_u32_f32_e32 v2, v2
	v_readfirstlane_b32 s28, v8
	v_readfirstlane_b32 s24, v2
	s_mul_i32 s25, s26, s28
	s_mul_hi_u32 s34, s26, s24
	s_mul_i32 s29, s27, s24
	s_add_i32 s25, s34, s25
	s_mul_i32 s35, s26, s24
	s_add_i32 s25, s25, s29
	s_mul_i32 s34, s24, s25
	s_mul_hi_u32 s36, s24, s35
	s_mul_hi_u32 s29, s24, s25
	s_add_u32 s34, s36, s34
	s_addc_u32 s29, 0, s29
	s_mul_hi_u32 s37, s28, s35
	s_mul_i32 s35, s28, s35
	s_add_u32 s34, s34, s35
	s_mul_hi_u32 s36, s28, s25
	s_addc_u32 s29, s29, s37
	s_addc_u32 s34, s36, 0
	s_mul_i32 s25, s28, s25
	s_add_u32 s25, s29, s25
	s_addc_u32 s29, 0, s34
	s_add_u32 s34, s24, s25
	s_cselect_b64 s[24:25], -1, 0
	s_cmp_lg_u64 s[24:25], 0
	s_addc_u32 s28, s28, s29
	s_mul_i32 s24, s26, s28
	s_mul_hi_u32 s25, s26, s34
	s_add_i32 s24, s25, s24
	s_mul_i32 s27, s27, s34
	s_add_i32 s24, s24, s27
	s_mul_i32 s26, s26, s34
	s_mul_hi_u32 s27, s28, s26
	s_mul_i32 s29, s28, s26
	s_mul_i32 s36, s34, s24
	s_mul_hi_u32 s26, s34, s26
	s_mul_hi_u32 s35, s34, s24
	s_add_u32 s26, s26, s36
	s_addc_u32 s35, 0, s35
	s_add_u32 s26, s26, s29
	s_mul_hi_u32 s25, s28, s24
	s_addc_u32 s26, s35, s27
	s_addc_u32 s25, s25, 0
	s_mul_i32 s24, s28, s24
	s_add_u32 s24, s26, s24
	s_addc_u32 s26, 0, s25
	s_add_u32 s29, s34, s24
	s_cselect_b64 s[24:25], -1, 0
	s_cmp_lg_u64 s[24:25], 0
	s_addc_u32 s28, s28, s26
	s_ashr_i32 s24, s77, 31
	s_add_u32 s26, s74, s24
	s_mov_b32 s25, s24
	s_addc_u32 s27, s77, s24
	s_xor_b64 s[26:27], s[26:27], s[24:25]
	s_mul_i32 s35, s26, s28
	s_mul_hi_u32 s36, s26, s29
	s_mul_hi_u32 s34, s26, s28
	s_add_u32 s35, s36, s35
	s_addc_u32 s34, 0, s34
	s_mul_hi_u32 s37, s27, s29
	s_mul_i32 s29, s27, s29
	s_add_u32 s29, s35, s29
	s_mul_hi_u32 s36, s27, s28
	s_addc_u32 s29, s34, s37
	s_addc_u32 s34, s36, 0
	s_mul_i32 s28, s27, s28
	s_add_u32 s28, s29, s28
	s_addc_u32 s29, 0, s34
	s_mul_i32 s29, s12, s29
	s_mul_hi_u32 s34, s12, s28
	s_add_i32 s29, s34, s29
	s_mul_i32 s34, s13, s28
	s_add_i32 s36, s29, s34
	s_sub_i32 s34, s27, s36
	s_mul_i32 s28, s12, s28
	s_sub_u32 s26, s26, s28
	s_cselect_b64 s[28:29], -1, 0
	s_cmp_lg_u64 s[28:29], 0
	s_subb_u32 s37, s34, s13
	s_sub_u32 s38, s26, s12
	s_cselect_b64 s[34:35], -1, 0
	s_cmp_lg_u64 s[34:35], 0
	s_subb_u32 s39, s37, 0
	s_cmp_ge_u32 s39, s13
	s_cselect_b32 s40, -1, 0
	s_cmp_ge_u32 s38, s12
	s_cselect_b32 s41, -1, 0
	s_cmp_eq_u32 s39, s13
	s_cselect_b32 s40, s41, s40
	s_cmp_lg_u64 s[34:35], 0
	s_subb_u32 s37, s37, s13
	s_sub_u32 s41, s38, s12
	s_cselect_b64 s[34:35], -1, 0
	s_cmp_lg_u64 s[34:35], 0
	s_subb_u32 s34, s37, 0
	s_cmp_lg_u32 s40, 0
	s_cselect_b32 s35, s41, s38
	s_cselect_b32 s34, s34, s39
	s_cmp_lg_u64 s[28:29], 0
	s_subb_u32 s27, s27, s36
	s_cmp_ge_u32 s27, s13
	s_cselect_b32 s28, -1, 0
	s_cmp_ge_u32 s26, s12
	s_cselect_b32 s12, -1, 0
	s_cmp_eq_u32 s27, s13
	s_cselect_b32 s12, s12, s28
	s_cmp_lg_u32 s12, 0
	s_cselect_b32 s13, s34, s27
	s_cselect_b32 s12, s35, s26
	s_xor_b64 s[12:13], s[12:13], s[24:25]
	s_sub_u32 s12, s12, s24
	s_subb_u32 s13, s13, s24
	s_cbranch_execnz .LBB38_114
.LBB38_113:                             ;   in Loop: Header=BB38_32 Depth=1
	v_cvt_f32_u32_e32 v2, s96
	s_sub_i32 s12, 0, s96
	v_rcp_iflag_f32_e32 v2, v2
	s_nop 0
	v_mul_f32_e32 v2, 0x4f7ffffe, v2
	v_cvt_u32_f32_e32 v2, v2
	s_nop 0
	v_readfirstlane_b32 s13, v2
	s_mul_i32 s12, s12, s13
	s_mul_hi_u32 s12, s13, s12
	s_add_i32 s13, s13, s12
	s_mul_hi_u32 s12, s74, s13
	s_mul_i32 s12, s12, s96
	s_sub_i32 s12, s74, s12
	s_sub_i32 s13, s12, s96
	s_cmp_ge_u32 s12, s96
	s_cselect_b32 s12, s13, s12
	s_sub_i32 s13, s12, s96
	s_cmp_ge_u32 s12, s96
	s_cselect_b32 s98, s13, s12
	s_mov_b64 s[12:13], s[98:99]
.LBB38_114:                             ;   in Loop: Header=BB38_32 Depth=1
	s_sub_u32 s28, s74, s12
	s_subb_u32 s29, s77, s13
	v_cmp_gt_i64_e32 vcc, s[28:29], v[0:1]
	s_mov_b64 s[24:25], 0
	s_mov_b64 s[12:13], 0
                                        ; implicit-def: $vgpr50
	s_and_saveexec_b64 s[26:27], vcc
	s_cbranch_execz .LBB38_123
; %bb.115:                              ;   in Loop: Header=BB38_32 Depth=1
	v_mov_b64_e32 v[8:9], v[12:13]
	v_mov_b64_e32 v[10:11], v[0:1]
                                        ; implicit-def: $sgpr34_sgpr35
	s_branch .LBB38_118
.LBB38_116:                             ;   in Loop: Header=BB38_118 Depth=2
	s_or_b64 exec, exec, s[36:37]
	s_waitcnt lgkmcnt(0)
	s_barrier
	ds_read_b32 v2, v3 offset:3072
	s_mov_b64 s[36:37], -1
	s_waitcnt lgkmcnt(0)
	s_barrier
	v_cmp_ne_u32_sdwa s[38:39], v2, v3 src0_sel:WORD_0 src1_sel:DWORD
	s_and_b64 vcc, exec, s[38:39]
	s_mov_b64 s[38:39], -1
	s_cbranch_vccz .LBB38_121
.LBB38_117:                             ;   in Loop: Header=BB38_118 Depth=2
	s_and_b64 s[36:37], exec, s[36:37]
	s_or_b64 s[12:13], s[36:37], s[12:13]
	s_andn2_b64 s[34:35], s[34:35], exec
	s_and_b64 s[36:37], s[38:39], exec
	s_or_b64 s[34:35], s[34:35], s[36:37]
	s_andn2_b64 exec, exec, s[12:13]
	s_cbranch_execz .LBB38_122
.LBB38_118:                             ;   Parent Loop BB38_32 Depth=1
                                        ; =>  This Inner Loop Header: Depth=2
	v_cmp_gt_i64_e32 vcc, s[56:57], v[10:11]
	s_and_saveexec_b64 s[36:37], vcc
	s_cbranch_execz .LBB38_116
; %bb.119:                              ;   in Loop: Header=BB38_118 Depth=2
	global_load_ushort v2, v[8:9], off
	s_waitcnt vmcnt(0)
	v_add_u32_sdwa v36, sext(v2), s93 dst_sel:DWORD dst_unused:UNUSED_PAD src0_sel:WORD_0 src1_sel:DWORD
	v_and_b32_e32 v36, v36, v49
	v_cmp_eq_u32_e32 vcc, v36, v47
	s_and_b64 exec, exec, vcc
	s_cbranch_execz .LBB38_116
; %bb.120:                              ;   in Loop: Header=BB38_118 Depth=2
	v_perm_b32 v2, v2, 1, v48
	ds_write_b32 v3, v2 offset:3072
	s_branch .LBB38_116
.LBB38_121:                             ;   in Loop: Header=BB38_118 Depth=2
	v_lshl_add_u64 v[10:11], v[10:11], 0, s[96:97]
	v_cmp_le_i64_e32 vcc, s[28:29], v[10:11]
	v_lshl_add_u64 v[8:9], v[8:9], 0, s[90:91]
	s_mov_b64 s[38:39], 0
	s_orn2_b64 s[36:37], vcc, exec
	s_branch .LBB38_117
.LBB38_122:                             ;   in Loop: Header=BB38_32 Depth=1
	s_or_b64 exec, exec, s[12:13]
	v_lshrrev_b32_e32 v50, 16, v2
	s_and_b64 s[12:13], s[34:35], exec
.LBB38_123:                             ;   in Loop: Header=BB38_32 Depth=1
	s_or_b64 exec, exec, s[26:27]
.LBB38_124:                             ;   in Loop: Header=BB38_32 Depth=1
	s_and_b64 vcc, exec, s[24:25]
	s_cbranch_vccz .LBB38_138
; %bb.125:                              ;   in Loop: Header=BB38_32 Depth=1
	v_readlane_b32 s0, v70, 48
	s_add_u32 s26, s20, s0
	v_readlane_b32 s0, v70, 49
	s_addc_u32 s1, s21, s0
	s_mov_b32 s0, s99
	s_cmp_lg_u64 s[0:1], 0
	s_cbranch_scc0 .LBB38_166
; %bb.126:                              ;   in Loop: Header=BB38_32 Depth=1
	s_add_u32 s6, s96, 0
	s_addc_u32 s7, 0, 0
	s_xor_b64 s[6:7], s[6:7], 0
	v_cvt_f32_u32_e32 v2, s6
	v_cvt_f32_u32_e32 v8, s7
	s_sub_u32 s0, 0, s6
	s_subb_u32 s27, 0, s7
	v_fmac_f32_e32 v2, 0x4f800000, v8
	v_rcp_f32_e32 v2, v2
	s_nop 0
	v_mul_f32_e32 v2, 0x5f7ffffc, v2
	v_mul_f32_e32 v8, 0x2f800000, v2
	v_trunc_f32_e32 v8, v8
	v_fmac_f32_e32 v2, 0xcf800000, v8
	v_cvt_u32_f32_e32 v8, v8
	v_cvt_u32_f32_e32 v2, v2
	v_readfirstlane_b32 s28, v8
	v_readfirstlane_b32 s24, v2
	s_mul_i32 s25, s0, s28
	s_mul_hi_u32 s34, s0, s24
	s_mul_i32 s29, s27, s24
	s_add_i32 s25, s34, s25
	s_mul_i32 s35, s0, s24
	s_add_i32 s25, s25, s29
	s_mul_i32 s34, s24, s25
	s_mul_hi_u32 s36, s24, s35
	s_mul_hi_u32 s29, s24, s25
	s_add_u32 s34, s36, s34
	s_addc_u32 s29, 0, s29
	s_mul_hi_u32 s37, s28, s35
	s_mul_i32 s35, s28, s35
	s_add_u32 s34, s34, s35
	s_mul_hi_u32 s36, s28, s25
	s_addc_u32 s29, s29, s37
	s_addc_u32 s34, s36, 0
	s_mul_i32 s25, s28, s25
	s_add_u32 s25, s29, s25
	s_addc_u32 s29, 0, s34
	s_add_u32 s34, s24, s25
	s_cselect_b64 s[24:25], -1, 0
	s_cmp_lg_u64 s[24:25], 0
	s_addc_u32 s28, s28, s29
	s_mul_i32 s24, s0, s28
	s_mul_hi_u32 s25, s0, s34
	s_add_i32 s24, s25, s24
	s_mul_i32 s27, s27, s34
	s_add_i32 s24, s24, s27
	s_mul_i32 s0, s0, s34
	s_mul_hi_u32 s27, s28, s0
	s_mul_i32 s29, s28, s0
	s_mul_i32 s36, s34, s24
	s_mul_hi_u32 s0, s34, s0
	s_mul_hi_u32 s35, s34, s24
	s_add_u32 s0, s0, s36
	s_addc_u32 s35, 0, s35
	s_add_u32 s0, s0, s29
	s_mul_hi_u32 s25, s28, s24
	s_addc_u32 s0, s35, s27
	s_addc_u32 s25, s25, 0
	s_mul_i32 s24, s28, s24
	s_add_u32 s0, s0, s24
	s_addc_u32 s27, 0, s25
	s_add_u32 s0, s34, s0
	s_cselect_b64 s[24:25], -1, 0
	s_cmp_lg_u64 s[24:25], 0
	s_addc_u32 s27, s28, s27
	s_ashr_i32 s24, s1, 31
	s_add_u32 s28, s26, s24
	s_mov_b32 s25, s24
	s_addc_u32 s29, s1, s24
	s_xor_b64 s[28:29], s[28:29], s[24:25]
	s_mul_i32 s35, s28, s27
	s_mul_hi_u32 s36, s28, s0
	s_mul_hi_u32 s34, s28, s27
	s_add_u32 s35, s36, s35
	s_addc_u32 s34, 0, s34
	s_mul_hi_u32 s37, s29, s0
	s_mul_i32 s0, s29, s0
	s_add_u32 s0, s35, s0
	s_mul_hi_u32 s36, s29, s27
	s_addc_u32 s0, s34, s37
	s_addc_u32 s34, s36, 0
	s_mul_i32 s27, s29, s27
	s_add_u32 s0, s0, s27
	s_addc_u32 s27, 0, s34
	s_mul_i32 s27, s6, s27
	s_mul_hi_u32 s34, s6, s0
	s_add_i32 s27, s34, s27
	s_mul_i32 s34, s7, s0
	s_add_i32 s27, s27, s34
	s_sub_i32 s36, s29, s27
	s_mul_i32 s0, s6, s0
	s_sub_u32 s0, s28, s0
	s_cselect_b64 s[34:35], -1, 0
	s_cmp_lg_u64 s[34:35], 0
	s_subb_u32 s28, s36, s7
	s_sub_u32 s38, s0, s6
	s_cselect_b64 s[36:37], -1, 0
	s_cmp_lg_u64 s[36:37], 0
	s_subb_u32 s39, s28, 0
	s_cmp_ge_u32 s39, s7
	s_cselect_b32 s40, -1, 0
	s_cmp_ge_u32 s38, s6
	s_cselect_b32 s41, -1, 0
	s_cmp_eq_u32 s39, s7
	s_cselect_b32 s40, s41, s40
	s_cmp_lg_u64 s[36:37], 0
	s_subb_u32 s28, s28, s7
	s_sub_u32 s41, s38, s6
	s_cselect_b64 s[36:37], -1, 0
	s_cmp_lg_u64 s[36:37], 0
	s_subb_u32 s28, s28, 0
	s_cmp_lg_u32 s40, 0
	s_cselect_b32 s36, s41, s38
	s_cselect_b32 s28, s28, s39
	s_cmp_lg_u64 s[34:35], 0
	s_subb_u32 s27, s29, s27
	s_cmp_ge_u32 s27, s7
	s_cselect_b32 s29, -1, 0
	s_cmp_ge_u32 s0, s6
	s_cselect_b32 s6, -1, 0
	s_cmp_eq_u32 s27, s7
	s_cselect_b32 s6, s6, s29
	s_cmp_lg_u32 s6, 0
	s_cselect_b32 s7, s28, s27
	s_cselect_b32 s6, s36, s0
	s_xor_b64 s[6:7], s[6:7], s[24:25]
	s_sub_u32 s6, s6, s24
	s_subb_u32 s7, s7, s24
	s_cbranch_execnz .LBB38_128
.LBB38_127:                             ;   in Loop: Header=BB38_32 Depth=1
	v_cvt_f32_u32_e32 v2, s96
	s_sub_i32 s0, 0, s96
	v_rcp_iflag_f32_e32 v2, v2
	s_nop 0
	v_mul_f32_e32 v2, 0x4f7ffffe, v2
	v_cvt_u32_f32_e32 v2, v2
	s_nop 0
	v_readfirstlane_b32 s6, v2
	s_mul_i32 s0, s0, s6
	s_mul_hi_u32 s0, s6, s0
	s_add_i32 s6, s6, s0
	s_mul_hi_u32 s0, s26, s6
	s_mul_i32 s0, s0, s96
	s_sub_i32 s0, s26, s0
	s_sub_i32 s6, s0, s96
	s_cmp_ge_u32 s0, s96
	s_cselect_b32 s0, s6, s0
	s_sub_i32 s6, s0, s96
	s_cmp_ge_u32 s0, s96
	s_cselect_b32 s98, s6, s0
	s_mov_b64 s[6:7], s[98:99]
.LBB38_128:                             ;   in Loop: Header=BB38_32 Depth=1
	s_sub_u32 s6, s26, s6
	s_subb_u32 s7, s1, s7
	v_cmp_gt_i64_e32 vcc, s[6:7], v[0:1]
                                        ; implicit-def: $vgpr50
	s_and_saveexec_b64 s[0:1], vcc
	s_cbranch_execz .LBB38_137
; %bb.129:                              ;   in Loop: Header=BB38_32 Depth=1
	s_mov_b64 s[24:25], 0
	v_mov_b32_e32 v2, v41
	v_mov_b64_e32 v[8:9], v[0:1]
                                        ; implicit-def: $sgpr26_sgpr27
	s_branch .LBB38_132
.LBB38_130:                             ;   in Loop: Header=BB38_132 Depth=2
	s_or_b64 exec, exec, s[28:29]
	s_waitcnt lgkmcnt(0)
	s_barrier
	ds_read_b32 v10, v3 offset:3072
	s_mov_b64 s[28:29], -1
	s_waitcnt lgkmcnt(0)
	s_barrier
	v_cmp_ne_u32_sdwa s[34:35], v10, v3 src0_sel:WORD_0 src1_sel:DWORD
	s_and_b64 vcc, exec, s[34:35]
	s_mov_b64 s[34:35], -1
	s_cbranch_vccz .LBB38_135
.LBB38_131:                             ;   in Loop: Header=BB38_132 Depth=2
	s_and_b64 s[28:29], exec, s[28:29]
	s_or_b64 s[24:25], s[28:29], s[24:25]
	s_andn2_b64 s[26:27], s[26:27], exec
	s_and_b64 s[28:29], s[34:35], exec
	s_or_b64 s[26:27], s[26:27], s[28:29]
	s_andn2_b64 exec, exec, s[24:25]
	s_cbranch_execz .LBB38_136
.LBB38_132:                             ;   Parent Loop BB38_32 Depth=1
                                        ; =>  This Inner Loop Header: Depth=2
	v_cmp_gt_u64_e32 vcc, s[20:21], v[8:9]
	s_and_saveexec_b64 s[28:29], vcc
	s_cbranch_execz .LBB38_130
; %bb.133:                              ;   in Loop: Header=BB38_132 Depth=2
	ds_read_u16 v10, v2
	s_waitcnt lgkmcnt(0)
	v_add_u32_sdwa v11, sext(v10), s93 dst_sel:DWORD dst_unused:UNUSED_PAD src0_sel:WORD_0 src1_sel:DWORD
	v_and_b32_e32 v11, v11, v49
	v_cmp_eq_u32_e32 vcc, v11, v47
	s_and_b64 exec, exec, vcc
	s_cbranch_execz .LBB38_130
; %bb.134:                              ;   in Loop: Header=BB38_132 Depth=2
	v_perm_b32 v10, v10, 1, v48
	ds_write_b32 v3, v10 offset:3072
	s_branch .LBB38_130
.LBB38_135:                             ;   in Loop: Header=BB38_132 Depth=2
	v_lshl_add_u64 v[8:9], v[8:9], 0, s[96:97]
	v_cmp_le_i64_e32 vcc, s[6:7], v[8:9]
	v_add_u32_e32 v2, s92, v2
	s_mov_b64 s[34:35], 0
	s_orn2_b64 s[28:29], vcc, exec
	s_branch .LBB38_131
.LBB38_136:                             ;   in Loop: Header=BB38_32 Depth=1
	s_or_b64 exec, exec, s[24:25]
	s_andn2_b64 s[6:7], s[12:13], exec
	s_and_b64 s[12:13], s[26:27], exec
	v_lshrrev_b32_e32 v50, 16, v10
	s_or_b64 s[12:13], s[6:7], s[12:13]
.LBB38_137:                             ;   in Loop: Header=BB38_32 Depth=1
	s_or_b64 exec, exec, s[0:1]
	s_mov_b64 s[0:1], 0
	s_mov_b64 s[6:7], -1
.LBB38_138:                             ;   in Loop: Header=BB38_32 Depth=1
	s_orn2_b64 s[12:13], s[12:13], exec
.LBB38_139:                             ;   in Loop: Header=BB38_32 Depth=1
	s_or_b64 exec, exec, s[16:17]
	s_andn2_b64 s[16:17], s[4:5], exec
	s_and_b64 s[6:7], s[6:7], exec
	s_or_b64 s[8:9], s[16:17], s[6:7]
	s_andn2_b64 s[6:7], s[30:31], exec
	s_and_b64 s[0:1], s[0:1], exec
	s_andn2_b64 s[70:71], s[70:71], exec
	s_or_b64 s[30:31], s[6:7], s[0:1]
                                        ; implicit-def: $vgpr8_vgpr9
	s_and_saveexec_b64 s[16:17], s[12:13]
	s_cbranch_execz .LBB38_31
; %bb.140:                              ;   in Loop: Header=BB38_32 Depth=1
	s_xor_b64 s[2:3], s[18:19], -1
	v_mov_b32_e32 v2, 1
	s_mov_b64 s[6:7], 0
	v_mov_b64_e32 v[8:9], 1
	s_and_saveexec_b64 s[0:1], s[2:3]
	s_cbranch_execz .LBB38_149
; %bb.141:                              ;   in Loop: Header=BB38_32 Depth=1
	v_cmp_le_i64_e32 vcc, v[34:35], v[4:5]
	s_and_saveexec_b64 s[2:3], vcc
	s_xor_b64 s[2:3], exec, s[2:3]
	s_cbranch_execz .LBB38_146
; %bb.142:                              ;   in Loop: Header=BB38_32 Depth=1
	ds_read_b64 v[8:9], v3 offset:5120
	v_and_b32_e32 v47, s52, v47
	v_or_b32_e32 v49, s66, v49
	s_waitcnt lgkmcnt(0)
	v_cmp_ne_u64_e32 vcc, 0, v[8:9]
	s_cbranch_vccnz .LBB38_146
; %bb.143:                              ;   in Loop: Header=BB38_32 Depth=1
	s_mov_b64 s[6:7], exec
	v_readlane_b32 s12, v70, 32
	v_readlane_b32 s13, v70, 33
	s_and_b64 s[12:13], s[6:7], s[12:13]
	s_mov_b64 exec, s[12:13]
; %bb.144:                              ;   in Loop: Header=BB38_32 Depth=1
	ds_write_b64 v3, v[4:5] offset:5128
; %bb.145:                              ;   in Loop: Header=BB38_32 Depth=1
	s_or_b64 exec, exec, s[6:7]
	s_waitcnt lgkmcnt(0)
	s_barrier
.LBB38_146:                             ;   in Loop: Header=BB38_32 Depth=1
	s_or_saveexec_b64 s[2:3], s[2:3]
	s_mov_b64 s[6:7], 0
	v_mov_b32_e32 v2, 8
	s_xor_b64 exec, exec, s[2:3]
; %bb.147:                              ;   in Loop: Header=BB38_32 Depth=1
	v_sub_co_u32_e32 v34, vcc, v34, v4
	s_mov_b64 s[6:7], exec
	s_nop 0
	v_subb_co_u32_e32 v35, vcc, v35, v5, vcc
	v_mov_b32_e32 v2, 0
; %bb.148:                              ;   in Loop: Header=BB38_32 Depth=1
	s_or_b64 exec, exec, s[2:3]
	s_and_b64 s[6:7], s[6:7], exec
	v_mov_b64_e32 v[8:9], v[34:35]
.LBB38_149:                             ;   in Loop: Header=BB38_32 Depth=1
	s_or_b64 exec, exec, s[0:1]
	s_mov_b64 s[18:19], -1
	s_mov_b64 s[0:1], -1
                                        ; implicit-def: $sgpr2_sgpr3
                                        ; implicit-def: $sgpr24_sgpr25
	s_and_saveexec_b64 s[12:13], s[6:7]
	s_xor_b64 s[20:21], exec, s[12:13]
	s_cbranch_execz .LBB38_291
; %bb.150:                              ;   in Loop: Header=BB38_32 Depth=1
	v_cmp_eq_u64_e32 vcc, 1, v[6:7]
	v_cmp_eq_u64_e64 s[2:3], 1, v[8:9]
	s_and_b64 s[28:29], vcc, s[2:3]
                                        ; implicit-def: $sgpr24_sgpr25
                                        ; implicit-def: $sgpr2_sgpr3
	s_and_saveexec_b64 s[26:27], s[28:29]
	s_cbranch_execz .LBB38_184
; %bb.151:                              ;   in Loop: Header=BB38_32 Depth=1
	ds_read_b64 v[4:5], v3 offset:5120
	s_waitcnt lgkmcnt(0)
	s_barrier
	v_readfirstlane_b32 s34, v4
	v_readfirstlane_b32 s35, v5
	s_mov_b64 s[0:1], exec
	v_readlane_b32 s2, v70, 38
	v_readlane_b32 s3, v70, 39
	s_and_b64 s[2:3], s[0:1], s[2:3]
	s_mov_b64 exec, s[2:3]
; %bb.152:                              ;   in Loop: Header=BB38_32 Depth=1
	ds_write_b16 v42, v3
; %bb.153:                              ;   in Loop: Header=BB38_32 Depth=1
	s_or_b64 exec, exec, s[0:1]
	v_and_b32_e32 v4, s52, v47
	v_cmp_gt_i64_e64 s[0:1], s[34:35], 0
	v_lshl_or_b32 v47, 1, s33, v4
	v_or_b32_e32 v49, s66, v49
	s_mov_b64 s[2:3], -1
	s_mov_b64 s[24:25], 0
	s_and_b64 vcc, exec, s[0:1]
	s_mov_b64 s[0:1], 0
	s_mov_b64 s[6:7], -1
	s_waitcnt lgkmcnt(0)
	s_barrier
                                        ; implicit-def: $vgpr50
	s_cbranch_vccnz .LBB38_169
; %bb.154:                              ;   in Loop: Header=BB38_32 Depth=1
	s_mov_b32 s76, s99
	s_cmp_lg_u64 s[76:77], 0
	s_cbranch_scc0 .LBB38_211
; %bb.155:                              ;   in Loop: Header=BB38_32 Depth=1
	s_add_u32 s0, s96, 0
	s_addc_u32 s1, 0, 0
	s_xor_b64 s[0:1], s[0:1], 0
	v_cvt_f32_u32_e32 v4, s0
	v_cvt_f32_u32_e32 v5, s1
	s_sub_u32 s12, 0, s0
	s_subb_u32 s13, 0, s1
	v_fmac_f32_e32 v4, 0x4f800000, v5
	v_rcp_f32_e32 v4, v4
	s_nop 0
	v_mul_f32_e32 v4, 0x5f7ffffc, v4
	v_mul_f32_e32 v5, 0x2f800000, v4
	v_trunc_f32_e32 v5, v5
	v_fmac_f32_e32 v4, 0xcf800000, v5
	v_cvt_u32_f32_e32 v5, v5
	v_cvt_u32_f32_e32 v4, v4
	v_readfirstlane_b32 s36, v5
	v_readfirstlane_b32 s6, v4
	s_mul_i32 s7, s12, s36
	s_mul_hi_u32 s38, s12, s6
	s_mul_i32 s37, s13, s6
	s_add_i32 s7, s38, s7
	s_mul_i32 s39, s12, s6
	s_add_i32 s7, s7, s37
	s_mul_i32 s38, s6, s7
	s_mul_hi_u32 s40, s6, s39
	s_mul_hi_u32 s37, s6, s7
	s_add_u32 s38, s40, s38
	s_addc_u32 s37, 0, s37
	s_mul_hi_u32 s41, s36, s39
	s_mul_i32 s39, s36, s39
	s_add_u32 s38, s38, s39
	s_mul_hi_u32 s40, s36, s7
	s_addc_u32 s37, s37, s41
	s_addc_u32 s38, s40, 0
	s_mul_i32 s7, s36, s7
	s_add_u32 s7, s37, s7
	s_addc_u32 s37, 0, s38
	s_add_u32 s38, s6, s7
	s_cselect_b64 s[6:7], -1, 0
	s_cmp_lg_u64 s[6:7], 0
	s_addc_u32 s36, s36, s37
	s_mul_i32 s6, s12, s36
	s_mul_hi_u32 s7, s12, s38
	s_add_i32 s6, s7, s6
	s_mul_i32 s13, s13, s38
	s_add_i32 s6, s6, s13
	s_mul_i32 s12, s12, s38
	s_mul_hi_u32 s13, s36, s12
	s_mul_i32 s37, s36, s12
	s_mul_i32 s40, s38, s6
	s_mul_hi_u32 s12, s38, s12
	s_mul_hi_u32 s39, s38, s6
	s_add_u32 s12, s12, s40
	s_addc_u32 s39, 0, s39
	s_add_u32 s12, s12, s37
	s_mul_hi_u32 s7, s36, s6
	s_addc_u32 s12, s39, s13
	s_addc_u32 s7, s7, 0
	s_mul_i32 s6, s36, s6
	s_add_u32 s6, s12, s6
	s_addc_u32 s12, 0, s7
	s_add_u32 s37, s38, s6
	s_cselect_b64 s[6:7], -1, 0
	s_cmp_lg_u64 s[6:7], 0
	s_addc_u32 s36, s36, s12
	s_ashr_i32 s6, s77, 31
	s_add_u32 s12, s74, s6
	s_mov_b32 s7, s6
	s_addc_u32 s13, s77, s6
	s_xor_b64 s[12:13], s[12:13], s[6:7]
	s_mul_i32 s39, s12, s36
	s_mul_hi_u32 s40, s12, s37
	s_mul_hi_u32 s38, s12, s36
	s_add_u32 s39, s40, s39
	s_addc_u32 s38, 0, s38
	s_mul_hi_u32 s41, s13, s37
	s_mul_i32 s37, s13, s37
	s_add_u32 s37, s39, s37
	s_mul_hi_u32 s40, s13, s36
	s_addc_u32 s37, s38, s41
	s_addc_u32 s38, s40, 0
	s_mul_i32 s36, s13, s36
	s_add_u32 s36, s37, s36
	s_addc_u32 s37, 0, s38
	s_mul_i32 s37, s0, s37
	s_mul_hi_u32 s38, s0, s36
	s_add_i32 s37, s38, s37
	s_mul_i32 s38, s1, s36
	s_add_i32 s40, s37, s38
	s_sub_i32 s38, s13, s40
	s_mul_i32 s36, s0, s36
	s_sub_u32 s12, s12, s36
	s_cselect_b64 s[36:37], -1, 0
	s_cmp_lg_u64 s[36:37], 0
	s_subb_u32 s41, s38, s1
	s_sub_u32 s42, s12, s0
	s_cselect_b64 s[38:39], -1, 0
	s_cmp_lg_u64 s[38:39], 0
	s_subb_u32 s43, s41, 0
	s_cmp_ge_u32 s43, s1
	s_cselect_b32 s44, -1, 0
	s_cmp_ge_u32 s42, s0
	s_cselect_b32 s45, -1, 0
	s_cmp_eq_u32 s43, s1
	s_cselect_b32 s44, s45, s44
	s_cmp_lg_u64 s[38:39], 0
	s_subb_u32 s41, s41, s1
	s_sub_u32 s45, s42, s0
	s_cselect_b64 s[38:39], -1, 0
	s_cmp_lg_u64 s[38:39], 0
	s_subb_u32 s38, s41, 0
	s_cmp_lg_u32 s44, 0
	s_cselect_b32 s39, s45, s42
	s_cselect_b32 s38, s38, s43
	s_cmp_lg_u64 s[36:37], 0
	s_subb_u32 s13, s13, s40
	s_cmp_ge_u32 s13, s1
	s_cselect_b32 s36, -1, 0
	s_cmp_ge_u32 s12, s0
	s_cselect_b32 s0, -1, 0
	s_cmp_eq_u32 s13, s1
	s_cselect_b32 s0, s0, s36
	s_cmp_lg_u32 s0, 0
	s_cselect_b32 s1, s38, s13
	s_cselect_b32 s0, s39, s12
	s_xor_b64 s[0:1], s[0:1], s[6:7]
	s_sub_u32 s0, s0, s6
	s_subb_u32 s1, s1, s6
	s_cbranch_execnz .LBB38_157
.LBB38_156:                             ;   in Loop: Header=BB38_32 Depth=1
	v_cvt_f32_u32_e32 v4, s96
	s_sub_i32 s0, 0, s96
	v_rcp_iflag_f32_e32 v4, v4
	s_nop 0
	v_mul_f32_e32 v4, 0x4f7ffffe, v4
	v_cvt_u32_f32_e32 v4, v4
	s_nop 0
	v_readfirstlane_b32 s1, v4
	s_mul_i32 s0, s0, s1
	s_mul_hi_u32 s0, s1, s0
	s_add_i32 s1, s1, s0
	s_mul_hi_u32 s0, s74, s1
	s_mul_i32 s0, s0, s96
	s_sub_i32 s0, s74, s0
	s_sub_i32 s1, s0, s96
	s_cmp_ge_u32 s0, s96
	s_cselect_b32 s0, s1, s0
	s_sub_i32 s1, s0, s96
	s_cmp_ge_u32 s0, s96
	s_cselect_b32 s98, s1, s0
	s_mov_b64 s[0:1], s[98:99]
.LBB38_157:                             ;   in Loop: Header=BB38_32 Depth=1
	s_sub_u32 s36, s74, s0
	s_subb_u32 s37, s77, s1
	v_cmp_gt_i64_e32 vcc, s[36:37], v[0:1]
	s_mov_b64 s[6:7], 0
	s_mov_b64 s[0:1], 0
                                        ; implicit-def: $vgpr50
	s_and_saveexec_b64 s[12:13], vcc
	s_cbranch_execz .LBB38_168
; %bb.158:                              ;   in Loop: Header=BB38_32 Depth=1
	v_mov_b64_e32 v[4:5], v[12:13]
	v_mov_b64_e32 v[10:11], v[0:1]
                                        ; implicit-def: $sgpr38_sgpr39
	s_branch .LBB38_161
.LBB38_159:                             ;   in Loop: Header=BB38_161 Depth=2
	s_or_b64 exec, exec, s[40:41]
	s_waitcnt lgkmcnt(0)
	s_barrier
	ds_read_b32 v34, v3 offset:3072
	s_mov_b64 s[40:41], -1
	s_waitcnt lgkmcnt(0)
	s_barrier
	v_cmp_ne_u32_sdwa s[42:43], v34, v3 src0_sel:WORD_0 src1_sel:DWORD
	s_and_b64 vcc, exec, s[42:43]
	s_mov_b64 s[42:43], -1
	s_cbranch_vccz .LBB38_164
.LBB38_160:                             ;   in Loop: Header=BB38_161 Depth=2
	s_and_b64 s[40:41], exec, s[40:41]
	s_or_b64 s[0:1], s[40:41], s[0:1]
	s_andn2_b64 s[38:39], s[38:39], exec
	s_and_b64 s[40:41], s[42:43], exec
	s_or_b64 s[38:39], s[38:39], s[40:41]
	s_andn2_b64 exec, exec, s[0:1]
	s_cbranch_execz .LBB38_167
.LBB38_161:                             ;   Parent Loop BB38_32 Depth=1
                                        ; =>  This Inner Loop Header: Depth=2
	v_cmp_gt_i64_e32 vcc, s[56:57], v[10:11]
	s_and_saveexec_b64 s[40:41], vcc
	s_cbranch_execz .LBB38_159
; %bb.162:                              ;   in Loop: Header=BB38_161 Depth=2
	global_load_ushort v34, v[4:5], off
	s_waitcnt vmcnt(0)
	v_add_u32_sdwa v35, sext(v34), s93 dst_sel:DWORD dst_unused:UNUSED_PAD src0_sel:WORD_0 src1_sel:DWORD
	v_and_b32_e32 v35, v35, v49
	v_cmp_eq_u32_e32 vcc, v35, v47
	s_and_b64 exec, exec, vcc
	s_cbranch_execz .LBB38_159
; %bb.163:                              ;   in Loop: Header=BB38_161 Depth=2
	v_perm_b32 v34, v34, 1, v48
	ds_write_b32 v3, v34 offset:3072
	s_branch .LBB38_159
.LBB38_164:                             ;   in Loop: Header=BB38_161 Depth=2
	v_lshl_add_u64 v[10:11], v[10:11], 0, s[96:97]
	v_cmp_le_i64_e32 vcc, s[36:37], v[10:11]
	v_lshl_add_u64 v[4:5], v[4:5], 0, s[90:91]
	s_mov_b64 s[42:43], 0
	s_orn2_b64 s[40:41], vcc, exec
	s_branch .LBB38_160
.LBB38_165:                             ;   in Loop: Header=BB38_32 Depth=1
                                        ; implicit-def: $sgpr12_sgpr13
	s_andn2_b64 vcc, exec, s[24:25]
	s_cbranch_vccz .LBB38_113
	s_branch .LBB38_114
.LBB38_166:                             ;   in Loop: Header=BB38_32 Depth=1
                                        ; implicit-def: $sgpr6_sgpr7
	s_branch .LBB38_127
.LBB38_167:                             ;   in Loop: Header=BB38_32 Depth=1
	s_or_b64 exec, exec, s[0:1]
	v_lshrrev_b32_e32 v50, 16, v34
	s_and_b64 s[0:1], s[38:39], exec
.LBB38_168:                             ;   in Loop: Header=BB38_32 Depth=1
	s_or_b64 exec, exec, s[12:13]
.LBB38_169:                             ;   in Loop: Header=BB38_32 Depth=1
	s_and_b64 vcc, exec, s[6:7]
	s_cbranch_vccz .LBB38_183
; %bb.170:                              ;   in Loop: Header=BB38_32 Depth=1
	v_readlane_b32 s2, v70, 48
	s_add_u32 s24, s34, s2
	v_readlane_b32 s2, v70, 49
	s_addc_u32 s3, s35, s2
	s_mov_b32 s2, s99
	s_cmp_lg_u64 s[2:3], 0
	s_cbranch_scc0 .LBB38_212
; %bb.171:                              ;   in Loop: Header=BB38_32 Depth=1
	s_add_u32 s6, s96, 0
	s_addc_u32 s7, 0, 0
	s_xor_b64 s[6:7], s[6:7], 0
	v_cvt_f32_u32_e32 v4, s6
	v_cvt_f32_u32_e32 v5, s7
	s_sub_u32 s2, 0, s6
	s_subb_u32 s25, 0, s7
	v_fmac_f32_e32 v4, 0x4f800000, v5
	v_rcp_f32_e32 v4, v4
	s_nop 0
	v_mul_f32_e32 v4, 0x5f7ffffc, v4
	v_mul_f32_e32 v5, 0x2f800000, v4
	v_trunc_f32_e32 v5, v5
	v_fmac_f32_e32 v4, 0xcf800000, v5
	v_cvt_u32_f32_e32 v5, v5
	v_cvt_u32_f32_e32 v4, v4
	v_readfirstlane_b32 s36, v5
	v_readfirstlane_b32 s12, v4
	s_mul_i32 s13, s2, s36
	s_mul_hi_u32 s38, s2, s12
	s_mul_i32 s37, s25, s12
	s_add_i32 s13, s38, s13
	s_mul_i32 s39, s2, s12
	s_add_i32 s13, s13, s37
	s_mul_i32 s38, s12, s13
	s_mul_hi_u32 s40, s12, s39
	s_mul_hi_u32 s37, s12, s13
	s_add_u32 s38, s40, s38
	s_addc_u32 s37, 0, s37
	s_mul_hi_u32 s41, s36, s39
	s_mul_i32 s39, s36, s39
	s_add_u32 s38, s38, s39
	s_mul_hi_u32 s40, s36, s13
	s_addc_u32 s37, s37, s41
	s_addc_u32 s38, s40, 0
	s_mul_i32 s13, s36, s13
	s_add_u32 s13, s37, s13
	s_addc_u32 s37, 0, s38
	s_add_u32 s38, s12, s13
	s_cselect_b64 s[12:13], -1, 0
	s_cmp_lg_u64 s[12:13], 0
	s_addc_u32 s36, s36, s37
	s_mul_i32 s12, s2, s36
	s_mul_hi_u32 s13, s2, s38
	s_add_i32 s12, s13, s12
	s_mul_i32 s25, s25, s38
	s_add_i32 s12, s12, s25
	s_mul_i32 s2, s2, s38
	s_mul_hi_u32 s25, s36, s2
	s_mul_i32 s37, s36, s2
	s_mul_i32 s40, s38, s12
	s_mul_hi_u32 s2, s38, s2
	s_mul_hi_u32 s39, s38, s12
	s_add_u32 s2, s2, s40
	s_addc_u32 s39, 0, s39
	s_add_u32 s2, s2, s37
	s_mul_hi_u32 s13, s36, s12
	s_addc_u32 s2, s39, s25
	s_addc_u32 s13, s13, 0
	s_mul_i32 s12, s36, s12
	s_add_u32 s2, s2, s12
	s_addc_u32 s25, 0, s13
	s_add_u32 s2, s38, s2
	s_cselect_b64 s[12:13], -1, 0
	s_cmp_lg_u64 s[12:13], 0
	s_addc_u32 s25, s36, s25
	s_ashr_i32 s12, s3, 31
	s_add_u32 s36, s24, s12
	s_mov_b32 s13, s12
	s_addc_u32 s37, s3, s12
	s_xor_b64 s[36:37], s[36:37], s[12:13]
	s_mul_i32 s39, s36, s25
	s_mul_hi_u32 s40, s36, s2
	s_mul_hi_u32 s38, s36, s25
	s_add_u32 s39, s40, s39
	s_addc_u32 s38, 0, s38
	s_mul_hi_u32 s41, s37, s2
	s_mul_i32 s2, s37, s2
	s_add_u32 s2, s39, s2
	s_mul_hi_u32 s40, s37, s25
	s_addc_u32 s2, s38, s41
	s_addc_u32 s38, s40, 0
	s_mul_i32 s25, s37, s25
	s_add_u32 s2, s2, s25
	s_addc_u32 s25, 0, s38
	s_mul_i32 s25, s6, s25
	s_mul_hi_u32 s38, s6, s2
	s_add_i32 s25, s38, s25
	s_mul_i32 s38, s7, s2
	s_add_i32 s25, s25, s38
	s_sub_i32 s40, s37, s25
	s_mul_i32 s2, s6, s2
	s_sub_u32 s2, s36, s2
	s_cselect_b64 s[38:39], -1, 0
	s_cmp_lg_u64 s[38:39], 0
	s_subb_u32 s36, s40, s7
	s_sub_u32 s42, s2, s6
	s_cselect_b64 s[40:41], -1, 0
	s_cmp_lg_u64 s[40:41], 0
	s_subb_u32 s43, s36, 0
	s_cmp_ge_u32 s43, s7
	s_cselect_b32 s44, -1, 0
	s_cmp_ge_u32 s42, s6
	s_cselect_b32 s45, -1, 0
	s_cmp_eq_u32 s43, s7
	s_cselect_b32 s44, s45, s44
	s_cmp_lg_u64 s[40:41], 0
	s_subb_u32 s36, s36, s7
	s_sub_u32 s45, s42, s6
	s_cselect_b64 s[40:41], -1, 0
	s_cmp_lg_u64 s[40:41], 0
	s_subb_u32 s36, s36, 0
	s_cmp_lg_u32 s44, 0
	s_cselect_b32 s40, s45, s42
	s_cselect_b32 s36, s36, s43
	s_cmp_lg_u64 s[38:39], 0
	s_subb_u32 s25, s37, s25
	s_cmp_ge_u32 s25, s7
	s_cselect_b32 s37, -1, 0
	s_cmp_ge_u32 s2, s6
	s_cselect_b32 s6, -1, 0
	s_cmp_eq_u32 s25, s7
	s_cselect_b32 s6, s6, s37
	s_cmp_lg_u32 s6, 0
	s_cselect_b32 s7, s36, s25
	s_cselect_b32 s6, s40, s2
	s_xor_b64 s[6:7], s[6:7], s[12:13]
	s_sub_u32 s6, s6, s12
	s_subb_u32 s7, s7, s12
	s_cbranch_execnz .LBB38_173
.LBB38_172:                             ;   in Loop: Header=BB38_32 Depth=1
	v_cvt_f32_u32_e32 v4, s96
	s_sub_i32 s2, 0, s96
	v_rcp_iflag_f32_e32 v4, v4
	s_nop 0
	v_mul_f32_e32 v4, 0x4f7ffffe, v4
	v_cvt_u32_f32_e32 v4, v4
	s_nop 0
	v_readfirstlane_b32 s6, v4
	s_mul_i32 s2, s2, s6
	s_mul_hi_u32 s2, s6, s2
	s_add_i32 s6, s6, s2
	s_mul_hi_u32 s2, s24, s6
	s_mul_i32 s2, s2, s96
	s_sub_i32 s2, s24, s2
	s_sub_i32 s6, s2, s96
	s_cmp_ge_u32 s2, s96
	s_cselect_b32 s2, s6, s2
	s_sub_i32 s6, s2, s96
	s_cmp_ge_u32 s2, s96
	s_cselect_b32 s98, s6, s2
	s_mov_b64 s[6:7], s[98:99]
.LBB38_173:                             ;   in Loop: Header=BB38_32 Depth=1
	s_sub_u32 s6, s24, s6
	s_subb_u32 s7, s3, s7
	v_cmp_gt_i64_e32 vcc, s[6:7], v[0:1]
                                        ; implicit-def: $vgpr50
	s_and_saveexec_b64 s[2:3], vcc
	s_cbranch_execz .LBB38_182
; %bb.174:                              ;   in Loop: Header=BB38_32 Depth=1
	s_mov_b64 s[12:13], 0
	v_mov_b32_e32 v10, v41
	v_mov_b64_e32 v[4:5], v[0:1]
                                        ; implicit-def: $sgpr24_sgpr25
	s_branch .LBB38_177
.LBB38_175:                             ;   in Loop: Header=BB38_177 Depth=2
	s_or_b64 exec, exec, s[36:37]
	s_waitcnt lgkmcnt(0)
	s_barrier
	ds_read_b32 v11, v3 offset:3072
	s_mov_b64 s[36:37], -1
	s_waitcnt lgkmcnt(0)
	s_barrier
	v_cmp_eq_u32_sdwa s[38:39], v11, v3 src0_sel:WORD_0 src1_sel:DWORD
	s_and_b64 vcc, exec, s[38:39]
	s_mov_b64 s[38:39], -1
	s_cbranch_vccnz .LBB38_180
.LBB38_176:                             ;   in Loop: Header=BB38_177 Depth=2
	s_and_b64 s[36:37], exec, s[36:37]
	s_or_b64 s[12:13], s[36:37], s[12:13]
	s_andn2_b64 s[24:25], s[24:25], exec
	s_and_b64 s[36:37], s[38:39], exec
	s_or_b64 s[24:25], s[24:25], s[36:37]
	s_andn2_b64 exec, exec, s[12:13]
	s_cbranch_execz .LBB38_181
.LBB38_177:                             ;   Parent Loop BB38_32 Depth=1
                                        ; =>  This Inner Loop Header: Depth=2
	v_cmp_gt_u64_e32 vcc, s[34:35], v[4:5]
	s_and_saveexec_b64 s[36:37], vcc
	s_cbranch_execz .LBB38_175
; %bb.178:                              ;   in Loop: Header=BB38_177 Depth=2
	ds_read_u16 v11, v10
	s_waitcnt lgkmcnt(0)
	v_add_u32_sdwa v34, sext(v11), s93 dst_sel:DWORD dst_unused:UNUSED_PAD src0_sel:WORD_0 src1_sel:DWORD
	v_and_b32_e32 v34, v34, v49
	v_cmp_eq_u32_e32 vcc, v34, v47
	s_and_b64 exec, exec, vcc
	s_cbranch_execz .LBB38_175
; %bb.179:                              ;   in Loop: Header=BB38_177 Depth=2
	v_perm_b32 v11, v11, 1, v48
	ds_write_b32 v3, v11 offset:3072
	s_branch .LBB38_175
.LBB38_180:                             ;   in Loop: Header=BB38_177 Depth=2
	v_lshl_add_u64 v[4:5], v[4:5], 0, s[96:97]
	v_cmp_le_i64_e32 vcc, s[6:7], v[4:5]
	v_add_u32_e32 v10, s92, v10
	s_mov_b64 s[38:39], 0
	s_orn2_b64 s[36:37], vcc, exec
	s_branch .LBB38_176
.LBB38_181:                             ;   in Loop: Header=BB38_32 Depth=1
	s_or_b64 exec, exec, s[12:13]
	s_andn2_b64 s[0:1], s[0:1], exec
	s_and_b64 s[6:7], s[24:25], exec
	v_lshrrev_b32_e32 v50, 16, v11
	s_or_b64 s[0:1], s[0:1], s[6:7]
.LBB38_182:                             ;   in Loop: Header=BB38_32 Depth=1
	s_or_b64 exec, exec, s[2:3]
	s_mov_b64 s[2:3], 0
	s_mov_b64 s[24:25], -1
.LBB38_183:                             ;   in Loop: Header=BB38_32 Depth=1
	s_orn2_b64 s[0:1], s[0:1], exec
.LBB38_184:                             ;   in Loop: Header=BB38_32 Depth=1
	s_or_b64 exec, exec, s[26:27]
	s_mov_b64 s[6:7], 0
	s_and_saveexec_b64 s[26:27], s[0:1]
	s_cbranch_execz .LBB38_290
; %bb.185:                              ;   in Loop: Header=BB38_32 Depth=1
	s_xor_b64 s[12:13], s[28:29], -1
	v_mov_b32_e32 v2, 1
	v_mov_b64_e32 v[4:5], 1
	s_and_saveexec_b64 s[0:1], s[12:13]
	s_cbranch_execz .LBB38_195
; %bb.186:                              ;   in Loop: Header=BB38_32 Depth=1
	v_cmp_le_i64_e32 vcc, v[8:9], v[6:7]
	s_and_saveexec_b64 s[6:7], vcc
	s_xor_b64 s[6:7], exec, s[6:7]
	s_cbranch_execz .LBB38_192
; %bb.187:                              ;   in Loop: Header=BB38_32 Depth=1
	ds_read_b64 v[4:5], v3 offset:5120
	v_and_b32_e32 v2, s52, v47
	v_lshl_or_b32 v47, 1, s33, v2
	v_or_b32_e32 v49, s66, v49
	s_waitcnt lgkmcnt(0)
	v_cmp_ne_u64_e32 vcc, 0, v[4:5]
	s_cbranch_vccnz .LBB38_191
; %bb.188:                              ;   in Loop: Header=BB38_32 Depth=1
	s_mov_b64 s[12:13], exec
	v_readlane_b32 s28, v70, 32
	v_readlane_b32 s29, v70, 33
	s_and_b64 s[28:29], s[12:13], s[28:29]
	s_mov_b64 exec, s[28:29]
; %bb.189:                              ;   in Loop: Header=BB38_32 Depth=1
	ds_write_b64 v3, v[6:7] offset:5128
; %bb.190:                              ;   in Loop: Header=BB38_32 Depth=1
	s_or_b64 exec, exec, s[12:13]
	s_waitcnt lgkmcnt(0)
	s_barrier
.LBB38_191:                             ;   in Loop: Header=BB38_32 Depth=1
                                        ; implicit-def: $vgpr4_vgpr5_vgpr6_vgpr7
.LBB38_192:                             ;   in Loop: Header=BB38_32 Depth=1
	s_or_saveexec_b64 s[6:7], s[6:7]
	s_mov_b64 s[12:13], 0
	v_mov_b32_e32 v2, 8
	s_xor_b64 exec, exec, s[6:7]
; %bb.193:                              ;   in Loop: Header=BB38_32 Depth=1
	v_sub_co_u32_e32 v8, vcc, v8, v6
	s_mov_b64 s[12:13], exec
	s_nop 0
	v_subb_co_u32_e32 v9, vcc, v9, v7, vcc
	v_mov_b32_e32 v2, 0
; %bb.194:                              ;   in Loop: Header=BB38_32 Depth=1
	s_or_b64 exec, exec, s[6:7]
	s_and_b64 s[6:7], s[12:13], exec
	v_mov_b64_e32 v[4:5], v[8:9]
.LBB38_195:                             ;   in Loop: Header=BB38_32 Depth=1
	s_or_b64 exec, exec, s[0:1]
	s_mov_b64 s[0:1], -1
                                        ; implicit-def: $sgpr34_sgpr35
                                        ; implicit-def: $sgpr36_sgpr37
	s_and_saveexec_b64 s[28:29], s[6:7]
	s_cbranch_execz .LBB38_289
; %bb.196:                              ;   in Loop: Header=BB38_32 Depth=1
	s_cmp_eq_u64 s[22:23], 1
	s_cselect_b64 s[0:1], -1, 0
	v_cmp_eq_u64_e32 vcc, 1, v[4:5]
	s_and_b64 s[40:41], s[0:1], vcc
	s_mov_b64 s[0:1], -1
                                        ; implicit-def: $sgpr36_sgpr37
                                        ; implicit-def: $sgpr34_sgpr35
	s_and_saveexec_b64 s[38:39], s[40:41]
	s_cbranch_execz .LBB38_230
; %bb.197:                              ;   in Loop: Header=BB38_32 Depth=1
	ds_read_b64 v[6:7], v3 offset:5120
	s_waitcnt lgkmcnt(0)
	s_barrier
	v_readfirstlane_b32 s42, v6
	v_readfirstlane_b32 s43, v7
	s_mov_b64 s[0:1], exec
	v_readlane_b32 s6, v70, 38
	v_readlane_b32 s7, v70, 39
	s_and_b64 s[6:7], s[0:1], s[6:7]
	s_mov_b64 exec, s[6:7]
; %bb.198:                              ;   in Loop: Header=BB38_32 Depth=1
	ds_write_b16 v42, v3
; %bb.199:                              ;   in Loop: Header=BB38_32 Depth=1
	s_or_b64 exec, exec, s[0:1]
	v_and_b32_e32 v6, s52, v47
	v_cmp_gt_i64_e64 s[0:1], s[42:43], 0
	v_lshl_or_b32 v47, 2, s33, v6
	v_or_b32_e32 v49, s66, v49
	s_mov_b64 s[34:35], -1
	s_mov_b64 s[36:37], 0
	s_and_b64 vcc, exec, s[0:1]
	s_mov_b64 s[0:1], 0
	s_mov_b64 s[6:7], -1
	s_waitcnt lgkmcnt(0)
	s_barrier
                                        ; implicit-def: $vgpr50
	s_cbranch_vccnz .LBB38_215
; %bb.200:                              ;   in Loop: Header=BB38_32 Depth=1
	s_mov_b32 s76, s99
	s_cmp_lg_u64 s[76:77], 0
	s_cbranch_scc0 .LBB38_256
; %bb.201:                              ;   in Loop: Header=BB38_32 Depth=1
	s_add_u32 s0, s96, 0
	s_addc_u32 s1, 0, 0
	s_xor_b64 s[0:1], s[0:1], 0
	v_cvt_f32_u32_e32 v6, s0
	v_cvt_f32_u32_e32 v7, s1
	s_sub_u32 s12, 0, s0
	s_subb_u32 s13, 0, s1
	v_fmac_f32_e32 v6, 0x4f800000, v7
	v_rcp_f32_e32 v6, v6
	s_nop 0
	v_mul_f32_e32 v6, 0x5f7ffffc, v6
	v_mul_f32_e32 v7, 0x2f800000, v6
	v_trunc_f32_e32 v7, v7
	v_fmac_f32_e32 v6, 0xcf800000, v7
	v_cvt_u32_f32_e32 v7, v7
	v_cvt_u32_f32_e32 v6, v6
	v_readfirstlane_b32 s44, v7
	v_readfirstlane_b32 s6, v6
	s_mul_i32 s7, s12, s44
	s_mul_hi_u32 s46, s12, s6
	s_mul_i32 s45, s13, s6
	s_add_i32 s7, s46, s7
	s_mul_i32 s47, s12, s6
	s_add_i32 s7, s7, s45
	s_mul_i32 s46, s6, s7
	s_mul_hi_u32 s48, s6, s47
	s_mul_hi_u32 s45, s6, s7
	s_add_u32 s46, s48, s46
	s_addc_u32 s45, 0, s45
	s_mul_hi_u32 s49, s44, s47
	s_mul_i32 s47, s44, s47
	s_add_u32 s46, s46, s47
	s_mul_hi_u32 s48, s44, s7
	s_addc_u32 s45, s45, s49
	s_addc_u32 s46, s48, 0
	s_mul_i32 s7, s44, s7
	s_add_u32 s7, s45, s7
	s_addc_u32 s45, 0, s46
	s_add_u32 s46, s6, s7
	s_cselect_b64 s[6:7], -1, 0
	s_cmp_lg_u64 s[6:7], 0
	s_addc_u32 s44, s44, s45
	s_mul_i32 s6, s12, s44
	s_mul_hi_u32 s7, s12, s46
	s_add_i32 s6, s7, s6
	s_mul_i32 s13, s13, s46
	s_add_i32 s6, s6, s13
	s_mul_i32 s12, s12, s46
	s_mul_hi_u32 s13, s44, s12
	s_mul_i32 s45, s44, s12
	s_mul_i32 s48, s46, s6
	s_mul_hi_u32 s12, s46, s12
	s_mul_hi_u32 s47, s46, s6
	s_add_u32 s12, s12, s48
	s_addc_u32 s47, 0, s47
	s_add_u32 s12, s12, s45
	s_mul_hi_u32 s7, s44, s6
	s_addc_u32 s12, s47, s13
	s_addc_u32 s7, s7, 0
	s_mul_i32 s6, s44, s6
	s_add_u32 s6, s12, s6
	s_addc_u32 s12, 0, s7
	s_add_u32 s45, s46, s6
	s_cselect_b64 s[6:7], -1, 0
	s_cmp_lg_u64 s[6:7], 0
	s_addc_u32 s44, s44, s12
	s_ashr_i32 s6, s77, 31
	s_add_u32 s12, s74, s6
	s_mov_b32 s7, s6
	s_addc_u32 s13, s77, s6
	s_xor_b64 s[12:13], s[12:13], s[6:7]
	s_mul_i32 s47, s12, s44
	s_mul_hi_u32 s48, s12, s45
	s_mul_hi_u32 s46, s12, s44
	s_add_u32 s47, s48, s47
	s_addc_u32 s46, 0, s46
	s_mul_hi_u32 s49, s13, s45
	s_mul_i32 s45, s13, s45
	s_add_u32 s45, s47, s45
	s_mul_hi_u32 s48, s13, s44
	s_addc_u32 s45, s46, s49
	s_addc_u32 s46, s48, 0
	s_mul_i32 s44, s13, s44
	s_add_u32 s44, s45, s44
	s_addc_u32 s45, 0, s46
	s_mul_i32 s45, s0, s45
	s_mul_hi_u32 s46, s0, s44
	s_add_i32 s45, s46, s45
	s_mul_i32 s46, s1, s44
	s_add_i32 s48, s45, s46
	s_sub_i32 s46, s13, s48
	s_mul_i32 s44, s0, s44
	s_sub_u32 s12, s12, s44
	s_cselect_b64 s[44:45], -1, 0
	s_cmp_lg_u64 s[44:45], 0
	s_subb_u32 s49, s46, s1
	s_sub_u32 s50, s12, s0
	s_cselect_b64 s[46:47], -1, 0
	s_cmp_lg_u64 s[46:47], 0
	s_subb_u32 s51, s49, 0
	s_cmp_ge_u32 s51, s1
	s_cselect_b32 s53, -1, 0
	s_cmp_ge_u32 s50, s0
	s_cselect_b32 s54, -1, 0
	s_cmp_eq_u32 s51, s1
	s_cselect_b32 s53, s54, s53
	s_cmp_lg_u64 s[46:47], 0
	s_subb_u32 s49, s49, s1
	s_sub_u32 s54, s50, s0
	s_cselect_b64 s[46:47], -1, 0
	s_cmp_lg_u64 s[46:47], 0
	s_subb_u32 s46, s49, 0
	s_cmp_lg_u32 s53, 0
	s_cselect_b32 s47, s54, s50
	s_cselect_b32 s46, s46, s51
	s_cmp_lg_u64 s[44:45], 0
	s_subb_u32 s13, s13, s48
	s_cmp_ge_u32 s13, s1
	s_cselect_b32 s44, -1, 0
	s_cmp_ge_u32 s12, s0
	s_cselect_b32 s0, -1, 0
	s_cmp_eq_u32 s13, s1
	s_cselect_b32 s0, s0, s44
	s_cmp_lg_u32 s0, 0
	s_cselect_b32 s1, s46, s13
	s_cselect_b32 s0, s47, s12
	s_xor_b64 s[0:1], s[0:1], s[6:7]
	s_sub_u32 s0, s0, s6
	s_subb_u32 s1, s1, s6
	s_cbranch_execnz .LBB38_203
.LBB38_202:                             ;   in Loop: Header=BB38_32 Depth=1
	v_cvt_f32_u32_e32 v6, s96
	s_sub_i32 s0, 0, s96
	v_rcp_iflag_f32_e32 v6, v6
	s_nop 0
	v_mul_f32_e32 v6, 0x4f7ffffe, v6
	v_cvt_u32_f32_e32 v6, v6
	s_nop 0
	v_readfirstlane_b32 s1, v6
	s_mul_i32 s0, s0, s1
	s_mul_hi_u32 s0, s1, s0
	s_add_i32 s1, s1, s0
	s_mul_hi_u32 s0, s74, s1
	s_mul_i32 s0, s0, s96
	s_sub_i32 s0, s74, s0
	s_sub_i32 s1, s0, s96
	s_cmp_ge_u32 s0, s96
	s_cselect_b32 s0, s1, s0
	s_sub_i32 s1, s0, s96
	s_cmp_ge_u32 s0, s96
	s_cselect_b32 s98, s1, s0
	s_mov_b64 s[0:1], s[98:99]
.LBB38_203:                             ;   in Loop: Header=BB38_32 Depth=1
	s_sub_u32 s44, s74, s0
	s_subb_u32 s45, s77, s1
	v_cmp_gt_i64_e32 vcc, s[44:45], v[0:1]
	s_mov_b64 s[6:7], 0
	s_mov_b64 s[0:1], 0
                                        ; implicit-def: $vgpr50
	s_and_saveexec_b64 s[12:13], vcc
	v_readlane_b32 s54, v69, 7
	s_cbranch_execz .LBB38_214
; %bb.204:                              ;   in Loop: Header=BB38_32 Depth=1
	v_mov_b64_e32 v[6:7], v[12:13]
	v_mov_b64_e32 v[8:9], v[0:1]
                                        ; implicit-def: $sgpr46_sgpr47
	s_branch .LBB38_207
.LBB38_205:                             ;   in Loop: Header=BB38_207 Depth=2
	s_or_b64 exec, exec, s[48:49]
	s_waitcnt lgkmcnt(0)
	s_barrier
	ds_read_b32 v10, v3 offset:3072
	s_mov_b64 s[48:49], -1
	s_waitcnt lgkmcnt(0)
	s_barrier
	v_cmp_ne_u32_sdwa s[50:51], v10, v3 src0_sel:WORD_0 src1_sel:DWORD
	s_and_b64 vcc, exec, s[50:51]
	s_mov_b64 s[50:51], -1
	s_cbranch_vccz .LBB38_210
.LBB38_206:                             ;   in Loop: Header=BB38_207 Depth=2
	s_and_b64 s[48:49], exec, s[48:49]
	s_or_b64 s[0:1], s[48:49], s[0:1]
	s_andn2_b64 s[46:47], s[46:47], exec
	s_and_b64 s[48:49], s[50:51], exec
	s_or_b64 s[46:47], s[46:47], s[48:49]
	s_andn2_b64 exec, exec, s[0:1]
	s_cbranch_execz .LBB38_213
.LBB38_207:                             ;   Parent Loop BB38_32 Depth=1
                                        ; =>  This Inner Loop Header: Depth=2
	v_cmp_gt_i64_e32 vcc, s[56:57], v[8:9]
	s_and_saveexec_b64 s[48:49], vcc
	s_cbranch_execz .LBB38_205
; %bb.208:                              ;   in Loop: Header=BB38_207 Depth=2
	global_load_ushort v10, v[6:7], off
	s_waitcnt vmcnt(0)
	v_add_u32_sdwa v11, sext(v10), s93 dst_sel:DWORD dst_unused:UNUSED_PAD src0_sel:WORD_0 src1_sel:DWORD
	v_and_b32_e32 v11, v11, v49
	v_cmp_eq_u32_e32 vcc, v11, v47
	s_and_b64 exec, exec, vcc
	s_cbranch_execz .LBB38_205
; %bb.209:                              ;   in Loop: Header=BB38_207 Depth=2
	v_perm_b32 v10, v10, 1, v48
	ds_write_b32 v3, v10 offset:3072
	s_branch .LBB38_205
.LBB38_210:                             ;   in Loop: Header=BB38_207 Depth=2
	v_lshl_add_u64 v[8:9], v[8:9], 0, s[96:97]
	v_cmp_le_i64_e32 vcc, s[44:45], v[8:9]
	v_lshl_add_u64 v[6:7], v[6:7], 0, s[90:91]
	s_mov_b64 s[50:51], 0
	s_orn2_b64 s[48:49], vcc, exec
	s_branch .LBB38_206
.LBB38_211:                             ;   in Loop: Header=BB38_32 Depth=1
                                        ; implicit-def: $sgpr0_sgpr1
	s_andn2_b64 vcc, exec, s[6:7]
	s_cbranch_vccz .LBB38_156
	s_branch .LBB38_157
.LBB38_212:                             ;   in Loop: Header=BB38_32 Depth=1
                                        ; implicit-def: $sgpr6_sgpr7
	s_branch .LBB38_172
.LBB38_213:                             ;   in Loop: Header=BB38_32 Depth=1
	s_or_b64 exec, exec, s[0:1]
	v_lshrrev_b32_e32 v50, 16, v10
	s_and_b64 s[0:1], s[46:47], exec
.LBB38_214:                             ;   in Loop: Header=BB38_32 Depth=1
	s_or_b64 exec, exec, s[12:13]
	s_mov_b32 s50, 0x5040100
.LBB38_215:                             ;   in Loop: Header=BB38_32 Depth=1
	s_and_b64 vcc, exec, s[6:7]
	s_cbranch_vccz .LBB38_229
; %bb.216:                              ;   in Loop: Header=BB38_32 Depth=1
	v_readlane_b32 s6, v70, 48
	s_add_u32 s36, s42, s6
	v_readlane_b32 s6, v70, 49
	s_addc_u32 s7, s43, s6
	s_mov_b32 s6, s99
	s_cmp_lg_u64 s[6:7], 0
	s_cbranch_scc0 .LBB38_257
; %bb.217:                              ;   in Loop: Header=BB38_32 Depth=1
	s_add_u32 s12, s96, 0
	s_addc_u32 s13, 0, 0
	s_xor_b64 s[12:13], s[12:13], 0
	v_cvt_f32_u32_e32 v6, s12
	v_cvt_f32_u32_e32 v7, s13
	s_sub_u32 s6, 0, s12
	s_subb_u32 s37, 0, s13
	v_fmac_f32_e32 v6, 0x4f800000, v7
	v_rcp_f32_e32 v6, v6
	s_nop 0
	v_mul_f32_e32 v6, 0x5f7ffffc, v6
	v_mul_f32_e32 v7, 0x2f800000, v6
	v_trunc_f32_e32 v7, v7
	v_fmac_f32_e32 v6, 0xcf800000, v7
	v_cvt_u32_f32_e32 v7, v7
	v_cvt_u32_f32_e32 v6, v6
	v_readfirstlane_b32 s44, v7
	v_readfirstlane_b32 s34, v6
	s_mul_i32 s35, s6, s44
	s_mul_hi_u32 s46, s6, s34
	s_mul_i32 s45, s37, s34
	s_add_i32 s35, s46, s35
	s_mul_i32 s47, s6, s34
	s_add_i32 s35, s35, s45
	s_mul_i32 s46, s34, s35
	s_mul_hi_u32 s48, s34, s47
	s_mul_hi_u32 s45, s34, s35
	s_add_u32 s46, s48, s46
	s_addc_u32 s45, 0, s45
	s_mul_hi_u32 s49, s44, s47
	s_mul_i32 s47, s44, s47
	s_add_u32 s46, s46, s47
	s_mul_hi_u32 s48, s44, s35
	s_addc_u32 s45, s45, s49
	s_addc_u32 s46, s48, 0
	s_mul_i32 s35, s44, s35
	s_add_u32 s35, s45, s35
	s_addc_u32 s45, 0, s46
	s_add_u32 s46, s34, s35
	s_cselect_b64 s[34:35], -1, 0
	s_cmp_lg_u64 s[34:35], 0
	s_addc_u32 s44, s44, s45
	s_mul_i32 s34, s6, s44
	s_mul_hi_u32 s35, s6, s46
	s_add_i32 s34, s35, s34
	s_mul_i32 s37, s37, s46
	s_add_i32 s34, s34, s37
	s_mul_i32 s6, s6, s46
	s_mul_hi_u32 s37, s44, s6
	s_mul_i32 s45, s44, s6
	s_mul_i32 s48, s46, s34
	s_mul_hi_u32 s6, s46, s6
	s_mul_hi_u32 s47, s46, s34
	s_add_u32 s6, s6, s48
	s_addc_u32 s47, 0, s47
	s_add_u32 s6, s6, s45
	s_mul_hi_u32 s35, s44, s34
	s_addc_u32 s6, s47, s37
	s_addc_u32 s35, s35, 0
	s_mul_i32 s34, s44, s34
	s_add_u32 s6, s6, s34
	s_addc_u32 s37, 0, s35
	s_add_u32 s6, s46, s6
	s_cselect_b64 s[34:35], -1, 0
	s_cmp_lg_u64 s[34:35], 0
	s_addc_u32 s37, s44, s37
	s_ashr_i32 s34, s7, 31
	s_add_u32 s44, s36, s34
	s_mov_b32 s35, s34
	s_addc_u32 s45, s7, s34
	s_xor_b64 s[44:45], s[44:45], s[34:35]
	s_mul_i32 s47, s44, s37
	s_mul_hi_u32 s48, s44, s6
	s_mul_hi_u32 s46, s44, s37
	s_add_u32 s47, s48, s47
	s_addc_u32 s46, 0, s46
	s_mul_hi_u32 s49, s45, s6
	s_mul_i32 s6, s45, s6
	s_add_u32 s6, s47, s6
	s_mul_hi_u32 s48, s45, s37
	s_addc_u32 s6, s46, s49
	s_addc_u32 s46, s48, 0
	s_mul_i32 s37, s45, s37
	s_add_u32 s6, s6, s37
	s_addc_u32 s37, 0, s46
	s_mul_i32 s37, s12, s37
	s_mul_hi_u32 s46, s12, s6
	s_add_i32 s37, s46, s37
	s_mul_i32 s46, s13, s6
	s_add_i32 s37, s37, s46
	s_sub_i32 s48, s45, s37
	s_mul_i32 s6, s12, s6
	s_sub_u32 s6, s44, s6
	s_cselect_b64 s[46:47], -1, 0
	s_cmp_lg_u64 s[46:47], 0
	s_subb_u32 s44, s48, s13
	s_sub_u32 s50, s6, s12
	s_cselect_b64 s[48:49], -1, 0
	s_cmp_lg_u64 s[48:49], 0
	s_subb_u32 s51, s44, 0
	s_cmp_ge_u32 s51, s13
	s_cselect_b32 s53, -1, 0
	s_cmp_ge_u32 s50, s12
	s_cselect_b32 s54, -1, 0
	s_cmp_eq_u32 s51, s13
	s_cselect_b32 s53, s54, s53
	s_cmp_lg_u64 s[48:49], 0
	s_subb_u32 s44, s44, s13
	s_sub_u32 s54, s50, s12
	s_cselect_b64 s[48:49], -1, 0
	s_cmp_lg_u64 s[48:49], 0
	s_subb_u32 s44, s44, 0
	s_cmp_lg_u32 s53, 0
	s_cselect_b32 s48, s54, s50
	s_cselect_b32 s44, s44, s51
	s_cmp_lg_u64 s[46:47], 0
	s_subb_u32 s37, s45, s37
	s_cmp_ge_u32 s37, s13
	s_cselect_b32 s45, -1, 0
	s_cmp_ge_u32 s6, s12
	s_cselect_b32 s12, -1, 0
	s_cmp_eq_u32 s37, s13
	s_cselect_b32 s12, s12, s45
	s_cmp_lg_u32 s12, 0
	s_cselect_b32 s13, s44, s37
	s_cselect_b32 s12, s48, s6
	s_xor_b64 s[12:13], s[12:13], s[34:35]
	s_sub_u32 s12, s12, s34
	s_mov_b32 s50, 0x5040100
	v_readlane_b32 s54, v69, 7
	s_subb_u32 s13, s13, s34
	s_cbranch_execnz .LBB38_219
.LBB38_218:                             ;   in Loop: Header=BB38_32 Depth=1
	v_cvt_f32_u32_e32 v6, s96
	s_sub_i32 s6, 0, s96
	v_rcp_iflag_f32_e32 v6, v6
	s_nop 0
	v_mul_f32_e32 v6, 0x4f7ffffe, v6
	v_cvt_u32_f32_e32 v6, v6
	s_nop 0
	v_readfirstlane_b32 s12, v6
	s_mul_i32 s6, s6, s12
	s_mul_hi_u32 s6, s12, s6
	s_add_i32 s12, s12, s6
	s_mul_hi_u32 s6, s36, s12
	s_mul_i32 s6, s6, s96
	s_sub_i32 s6, s36, s6
	s_sub_i32 s12, s6, s96
	s_cmp_ge_u32 s6, s96
	s_cselect_b32 s6, s12, s6
	s_sub_i32 s12, s6, s96
	s_cmp_ge_u32 s6, s96
	s_cselect_b32 s98, s12, s6
	s_mov_b64 s[12:13], s[98:99]
.LBB38_219:                             ;   in Loop: Header=BB38_32 Depth=1
	s_sub_u32 s12, s36, s12
	s_subb_u32 s13, s7, s13
	v_cmp_gt_i64_e32 vcc, s[12:13], v[0:1]
                                        ; implicit-def: $vgpr50
	s_and_saveexec_b64 s[6:7], vcc
	s_cbranch_execz .LBB38_228
; %bb.220:                              ;   in Loop: Header=BB38_32 Depth=1
	s_mov_b64 s[34:35], 0
	v_mov_b32_e32 v8, v41
	v_mov_b64_e32 v[6:7], v[0:1]
                                        ; implicit-def: $sgpr36_sgpr37
	s_branch .LBB38_223
.LBB38_221:                             ;   in Loop: Header=BB38_223 Depth=2
	s_or_b64 exec, exec, s[44:45]
	s_waitcnt lgkmcnt(0)
	s_barrier
	ds_read_b32 v9, v3 offset:3072
	s_mov_b64 s[44:45], -1
	s_waitcnt lgkmcnt(0)
	s_barrier
	v_cmp_eq_u32_sdwa s[46:47], v9, v3 src0_sel:WORD_0 src1_sel:DWORD
	s_and_b64 vcc, exec, s[46:47]
	s_mov_b64 s[46:47], -1
	s_cbranch_vccnz .LBB38_226
.LBB38_222:                             ;   in Loop: Header=BB38_223 Depth=2
	s_and_b64 s[44:45], exec, s[44:45]
	s_or_b64 s[34:35], s[44:45], s[34:35]
	s_andn2_b64 s[36:37], s[36:37], exec
	s_and_b64 s[44:45], s[46:47], exec
	s_or_b64 s[36:37], s[36:37], s[44:45]
	s_andn2_b64 exec, exec, s[34:35]
	s_cbranch_execz .LBB38_227
.LBB38_223:                             ;   Parent Loop BB38_32 Depth=1
                                        ; =>  This Inner Loop Header: Depth=2
	v_cmp_gt_u64_e32 vcc, s[42:43], v[6:7]
	s_and_saveexec_b64 s[44:45], vcc
	s_cbranch_execz .LBB38_221
; %bb.224:                              ;   in Loop: Header=BB38_223 Depth=2
	ds_read_u16 v9, v8
	s_waitcnt lgkmcnt(0)
	v_add_u32_sdwa v10, sext(v9), s93 dst_sel:DWORD dst_unused:UNUSED_PAD src0_sel:WORD_0 src1_sel:DWORD
	v_and_b32_e32 v10, v10, v49
	v_cmp_eq_u32_e32 vcc, v10, v47
	s_and_b64 exec, exec, vcc
	s_cbranch_execz .LBB38_221
; %bb.225:                              ;   in Loop: Header=BB38_223 Depth=2
	v_perm_b32 v9, v9, 1, v48
	ds_write_b32 v3, v9 offset:3072
	s_branch .LBB38_221
.LBB38_226:                             ;   in Loop: Header=BB38_223 Depth=2
	v_lshl_add_u64 v[6:7], v[6:7], 0, s[96:97]
	v_cmp_le_i64_e32 vcc, s[12:13], v[6:7]
	v_add_u32_e32 v8, s92, v8
	s_mov_b64 s[46:47], 0
	s_orn2_b64 s[44:45], vcc, exec
	s_branch .LBB38_222
.LBB38_227:                             ;   in Loop: Header=BB38_32 Depth=1
	s_or_b64 exec, exec, s[34:35]
	s_andn2_b64 s[0:1], s[0:1], exec
	s_and_b64 s[12:13], s[36:37], exec
	v_lshrrev_b32_e32 v50, 16, v9
	s_or_b64 s[0:1], s[0:1], s[12:13]
.LBB38_228:                             ;   in Loop: Header=BB38_32 Depth=1
	s_or_b64 exec, exec, s[6:7]
	s_mov_b64 s[34:35], 0
	s_mov_b64 s[36:37], -1
.LBB38_229:                             ;   in Loop: Header=BB38_32 Depth=1
	s_orn2_b64 s[0:1], s[0:1], exec
.LBB38_230:                             ;   in Loop: Header=BB38_32 Depth=1
	s_or_b64 exec, exec, s[38:39]
	s_mov_b64 s[6:7], 0
	s_and_saveexec_b64 s[38:39], s[0:1]
	s_cbranch_execz .LBB38_288
; %bb.231:                              ;   in Loop: Header=BB38_32 Depth=1
	s_xor_b64 s[12:13], s[40:41], -1
	v_mov_b32_e32 v2, 1
	v_mov_b64_e32 v[6:7], 1
	s_and_saveexec_b64 s[0:1], s[12:13]
	s_cbranch_execz .LBB38_240
; %bb.232:                              ;   in Loop: Header=BB38_32 Depth=1
	v_cmp_ge_i64_e32 vcc, s[22:23], v[4:5]
	s_and_saveexec_b64 s[6:7], vcc
	s_xor_b64 s[6:7], exec, s[6:7]
	s_cbranch_execz .LBB38_237
; %bb.233:                              ;   in Loop: Header=BB38_32 Depth=1
	ds_read_b64 v[6:7], v3 offset:5120
	v_and_b32_e32 v2, s52, v47
	v_lshl_or_b32 v47, 2, s33, v2
	v_or_b32_e32 v49, s66, v49
	s_waitcnt lgkmcnt(0)
	v_cmp_ne_u64_e32 vcc, 0, v[6:7]
	s_cbranch_vccnz .LBB38_237
; %bb.234:                              ;   in Loop: Header=BB38_32 Depth=1
	s_mov_b64 s[12:13], exec
	v_readlane_b32 s40, v70, 32
	v_readlane_b32 s41, v70, 33
	s_and_b64 s[40:41], s[12:13], s[40:41]
	s_mov_b64 exec, s[40:41]
; %bb.235:                              ;   in Loop: Header=BB38_32 Depth=1
	v_mov_b64_e32 v[6:7], s[22:23]
	ds_write_b64 v3, v[6:7] offset:5128
; %bb.236:                              ;   in Loop: Header=BB38_32 Depth=1
	s_or_b64 exec, exec, s[12:13]
	s_waitcnt lgkmcnt(0)
	s_barrier
.LBB38_237:                             ;   in Loop: Header=BB38_32 Depth=1
	s_or_saveexec_b64 s[6:7], s[6:7]
	s_mov_b64 s[12:13], 0
	v_mov_b32_e32 v2, 8
	s_xor_b64 exec, exec, s[6:7]
; %bb.238:                              ;   in Loop: Header=BB38_32 Depth=1
	v_mov_b32_e32 v2, s23
	v_subrev_co_u32_e32 v4, vcc, s22, v4
	s_mov_b64 s[12:13], exec
	s_nop 0
	v_subb_co_u32_e32 v5, vcc, v5, v2, vcc
	v_mov_b32_e32 v2, 0
; %bb.239:                              ;   in Loop: Header=BB38_32 Depth=1
	s_or_b64 exec, exec, s[6:7]
	s_and_b64 s[6:7], s[12:13], exec
	v_mov_b64_e32 v[6:7], v[4:5]
.LBB38_240:                             ;   in Loop: Header=BB38_32 Depth=1
	s_or_b64 exec, exec, s[0:1]
	s_mov_b64 s[0:1], -1
                                        ; implicit-def: $sgpr48_sgpr49
                                        ; implicit-def: $sgpr46_sgpr47
	s_and_saveexec_b64 s[22:23], s[6:7]
	s_cbranch_execz .LBB38_287
; %bb.241:                              ;   in Loop: Header=BB38_32 Depth=1
	s_cmp_eq_u64 s[14:15], 1
	s_cselect_b64 s[0:1], -1, 0
	v_cmp_eq_u64_e32 vcc, 1, v[6:7]
	s_and_b64 s[40:41], s[0:1], vcc
	s_mov_b64 s[6:7], -1
                                        ; implicit-def: $sgpr48_sgpr49
                                        ; implicit-def: $sgpr46_sgpr47
	s_and_saveexec_b64 s[42:43], s[40:41]
	s_cbranch_execz .LBB38_275
; %bb.242:                              ;   in Loop: Header=BB38_32 Depth=1
	ds_read_b64 v[4:5], v3 offset:5120
	s_waitcnt lgkmcnt(0)
	s_barrier
	v_readfirstlane_b32 s44, v4
	v_readfirstlane_b32 s45, v5
	s_mov_b64 s[0:1], exec
	v_readlane_b32 s6, v70, 38
	v_readlane_b32 s7, v70, 39
	s_and_b64 s[6:7], s[0:1], s[6:7]
	s_mov_b64 exec, s[6:7]
; %bb.243:                              ;   in Loop: Header=BB38_32 Depth=1
	ds_write_b16 v42, v3
; %bb.244:                              ;   in Loop: Header=BB38_32 Depth=1
	s_or_b64 exec, exec, s[0:1]
	v_cmp_gt_i64_e64 s[0:1], s[44:45], 0
	v_or_b32_e32 v47, s66, v47
	v_or_b32_e32 v49, s66, v49
	s_mov_b64 s[46:47], -1
	s_mov_b64 s[48:49], 0
	s_and_b64 vcc, exec, s[0:1]
	s_mov_b64 s[0:1], 0
	s_mov_b64 s[6:7], -1
	s_waitcnt lgkmcnt(0)
	s_barrier
                                        ; implicit-def: $vgpr50
	s_cbranch_vccnz .LBB38_260
; %bb.245:                              ;   in Loop: Header=BB38_32 Depth=1
	s_mov_b32 s76, s99
	s_cmp_lg_u64 s[76:77], 0
	s_cbranch_scc0 .LBB38_294
; %bb.246:                              ;   in Loop: Header=BB38_32 Depth=1
	s_add_u32 s0, s96, 0
	s_addc_u32 s1, 0, 0
	s_xor_b64 s[0:1], s[0:1], 0
	v_cvt_f32_u32_e32 v4, s0
	v_cvt_f32_u32_e32 v5, s1
	s_sub_u32 s12, 0, s0
	s_subb_u32 s13, 0, s1
	v_fmac_f32_e32 v4, 0x4f800000, v5
	v_rcp_f32_e32 v4, v4
	s_nop 0
	v_mul_f32_e32 v4, 0x5f7ffffc, v4
	v_mul_f32_e32 v5, 0x2f800000, v4
	v_trunc_f32_e32 v5, v5
	v_fmac_f32_e32 v4, 0xcf800000, v5
	v_cvt_u32_f32_e32 v5, v5
	v_cvt_u32_f32_e32 v4, v4
	v_readfirstlane_b32 s50, v5
	v_readfirstlane_b32 s6, v4
	s_mul_i32 s7, s12, s50
	s_mul_hi_u32 s52, s12, s6
	s_mul_i32 s51, s13, s6
	s_add_i32 s7, s52, s7
	s_mul_i32 s53, s12, s6
	s_add_i32 s7, s7, s51
	s_mul_i32 s52, s6, s7
	s_mul_hi_u32 s54, s6, s53
	s_mul_hi_u32 s51, s6, s7
	s_add_u32 s52, s54, s52
	s_addc_u32 s51, 0, s51
	s_mul_hi_u32 s55, s50, s53
	s_mul_i32 s53, s50, s53
	s_add_u32 s52, s52, s53
	s_mul_hi_u32 s54, s50, s7
	s_addc_u32 s51, s51, s55
	s_addc_u32 s52, s54, 0
	s_mul_i32 s7, s50, s7
	s_add_u32 s7, s51, s7
	s_addc_u32 s51, 0, s52
	s_add_u32 s52, s6, s7
	s_cselect_b64 s[6:7], -1, 0
	s_cmp_lg_u64 s[6:7], 0
	s_addc_u32 s50, s50, s51
	s_mul_i32 s6, s12, s50
	s_mul_hi_u32 s7, s12, s52
	s_add_i32 s6, s7, s6
	s_mul_i32 s13, s13, s52
	s_add_i32 s6, s6, s13
	s_mul_i32 s12, s12, s52
	s_mul_hi_u32 s13, s50, s12
	s_mul_i32 s51, s50, s12
	s_mul_i32 s54, s52, s6
	s_mul_hi_u32 s12, s52, s12
	s_mul_hi_u32 s53, s52, s6
	s_add_u32 s12, s12, s54
	s_addc_u32 s53, 0, s53
	s_add_u32 s12, s12, s51
	s_mul_hi_u32 s7, s50, s6
	s_addc_u32 s12, s53, s13
	s_addc_u32 s7, s7, 0
	s_mul_i32 s6, s50, s6
	s_add_u32 s6, s12, s6
	s_addc_u32 s12, 0, s7
	s_add_u32 s51, s52, s6
	s_cselect_b64 s[6:7], -1, 0
	s_cmp_lg_u64 s[6:7], 0
	s_addc_u32 s50, s50, s12
	s_ashr_i32 s6, s77, 31
	s_add_u32 s12, s74, s6
	s_mov_b32 s7, s6
	s_addc_u32 s13, s77, s6
	s_xor_b64 s[12:13], s[12:13], s[6:7]
	s_mul_i32 s53, s12, s50
	s_mul_hi_u32 s54, s12, s51
	s_mul_hi_u32 s52, s12, s50
	s_add_u32 s53, s54, s53
	s_addc_u32 s52, 0, s52
	s_mul_hi_u32 s55, s13, s51
	s_mul_i32 s51, s13, s51
	s_add_u32 s51, s53, s51
	s_mul_hi_u32 s54, s13, s50
	s_addc_u32 s51, s52, s55
	s_addc_u32 s52, s54, 0
	s_mul_i32 s50, s13, s50
	s_add_u32 s50, s51, s50
	s_addc_u32 s51, 0, s52
	s_mul_i32 s51, s0, s51
	s_mul_hi_u32 s52, s0, s50
	s_add_i32 s51, s52, s51
	s_mul_i32 s52, s1, s50
	s_add_i32 s54, s51, s52
	s_sub_i32 s52, s13, s54
	s_mul_i32 s50, s0, s50
	s_sub_u32 s12, s12, s50
	s_cselect_b64 s[50:51], -1, 0
	s_cmp_lg_u64 s[50:51], 0
	s_subb_u32 s55, s52, s1
	s_sub_u32 s64, s12, s0
	s_cselect_b64 s[52:53], -1, 0
	s_cmp_lg_u64 s[52:53], 0
	s_subb_u32 s65, s55, 0
	s_cmp_ge_u32 s65, s1
	s_cselect_b32 s67, -1, 0
	s_cmp_ge_u32 s64, s0
	s_cselect_b32 s68, -1, 0
	s_cmp_eq_u32 s65, s1
	s_cselect_b32 s67, s68, s67
	s_cmp_lg_u64 s[52:53], 0
	s_subb_u32 s55, s55, s1
	s_sub_u32 s68, s64, s0
	s_cselect_b64 s[52:53], -1, 0
	s_cmp_lg_u64 s[52:53], 0
	s_subb_u32 s52, s55, 0
	s_cmp_lg_u32 s67, 0
	s_cselect_b32 s53, s68, s64
	s_cselect_b32 s52, s52, s65
	s_cmp_lg_u64 s[50:51], 0
	s_subb_u32 s13, s13, s54
	s_cmp_ge_u32 s13, s1
	s_cselect_b32 s50, -1, 0
	s_cmp_ge_u32 s12, s0
	s_cselect_b32 s0, -1, 0
	s_cmp_eq_u32 s13, s1
	s_cselect_b32 s0, s0, s50
	s_cmp_lg_u32 s0, 0
	s_cselect_b32 s1, s52, s13
	s_cselect_b32 s0, s53, s12
	s_xor_b64 s[0:1], s[0:1], s[6:7]
	s_sub_u32 s0, s0, s6
	s_subb_u32 s1, s1, s6
	s_cbranch_execnz .LBB38_248
.LBB38_247:                             ;   in Loop: Header=BB38_32 Depth=1
	v_cvt_f32_u32_e32 v4, s96
	s_sub_i32 s0, 0, s96
	v_rcp_iflag_f32_e32 v4, v4
	s_nop 0
	v_mul_f32_e32 v4, 0x4f7ffffe, v4
	v_cvt_u32_f32_e32 v4, v4
	s_nop 0
	v_readfirstlane_b32 s1, v4
	s_mul_i32 s0, s0, s1
	s_mul_hi_u32 s0, s1, s0
	s_add_i32 s1, s1, s0
	s_mul_hi_u32 s0, s74, s1
	s_mul_i32 s0, s0, s96
	s_sub_i32 s0, s74, s0
	s_sub_i32 s1, s0, s96
	s_cmp_ge_u32 s0, s96
	s_cselect_b32 s0, s1, s0
	s_sub_i32 s1, s0, s96
	s_cmp_ge_u32 s0, s96
	s_cselect_b32 s98, s1, s0
	s_mov_b64 s[0:1], s[98:99]
.LBB38_248:                             ;   in Loop: Header=BB38_32 Depth=1
	s_sub_u32 s50, s74, s0
	s_subb_u32 s51, s77, s1
	v_cmp_gt_i64_e32 vcc, s[50:51], v[0:1]
	s_mov_b64 s[6:7], 0
	s_mov_b64 s[0:1], 0
                                        ; implicit-def: $vgpr50
	s_and_saveexec_b64 s[12:13], vcc
	s_cbranch_execz .LBB38_259
; %bb.249:                              ;   in Loop: Header=BB38_32 Depth=1
	v_mov_b64_e32 v[4:5], v[12:13]
	v_mov_b64_e32 v[8:9], v[0:1]
                                        ; implicit-def: $sgpr52_sgpr53
	s_branch .LBB38_252
.LBB38_250:                             ;   in Loop: Header=BB38_252 Depth=2
	s_or_b64 exec, exec, s[54:55]
	s_waitcnt lgkmcnt(0)
	s_barrier
	ds_read_b32 v10, v3 offset:3072
	s_mov_b64 s[54:55], -1
	s_waitcnt lgkmcnt(0)
	s_barrier
	v_cmp_ne_u32_sdwa s[64:65], v10, v3 src0_sel:WORD_0 src1_sel:DWORD
	s_and_b64 vcc, exec, s[64:65]
	s_mov_b64 s[64:65], -1
	s_cbranch_vccz .LBB38_255
.LBB38_251:                             ;   in Loop: Header=BB38_252 Depth=2
	s_and_b64 s[54:55], exec, s[54:55]
	s_or_b64 s[0:1], s[54:55], s[0:1]
	s_andn2_b64 s[52:53], s[52:53], exec
	s_and_b64 s[54:55], s[64:65], exec
	s_or_b64 s[52:53], s[52:53], s[54:55]
	s_andn2_b64 exec, exec, s[0:1]
	s_cbranch_execz .LBB38_258
.LBB38_252:                             ;   Parent Loop BB38_32 Depth=1
                                        ; =>  This Inner Loop Header: Depth=2
	v_cmp_gt_i64_e32 vcc, s[56:57], v[8:9]
	s_and_saveexec_b64 s[54:55], vcc
	s_cbranch_execz .LBB38_250
; %bb.253:                              ;   in Loop: Header=BB38_252 Depth=2
	global_load_ushort v10, v[4:5], off
	s_waitcnt vmcnt(0)
	v_add_u32_sdwa v11, sext(v10), s93 dst_sel:DWORD dst_unused:UNUSED_PAD src0_sel:WORD_0 src1_sel:DWORD
	v_and_b32_e32 v11, v11, v49
	v_cmp_eq_u32_e32 vcc, v11, v47
	s_and_b64 exec, exec, vcc
	s_cbranch_execz .LBB38_250
; %bb.254:                              ;   in Loop: Header=BB38_252 Depth=2
	v_perm_b32 v10, v10, 1, v48
	ds_write_b32 v3, v10 offset:3072
	s_branch .LBB38_250
.LBB38_255:                             ;   in Loop: Header=BB38_252 Depth=2
	v_lshl_add_u64 v[8:9], v[8:9], 0, s[96:97]
	v_cmp_le_i64_e32 vcc, s[50:51], v[8:9]
	v_lshl_add_u64 v[4:5], v[4:5], 0, s[90:91]
	s_mov_b64 s[64:65], 0
	s_orn2_b64 s[54:55], vcc, exec
	s_branch .LBB38_251
.LBB38_256:                             ;   in Loop: Header=BB38_32 Depth=1
                                        ; implicit-def: $sgpr0_sgpr1
	s_andn2_b64 vcc, exec, s[6:7]
	s_cbranch_vccz .LBB38_202
	s_branch .LBB38_203
.LBB38_257:                             ;   in Loop: Header=BB38_32 Depth=1
                                        ; implicit-def: $sgpr12_sgpr13
	s_branch .LBB38_218
.LBB38_258:                             ;   in Loop: Header=BB38_32 Depth=1
	s_or_b64 exec, exec, s[0:1]
	v_lshrrev_b32_e32 v50, 16, v10
	s_and_b64 s[0:1], s[52:53], exec
.LBB38_259:                             ;   in Loop: Header=BB38_32 Depth=1
	s_or_b64 exec, exec, s[12:13]
	v_readlane_b32 s55, v69, 6
	v_readlane_b32 s54, v69, 7
	s_mov_b32 s50, 0x5040100
.LBB38_260:                             ;   in Loop: Header=BB38_32 Depth=1
	s_and_b64 vcc, exec, s[6:7]
	s_cbranch_vccz .LBB38_274
; %bb.261:                              ;   in Loop: Header=BB38_32 Depth=1
	v_readlane_b32 s6, v70, 48
	s_add_u32 s48, s44, s6
	v_readlane_b32 s6, v70, 49
	s_addc_u32 s7, s45, s6
	s_mov_b32 s6, s99
	s_cmp_lg_u64 s[6:7], 0
	s_cbranch_scc0 .LBB38_295
; %bb.262:                              ;   in Loop: Header=BB38_32 Depth=1
	s_add_u32 s12, s96, 0
	s_addc_u32 s13, 0, 0
	s_xor_b64 s[12:13], s[12:13], 0
	v_cvt_f32_u32_e32 v4, s12
	v_cvt_f32_u32_e32 v5, s13
	s_sub_u32 s6, 0, s12
	s_subb_u32 s49, 0, s13
	v_fmac_f32_e32 v4, 0x4f800000, v5
	v_rcp_f32_e32 v4, v4
	s_nop 0
	v_mul_f32_e32 v4, 0x5f7ffffc, v4
	v_mul_f32_e32 v5, 0x2f800000, v4
	v_trunc_f32_e32 v5, v5
	v_fmac_f32_e32 v4, 0xcf800000, v5
	v_cvt_u32_f32_e32 v5, v5
	v_cvt_u32_f32_e32 v4, v4
	v_readfirstlane_b32 s50, v5
	v_readfirstlane_b32 s46, v4
	s_mul_i32 s47, s6, s50
	s_mul_hi_u32 s52, s6, s46
	s_mul_i32 s51, s49, s46
	s_add_i32 s47, s52, s47
	s_mul_i32 s53, s6, s46
	s_add_i32 s47, s47, s51
	s_mul_i32 s52, s46, s47
	s_mul_hi_u32 s54, s46, s53
	s_mul_hi_u32 s51, s46, s47
	s_add_u32 s52, s54, s52
	s_addc_u32 s51, 0, s51
	s_mul_hi_u32 s55, s50, s53
	s_mul_i32 s53, s50, s53
	s_add_u32 s52, s52, s53
	s_mul_hi_u32 s54, s50, s47
	s_addc_u32 s51, s51, s55
	s_addc_u32 s52, s54, 0
	s_mul_i32 s47, s50, s47
	s_add_u32 s47, s51, s47
	s_addc_u32 s51, 0, s52
	s_add_u32 s52, s46, s47
	s_cselect_b64 s[46:47], -1, 0
	s_cmp_lg_u64 s[46:47], 0
	s_addc_u32 s50, s50, s51
	s_mul_i32 s46, s6, s50
	s_mul_hi_u32 s47, s6, s52
	s_add_i32 s46, s47, s46
	s_mul_i32 s49, s49, s52
	s_add_i32 s46, s46, s49
	s_mul_i32 s6, s6, s52
	s_mul_hi_u32 s49, s50, s6
	s_mul_i32 s51, s50, s6
	s_mul_i32 s54, s52, s46
	s_mul_hi_u32 s6, s52, s6
	s_mul_hi_u32 s53, s52, s46
	s_add_u32 s6, s6, s54
	s_addc_u32 s53, 0, s53
	s_add_u32 s6, s6, s51
	s_mul_hi_u32 s47, s50, s46
	s_addc_u32 s6, s53, s49
	s_addc_u32 s47, s47, 0
	s_mul_i32 s46, s50, s46
	s_add_u32 s6, s6, s46
	s_addc_u32 s49, 0, s47
	s_add_u32 s6, s52, s6
	s_cselect_b64 s[46:47], -1, 0
	s_cmp_lg_u64 s[46:47], 0
	s_addc_u32 s49, s50, s49
	s_ashr_i32 s46, s7, 31
	s_add_u32 s50, s48, s46
	s_mov_b32 s47, s46
	s_addc_u32 s51, s7, s46
	s_xor_b64 s[50:51], s[50:51], s[46:47]
	s_mul_i32 s53, s50, s49
	s_mul_hi_u32 s54, s50, s6
	s_mul_hi_u32 s52, s50, s49
	s_add_u32 s53, s54, s53
	s_addc_u32 s52, 0, s52
	s_mul_hi_u32 s55, s51, s6
	s_mul_i32 s6, s51, s6
	s_add_u32 s6, s53, s6
	s_mul_hi_u32 s54, s51, s49
	s_addc_u32 s6, s52, s55
	s_addc_u32 s52, s54, 0
	s_mul_i32 s49, s51, s49
	s_add_u32 s6, s6, s49
	s_addc_u32 s49, 0, s52
	s_mul_i32 s49, s12, s49
	s_mul_hi_u32 s52, s12, s6
	s_add_i32 s49, s52, s49
	s_mul_i32 s52, s13, s6
	s_add_i32 s49, s49, s52
	s_sub_i32 s54, s51, s49
	s_mul_i32 s6, s12, s6
	s_sub_u32 s6, s50, s6
	s_cselect_b64 s[52:53], -1, 0
	s_cmp_lg_u64 s[52:53], 0
	s_subb_u32 s50, s54, s13
	s_sub_u32 s64, s6, s12
	s_cselect_b64 s[54:55], -1, 0
	s_cmp_lg_u64 s[54:55], 0
	s_subb_u32 s65, s50, 0
	s_cmp_ge_u32 s65, s13
	s_cselect_b32 s67, -1, 0
	s_cmp_ge_u32 s64, s12
	s_cselect_b32 s68, -1, 0
	s_cmp_eq_u32 s65, s13
	s_cselect_b32 s67, s68, s67
	s_cmp_lg_u64 s[54:55], 0
	s_subb_u32 s50, s50, s13
	s_sub_u32 s68, s64, s12
	s_cselect_b64 s[54:55], -1, 0
	s_cmp_lg_u64 s[54:55], 0
	s_subb_u32 s50, s50, 0
	s_cmp_lg_u32 s67, 0
	s_cselect_b32 s54, s68, s64
	s_cselect_b32 s50, s50, s65
	s_cmp_lg_u64 s[52:53], 0
	s_subb_u32 s49, s51, s49
	s_cmp_ge_u32 s49, s13
	s_cselect_b32 s51, -1, 0
	s_cmp_ge_u32 s6, s12
	s_cselect_b32 s12, -1, 0
	s_cmp_eq_u32 s49, s13
	s_cselect_b32 s12, s12, s51
	s_cmp_lg_u32 s12, 0
	s_cselect_b32 s13, s50, s49
	s_cselect_b32 s12, s54, s6
	s_xor_b64 s[12:13], s[12:13], s[46:47]
	s_sub_u32 s12, s12, s46
	v_readlane_b32 s55, v69, 6
	s_mov_b32 s50, 0x5040100
	v_readlane_b32 s54, v69, 7
	s_subb_u32 s13, s13, s46
	s_cbranch_execnz .LBB38_264
.LBB38_263:                             ;   in Loop: Header=BB38_32 Depth=1
	v_cvt_f32_u32_e32 v4, s96
	s_sub_i32 s6, 0, s96
	v_rcp_iflag_f32_e32 v4, v4
	s_nop 0
	v_mul_f32_e32 v4, 0x4f7ffffe, v4
	v_cvt_u32_f32_e32 v4, v4
	s_nop 0
	v_readfirstlane_b32 s12, v4
	s_mul_i32 s6, s6, s12
	s_mul_hi_u32 s6, s12, s6
	s_add_i32 s12, s12, s6
	s_mul_hi_u32 s6, s48, s12
	s_mul_i32 s6, s6, s96
	s_sub_i32 s6, s48, s6
	s_sub_i32 s12, s6, s96
	s_cmp_ge_u32 s6, s96
	s_cselect_b32 s6, s12, s6
	s_sub_i32 s12, s6, s96
	s_cmp_ge_u32 s6, s96
	s_cselect_b32 s98, s12, s6
	s_mov_b64 s[12:13], s[98:99]
.LBB38_264:                             ;   in Loop: Header=BB38_32 Depth=1
	s_sub_u32 s12, s48, s12
	s_subb_u32 s13, s7, s13
	v_cmp_gt_i64_e32 vcc, s[12:13], v[0:1]
                                        ; implicit-def: $vgpr50
	s_and_saveexec_b64 s[6:7], vcc
	s_cbranch_execz .LBB38_273
; %bb.265:                              ;   in Loop: Header=BB38_32 Depth=1
	s_mov_b64 s[46:47], 0
	v_mov_b32_e32 v8, v41
	v_mov_b64_e32 v[4:5], v[0:1]
                                        ; implicit-def: $sgpr48_sgpr49
	s_branch .LBB38_268
.LBB38_266:                             ;   in Loop: Header=BB38_268 Depth=2
	s_or_b64 exec, exec, s[50:51]
	s_waitcnt lgkmcnt(0)
	s_barrier
	ds_read_b32 v9, v3 offset:3072
	s_mov_b64 s[50:51], -1
	s_waitcnt lgkmcnt(0)
	s_barrier
	v_cmp_eq_u32_sdwa s[52:53], v9, v3 src0_sel:WORD_0 src1_sel:DWORD
	s_and_b64 vcc, exec, s[52:53]
	s_mov_b64 s[52:53], -1
	s_cbranch_vccnz .LBB38_271
.LBB38_267:                             ;   in Loop: Header=BB38_268 Depth=2
	s_and_b64 s[50:51], exec, s[50:51]
	s_or_b64 s[46:47], s[50:51], s[46:47]
	s_andn2_b64 s[48:49], s[48:49], exec
	s_and_b64 s[50:51], s[52:53], exec
	s_or_b64 s[48:49], s[48:49], s[50:51]
	s_andn2_b64 exec, exec, s[46:47]
	s_cbranch_execz .LBB38_272
.LBB38_268:                             ;   Parent Loop BB38_32 Depth=1
                                        ; =>  This Inner Loop Header: Depth=2
	v_cmp_gt_u64_e32 vcc, s[44:45], v[4:5]
	s_and_saveexec_b64 s[50:51], vcc
	s_cbranch_execz .LBB38_266
; %bb.269:                              ;   in Loop: Header=BB38_268 Depth=2
	ds_read_u16 v9, v8
	s_waitcnt lgkmcnt(0)
	v_add_u32_sdwa v10, sext(v9), s93 dst_sel:DWORD dst_unused:UNUSED_PAD src0_sel:WORD_0 src1_sel:DWORD
	v_and_b32_e32 v10, v10, v49
	v_cmp_eq_u32_e32 vcc, v10, v47
	s_and_b64 exec, exec, vcc
	s_cbranch_execz .LBB38_266
; %bb.270:                              ;   in Loop: Header=BB38_268 Depth=2
	v_perm_b32 v9, v9, 1, v48
	ds_write_b32 v3, v9 offset:3072
	s_branch .LBB38_266
.LBB38_271:                             ;   in Loop: Header=BB38_268 Depth=2
	v_lshl_add_u64 v[4:5], v[4:5], 0, s[96:97]
	v_cmp_le_i64_e32 vcc, s[12:13], v[4:5]
	v_add_u32_e32 v8, s92, v8
	s_mov_b64 s[52:53], 0
	s_orn2_b64 s[50:51], vcc, exec
	s_branch .LBB38_267
.LBB38_272:                             ;   in Loop: Header=BB38_32 Depth=1
	s_or_b64 exec, exec, s[46:47]
	s_andn2_b64 s[0:1], s[0:1], exec
	s_and_b64 s[12:13], s[48:49], exec
	v_lshrrev_b32_e32 v50, 16, v9
	s_or_b64 s[0:1], s[0:1], s[12:13]
	s_mov_b32 s50, 0x5040100
.LBB38_273:                             ;   in Loop: Header=BB38_32 Depth=1
	s_or_b64 exec, exec, s[6:7]
	s_mov_b64 s[46:47], 0
	s_mov_b64 s[48:49], -1
.LBB38_274:                             ;   in Loop: Header=BB38_32 Depth=1
	s_orn2_b64 s[6:7], s[0:1], exec
.LBB38_275:                             ;   in Loop: Header=BB38_32 Depth=1
	s_or_b64 exec, exec, s[42:43]
	s_mov_b64 s[12:13], 0
	s_and_saveexec_b64 s[0:1], s[6:7]
	s_cbranch_execz .LBB38_286
; %bb.276:                              ;   in Loop: Header=BB38_32 Depth=1
	s_xor_b64 s[12:13], s[40:41], -1
	v_mov_b64_e32 v[4:5], 1
	v_mov_b32_e32 v2, 1
	s_and_saveexec_b64 s[6:7], s[12:13]
	s_cbranch_execz .LBB38_285
; %bb.277:                              ;   in Loop: Header=BB38_32 Depth=1
	v_cmp_ge_i64_e32 vcc, s[14:15], v[6:7]
	s_and_saveexec_b64 s[12:13], vcc
	s_xor_b64 s[12:13], exec, s[12:13]
	s_cbranch_execz .LBB38_282
; %bb.278:                              ;   in Loop: Header=BB38_32 Depth=1
	ds_read_b64 v[4:5], v3 offset:5120
	v_or_b32_e32 v47, s66, v47
	v_or_b32_e32 v49, s66, v49
	s_waitcnt lgkmcnt(0)
	v_cmp_ne_u64_e32 vcc, 0, v[4:5]
	s_cbranch_vccnz .LBB38_282
; %bb.279:                              ;   in Loop: Header=BB38_32 Depth=1
	s_mov_b64 s[40:41], exec
	v_readlane_b32 s42, v70, 32
	v_readlane_b32 s43, v70, 33
	s_and_b64 s[42:43], s[40:41], s[42:43]
	s_mov_b64 exec, s[42:43]
; %bb.280:                              ;   in Loop: Header=BB38_32 Depth=1
	v_mov_b64_e32 v[4:5], s[14:15]
	ds_write_b64 v3, v[4:5] offset:5128
; %bb.281:                              ;   in Loop: Header=BB38_32 Depth=1
	s_or_b64 exec, exec, s[40:41]
	s_waitcnt lgkmcnt(0)
	s_barrier
.LBB38_282:                             ;   in Loop: Header=BB38_32 Depth=1
	s_andn2_saveexec_b64 s[12:13], s[12:13]
; %bb.283:                              ;   in Loop: Header=BB38_32 Depth=1
	v_mov_b32_e32 v2, s15
	v_subrev_co_u32_e32 v6, vcc, s14, v6
	s_nop 1
	v_subb_co_u32_e32 v7, vcc, v7, v2, vcc
; %bb.284:                              ;   in Loop: Header=BB38_32 Depth=1
	s_or_b64 exec, exec, s[12:13]
	v_mov_b32_e32 v2, 8
	v_mov_b64_e32 v[4:5], v[6:7]
.LBB38_285:                             ;   in Loop: Header=BB38_32 Depth=1
	s_or_b64 exec, exec, s[6:7]
	s_mov_b64 s[12:13], exec
	v_mov_b64_e32 v[6:7], v[4:5]
.LBB38_286:                             ;   in Loop: Header=BB38_32 Depth=1
	s_or_b64 exec, exec, s[0:1]
	s_orn2_b64 s[0:1], s[12:13], exec
.LBB38_287:                             ;   in Loop: Header=BB38_32 Depth=1
	s_or_b64 exec, exec, s[22:23]
	s_andn2_b64 s[6:7], s[36:37], exec
	s_and_b64 s[12:13], s[48:49], exec
	s_or_b64 s[36:37], s[6:7], s[12:13]
	s_andn2_b64 s[6:7], s[34:35], exec
	s_and_b64 s[12:13], s[46:47], exec
	s_or_b64 s[34:35], s[6:7], s[12:13]
	s_and_b64 s[6:7], s[0:1], exec
	v_mov_b64_e32 v[4:5], v[6:7]
.LBB38_288:                             ;   in Loop: Header=BB38_32 Depth=1
	s_or_b64 exec, exec, s[38:39]
	s_orn2_b64 s[0:1], s[6:7], exec
.LBB38_289:                             ;   in Loop: Header=BB38_32 Depth=1
	s_or_b64 exec, exec, s[28:29]
	s_andn2_b64 s[6:7], s[24:25], exec
	s_and_b64 s[12:13], s[36:37], exec
	s_or_b64 s[24:25], s[6:7], s[12:13]
	s_andn2_b64 s[2:3], s[2:3], exec
	s_and_b64 s[6:7], s[34:35], exec
	s_or_b64 s[2:3], s[2:3], s[6:7]
	s_and_b64 s[6:7], s[0:1], exec
	v_mov_b64_e32 v[8:9], v[4:5]
.LBB38_290:                             ;   in Loop: Header=BB38_32 Depth=1
	s_or_b64 exec, exec, s[26:27]
	s_orn2_b64 s[0:1], s[6:7], exec
.LBB38_291:                             ;   in Loop: Header=BB38_32 Depth=1
	s_or_b64 exec, exec, s[20:21]
	s_mov_b64 s[6:7], 0
	s_and_saveexec_b64 s[12:13], s[0:1]
	s_xor_b64 s[0:1], exec, s[12:13]
	s_cbranch_execz .LBB38_30
; %bb.292:                              ;   in Loop: Header=BB38_32 Depth=1
	v_and_b32_e32 v2, 7, v2
	v_cmp_eq_u32_e32 vcc, 0, v2
	s_mov_b64 s[12:13], -1
	s_mov_b64 s[6:7], -1
	s_and_saveexec_b64 s[14:15], vcc
	s_cbranch_execz .LBB38_29
; %bb.293:                              ;   in Loop: Header=BB38_32 Depth=1
	s_xor_b32 s72, s72, 1
	s_add_i32 s18, s33, -2
	s_cmp_eq_u32 s33, 0
	s_cselect_b64 s[12:13], -1, 0
	s_xor_b64 s[6:7], exec, -1
	s_orn2_b64 s[12:13], s[12:13], exec
	s_mov_b32 s33, s18
	s_branch .LBB38_29
.LBB38_294:                             ;   in Loop: Header=BB38_32 Depth=1
                                        ; implicit-def: $sgpr0_sgpr1
	s_andn2_b64 vcc, exec, s[6:7]
	s_cbranch_vccz .LBB38_247
	s_branch .LBB38_248
.LBB38_295:                             ;   in Loop: Header=BB38_32 Depth=1
                                        ; implicit-def: $sgpr12_sgpr13
	s_branch .LBB38_263
.LBB38_296:
	s_or_b64 exec, exec, s[86:87]
	s_xor_b64 s[6:7], s[80:81], -1
	s_xor_b64 s[0:1], s[58:59], -1
	;; [unrolled: 1-line block ×3, first 2 shown]
	s_mov_b64 s[2:3], 0
	s_and_saveexec_b64 s[8:9], s[0:1]
	s_xor_b64 s[0:1], exec, s[8:9]
	s_cbranch_execnz .LBB38_301
; %bb.297:
	s_andn2_saveexec_b64 s[0:1], s[0:1]
	s_cbranch_execnz .LBB38_323
.LBB38_298:
	s_or_b64 exec, exec, s[0:1]
	s_and_saveexec_b64 s[0:1], s[2:3]
.LBB38_299:
	; divergent unreachable
.LBB38_300:
	s_endpgm
.LBB38_301:
	s_and_saveexec_b64 s[2:3], s[6:7]
	s_xor_b64 s[2:3], exec, s[2:3]
	s_cbranch_execz .LBB38_321
; %bb.302:
	s_and_saveexec_b64 s[6:7], s[4:5]
	s_xor_b64 s[4:5], exec, s[6:7]
; %bb.303:
	v_xor_b32_e32 v50, 0xffff8000, v47
; %bb.304:
	s_or_b64 exec, exec, s[4:5]
	s_mov_b64 s[4:5], exec
	v_readlane_b32 s6, v70, 32
	v_readlane_b32 s7, v70, 33
	v_readlane_b32 s28, v70, 24
	v_readlane_b32 s26, v70, 22
	s_and_b64 s[6:7], s[4:5], s[6:7]
	v_readlane_b32 s24, v70, 34
	v_readlane_b32 s29, v70, 25
	;; [unrolled: 1-line block ×6, first 2 shown]
	s_mov_b64 exec, s[6:7]
; %bb.305:
	v_mov_b32_e32 v2, 0
	v_mov_b32_e32 v3, s56
	ds_write_b32 v2, v3 offset:5140
; %bb.306:
	s_or_b64 exec, exec, s[4:5]
	s_waitcnt lgkmcnt(0)
	s_barrier
	s_mov_b64 s[4:5], exec
	v_readlane_b32 s6, v70, 44
	v_readlane_b32 s7, v70, 45
	s_and_b64 s[6:7], s[4:5], s[6:7]
	s_mov_b64 exec, s[6:7]
	s_cbranch_execz .LBB38_318
; %bb.307:
	v_mov_b32_e32 v2, 0
	ds_read_b32 v4, v2 offset:5140
	s_mov_b64 s[6:7], 0
                                        ; implicit-def: $sgpr8_sgpr9
                                        ; implicit-def: $sgpr10_sgpr11
                                        ; implicit-def: $sgpr12_sgpr13
	s_waitcnt lgkmcnt(0)
	v_ashrrev_i32_e32 v5, 31, v4
	s_branch .LBB38_310
.LBB38_308:                             ;   in Loop: Header=BB38_310 Depth=1
	s_or_b64 exec, exec, s[20:21]
	s_andn2_b64 s[12:13], s[12:13], exec
	s_and_b64 s[18:19], s[18:19], exec
	s_andn2_b64 s[10:11], s[10:11], exec
	s_and_b64 s[16:17], s[16:17], exec
	s_or_b64 s[12:13], s[12:13], s[18:19]
	s_or_b64 s[10:11], s[10:11], s[16:17]
.LBB38_309:                             ;   in Loop: Header=BB38_310 Depth=1
	s_or_b64 exec, exec, s[14:15]
	s_and_b64 s[14:15], exec, s[10:11]
	s_or_b64 s[6:7], s[14:15], s[6:7]
	s_andn2_b64 s[8:9], s[8:9], exec
	s_and_b64 s[14:15], s[12:13], exec
	s_or_b64 s[8:9], s[8:9], s[14:15]
	s_andn2_b64 exec, exec, s[6:7]
	s_cbranch_execz .LBB38_313
.LBB38_310:                             ; =>This Inner Loop Header: Depth=1
	v_mov_b64_e32 v[2:3], v[0:1]
	v_cmp_lt_i64_e32 vcc, v[2:3], v[4:5]
	s_or_b64 s[12:13], s[12:13], exec
	s_or_b64 s[10:11], s[10:11], exec
                                        ; implicit-def: $vgpr0_vgpr1
	s_and_saveexec_b64 s[14:15], vcc
	s_cbranch_execz .LBB38_309
; %bb.311:                              ;   in Loop: Header=BB38_310 Depth=1
	global_load_ushort v0, v[12:13], off
	s_mov_b64 s[16:17], -1
	s_mov_b64 s[18:19], 0
	s_waitcnt vmcnt(0)
	v_cmp_ne_u16_e32 vcc, v0, v50
                                        ; implicit-def: $vgpr0_vgpr1
	s_and_saveexec_b64 s[20:21], vcc
	s_cbranch_execz .LBB38_308
; %bb.312:                              ;   in Loop: Header=BB38_310 Depth=1
	v_lshl_add_u64 v[0:1], v[2:3], 0, s[96:97]
	v_cmp_le_i64_e32 vcc, s[56:57], v[0:1]
	s_mov_b64 s[18:19], exec
	v_lshl_add_u64 v[12:13], v[12:13], 0, s[90:91]
	s_orn2_b64 s[16:17], vcc, exec
	s_branch .LBB38_308
.LBB38_313:
	s_or_b64 exec, exec, s[6:7]
	s_xor_b64 s[6:7], s[8:9], -1
	s_and_saveexec_b64 s[8:9], s[6:7]
	s_xor_b64 s[8:9], exec, s[8:9]
	s_cbranch_execz .LBB38_318
; %bb.314:
	s_mov_b64 s[6:7], exec
	s_brev_b32 s8, -2
.LBB38_315:                             ; =>This Inner Loop Header: Depth=1
	s_ff1_i32_b64 s9, s[6:7]
	v_readlane_b32 s12, v2, s9
	s_lshl_b64 s[10:11], 1, s9
	s_min_i32 s8, s8, s12
	s_andn2_b64 s[6:7], s[6:7], s[10:11]
	s_cmp_lg_u64 s[6:7], 0
	s_cbranch_scc1 .LBB38_315
; %bb.316:
	v_mbcnt_lo_u32_b32 v0, exec_lo, 0
	v_mbcnt_hi_u32_b32 v0, exec_hi, v0
	v_cmp_eq_u32_e32 vcc, 0, v0
	s_and_saveexec_b64 s[6:7], vcc
	s_xor_b64 s[6:7], exec, s[6:7]
; %bb.317:
	v_mov_b32_e32 v0, 0
	v_mov_b32_e32 v1, s8
	ds_min_i32 v0, v1 offset:5140
.LBB38_318:
	s_or_b64 exec, exec, s[4:5]
	s_waitcnt lgkmcnt(0)
	s_barrier
	s_mov_b64 s[4:5], exec
	v_readlane_b32 s6, v70, 32
	v_readlane_b32 s7, v70, 33
	s_and_b64 s[6:7], s[4:5], s[6:7]
	s_mov_b64 exec, s[6:7]
	s_cbranch_execz .LBB38_320
; %bb.319:
	s_mul_i32 s6, s26, s31
	s_mul_hi_u32 s7, s26, s30
	s_add_i32 s6, s7, s6
	s_mul_i32 s7, s27, s30
	s_add_i32 s6, s6, s7
	s_mul_i32 s7, s26, s30
	v_readlane_b32 s10, v70, 8
	s_sub_u32 s8, s24, s7
	v_readlane_b32 s11, v70, 9
	s_subb_u32 s6, 0, s6
	s_mul_i32 s7, s8, s11
	s_mul_hi_u32 s9, s8, s10
	v_readlane_b32 s12, v70, 0
	s_add_i32 s7, s9, s7
	s_mul_i32 s6, s6, s10
	v_readlane_b32 s13, v70, 1
	v_readlane_b32 s18, v70, 6
	s_add_i32 s7, s7, s6
	s_mul_i32 s6, s8, s10
	v_readlane_b32 s19, v70, 7
	s_mul_i32 s8, s18, s13
	s_mul_hi_u32 s9, s18, s12
	s_add_i32 s8, s9, s8
	s_mul_i32 s9, s19, s12
	s_add_i32 s8, s8, s9
	s_mul_i32 s9, s18, s12
	v_readlane_b32 s16, v70, 4
	v_readlane_b32 s20, v70, 16
	;; [unrolled: 1-line block ×3, first 2 shown]
	s_sub_u32 s10, s16, s9
	v_readlane_b32 s22, v70, 18
	v_readlane_b32 s23, v70, 19
	s_subb_u32 s8, s17, s8
	s_mul_i32 s9, s10, s23
	s_mul_hi_u32 s11, s10, s22
	v_readlane_b32 s14, v70, 2
	v_readlane_b32 s15, v70, 3
	;; [unrolled: 1-line block ×3, first 2 shown]
	s_add_i32 s9, s11, s9
	s_mul_i32 s8, s8, s22
	s_add_i32 s9, s9, s8
	s_mul_i32 s8, s10, s22
	s_mul_i32 s10, s18, s21
	s_mul_hi_u32 s11, s18, s20
	s_mul_i32 s12, s16, s15
	s_mul_hi_u32 s13, s16, s14
	s_add_i32 s10, s11, s10
	s_mul_i32 s11, s19, s20
	s_add_i32 s12, s13, s12
	s_mul_i32 s13, s17, s14
	s_add_i32 s11, s10, s11
	s_add_i32 s12, s12, s13
	s_mul_i32 s13, s16, s14
	v_readlane_b32 s16, v70, 14
	s_sub_u32 s14, s24, s13
	v_readlane_b32 s17, v70, 15
	s_subb_u32 s12, 0, s12
	s_mul_i32 s13, s14, s17
	s_mul_hi_u32 s15, s14, s16
	s_mul_i32 s10, s18, s20
	s_add_i32 s13, s15, s13
	s_mul_i32 s12, s12, s16
	v_readlane_b32 s18, v70, 20
	s_add_i32 s13, s13, s12
	s_mul_i32 s12, s14, s16
	v_readlane_b32 s19, v70, 21
	s_mul_i32 s14, s18, s29
	s_mul_hi_u32 s15, s18, s28
	s_add_i32 s14, s15, s14
	s_mul_i32 s15, s19, s28
	s_add_i32 s14, s14, s15
	s_mul_i32 s15, s18, s28
	v_readlane_b32 s20, v70, 10
	s_sub_u32 s16, s26, s15
	v_readlane_b32 s22, v70, 12
	v_readlane_b32 s23, v70, 13
	s_subb_u32 s14, s27, s14
	s_mul_i32 s15, s16, s23
	s_mul_hi_u32 s17, s16, s22
	v_readlane_b32 s21, v70, 11
	s_add_i32 s15, s17, s15
	s_mul_i32 s14, s14, s22
	s_add_i32 s15, s15, s14
	s_mul_i32 s14, s16, s22
	s_mul_i32 s16, s18, s21
	s_mul_hi_u32 s17, s18, s20
	s_add_i32 s16, s17, s16
	s_mul_i32 s17, s19, s20
	s_add_i32 s17, s16, s17
	s_mul_i32 s16, s18, s20
	s_lshl_b64 s[10:11], s[10:11], 1
	v_readlane_b32 s18, v70, 30
	v_readlane_b32 s19, v70, 31
	s_add_u32 s10, s18, s10
	s_addc_u32 s11, s19, s11
	s_lshl_b64 s[8:9], s[8:9], 1
	s_add_u32 s10, s10, s8
	s_addc_u32 s11, s11, s9
	s_lshl_b64 s[8:9], s[12:13], 1
	;; [unrolled: 3-line block ×3, first 2 shown]
	v_readlane_b32 s12, v70, 28
	v_mov_b32_e32 v2, 0
	v_readlane_b32 s13, v70, 29
	s_add_u32 s12, s12, s10
	ds_read_b32 v0, v2 offset:5140
	s_addc_u32 s13, s13, s11
	s_lshl_b64 s[10:11], s[14:15], 3
	s_add_u32 s10, s12, s10
	s_addc_u32 s11, s13, s11
	s_lshl_b64 s[6:7], s[6:7], 3
	s_add_u32 s6, s10, s6
	s_addc_u32 s7, s11, s7
	s_waitcnt lgkmcnt(0)
	v_ashrrev_i32_e32 v1, 31, v0
	global_store_dwordx2 v2, v[0:1], s[6:7]
	global_store_short v2, v50, s[8:9]
.LBB38_320:
	s_or_b64 exec, exec, s[4:5]
.LBB38_321:
	s_or_saveexec_b64 s[2:3], s[2:3]
	s_mov_b64 s[4:5], 0
	s_xor_b64 exec, exec, s[2:3]
	s_cbranch_execnz .LBB38_324
.LBB38_322:
	s_or_b64 exec, exec, s[2:3]
	s_and_b64 s[2:3], s[4:5], exec
	s_andn2_saveexec_b64 s[0:1], s[0:1]
	s_cbranch_execz .LBB38_298
.LBB38_323:
	s_or_b64 s[2:3], s[2:3], exec
	s_trap 2
	s_or_b64 exec, exec, s[0:1]
	s_and_saveexec_b64 s[0:1], s[2:3]
	s_cbranch_execnz .LBB38_299
	s_branch .LBB38_300
.LBB38_324:
	s_mov_b64 s[4:5], exec
	s_trap 2
	s_branch .LBB38_322
	.section	.rodata,"a",@progbits
	.p2align	6, 0x0
	.amdhsa_kernel _ZN2at6native12_GLOBAL__N_114gatherKthValueIslLi3EEEvNS_4cuda6detail10TensorInfoIKT_T0_EES8_S8_S8_S8_NS5_IS6_S8_EENS5_IlS8_EE
		.amdhsa_group_segment_fixed_size 5144
		.amdhsa_private_segment_fixed_size 0
		.amdhsa_kernarg_size 1536
		.amdhsa_user_sgpr_count 2
		.amdhsa_user_sgpr_dispatch_ptr 0
		.amdhsa_user_sgpr_queue_ptr 0
		.amdhsa_user_sgpr_kernarg_segment_ptr 1
		.amdhsa_user_sgpr_dispatch_id 0
		.amdhsa_user_sgpr_kernarg_preload_length 0
		.amdhsa_user_sgpr_kernarg_preload_offset 0
		.amdhsa_user_sgpr_private_segment_size 0
		.amdhsa_uses_dynamic_stack 0
		.amdhsa_enable_private_segment 0
		.amdhsa_system_sgpr_workgroup_id_x 1
		.amdhsa_system_sgpr_workgroup_id_y 1
		.amdhsa_system_sgpr_workgroup_id_z 1
		.amdhsa_system_sgpr_workgroup_info 0
		.amdhsa_system_vgpr_workitem_id 0
		.amdhsa_next_free_vgpr 71
		.amdhsa_next_free_sgpr 100
		.amdhsa_accum_offset 72
		.amdhsa_reserve_vcc 1
		.amdhsa_float_round_mode_32 0
		.amdhsa_float_round_mode_16_64 0
		.amdhsa_float_denorm_mode_32 3
		.amdhsa_float_denorm_mode_16_64 3
		.amdhsa_dx10_clamp 1
		.amdhsa_ieee_mode 1
		.amdhsa_fp16_overflow 0
		.amdhsa_tg_split 0
		.amdhsa_exception_fp_ieee_invalid_op 0
		.amdhsa_exception_fp_denorm_src 0
		.amdhsa_exception_fp_ieee_div_zero 0
		.amdhsa_exception_fp_ieee_overflow 0
		.amdhsa_exception_fp_ieee_underflow 0
		.amdhsa_exception_fp_ieee_inexact 0
		.amdhsa_exception_int_div_zero 0
	.end_amdhsa_kernel
	.section	.text._ZN2at6native12_GLOBAL__N_114gatherKthValueIslLi3EEEvNS_4cuda6detail10TensorInfoIKT_T0_EES8_S8_S8_S8_NS5_IS6_S8_EENS5_IlS8_EE,"axG",@progbits,_ZN2at6native12_GLOBAL__N_114gatherKthValueIslLi3EEEvNS_4cuda6detail10TensorInfoIKT_T0_EES8_S8_S8_S8_NS5_IS6_S8_EENS5_IlS8_EE,comdat
.Lfunc_end38:
	.size	_ZN2at6native12_GLOBAL__N_114gatherKthValueIslLi3EEEvNS_4cuda6detail10TensorInfoIKT_T0_EES8_S8_S8_S8_NS5_IS6_S8_EENS5_IlS8_EE, .Lfunc_end38-_ZN2at6native12_GLOBAL__N_114gatherKthValueIslLi3EEEvNS_4cuda6detail10TensorInfoIKT_T0_EES8_S8_S8_S8_NS5_IS6_S8_EENS5_IlS8_EE
                                        ; -- End function
	.set _ZN2at6native12_GLOBAL__N_114gatherKthValueIslLi3EEEvNS_4cuda6detail10TensorInfoIKT_T0_EES8_S8_S8_S8_NS5_IS6_S8_EENS5_IlS8_EE.num_vgpr, 71
	.set _ZN2at6native12_GLOBAL__N_114gatherKthValueIslLi3EEEvNS_4cuda6detail10TensorInfoIKT_T0_EES8_S8_S8_S8_NS5_IS6_S8_EENS5_IlS8_EE.num_agpr, 0
	.set _ZN2at6native12_GLOBAL__N_114gatherKthValueIslLi3EEEvNS_4cuda6detail10TensorInfoIKT_T0_EES8_S8_S8_S8_NS5_IS6_S8_EENS5_IlS8_EE.numbered_sgpr, 100
	.set _ZN2at6native12_GLOBAL__N_114gatherKthValueIslLi3EEEvNS_4cuda6detail10TensorInfoIKT_T0_EES8_S8_S8_S8_NS5_IS6_S8_EENS5_IlS8_EE.num_named_barrier, 0
	.set _ZN2at6native12_GLOBAL__N_114gatherKthValueIslLi3EEEvNS_4cuda6detail10TensorInfoIKT_T0_EES8_S8_S8_S8_NS5_IS6_S8_EENS5_IlS8_EE.private_seg_size, 0
	.set _ZN2at6native12_GLOBAL__N_114gatherKthValueIslLi3EEEvNS_4cuda6detail10TensorInfoIKT_T0_EES8_S8_S8_S8_NS5_IS6_S8_EENS5_IlS8_EE.uses_vcc, 1
	.set _ZN2at6native12_GLOBAL__N_114gatherKthValueIslLi3EEEvNS_4cuda6detail10TensorInfoIKT_T0_EES8_S8_S8_S8_NS5_IS6_S8_EENS5_IlS8_EE.uses_flat_scratch, 0
	.set _ZN2at6native12_GLOBAL__N_114gatherKthValueIslLi3EEEvNS_4cuda6detail10TensorInfoIKT_T0_EES8_S8_S8_S8_NS5_IS6_S8_EENS5_IlS8_EE.has_dyn_sized_stack, 0
	.set _ZN2at6native12_GLOBAL__N_114gatherKthValueIslLi3EEEvNS_4cuda6detail10TensorInfoIKT_T0_EES8_S8_S8_S8_NS5_IS6_S8_EENS5_IlS8_EE.has_recursion, 0
	.set _ZN2at6native12_GLOBAL__N_114gatherKthValueIslLi3EEEvNS_4cuda6detail10TensorInfoIKT_T0_EES8_S8_S8_S8_NS5_IS6_S8_EENS5_IlS8_EE.has_indirect_call, 0
	.section	.AMDGPU.csdata,"",@progbits
; Kernel info:
; codeLenInByte = 21628
; TotalNumSgprs: 106
; NumVgprs: 71
; NumAgprs: 0
; TotalNumVgprs: 71
; ScratchSize: 0
; MemoryBound: 0
; FloatMode: 240
; IeeeMode: 1
; LDSByteSize: 5144 bytes/workgroup (compile time only)
; SGPRBlocks: 13
; VGPRBlocks: 8
; NumSGPRsForWavesPerEU: 106
; NumVGPRsForWavesPerEU: 71
; AccumOffset: 72
; Occupancy: 7
; WaveLimiterHint : 1
; COMPUTE_PGM_RSRC2:SCRATCH_EN: 0
; COMPUTE_PGM_RSRC2:USER_SGPR: 2
; COMPUTE_PGM_RSRC2:TRAP_HANDLER: 0
; COMPUTE_PGM_RSRC2:TGID_X_EN: 1
; COMPUTE_PGM_RSRC2:TGID_Y_EN: 1
; COMPUTE_PGM_RSRC2:TGID_Z_EN: 1
; COMPUTE_PGM_RSRC2:TIDIG_COMP_CNT: 0
; COMPUTE_PGM_RSRC3_GFX90A:ACCUM_OFFSET: 17
; COMPUTE_PGM_RSRC3_GFX90A:TG_SPLIT: 0
	.section	.text._ZN2at6native12_GLOBAL__N_114gatherKthValueIslLin1EEEvNS_4cuda6detail10TensorInfoIKT_T0_EES8_S8_S8_S8_NS5_IS6_S8_EENS5_IlS8_EE,"axG",@progbits,_ZN2at6native12_GLOBAL__N_114gatherKthValueIslLin1EEEvNS_4cuda6detail10TensorInfoIKT_T0_EES8_S8_S8_S8_NS5_IS6_S8_EENS5_IlS8_EE,comdat
	.globl	_ZN2at6native12_GLOBAL__N_114gatherKthValueIslLin1EEEvNS_4cuda6detail10TensorInfoIKT_T0_EES8_S8_S8_S8_NS5_IS6_S8_EENS5_IlS8_EE ; -- Begin function _ZN2at6native12_GLOBAL__N_114gatherKthValueIslLin1EEEvNS_4cuda6detail10TensorInfoIKT_T0_EES8_S8_S8_S8_NS5_IS6_S8_EENS5_IlS8_EE
	.p2align	8
	.type	_ZN2at6native12_GLOBAL__N_114gatherKthValueIslLin1EEEvNS_4cuda6detail10TensorInfoIKT_T0_EES8_S8_S8_S8_NS5_IS6_S8_EENS5_IlS8_EE,@function
_ZN2at6native12_GLOBAL__N_114gatherKthValueIslLin1EEEvNS_4cuda6detail10TensorInfoIKT_T0_EES8_S8_S8_S8_NS5_IS6_S8_EENS5_IlS8_EE: ; @_ZN2at6native12_GLOBAL__N_114gatherKthValueIslLin1EEEvNS_4cuda6detail10TensorInfoIKT_T0_EES8_S8_S8_S8_NS5_IS6_S8_EENS5_IlS8_EE
; %bb.0:
	s_load_dwordx2 s[12:13], s[0:1], 0x500
	s_load_dwordx8 s[56:63], s[0:1], 0x1a0
	s_add_u32 s10, s0, 0x500
	s_addc_u32 s11, s1, 0
	s_mov_b32 s7, 0
	s_waitcnt lgkmcnt(0)
	s_mul_i32 s4, s13, s4
	s_add_i32 s3, s4, s3
	s_mul_i32 s3, s3, s12
	s_add_i32 s6, s3, s2
	v_mov_b64_e32 v[2:3], s[6:7]
	v_cmp_le_i64_e32 vcc, s[60:61], v[2:3]
	s_cbranch_vccnz .LBB39_299
; %bb.1:
	s_load_dword s13, s[0:1], 0x198
	s_mov_b64 s[4:5], 0
	s_mov_b64 s[8:9], s[6:7]
	s_waitcnt lgkmcnt(0)
	s_cmp_lt_i32 s13, 2
	s_cbranch_scc1 .LBB39_9
; %bb.2:
	s_mov_b32 s14, 0
	s_add_i32 s4, s13, -1
	s_mov_b32 s5, s14
	s_add_i32 s3, s13, 1
	s_lshl_b64 s[4:5], s[4:5], 3
	s_add_u32 s4, s0, s4
	s_addc_u32 s5, s1, s5
	s_add_u32 s16, s4, 8
	s_addc_u32 s17, s5, 0
	s_mov_b64 s[4:5], 0
	s_mov_b64 s[18:19], s[6:7]
.LBB39_3:                               ; =>This Inner Loop Header: Depth=1
	s_load_dwordx2 s[20:21], s[16:17], 0x0
	s_waitcnt lgkmcnt(0)
	s_or_b64 s[8:9], s[18:19], s[20:21]
	s_mov_b32 s15, s9
	s_cmp_lg_u64 s[14:15], 0
	s_cbranch_scc0 .LBB39_8
; %bb.4:                                ;   in Loop: Header=BB39_3 Depth=1
	s_ashr_i32 s8, s21, 31
	s_add_u32 s22, s20, s8
	s_mov_b32 s9, s8
	s_addc_u32 s23, s21, s8
	s_xor_b64 s[22:23], s[22:23], s[8:9]
	v_cvt_f32_u32_e32 v1, s22
	v_cvt_f32_u32_e32 v2, s23
	s_sub_u32 s13, 0, s22
	s_subb_u32 s15, 0, s23
	v_fmac_f32_e32 v1, 0x4f800000, v2
	v_rcp_f32_e32 v1, v1
	s_nop 0
	v_mul_f32_e32 v1, 0x5f7ffffc, v1
	v_mul_f32_e32 v2, 0x2f800000, v1
	v_trunc_f32_e32 v2, v2
	v_fmac_f32_e32 v1, 0xcf800000, v2
	v_cvt_u32_f32_e32 v2, v2
	v_cvt_u32_f32_e32 v1, v1
	v_readfirstlane_b32 s26, v2
	v_readfirstlane_b32 s24, v1
	s_mul_i32 s25, s13, s26
	s_mul_hi_u32 s28, s13, s24
	s_mul_i32 s27, s15, s24
	s_add_i32 s25, s28, s25
	s_add_i32 s25, s25, s27
	s_mul_i32 s29, s13, s24
	s_mul_i32 s28, s24, s25
	s_mul_hi_u32 s30, s24, s29
	s_mul_hi_u32 s27, s24, s25
	s_add_u32 s28, s30, s28
	s_addc_u32 s27, 0, s27
	s_mul_hi_u32 s31, s26, s29
	s_mul_i32 s29, s26, s29
	s_add_u32 s28, s28, s29
	s_mul_hi_u32 s30, s26, s25
	s_addc_u32 s27, s27, s31
	s_addc_u32 s28, s30, 0
	s_mul_i32 s25, s26, s25
	s_add_u32 s25, s27, s25
	s_addc_u32 s27, 0, s28
	s_add_u32 s28, s24, s25
	s_cselect_b64 s[24:25], -1, 0
	s_cmp_lg_u64 s[24:25], 0
	s_addc_u32 s26, s26, s27
	s_mul_i32 s24, s13, s26
	s_mul_hi_u32 s25, s13, s28
	s_add_i32 s24, s25, s24
	s_mul_i32 s15, s15, s28
	s_add_i32 s24, s24, s15
	s_mul_i32 s13, s13, s28
	s_mul_hi_u32 s25, s26, s13
	s_mul_i32 s27, s26, s13
	s_mul_i32 s30, s28, s24
	s_mul_hi_u32 s13, s28, s13
	s_mul_hi_u32 s29, s28, s24
	s_add_u32 s13, s13, s30
	s_addc_u32 s29, 0, s29
	s_add_u32 s13, s13, s27
	s_mul_hi_u32 s15, s26, s24
	s_addc_u32 s13, s29, s25
	s_addc_u32 s15, s15, 0
	s_mul_i32 s24, s26, s24
	s_add_u32 s13, s13, s24
	s_addc_u32 s15, 0, s15
	s_add_u32 s13, s28, s13
	s_cselect_b64 s[24:25], -1, 0
	s_cmp_lg_u64 s[24:25], 0
	s_addc_u32 s15, s26, s15
	s_ashr_i32 s24, s19, 31
	s_add_u32 s26, s18, s24
	s_mov_b32 s25, s24
	s_addc_u32 s27, s19, s24
	s_xor_b64 s[26:27], s[26:27], s[24:25]
	s_mul_i32 s29, s26, s15
	s_mul_hi_u32 s30, s26, s13
	s_mul_hi_u32 s28, s26, s15
	s_add_u32 s29, s30, s29
	s_addc_u32 s28, 0, s28
	s_mul_hi_u32 s31, s27, s13
	s_mul_i32 s13, s27, s13
	s_add_u32 s13, s29, s13
	s_mul_hi_u32 s30, s27, s15
	s_addc_u32 s13, s28, s31
	s_addc_u32 s28, s30, 0
	s_mul_i32 s15, s27, s15
	s_add_u32 s13, s13, s15
	s_addc_u32 s15, 0, s28
	s_mul_i32 s28, s22, s15
	s_mul_hi_u32 s29, s22, s13
	s_add_i32 s28, s29, s28
	s_mul_i32 s29, s23, s13
	s_add_i32 s33, s28, s29
	s_sub_i32 s30, s27, s33
	s_mul_i32 s28, s22, s13
	s_sub_u32 s26, s26, s28
	s_cselect_b64 s[28:29], -1, 0
	s_cmp_lg_u64 s[28:29], 0
	s_subb_u32 s34, s30, s23
	s_sub_u32 s35, s26, s22
	s_cselect_b64 s[30:31], -1, 0
	s_cmp_lg_u64 s[30:31], 0
	s_subb_u32 s30, s34, 0
	s_cmp_ge_u32 s30, s23
	s_cselect_b32 s31, -1, 0
	s_cmp_ge_u32 s35, s22
	s_cselect_b32 s34, -1, 0
	s_cmp_eq_u32 s30, s23
	s_cselect_b32 s30, s34, s31
	s_add_u32 s31, s13, 1
	s_addc_u32 s34, s15, 0
	s_add_u32 s35, s13, 2
	s_addc_u32 s36, s15, 0
	s_cmp_lg_u32 s30, 0
	s_cselect_b32 s30, s35, s31
	s_cselect_b32 s31, s36, s34
	s_cmp_lg_u64 s[28:29], 0
	s_subb_u32 s27, s27, s33
	s_cmp_ge_u32 s27, s23
	s_cselect_b32 s28, -1, 0
	s_cmp_ge_u32 s26, s22
	s_cselect_b32 s22, -1, 0
	s_cmp_eq_u32 s27, s23
	s_cselect_b32 s22, s22, s28
	s_cmp_lg_u32 s22, 0
	s_cselect_b32 s23, s31, s15
	s_cselect_b32 s22, s30, s13
	s_xor_b64 s[8:9], s[24:25], s[8:9]
	s_xor_b64 s[22:23], s[22:23], s[8:9]
	s_sub_u32 s8, s22, s8
	s_subb_u32 s9, s23, s9
	s_cbranch_execnz .LBB39_6
.LBB39_5:                               ;   in Loop: Header=BB39_3 Depth=1
	v_cvt_f32_u32_e32 v1, s20
	s_sub_i32 s8, 0, s20
	v_rcp_iflag_f32_e32 v1, v1
	s_nop 0
	v_mul_f32_e32 v1, 0x4f7ffffe, v1
	v_cvt_u32_f32_e32 v1, v1
	s_nop 0
	v_readfirstlane_b32 s9, v1
	s_mul_i32 s8, s8, s9
	s_mul_hi_u32 s8, s9, s8
	s_add_i32 s9, s9, s8
	s_mul_hi_u32 s8, s18, s9
	s_mul_i32 s13, s8, s20
	s_sub_i32 s13, s18, s13
	s_add_i32 s9, s8, 1
	s_sub_i32 s15, s13, s20
	s_cmp_ge_u32 s13, s20
	s_cselect_b32 s8, s9, s8
	s_cselect_b32 s13, s15, s13
	s_add_i32 s9, s8, 1
	s_cmp_ge_u32 s13, s20
	s_cselect_b32 s8, s9, s8
	s_mov_b32 s9, s14
.LBB39_6:                               ;   in Loop: Header=BB39_3 Depth=1
	s_mul_i32 s13, s8, s21
	s_mul_hi_u32 s15, s8, s20
	s_load_dwordx2 s[22:23], s[16:17], 0xc8
	s_add_i32 s13, s15, s13
	s_mul_i32 s15, s9, s20
	s_add_i32 s13, s13, s15
	s_mul_i32 s15, s8, s20
	s_sub_u32 s15, s18, s15
	s_subb_u32 s13, s19, s13
	s_waitcnt lgkmcnt(0)
	s_mul_i32 s13, s22, s13
	s_mul_hi_u32 s18, s22, s15
	s_add_i32 s13, s18, s13
	s_mul_i32 s18, s23, s15
	s_add_i32 s13, s13, s18
	s_mul_i32 s15, s22, s15
	s_add_u32 s4, s15, s4
	s_addc_u32 s5, s13, s5
	s_add_i32 s3, s3, -1
	s_add_u32 s16, s16, -8
	s_addc_u32 s17, s17, -1
	s_cmp_gt_u32 s3, 2
	s_cbranch_scc0 .LBB39_9
; %bb.7:                                ;   in Loop: Header=BB39_3 Depth=1
	s_mov_b64 s[18:19], s[8:9]
	s_branch .LBB39_3
.LBB39_8:                               ;   in Loop: Header=BB39_3 Depth=1
                                        ; implicit-def: $sgpr8_sgpr9
	s_branch .LBB39_5
.LBB39_9:
	s_load_dword s13, s[0:1], 0x358
	s_load_dwordx2 s[14:15], s[0:1], 0xd0
	s_add_u32 s16, s0, 0x1c0
	s_addc_u32 s17, s1, 0
	s_mov_b64 s[60:61], 0
	s_waitcnt lgkmcnt(0)
	s_cmp_lt_i32 s13, 2
	s_mov_b64 s[28:29], s[6:7]
	s_cbranch_scc1 .LBB39_17
; %bb.10:
	s_mov_b32 s18, 0
	s_add_i32 s20, s13, -1
	s_mov_b32 s21, s18
	s_add_i32 s3, s13, 1
	s_lshl_b64 s[20:21], s[20:21], 3
	s_add_u32 s13, s16, s20
	s_addc_u32 s19, s17, s21
	s_add_u32 s20, s13, 8
	s_addc_u32 s21, s19, 0
	s_mov_b64 s[22:23], s[6:7]
.LBB39_11:                              ; =>This Inner Loop Header: Depth=1
	s_load_dwordx2 s[24:25], s[20:21], 0x0
	s_waitcnt lgkmcnt(0)
	s_or_b64 s[26:27], s[22:23], s[24:25]
	s_mov_b32 s19, s27
	s_cmp_lg_u64 s[18:19], 0
	s_cbranch_scc0 .LBB39_16
; %bb.12:                               ;   in Loop: Header=BB39_11 Depth=1
	s_ashr_i32 s26, s25, 31
	s_add_u32 s28, s24, s26
	s_mov_b32 s27, s26
	s_addc_u32 s29, s25, s26
	s_xor_b64 s[28:29], s[28:29], s[26:27]
	v_cvt_f32_u32_e32 v1, s28
	v_cvt_f32_u32_e32 v2, s29
	s_sub_u32 s13, 0, s28
	s_subb_u32 s19, 0, s29
	v_fmac_f32_e32 v1, 0x4f800000, v2
	v_rcp_f32_e32 v1, v1
	s_nop 0
	v_mul_f32_e32 v1, 0x5f7ffffc, v1
	v_mul_f32_e32 v2, 0x2f800000, v1
	v_trunc_f32_e32 v2, v2
	v_fmac_f32_e32 v1, 0xcf800000, v2
	v_cvt_u32_f32_e32 v2, v2
	v_cvt_u32_f32_e32 v1, v1
	v_readfirstlane_b32 s33, v2
	v_readfirstlane_b32 s30, v1
	s_mul_i32 s31, s13, s33
	s_mul_hi_u32 s35, s13, s30
	s_mul_i32 s34, s19, s30
	s_add_i32 s31, s35, s31
	s_add_i32 s31, s31, s34
	s_mul_i32 s36, s13, s30
	s_mul_i32 s35, s30, s31
	s_mul_hi_u32 s37, s30, s36
	s_mul_hi_u32 s34, s30, s31
	s_add_u32 s35, s37, s35
	s_addc_u32 s34, 0, s34
	s_mul_hi_u32 s38, s33, s36
	s_mul_i32 s36, s33, s36
	s_add_u32 s35, s35, s36
	s_mul_hi_u32 s37, s33, s31
	s_addc_u32 s34, s34, s38
	s_addc_u32 s35, s37, 0
	s_mul_i32 s31, s33, s31
	s_add_u32 s31, s34, s31
	s_addc_u32 s34, 0, s35
	s_add_u32 s35, s30, s31
	s_cselect_b64 s[30:31], -1, 0
	s_cmp_lg_u64 s[30:31], 0
	s_addc_u32 s33, s33, s34
	s_mul_i32 s30, s13, s33
	s_mul_hi_u32 s31, s13, s35
	s_add_i32 s30, s31, s30
	s_mul_i32 s19, s19, s35
	s_add_i32 s30, s30, s19
	s_mul_i32 s13, s13, s35
	s_mul_hi_u32 s31, s33, s13
	s_mul_i32 s34, s33, s13
	s_mul_i32 s37, s35, s30
	s_mul_hi_u32 s13, s35, s13
	s_mul_hi_u32 s36, s35, s30
	s_add_u32 s13, s13, s37
	s_addc_u32 s36, 0, s36
	s_add_u32 s13, s13, s34
	s_mul_hi_u32 s19, s33, s30
	s_addc_u32 s13, s36, s31
	s_addc_u32 s19, s19, 0
	s_mul_i32 s30, s33, s30
	s_add_u32 s13, s13, s30
	s_addc_u32 s19, 0, s19
	s_add_u32 s13, s35, s13
	s_cselect_b64 s[30:31], -1, 0
	s_cmp_lg_u64 s[30:31], 0
	s_addc_u32 s19, s33, s19
	s_ashr_i32 s30, s23, 31
	s_add_u32 s34, s22, s30
	s_mov_b32 s31, s30
	s_addc_u32 s35, s23, s30
	s_xor_b64 s[34:35], s[34:35], s[30:31]
	s_mul_i32 s36, s34, s19
	s_mul_hi_u32 s37, s34, s13
	s_mul_hi_u32 s33, s34, s19
	s_add_u32 s36, s37, s36
	s_addc_u32 s33, 0, s33
	s_mul_hi_u32 s38, s35, s13
	s_mul_i32 s13, s35, s13
	s_add_u32 s13, s36, s13
	s_mul_hi_u32 s37, s35, s19
	s_addc_u32 s13, s33, s38
	s_addc_u32 s33, s37, 0
	s_mul_i32 s19, s35, s19
	s_add_u32 s13, s13, s19
	s_addc_u32 s19, 0, s33
	s_mul_i32 s33, s28, s19
	s_mul_hi_u32 s36, s28, s13
	s_add_i32 s33, s36, s33
	s_mul_i32 s36, s29, s13
	s_add_i32 s33, s33, s36
	s_sub_i32 s38, s35, s33
	s_mul_i32 s36, s28, s13
	s_sub_u32 s34, s34, s36
	s_cselect_b64 s[36:37], -1, 0
	s_cmp_lg_u64 s[36:37], 0
	s_subb_u32 s40, s38, s29
	s_sub_u32 s41, s34, s28
	s_cselect_b64 s[38:39], -1, 0
	s_cmp_lg_u64 s[38:39], 0
	s_subb_u32 s38, s40, 0
	s_cmp_ge_u32 s38, s29
	s_cselect_b32 s39, -1, 0
	s_cmp_ge_u32 s41, s28
	s_cselect_b32 s40, -1, 0
	s_cmp_eq_u32 s38, s29
	s_cselect_b32 s38, s40, s39
	s_add_u32 s39, s13, 1
	s_addc_u32 s40, s19, 0
	s_add_u32 s41, s13, 2
	s_addc_u32 s42, s19, 0
	s_cmp_lg_u32 s38, 0
	s_cselect_b32 s38, s41, s39
	s_cselect_b32 s39, s42, s40
	s_cmp_lg_u64 s[36:37], 0
	s_subb_u32 s33, s35, s33
	s_cmp_ge_u32 s33, s29
	s_cselect_b32 s35, -1, 0
	s_cmp_ge_u32 s34, s28
	s_cselect_b32 s28, -1, 0
	s_cmp_eq_u32 s33, s29
	s_cselect_b32 s28, s28, s35
	s_cmp_lg_u32 s28, 0
	s_cselect_b32 s29, s39, s19
	s_cselect_b32 s28, s38, s13
	s_xor_b64 s[26:27], s[30:31], s[26:27]
	s_xor_b64 s[28:29], s[28:29], s[26:27]
	s_sub_u32 s28, s28, s26
	s_subb_u32 s29, s29, s27
	s_cbranch_execnz .LBB39_14
.LBB39_13:                              ;   in Loop: Header=BB39_11 Depth=1
	v_cvt_f32_u32_e32 v1, s24
	s_sub_i32 s13, 0, s24
	s_mov_b32 s29, s18
	v_rcp_iflag_f32_e32 v1, v1
	s_nop 0
	v_mul_f32_e32 v1, 0x4f7ffffe, v1
	v_cvt_u32_f32_e32 v1, v1
	s_nop 0
	v_readfirstlane_b32 s19, v1
	s_mul_i32 s13, s13, s19
	s_mul_hi_u32 s13, s19, s13
	s_add_i32 s19, s19, s13
	s_mul_hi_u32 s13, s22, s19
	s_mul_i32 s26, s13, s24
	s_sub_i32 s26, s22, s26
	s_add_i32 s19, s13, 1
	s_sub_i32 s27, s26, s24
	s_cmp_ge_u32 s26, s24
	s_cselect_b32 s13, s19, s13
	s_cselect_b32 s26, s27, s26
	s_add_i32 s19, s13, 1
	s_cmp_ge_u32 s26, s24
	s_cselect_b32 s28, s19, s13
.LBB39_14:                              ;   in Loop: Header=BB39_11 Depth=1
	s_mul_i32 s13, s28, s25
	s_mul_hi_u32 s19, s28, s24
	s_load_dwordx2 s[26:27], s[20:21], 0xc8
	s_add_i32 s13, s19, s13
	s_mul_i32 s19, s29, s24
	s_add_i32 s13, s13, s19
	s_mul_i32 s19, s28, s24
	s_sub_u32 s19, s22, s19
	s_subb_u32 s13, s23, s13
	s_waitcnt lgkmcnt(0)
	s_mul_i32 s13, s26, s13
	s_mul_hi_u32 s22, s26, s19
	s_add_i32 s13, s22, s13
	s_mul_i32 s22, s27, s19
	s_add_i32 s13, s13, s22
	s_mul_i32 s19, s26, s19
	s_add_u32 s60, s19, s60
	s_addc_u32 s61, s13, s61
	s_add_i32 s3, s3, -1
	s_add_u32 s20, s20, -8
	s_addc_u32 s21, s21, -1
	s_cmp_gt_u32 s3, 2
	s_cbranch_scc0 .LBB39_17
; %bb.15:                               ;   in Loop: Header=BB39_11 Depth=1
	s_mov_b64 s[22:23], s[28:29]
	s_branch .LBB39_11
.LBB39_16:                              ;   in Loop: Header=BB39_11 Depth=1
                                        ; implicit-def: $sgpr28_sgpr29
	s_branch .LBB39_13
.LBB39_17:
	s_load_dword s18, s[0:1], 0x4f8
	s_load_dwordx2 s[20:21], s[16:17], 0xd0
                                        ; implicit-def: $vgpr69 : SGPR spill to VGPR lane
	s_add_u32 s13, s0, 0x360
	v_writelane_b32 v69, s28, 0
                                        ; kill: killed $sgpr16 killed $sgpr17
	s_addc_u32 s17, s1, 0
	s_waitcnt lgkmcnt(0)
	s_cmp_lt_i32 s18, 2
	v_writelane_b32 v69, s29, 1
	v_writelane_b32 v69, s20, 2
	s_mov_b64 s[66:67], 0
	s_nop 0
	v_writelane_b32 v69, s21, 3
	s_cbranch_scc1 .LBB39_25
; %bb.18:
	s_mov_b32 s16, 0
	s_add_i32 s3, s18, 1
	s_add_i32 s18, s18, -1
	s_mov_b32 s19, s16
	s_lshl_b64 s[18:19], s[18:19], 3
	s_add_u32 s13, s13, s18
	s_addc_u32 s17, s17, s19
	s_add_u32 s18, s13, 8
	s_addc_u32 s19, s17, 0
.LBB39_19:                              ; =>This Inner Loop Header: Depth=1
	s_load_dwordx2 s[20:21], s[18:19], 0x0
	s_waitcnt lgkmcnt(0)
	s_or_b64 s[22:23], s[6:7], s[20:21]
	s_mov_b32 s17, s23
	s_cmp_lg_u64 s[16:17], 0
	s_cbranch_scc0 .LBB39_24
; %bb.20:                               ;   in Loop: Header=BB39_19 Depth=1
	s_ashr_i32 s22, s21, 31
	s_add_u32 s24, s20, s22
	s_mov_b32 s23, s22
	s_addc_u32 s25, s21, s22
	s_xor_b64 s[24:25], s[24:25], s[22:23]
	v_cvt_f32_u32_e32 v1, s24
	v_cvt_f32_u32_e32 v2, s25
	s_sub_u32 s13, 0, s24
	s_subb_u32 s17, 0, s25
	v_fmac_f32_e32 v1, 0x4f800000, v2
	v_rcp_f32_e32 v1, v1
	s_nop 0
	v_mul_f32_e32 v1, 0x5f7ffffc, v1
	v_mul_f32_e32 v2, 0x2f800000, v1
	v_trunc_f32_e32 v2, v2
	v_fmac_f32_e32 v1, 0xcf800000, v2
	v_cvt_u32_f32_e32 v2, v2
	v_cvt_u32_f32_e32 v1, v1
	v_readfirstlane_b32 s28, v2
	v_readfirstlane_b32 s26, v1
	s_mul_i32 s27, s13, s28
	s_mul_hi_u32 s30, s13, s26
	s_mul_i32 s29, s17, s26
	s_add_i32 s27, s30, s27
	s_add_i32 s27, s27, s29
	s_mul_i32 s31, s13, s26
	s_mul_i32 s30, s26, s27
	s_mul_hi_u32 s33, s26, s31
	s_mul_hi_u32 s29, s26, s27
	s_add_u32 s30, s33, s30
	s_addc_u32 s29, 0, s29
	s_mul_hi_u32 s34, s28, s31
	s_mul_i32 s31, s28, s31
	s_add_u32 s30, s30, s31
	s_mul_hi_u32 s33, s28, s27
	s_addc_u32 s29, s29, s34
	s_addc_u32 s30, s33, 0
	s_mul_i32 s27, s28, s27
	s_add_u32 s27, s29, s27
	s_addc_u32 s29, 0, s30
	s_add_u32 s30, s26, s27
	s_cselect_b64 s[26:27], -1, 0
	s_cmp_lg_u64 s[26:27], 0
	s_addc_u32 s28, s28, s29
	s_mul_i32 s26, s13, s28
	s_mul_hi_u32 s27, s13, s30
	s_add_i32 s26, s27, s26
	s_mul_i32 s17, s17, s30
	s_add_i32 s26, s26, s17
	s_mul_i32 s13, s13, s30
	s_mul_hi_u32 s27, s28, s13
	s_mul_i32 s29, s28, s13
	s_mul_i32 s33, s30, s26
	s_mul_hi_u32 s13, s30, s13
	s_mul_hi_u32 s31, s30, s26
	s_add_u32 s13, s13, s33
	s_addc_u32 s31, 0, s31
	s_add_u32 s13, s13, s29
	s_mul_hi_u32 s17, s28, s26
	s_addc_u32 s13, s31, s27
	s_addc_u32 s17, s17, 0
	s_mul_i32 s26, s28, s26
	s_add_u32 s13, s13, s26
	s_addc_u32 s17, 0, s17
	s_add_u32 s13, s30, s13
	s_cselect_b64 s[26:27], -1, 0
	s_cmp_lg_u64 s[26:27], 0
	s_addc_u32 s17, s28, s17
	s_ashr_i32 s26, s7, 31
	s_add_u32 s28, s6, s26
	s_mov_b32 s27, s26
	s_addc_u32 s29, s7, s26
	s_xor_b64 s[28:29], s[28:29], s[26:27]
	s_mul_i32 s31, s28, s17
	s_mul_hi_u32 s33, s28, s13
	s_mul_hi_u32 s30, s28, s17
	s_add_u32 s31, s33, s31
	s_addc_u32 s30, 0, s30
	s_mul_hi_u32 s34, s29, s13
	s_mul_i32 s13, s29, s13
	s_add_u32 s13, s31, s13
	s_mul_hi_u32 s33, s29, s17
	s_addc_u32 s13, s30, s34
	s_addc_u32 s30, s33, 0
	s_mul_i32 s17, s29, s17
	s_add_u32 s13, s13, s17
	s_addc_u32 s17, 0, s30
	s_mul_i32 s30, s24, s17
	s_mul_hi_u32 s31, s24, s13
	s_add_i32 s30, s31, s30
	s_mul_i32 s31, s25, s13
	s_add_i32 s33, s30, s31
	s_sub_i32 s34, s29, s33
	s_mul_i32 s30, s24, s13
	s_sub_u32 s28, s28, s30
	s_cselect_b64 s[30:31], -1, 0
	s_cmp_lg_u64 s[30:31], 0
	s_subb_u32 s36, s34, s25
	s_sub_u32 s37, s28, s24
	s_cselect_b64 s[34:35], -1, 0
	s_cmp_lg_u64 s[34:35], 0
	s_subb_u32 s34, s36, 0
	s_cmp_ge_u32 s34, s25
	s_cselect_b32 s35, -1, 0
	s_cmp_ge_u32 s37, s24
	s_cselect_b32 s36, -1, 0
	s_cmp_eq_u32 s34, s25
	s_cselect_b32 s34, s36, s35
	s_add_u32 s35, s13, 1
	s_addc_u32 s36, s17, 0
	s_add_u32 s37, s13, 2
	s_addc_u32 s38, s17, 0
	s_cmp_lg_u32 s34, 0
	s_cselect_b32 s34, s37, s35
	s_cselect_b32 s35, s38, s36
	s_cmp_lg_u64 s[30:31], 0
	s_subb_u32 s29, s29, s33
	s_cmp_ge_u32 s29, s25
	s_cselect_b32 s30, -1, 0
	s_cmp_ge_u32 s28, s24
	s_cselect_b32 s24, -1, 0
	s_cmp_eq_u32 s29, s25
	s_cselect_b32 s24, s24, s30
	s_cmp_lg_u32 s24, 0
	s_cselect_b32 s25, s35, s17
	s_cselect_b32 s24, s34, s13
	s_xor_b64 s[22:23], s[26:27], s[22:23]
	s_xor_b64 s[24:25], s[24:25], s[22:23]
	s_sub_u32 s70, s24, s22
	s_subb_u32 s71, s25, s23
	s_cbranch_execnz .LBB39_22
.LBB39_21:                              ;   in Loop: Header=BB39_19 Depth=1
	v_cvt_f32_u32_e32 v1, s20
	s_sub_i32 s13, 0, s20
	s_mov_b32 s71, s16
	v_rcp_iflag_f32_e32 v1, v1
	s_nop 0
	v_mul_f32_e32 v1, 0x4f7ffffe, v1
	v_cvt_u32_f32_e32 v1, v1
	s_nop 0
	v_readfirstlane_b32 s17, v1
	s_mul_i32 s13, s13, s17
	s_mul_hi_u32 s13, s17, s13
	s_add_i32 s17, s17, s13
	s_mul_hi_u32 s13, s6, s17
	s_mul_i32 s22, s13, s20
	s_sub_i32 s22, s6, s22
	s_add_i32 s17, s13, 1
	s_sub_i32 s23, s22, s20
	s_cmp_ge_u32 s22, s20
	s_cselect_b32 s13, s17, s13
	s_cselect_b32 s22, s23, s22
	s_add_i32 s17, s13, 1
	s_cmp_ge_u32 s22, s20
	s_cselect_b32 s70, s17, s13
.LBB39_22:                              ;   in Loop: Header=BB39_19 Depth=1
	s_mul_i32 s13, s70, s21
	s_mul_hi_u32 s17, s70, s20
	s_load_dwordx2 s[22:23], s[18:19], 0xc8
	s_add_i32 s13, s17, s13
	s_mul_i32 s17, s71, s20
	s_add_i32 s13, s13, s17
	s_mul_i32 s17, s70, s20
	s_sub_u32 s6, s6, s17
	s_subb_u32 s7, s7, s13
	s_waitcnt lgkmcnt(0)
	s_mul_i32 s7, s22, s7
	s_mul_hi_u32 s13, s22, s6
	s_add_i32 s7, s13, s7
	s_mul_i32 s13, s23, s6
	s_add_i32 s7, s7, s13
	s_mul_i32 s6, s22, s6
	s_add_u32 s66, s6, s66
	s_addc_u32 s67, s7, s67
	s_add_i32 s3, s3, -1
	s_add_u32 s18, s18, -8
	s_addc_u32 s19, s19, -1
	s_cmp_gt_u32 s3, 2
	s_cbranch_scc0 .LBB39_26
; %bb.23:                               ;   in Loop: Header=BB39_19 Depth=1
	s_mov_b64 s[6:7], s[70:71]
	s_branch .LBB39_19
.LBB39_24:                              ;   in Loop: Header=BB39_19 Depth=1
                                        ; implicit-def: $sgpr70_sgpr71
	s_branch .LBB39_21
.LBB39_25:
	s_mov_b64 s[70:71], s[6:7]
.LBB39_26:
	s_load_dwordx2 s[6:7], s[0:1], 0x430
	s_mov_b32 s81, 0
                                        ; kill: killed $sgpr0 killed $sgpr1
	s_waitcnt lgkmcnt(0)
	v_writelane_b32 v69, s6, 4
	s_nop 1
	v_writelane_b32 v69, s7, 5
	s_load_dwordx2 s[16:17], s[0:1], 0x0
	s_load_dwordx2 s[6:7], s[0:1], 0x1c0
	s_waitcnt lgkmcnt(0)
	v_writelane_b32 v69, s6, 6
	s_nop 1
	v_writelane_b32 v69, s7, 7
	s_load_dwordx2 s[6:7], s[0:1], 0x360
	s_waitcnt lgkmcnt(0)
	v_writelane_b32 v69, s6, 8
	s_nop 1
	v_writelane_b32 v69, s7, 9
	v_cmp_eq_u32_e64 s[6:7], 0, v0
	s_mov_b64 s[0:1], exec
	s_nop 0
	v_writelane_b32 v69, s6, 10
	s_nop 1
	v_writelane_b32 v69, s7, 11
	s_and_b64 s[6:7], s[0:1], s[6:7]
	s_mov_b64 exec, s[6:7]
	s_cbranch_execz .LBB39_28
; %bb.27:
	v_mov_b32_e32 v2, 0
	v_mov_b32_e32 v4, s56
	;; [unrolled: 1-line block ×4, first 2 shown]
	ds_write_b32 v2, v2 offset:5136
	ds_write_b128 v2, v[2:5] offset:5120
.LBB39_28:
	s_or_b64 exec, exec, s[0:1]
	s_mul_i32 s0, s14, s9
	s_mul_hi_u32 s1, s14, s8
	s_add_i32 s0, s1, s0
	s_mul_i32 s1, s15, s8
	s_add_i32 s1, s0, s1
	s_mul_i32 s0, s14, s8
	s_lshl_b64 s[0:1], s[0:1], 1
	s_add_u32 s8, s16, s0
	v_mbcnt_lo_u32_b32 v1, -1, 0
	s_addc_u32 s9, s17, s1
	s_lshl_b64 s[82:83], s[4:5], 1
	v_mbcnt_hi_u32_b32 v46, -1, v1
	s_add_u32 s84, s8, s82
	v_cmp_gt_u32_e32 vcc, 64, v0
	v_cmp_gt_i32_e64 s[6:7], 4, v46
	s_addc_u32 s85, s9, s83
	s_and_b64 s[6:7], vcc, s[6:7]
	v_writelane_b32 v69, s6, 12
	v_mov_b64_e32 v[4:5], 0x600
	s_waitcnt lgkmcnt(0)
	v_writelane_b32 v69, s7, 13
	v_cmp_gt_u32_e64 s[6:7], 2, v0
	s_barrier
	s_nop 0
	v_writelane_b32 v69, s6, 14
	s_load_dword s3, s[10:11], 0xc
	v_mov_b32_e32 v3, 0
	v_writelane_b32 v69, s7, 15
	v_cmp_gt_i64_e64 s[6:7], s[56:57], v[4:5]
	v_mov_b32_e32 v1, v3
	s_waitcnt lgkmcnt(0)
	s_and_b32 s78, s3, 0xffff
	v_writelane_b32 v69, s6, 16
	s_bfe_u32 s3, s3, 0xa0006
	s_cmp_gt_u32 s78, 63
	v_writelane_b32 v69, s7, 17
	v_mad_u64_u32 v[6:7], s[6:7], s62, v0, 0
	v_mov_b32_e32 v2, v7
	v_mad_u64_u32 v[4:5], s[6:7], s63, v0, v[2:3]
	v_cmp_gt_i64_e64 s[6:7], s[56:57], v[0:1]
	v_lshlrev_b32_e32 v2, 2, v46
	v_and_b32_e32 v49, 0x100, v2
	v_writelane_b32 v69, s6, 18
	v_lshrrev_b32_e32 v2, 1, v0
	v_and_b32_e32 v2, 0x1e0, v2
	v_writelane_b32 v69, s7, 19
	s_cselect_b64 s[6:7], -1, 0
	v_writelane_b32 v69, s6, 20
	v_lshlrev_b64 v[8:9], v46, -1
	v_or_b32_e32 v50, 0xc00, v2
	v_writelane_b32 v69, s7, 21
	s_add_u32 s6, s78, -1
	v_add_u32_e32 v2, 2, v0
	v_not_b32_e32 v18, v8
	s_addc_u32 s7, 0, -1
	v_mov_b32_e32 v8, s57
	v_cmp_gt_i64_e32 vcc, s[56:57], v[2:3]
	v_not_b32_e32 v19, v9
	v_writelane_b32 v69, s6, 22
	s_add_u32 s93, s6, s56
	v_cndmask_b32_e32 v9, 0, v8, vcc
	v_mov_b32_e32 v8, s56
	v_writelane_b32 v69, s7, 23
	s_addc_u32 s7, s7, s57
	v_cndmask_b32_e32 v8, v2, v8, vcc
	v_mov_b32_e32 v11, -1
	v_not_b32_e32 v10, v0
	v_writelane_b32 v69, s6, 24
	v_lshl_add_u64 v[8:9], v[8:9], 0, v[10:11]
	s_cmp_lt_u32 s2, s12
	v_writelane_b32 v69, s7, 25
	v_cmp_lt_u64_e64 s[6:7], 3, v[8:9]
	s_cselect_b32 s2, 12, 18
	s_add_u32 s74, s10, s2
	v_writelane_b32 v69, s6, 26
	v_and_b32_e32 v20, -4, v8
	v_mov_b32_e32 v21, v9
	v_writelane_b32 v69, s7, 27
	s_mov_b32 s2, s62
	v_writelane_b32 v69, s2, 28
	v_cmp_ne_u64_e64 s[6:7], v[8:9], v[20:21]
	s_addc_u32 s75, s11, 0
	s_add_i32 s2, s3, -1
	v_writelane_b32 v69, s6, 29
	s_and_b32 s2, s2, 0xffff
	v_lshlrev_b32_e32 v51, 3, v0
	v_writelane_b32 v69, s7, 30
	s_bfe_u32 s6, s78, 0x30006
	s_cmp_gt_u32 s2, 6
	s_cselect_b64 s[10:11], -1, 0
	v_writelane_b32 v69, s10, 31
	s_and_b32 s33, s3, 0x3f8
	s_cmp_lg_u32 s6, 0
	v_writelane_b32 v69, s11, 32
	v_writelane_b32 v69, s6, 33
	s_cselect_b64 s[2:3], -1, 0
	v_writelane_b32 v69, s2, 34
	v_or_b32_e32 v10, 6, v51
	v_mov_b64_e32 v[8:9], s[8:9]
	v_writelane_b32 v69, s3, 35
	s_add_u32 s2, s0, s82
	s_addc_u32 s3, s1, s83
	s_add_u32 s2, s16, s2
	s_addc_u32 s3, s17, s3
	v_writelane_b32 v69, s2, 36
	s_mov_b32 s55, s63
	s_mov_b32 s54, s62
	v_writelane_b32 v69, s3, 37
	s_lshl_b64 s[2:3], s[62:63], 1
	v_writelane_b32 v69, s2, 38
	s_mov_b32 s49, s63
	v_mov_b32_e32 v7, v4
	v_writelane_b32 v69, s3, 39
	v_mad_u64_u32 v[24:25], s[2:3], s62, v10, v[8:9]
	v_mov_b32_e32 v2, v25
	v_mad_u64_u32 v[10:11], s[2:3], s63, v10, v[2:3]
	s_lshl_b64 s[2:3], s[62:63], 3
	v_mov_b32_e32 v25, v10
	v_writelane_b32 v69, s2, 40
	v_or_b32_e32 v10, 4, v51
	s_mov_b32 s50, s62
	v_writelane_b32 v69, s3, 41
	v_mad_u64_u32 v[26:27], s[2:3], s62, v10, v[8:9]
	v_mov_b32_e32 v2, v27
	v_mad_u64_u32 v[10:11], s[2:3], s63, v10, v[2:3]
	v_mov_b32_e32 v27, v10
	v_or_b32_e32 v10, 2, v51
	v_writelane_b32 v69, s70, 42
	v_mad_u64_u32 v[28:29], s[2:3], s62, v10, v[8:9]
	s_nop 0
	v_writelane_b32 v69, s71, 43
	v_mov_b32_e32 v2, v29
	v_writelane_b32 v69, s74, 44
	v_mad_u64_u32 v[8:9], s[2:3], s63, v10, v[2:3]
	s_nop 0
	v_writelane_b32 v69, s75, 45
	s_add_u32 s2, s16, s82
	v_writelane_b32 v69, s55, 46
	s_addc_u32 s3, s17, s83
	v_writelane_b32 v69, s54, 47
	s_add_u32 s0, s2, s0
	v_writelane_b32 v69, s49, 48
	v_lshlrev_b64 v[4:5], 1, v[6:7]
	s_mov_b32 s51, s63
	s_addc_u32 s1, s3, s1
	v_writelane_b32 v69, s50, 49
	s_mov_b32 s88, s62
	v_lshl_add_u64 v[12:13], s[0:1], 0, v[4:5]
	s_mul_i32 s0, s63, s78
	s_mul_hi_u32 s1, s62, s78
	v_writelane_b32 v69, s51, 50
	v_lshlrev_b32_e32 v47, 1, v0
	s_mov_b32 s89, s63
	v_mov_b32_e32 v2, 0xc00
	s_add_i32 s1, s1, s0
	s_mul_i32 s0, s62, s78
	v_writelane_b32 v69, s88, 51
	v_cmp_eq_u32_e64 s[4:5], 0, v46
	v_add_u32_e32 v48, 0xc00, v47
	v_lshl_add_u64 v[14:15], s[84:85], 0, v[4:5]
	v_lshlrev_b32_e32 v16, 2, v0
	v_mov_b32_e32 v17, v3
	s_mov_b32 s79, s81
	v_lshl_add_u64 v[22:23], v[20:21], 0, v[0:1]
	v_mov_b32_e32 v29, v8
	v_lshl_add_u64 v[30:31], v[6:7], 3, s[8:9]
	v_lshl_add_u64 v[32:33], s[56:57], 0, v[0:1]
	v_lshl_or_b32 v52, v46, 3, v2
	s_lshl_b64 s[94:95], s[0:1], 1
	s_lshl_b32 s90, s78, 1
	s_mov_b32 s65, 14
	s_mov_b64 s[76:77], 0
	v_mov_b64_e32 v[34:35], s[58:59]
	s_mov_b32 s64, 0x8000
	s_mov_b32 s91, 0x5040100
	v_mov_b64_e32 v[58:59], s[56:57]
	v_mov_b32_e32 v54, 0x5040100
	v_mov_b32_e32 v56, 0
	s_mov_b32 s92, 0
	v_mov_b32_e32 v53, 0
	v_mov_b32_e32 v55, 0
	v_writelane_b32 v69, s89, 52
                                        ; implicit-def: $sgpr0_sgpr1
                                        ; implicit-def: $sgpr10_sgpr11
                                        ; implicit-def: $sgpr12_sgpr13
                                        ; implicit-def: $sgpr58_sgpr59
                                        ; implicit-def: $sgpr30_sgpr31
                                        ; implicit-def: $sgpr98_sgpr99
	v_writelane_b32 v69, s90, 53
	s_branch .LBB39_32
.LBB39_29:                              ;   in Loop: Header=BB39_32 Depth=1
	s_or_b64 exec, exec, s[14:15]
	s_and_b64 s[6:7], s[6:7], exec
	s_andn2_b64 s[24:25], s[24:25], exec
	s_andn2_b64 s[2:3], s[2:3], exec
	s_orn2_b64 s[18:19], s[8:9], exec
.LBB39_30:                              ;   in Loop: Header=BB39_32 Depth=1
	s_or_b64 exec, exec, s[0:1]
	s_andn2_b64 s[0:1], s[96:97], exec
	s_and_b64 s[6:7], s[6:7], exec
	s_or_b64 s[96:97], s[0:1], s[6:7]
	s_andn2_b64 s[0:1], s[86:87], exec
	s_and_b64 s[6:7], s[24:25], exec
	s_or_b64 s[86:87], s[0:1], s[6:7]
	;; [unrolled: 3-line block ×3, first 2 shown]
	s_orn2_b64 s[0:1], s[18:19], exec
.LBB39_31:                              ;   in Loop: Header=BB39_32 Depth=1
	s_or_b64 exec, exec, s[16:17]
	s_and_b64 s[0:1], exec, s[0:1]
	s_or_b64 s[76:77], s[0:1], s[76:77]
	s_andn2_b64 s[0:1], s[12:13], exec
	s_and_b64 s[2:3], s[96:97], exec
	s_or_b64 s[12:13], s[0:1], s[2:3]
	s_andn2_b64 s[0:1], s[10:11], exec
	s_and_b64 s[2:3], s[86:87], exec
	s_or_b64 s[10:11], s[0:1], s[2:3]
	v_readlane_b32 s0, v69, 54
	s_mov_b64 s[6:7], s[98:99]
	v_readlane_b32 s1, v69, 55
	s_andn2_b64 s[0:1], s[0:1], exec
	s_and_b64 s[2:3], s[6:7], exec
	s_mov_b64 s[98:99], s[96:97]
	s_mov_b64 s[30:31], s[86:87]
	;; [unrolled: 1-line block ×3, first 2 shown]
	s_or_b64 s[0:1], s[0:1], s[2:3]
	v_mov_b64_e32 v[34:35], v[8:9]
	s_andn2_b64 exec, exec, s[76:77]
	s_cbranch_execz .LBB39_295
.LBB39_32:                              ; =>This Loop Header: Depth=1
                                        ;     Child Loop BB39_37 Depth 2
                                        ;     Child Loop BB39_51 Depth 2
	;; [unrolled: 1-line block ×17, first 2 shown]
	ds_read_b128 v[4:7], v3 offset:5120
	v_writelane_b32 v69, s0, 54
	s_nop 1
	v_writelane_b32 v69, s1, 55
	s_waitcnt lgkmcnt(0)
	v_readfirstlane_b32 s1, v5
	v_readfirstlane_b32 s0, v4
	s_nop 1
	v_cmp_gt_i64_e64 s[2:3], s[0:1], 0
	s_and_b64 vcc, exec, s[2:3]
	s_cbranch_vccnz .LBB39_64
; %bb.33:                               ;   in Loop: Header=BB39_32 Depth=1
	v_readlane_b32 s2, v69, 16
	v_readlane_b32 s3, v69, 17
	s_and_b64 vcc, exec, s[2:3]
	s_cbranch_vccz .LBB39_45
; %bb.34:                               ;   in Loop: Header=BB39_32 Depth=1
	s_mov_b64 s[2:3], 0x601
	v_cmp_gt_i64_e32 vcc, s[2:3], v[6:7]
	s_mov_b64 s[6:7], 0
	s_mov_b64 s[2:3], 0
	s_cbranch_vccz .LBB39_46
; %bb.35:                               ;   in Loop: Header=BB39_32 Depth=1
	global_load_ushort v6, v3, s[74:75]
	global_load_ushort v8, v[14:15], off
	v_readlane_b32 s2, v69, 36
	v_readlane_b32 s3, v69, 37
	;; [unrolled: 1-line block ×4, first 2 shown]
	v_mov_b64_e32 v[4:5], s[2:3]
	s_mov_b64 s[8:9], 0
	s_waitcnt vmcnt(1)
	v_and_b32_e32 v2, 0xffff, v6
	v_readfirstlane_b32 s1, v6
	v_lshl_add_u64 v[6:7], v[0:1], 0, v[2:3]
	s_and_b32 s1, 0xffff, s1
	v_mad_u64_u32 v[4:5], s[2:3], s14, v6, v[4:5]
	v_mul_lo_u32 v7, s14, v7
	v_mul_lo_u32 v9, s15, v6
	s_mul_i32 s2, s15, s1
	s_mul_hi_u32 s3, s14, s1
	s_mul_i32 s16, s14, s1
	v_add3_u32 v5, v9, v5, v7
	s_add_i32 s17, s3, s2
	v_mov_b64_e32 v[6:7], v[0:1]
	s_branch .LBB39_37
.LBB39_36:                              ;   in Loop: Header=BB39_37 Depth=2
	s_or_b64 exec, exec, s[2:3]
	v_lshl_add_u64 v[4:5], v[4:5], 0, s[16:17]
	v_mov_b32_e32 v8, v9
	s_andn2_b64 exec, exec, s[8:9]
	s_cbranch_execz .LBB39_98
.LBB39_37:                              ;   Parent Loop BB39_32 Depth=1
                                        ; =>  This Inner Loop Header: Depth=2
	v_lshl_add_u64 v[6:7], v[6:7], 0, v[2:3]
	v_cmp_gt_i64_e64 s[2:3], s[56:57], v[6:7]
	v_cmp_le_i64_e32 vcc, s[56:57], v[6:7]
	s_waitcnt lgkmcnt(0)
	v_mov_b32_e32 v10, 0
	v_mov_b32_e32 v9, 0
	s_and_saveexec_b64 s[14:15], s[2:3]
	s_cbranch_execz .LBB39_39
; %bb.38:                               ;   in Loop: Header=BB39_37 Depth=2
	global_load_ushort v9, v[4:5], off
.LBB39_39:                              ;   in Loop: Header=BB39_37 Depth=2
	s_or_b64 exec, exec, s[14:15]
	s_waitcnt vmcnt(0)
	v_add_u32_sdwa v11, sext(v8), s64 dst_sel:DWORD dst_unused:UNUSED_PAD src0_sel:WORD_0 src1_sel:DWORD
	v_and_b32_e32 v11, v11, v55
	v_cmp_eq_u32_e64 s[14:15], v11, v53
	s_cmp_lg_u64 s[14:15], 0
	s_cselect_b64 s[2:3], -1, 0
	s_and_b64 s[2:3], s[4:5], s[2:3]
	s_and_saveexec_b64 s[18:19], s[2:3]
	s_cbranch_execz .LBB39_43
; %bb.40:                               ;   in Loop: Header=BB39_37 Depth=2
	s_mov_b64 s[22:23], exec
	v_mbcnt_lo_u32_b32 v10, s22, 0
	v_mbcnt_hi_u32_b32 v10, s23, v10
	s_bcnt1_i32_b64 s1, s[14:15]
	v_cmp_eq_u32_e64 s[2:3], 0, v10
                                        ; implicit-def: $vgpr11
	s_and_saveexec_b64 s[20:21], s[2:3]
; %bb.41:                               ;   in Loop: Header=BB39_37 Depth=2
	s_bcnt1_i32_b64 s2, s[22:23]
	s_mul_i32 s2, s1, s2
	v_mov_b32_e32 v11, s2
	ds_add_rtn_u32 v11, v3, v11 offset:5136
; %bb.42:                               ;   in Loop: Header=BB39_37 Depth=2
	s_or_b64 exec, exec, s[20:21]
	s_waitcnt lgkmcnt(0)
	v_readfirstlane_b32 s2, v11
	s_nop 1
	v_mov_b32_e32 v11, s2
	v_mad_u32_u24 v10, s1, v10, v11
.LBB39_43:                              ;   in Loop: Header=BB39_37 Depth=2
	s_or_b64 exec, exec, s[18:19]
	ds_bpermute_b32 v10, v49, v10
	s_and_b64 s[2:3], exec, vcc
	s_or_b64 s[8:9], s[2:3], s[8:9]
	s_and_saveexec_b64 s[2:3], s[14:15]
	s_cbranch_execz .LBB39_36
; %bb.44:                               ;   in Loop: Header=BB39_37 Depth=2
	v_and_b32_e32 v36, s14, v18
	v_and_b32_e32 v11, s15, v19
	v_bcnt_u32_b32 v36, v36, 0
	v_bcnt_u32_b32 v11, v11, v36
	v_lshlrev_b32_e32 v11, 1, v11
	s_waitcnt lgkmcnt(0)
	v_lshl_add_u32 v10, v10, 1, v11
	ds_write_b16 v10, v8
	s_branch .LBB39_36
.LBB39_45:                              ;   in Loop: Header=BB39_32 Depth=1
	s_mov_b64 s[6:7], -1
	s_mov_b64 s[2:3], 0
.LBB39_46:                              ;   in Loop: Header=BB39_32 Depth=1
	s_and_b64 vcc, exec, s[6:7]
	s_cbranch_vccz .LBB39_62
.LBB39_47:                              ;   in Loop: Header=BB39_32 Depth=1
	s_mov_b64 s[2:3], exec
	v_readlane_b32 s6, v69, 18
	v_readlane_b32 s7, v69, 19
	s_and_b64 s[6:7], s[2:3], s[6:7]
	s_mov_b64 exec, s[6:7]
	s_cbranch_execz .LBB39_59
; %bb.48:                               ;   in Loop: Header=BB39_32 Depth=1
	global_load_ushort v2, v3, s[74:75]
	global_load_ushort v38, v[14:15], off
	v_mov_b32_e32 v8, v0
	s_waitcnt vmcnt(1)
	v_readfirstlane_b32 s1, v2
	v_add_u32_sdwa v2, v2, v0 dst_sel:DWORD dst_unused:UNUSED_PAD src0_sel:WORD_0 src1_sel:DWORD
	v_cmp_gt_i64_e32 vcc, s[56:57], v[2:3]
	s_and_saveexec_b64 s[6:7], vcc
	s_cbranch_execz .LBB39_58
; %bb.49:                               ;   in Loop: Header=BB39_32 Depth=1
	s_and_b32 s80, s1, 0xffff
	s_cmp_eq_u32 s80, 1
	v_readlane_b32 s14, v69, 26
	s_cselect_b64 s[8:9], -1, 0
	v_readlane_b32 s15, v69, 27
	s_and_b64 s[16:17], s[14:15], s[8:9]
	s_mov_b64 s[14:15], -1
	v_mov_b64_e32 v[6:7], v[0:1]
	v_mov_b64_e32 v[4:5], v[2:3]
                                        ; implicit-def: $vgpr8_vgpr9
	s_and_saveexec_b64 s[8:9], s[16:17]
	s_cbranch_execz .LBB39_53
; %bb.50:                               ;   in Loop: Header=BB39_32 Depth=1
	v_lshl_add_u64 v[8:9], v[2:3], 0, 3
	v_lshl_add_u64 v[6:7], v[2:3], 0, 2
	;; [unrolled: 1-line block ×3, first 2 shown]
	v_mov_b64_e32 v[10:11], v[8:9]
	s_waitcnt vmcnt(0)
	v_lshlrev_b32_e32 v40, 16, v38
	s_mov_b64 s[14:15], 0
	v_mov_b64_e32 v[36:37], v[20:21]
	v_mov_b32_e32 v39, v47
	v_mov_b64_e32 v[8:9], v[6:7]
	v_mov_b64_e32 v[6:7], v[4:5]
	;; [unrolled: 1-line block ×3, first 2 shown]
	v_readlane_b32 s1, v69, 28
.LBB39_51:                              ;   Parent Loop BB39_32 Depth=1
                                        ; =>  This Inner Loop Header: Depth=2
	v_mul_lo_u32 v38, v11, s88
	v_mul_lo_u32 v41, v10, s89
	v_mad_u64_u32 v[42:43], s[16:17], v10, s88, 0
	v_mul_lo_u32 v57, v9, s50
	v_mul_lo_u32 v64, v8, s51
	v_mad_u64_u32 v[44:45], s[16:17], v8, s50, 0
	;; [unrolled: 3-line block ×4, first 2 shown]
	v_add3_u32 v43, v43, v41, v38
	v_add3_u32 v45, v45, v64, v57
	;; [unrolled: 1-line block ×4, first 2 shown]
	v_lshl_add_u64 v[44:45], v[44:45], 1, s[84:85]
	v_lshl_add_u64 v[42:43], v[42:43], 1, s[84:85]
	;; [unrolled: 1-line block ×4, first 2 shown]
	global_load_ushort v41, v[44:45], off
	global_load_ushort v38, v[42:43], off
	s_nop 0
	global_load_ushort v42, v[60:61], off
	global_load_ushort v43, v[62:63], off
	v_lshl_add_u64 v[36:37], v[36:37], 0, -4
	v_cmp_eq_u64_e32 vcc, 0, v[36:37]
	v_lshl_add_u64 v[10:11], v[10:11], 0, 4
	v_lshl_add_u64 v[8:9], v[8:9], 0, 4
	;; [unrolled: 1-line block ×4, first 2 shown]
	s_or_b64 s[14:15], vcc, s[14:15]
	s_waitcnt vmcnt(2)
	v_perm_b32 v44, v38, v41, s91
	s_waitcnt vmcnt(1)
	v_perm_b32 v41, v41, v42, s91
	s_waitcnt vmcnt(0)
	v_alignbit_b32 v40, v43, v40, 16
	ds_write_b64 v39, v[40:41]
	v_add_u32_e32 v39, 8, v39
	v_mov_b32_e32 v40, v44
	s_andn2_b64 exec, exec, s[14:15]
	s_cbranch_execnz .LBB39_51
; %bb.52:                               ;   in Loop: Header=BB39_32 Depth=1
	s_or_b64 exec, exec, s[14:15]
	v_readlane_b32 s14, v69, 29
	v_lshl_add_u64 v[4:5], v[2:3], 0, v[20:21]
	v_readlane_b32 s15, v69, 30
	v_lshl_add_u64 v[8:9], v[4:5], 0, -1
	s_orn2_b64 s[14:15], s[14:15], exec
	v_mov_b64_e32 v[6:7], v[22:23]
.LBB39_53:                              ;   in Loop: Header=BB39_32 Depth=1
	s_or_b64 exec, exec, s[8:9]
	s_and_saveexec_b64 s[8:9], s[14:15]
	s_cbranch_execz .LBB39_57
; %bb.54:                               ;   in Loop: Header=BB39_32 Depth=1
	v_readlane_b32 s18, v69, 36
	v_readlane_b32 s19, v69, 37
	;; [unrolled: 1-line block ×4, first 2 shown]
	v_mov_b64_e32 v[8:9], s[18:19]
	v_mad_u64_u32 v[8:9], s[18:19], s20, v4, v[8:9]
	s_sub_u32 s14, 0, s80
	v_mul_lo_u32 v2, s20, v5
	v_mul_lo_u32 v7, s21, v4
	s_mul_i32 s1, s21, s80
	s_mul_hi_u32 s18, s20, s80
	s_mov_b64 s[16:17], 0
	s_subb_u32 s15, 0, 0
	v_add3_u32 v9, v7, v9, v2
	s_add_i32 s19, s18, s1
	s_mul_i32 s18, s20, s80
.LBB39_55:                              ;   Parent Loop BB39_32 Depth=1
                                        ; =>  This Inner Loop Header: Depth=2
	global_load_ushort v2, v[8:9], off
	v_mov_b64_e32 v[10:11], v[4:5]
	v_lshlrev_b32_e32 v4, 1, v6
	s_waitcnt vmcnt(1)
	ds_write_b16 v4, v38
	v_lshl_add_u64 v[4:5], v[10:11], 0, s[80:81]
	v_cmp_le_i64_e32 vcc, s[56:57], v[4:5]
	v_lshl_add_u64 v[8:9], v[8:9], 0, s[18:19]
	v_mov_b64_e32 v[6:7], v[10:11]
	s_or_b64 s[16:17], vcc, s[16:17]
	s_waitcnt vmcnt(0)
	v_mov_b32_e32 v38, v2
	s_andn2_b64 exec, exec, s[16:17]
	s_cbranch_execnz .LBB39_55
; %bb.56:                               ;   in Loop: Header=BB39_32 Depth=1
	s_or_b64 exec, exec, s[16:17]
	v_lshl_add_u64 v[8:9], s[14:15], 0, v[4:5]
	v_mov_b32_e32 v38, v2
.LBB39_57:                              ;   in Loop: Header=BB39_32 Depth=1
	s_or_b64 exec, exec, s[8:9]
.LBB39_58:                              ;   in Loop: Header=BB39_32 Depth=1
	s_or_b64 exec, exec, s[6:7]
	v_lshlrev_b32_e32 v2, 1, v8
	s_waitcnt vmcnt(0)
	ds_write_b16 v2, v38
.LBB39_59:                              ;   in Loop: Header=BB39_32 Depth=1
	s_or_b64 exec, exec, s[2:3]
	s_waitcnt lgkmcnt(0)
	s_barrier
	s_mov_b64 s[2:3], exec
	v_readlane_b32 s6, v69, 10
	v_readlane_b32 s7, v69, 11
	s_and_b64 s[6:7], s[2:3], s[6:7]
	s_mov_b64 exec, s[6:7]
; %bb.60:                               ;   in Loop: Header=BB39_32 Depth=1
	ds_write_b64 v3, v[58:59] offset:5120
; %bb.61:                               ;   in Loop: Header=BB39_32 Depth=1
	s_or_b64 exec, exec, s[2:3]
	s_waitcnt lgkmcnt(0)
	s_barrier
	s_mov_b64 s[2:3], -1
.LBB39_62:                              ;   in Loop: Header=BB39_32 Depth=1
	s_and_b64 vcc, exec, s[2:3]
	s_cbranch_vccz .LBB39_64
; %bb.63:                               ;   in Loop: Header=BB39_32 Depth=1
	ds_read_b64 v[4:5], v3 offset:5120
	s_waitcnt lgkmcnt(0)
	v_readfirstlane_b32 s0, v4
.LBB39_64:                              ;   in Loop: Header=BB39_32 Depth=1
	s_cmp_lt_i32 s0, 1
	s_mov_b64 s[2:3], -1
                                        ; implicit-def: $vgpr4_vgpr5
                                        ; implicit-def: $vgpr8_vgpr9
	s_cbranch_scc1 .LBB39_74
; %bb.65:                               ;   in Loop: Header=BB39_32 Depth=1
	s_and_b64 vcc, exec, s[2:3]
	s_cbranch_vccnz .LBB39_88
.LBB39_66:                              ;   in Loop: Header=BB39_32 Depth=1
	s_lshl_b32 s2, s92, 6
	s_and_saveexec_b64 s[0:1], s[4:5]
	s_cbranch_execz .LBB39_68
.LBB39_67:                              ;   in Loop: Header=BB39_32 Depth=1
	v_lshl_add_u32 v2, s2, 3, v50
	ds_write_b128 v2, v[4:7]
	ds_write_b128 v2, v[8:11] offset:16
.LBB39_68:                              ;   in Loop: Header=BB39_32 Depth=1
	s_or_b64 exec, exec, s[0:1]
	s_waitcnt lgkmcnt(0)
	s_barrier
	s_mov_b64 s[0:1], exec
	v_readlane_b32 s6, v69, 12
	v_readlane_b32 s7, v69, 13
	s_and_b64 s[6:7], s[0:1], s[6:7]
	s_mov_b64 exec, s[6:7]
	s_cbranch_execz .LBB39_106
; %bb.69:                               ;   in Loop: Header=BB39_32 Depth=1
	v_readlane_b32 s6, v69, 20
	v_readlane_b32 s7, v69, 21
	s_andn2_b64 vcc, exec, s[6:7]
	v_mov_b64_e32 v[4:5], 0
	s_cbranch_vccnz .LBB39_105
; %bb.70:                               ;   in Loop: Header=BB39_32 Depth=1
	v_readlane_b32 s6, v69, 31
	v_readlane_b32 s7, v69, 32
	s_andn2_b64 vcc, exec, s[6:7]
	s_cbranch_vccnz .LBB39_101
; %bb.71:                               ;   in Loop: Header=BB39_32 Depth=1
	v_lshl_add_u32 v2, s92, 9, v52
	v_mov_b64_e32 v[4:5], 0
	s_mov_b32 s3, 0
.LBB39_72:                              ;   Parent Loop BB39_32 Depth=1
                                        ; =>  This Inner Loop Header: Depth=2
	ds_read2_b64 v[6:9], v2 offset1:4
	ds_read2_b64 v[36:39], v2 offset0:8 offset1:12
	ds_read2_b64 v[40:43], v2 offset0:16 offset1:20
	;; [unrolled: 1-line block ×3, first 2 shown]
	s_add_i32 s3, s3, 8
	s_waitcnt lgkmcnt(3)
	v_lshl_add_u64 v[4:5], v[6:7], 0, v[4:5]
	v_lshl_add_u64 v[4:5], v[8:9], 0, v[4:5]
	s_waitcnt lgkmcnt(2)
	v_lshl_add_u64 v[4:5], v[36:37], 0, v[4:5]
	v_lshl_add_u64 v[4:5], v[38:39], 0, v[4:5]
	;; [unrolled: 3-line block ×3, first 2 shown]
	s_waitcnt lgkmcnt(0)
	v_lshl_add_u64 v[4:5], v[60:61], 0, v[4:5]
	v_add_u32_e32 v2, 0x100, v2
	s_cmp_eq_u32 s33, s3
	v_lshl_add_u64 v[4:5], v[62:63], 0, v[4:5]
	s_cbranch_scc0 .LBB39_72
; %bb.73:                               ;   in Loop: Header=BB39_32 Depth=1
	s_mov_b32 s3, s33
	s_branch .LBB39_102
.LBB39_74:                              ;   in Loop: Header=BB39_32 Depth=1
	global_load_ushort v2, v3, s[74:75]
	s_mov_b32 s2, s81
	s_mov_b32 s3, s57
	s_waitcnt vmcnt(0)
	v_readfirstlane_b32 s1, v2
	s_and_b32 s72, s1, 0xffff
	s_lshl_b32 s80, s72, 2
	s_cmp_lg_u64 s[2:3], 0
	s_cbranch_scc0 .LBB39_97
; %bb.75:                               ;   in Loop: Header=BB39_32 Depth=1
	s_add_u32 s2, s80, 0
	s_addc_u32 s3, 0, 0
	s_xor_b64 s[2:3], s[2:3], 0
	v_cvt_f32_u32_e32 v2, s2
	v_cvt_f32_u32_e32 v4, s3
	s_sub_u32 s1, 0, s2
	s_subb_u32 s8, 0, s3
	v_fmac_f32_e32 v2, 0x4f800000, v4
	v_rcp_f32_e32 v2, v2
	s_nop 0
	v_mul_f32_e32 v2, 0x5f7ffffc, v2
	v_mul_f32_e32 v4, 0x2f800000, v2
	v_trunc_f32_e32 v4, v4
	v_fmac_f32_e32 v2, 0xcf800000, v4
	v_cvt_u32_f32_e32 v4, v4
	v_cvt_u32_f32_e32 v2, v2
	v_readfirstlane_b32 s9, v4
	v_readfirstlane_b32 s6, v2
	s_mul_i32 s7, s1, s9
	s_mul_hi_u32 s15, s1, s6
	s_mul_i32 s14, s8, s6
	s_add_i32 s7, s15, s7
	s_mul_i32 s16, s1, s6
	s_add_i32 s7, s7, s14
	s_mul_i32 s15, s6, s7
	s_mul_hi_u32 s17, s6, s16
	s_mul_hi_u32 s14, s6, s7
	s_add_u32 s15, s17, s15
	s_addc_u32 s14, 0, s14
	s_mul_hi_u32 s18, s9, s16
	s_mul_i32 s16, s9, s16
	s_add_u32 s15, s15, s16
	s_mul_hi_u32 s17, s9, s7
	s_addc_u32 s14, s14, s18
	s_addc_u32 s15, s17, 0
	s_mul_i32 s7, s9, s7
	s_add_u32 s7, s14, s7
	s_addc_u32 s14, 0, s15
	s_add_u32 s15, s6, s7
	s_cselect_b64 s[6:7], -1, 0
	s_cmp_lg_u64 s[6:7], 0
	s_addc_u32 s9, s9, s14
	s_mul_i32 s6, s1, s9
	s_mul_hi_u32 s7, s1, s15
	s_add_i32 s6, s7, s6
	s_mul_i32 s8, s8, s15
	s_add_i32 s6, s6, s8
	s_mul_i32 s1, s1, s15
	s_mul_hi_u32 s8, s9, s1
	s_mul_i32 s14, s9, s1
	s_mul_i32 s17, s15, s6
	s_mul_hi_u32 s1, s15, s1
	s_mul_hi_u32 s16, s15, s6
	s_add_u32 s1, s1, s17
	s_addc_u32 s16, 0, s16
	s_add_u32 s1, s1, s14
	s_mul_hi_u32 s7, s9, s6
	s_addc_u32 s1, s16, s8
	s_addc_u32 s7, s7, 0
	s_mul_i32 s6, s9, s6
	s_add_u32 s1, s1, s6
	s_addc_u32 s8, 0, s7
	s_add_u32 s1, s15, s1
	s_cselect_b64 s[6:7], -1, 0
	s_cmp_lg_u64 s[6:7], 0
	s_addc_u32 s14, s9, s8
	s_ashr_i32 s6, s57, 31
	s_add_u32 s8, s56, s6
	s_mov_b32 s7, s6
	s_addc_u32 s9, s57, s6
	s_xor_b64 s[8:9], s[8:9], s[6:7]
	s_mul_i32 s16, s8, s14
	s_mul_hi_u32 s17, s8, s1
	s_mul_hi_u32 s15, s8, s14
	s_add_u32 s16, s17, s16
	s_addc_u32 s15, 0, s15
	s_mul_hi_u32 s18, s9, s1
	s_mul_i32 s1, s9, s1
	s_add_u32 s1, s16, s1
	s_mul_hi_u32 s17, s9, s14
	s_addc_u32 s1, s15, s18
	s_addc_u32 s15, s17, 0
	s_mul_i32 s14, s9, s14
	s_add_u32 s1, s1, s14
	s_addc_u32 s14, 0, s15
	s_mul_i32 s14, s2, s14
	s_mul_hi_u32 s15, s2, s1
	s_add_i32 s14, s15, s14
	s_mul_i32 s15, s3, s1
	s_add_i32 s18, s14, s15
	s_sub_i32 s16, s9, s18
	s_mul_i32 s1, s2, s1
	s_sub_u32 s1, s8, s1
	s_cselect_b64 s[14:15], -1, 0
	s_cmp_lg_u64 s[14:15], 0
	s_subb_u32 s8, s16, s3
	s_sub_u32 s19, s1, s2
	s_cselect_b64 s[16:17], -1, 0
	s_cmp_lg_u64 s[16:17], 0
	s_subb_u32 s20, s8, 0
	s_cmp_ge_u32 s20, s3
	s_cselect_b32 s21, -1, 0
	s_cmp_ge_u32 s19, s2
	s_cselect_b32 s22, -1, 0
	s_cmp_eq_u32 s20, s3
	s_cselect_b32 s21, s22, s21
	s_cmp_lg_u64 s[16:17], 0
	s_subb_u32 s8, s8, s3
	s_sub_u32 s22, s19, s2
	s_cselect_b64 s[16:17], -1, 0
	s_cmp_lg_u64 s[16:17], 0
	s_subb_u32 s8, s8, 0
	s_cmp_lg_u32 s21, 0
	s_cselect_b32 s16, s22, s19
	s_cselect_b32 s8, s8, s20
	s_cmp_lg_u64 s[14:15], 0
	s_subb_u32 s9, s9, s18
	s_cmp_ge_u32 s9, s3
	s_cselect_b32 s14, -1, 0
	s_cmp_ge_u32 s1, s2
	s_cselect_b32 s2, -1, 0
	s_cmp_eq_u32 s9, s3
	s_cselect_b32 s2, s2, s14
	s_cmp_lg_u32 s2, 0
	s_cselect_b32 s3, s8, s9
	s_cselect_b32 s2, s16, s1
	s_xor_b64 s[2:3], s[2:3], s[6:7]
	s_sub_u32 s8, s2, s6
	s_subb_u32 s9, s3, s6
	s_cbranch_execnz .LBB39_77
.LBB39_76:                              ;   in Loop: Header=BB39_32 Depth=1
	v_cvt_f32_u32_e32 v2, s80
	s_sub_i32 s1, 0, s80
	s_mov_b32 s9, s81
	v_rcp_iflag_f32_e32 v2, v2
	s_nop 0
	v_mul_f32_e32 v2, 0x4f7ffffe, v2
	v_cvt_u32_f32_e32 v2, v2
	s_nop 0
	v_readfirstlane_b32 s2, v2
	s_mul_i32 s1, s1, s2
	s_mul_hi_u32 s1, s2, s1
	s_add_i32 s2, s2, s1
	s_mul_hi_u32 s1, s56, s2
	s_mul_i32 s1, s1, s80
	s_sub_i32 s1, s56, s1
	s_sub_i32 s2, s1, s80
	s_cmp_ge_u32 s1, s80
	s_cselect_b32 s1, s2, s1
	s_sub_i32 s2, s1, s80
	s_cmp_ge_u32 s1, s80
	s_cselect_b32 s8, s2, s1
.LBB39_77:                              ;   in Loop: Header=BB39_32 Depth=1
	s_sub_u32 s90, s56, s8
	s_subb_u32 s91, s57, s9
	s_mov_b32 s73, s81
	v_cmp_gt_i64_e32 vcc, s[90:91], v[16:17]
	v_mov_b64_e32 v[4:5], 0
	v_mov_b64_e32 v[6:7], 0
	;; [unrolled: 1-line block ×4, first 2 shown]
	s_and_saveexec_b64 s[6:7], vcc
	s_cbranch_execz .LBB39_81
; %bb.78:                               ;   in Loop: Header=BB39_32 Depth=1
	v_readlane_b32 s14, v69, 40
	v_readlane_b32 s15, v69, 41
	s_mul_i32 s1, s15, s72
	s_mul_hi_u32 s2, s14, s72
	s_mov_b32 s97, s92
	s_mov_b32 s96, s93
	s_mov_b64 s[70:71], s[94:95]
	s_add_i32 s69, s2, s1
	s_mul_i32 s68, s14, s72
	s_mov_b64 s[88:89], 0
	v_mov_b64_e32 v[36:37], v[30:31]
	v_mov_b64_e32 v[38:39], v[28:29]
	;; [unrolled: 1-line block ×4, first 2 shown]
	s_mov_b64 s[94:95], 0
	s_mov_b64 s[92:93], 0
	;; [unrolled: 1-line block ×4, first 2 shown]
	v_mov_b64_e32 v[44:45], v[16:17]
.LBB39_79:                              ;   Parent Loop BB39_32 Depth=1
                                        ; =>  This Inner Loop Header: Depth=2
	v_lshl_add_u64 v[4:5], v[36:37], 0, s[82:83]
	v_lshl_add_u64 v[6:7], v[38:39], 0, s[82:83]
	;; [unrolled: 1-line block ×4, first 2 shown]
	global_load_sshort v2, v[4:5], off
	s_nop 0
	global_load_sshort v4, v[6:7], off
	global_load_sshort v5, v[8:9], off
	s_nop 0
	global_load_sshort v6, v[10:11], off
	v_lshl_add_u64 v[44:45], v[44:45], 0, s[80:81]
	v_cmp_le_i64_e32 vcc, s[90:91], v[44:45]
	v_lshl_add_u64 v[42:43], v[42:43], 0, s[68:69]
	v_lshl_add_u64 v[40:41], v[40:41], 0, s[68:69]
	v_lshl_add_u64 v[38:39], v[38:39], 0, s[68:69]
	v_lshl_add_u64 v[36:37], v[36:37], 0, s[68:69]
	s_waitcnt vmcnt(3)
	v_add_u32_e32 v2, 0x8000, v2
	s_waitcnt vmcnt(2)
	v_add_u32_e32 v4, 0x8000, v4
	v_and_b32_e32 v7, v2, v55
	v_bfe_u32 v2, v2, s65, 2
	s_waitcnt vmcnt(1)
	v_add_u32_e32 v5, 0x8000, v5
	v_and_b32_e32 v8, v4, v55
	v_bfe_u32 v4, v4, s65, 2
	v_cmp_eq_u32_e64 s[20:21], v7, v53
	v_cmp_eq_u32_e64 s[2:3], 0, v2
	s_waitcnt vmcnt(0)
	v_add_u32_e32 v6, 0x8000, v6
	v_and_b32_e32 v9, v5, v55
	v_bfe_u32 v5, v5, s65, 2
	v_cmp_eq_u32_e64 s[18:19], v8, v53
	v_cmp_eq_u32_e64 s[34:35], 0, v4
	s_and_b64 s[2:3], s[20:21], s[2:3]
	v_and_b32_e32 v10, v6, v55
	v_bfe_u32 v6, v6, s65, 2
	v_cmp_eq_u32_e64 s[16:17], v9, v53
	v_cmp_eq_u32_e64 s[36:37], 0, v5
	;; [unrolled: 1-line block ×5, first 2 shown]
	v_cndmask_b32_e64 v2, 0, 1, s[2:3]
	s_and_b64 s[2:3], s[18:19], s[34:35]
	v_cmp_eq_u32_e64 s[14:15], v10, v53
	v_cmp_eq_u32_e64 s[38:39], 0, v6
	;; [unrolled: 1-line block ×5, first 2 shown]
	v_cndmask_b32_e64 v4, 0, 1, s[2:3]
	s_and_b64 s[2:3], s[16:17], s[36:37]
	v_cmp_eq_u32_e64 s[44:45], 1, v5
	v_cmp_eq_u32_e64 s[52:53], 2, v5
	v_cmp_eq_u32_e64 s[24:25], 3, v5
	v_cndmask_b32_e64 v5, 0, 1, s[2:3]
	s_and_b64 s[2:3], s[14:15], s[38:39]
	v_cmp_eq_u32_e64 s[46:47], 1, v6
	v_cmp_eq_u32_e64 s[54:55], 2, v6
	;; [unrolled: 1-line block ×3, first 2 shown]
	v_cndmask_b32_e64 v6, 0, 1, s[2:3]
	v_cmp_ne_u32_e64 s[2:3], 0, v2
	v_cmp_ne_u32_e64 s[34:35], 0, v4
	v_cmp_ne_u32_e64 s[36:37], 0, v5
	v_cmp_ne_u32_e64 s[38:39], 0, v6
	s_bcnt1_i32_b64 s1, s[2:3]
	s_bcnt1_i32_b64 s2, s[34:35]
	s_bcnt1_i32_b64 s3, s[36:37]
	s_bcnt1_i32_b64 s34, s[38:39]
	s_add_u32 s1, s1, s74
	s_addc_u32 s35, 0, s75
	s_add_u32 s1, s1, s2
	s_addc_u32 s2, s35, 0
	s_add_u32 s1, s1, s3
	s_addc_u32 s2, s2, 0
	s_add_u32 s74, s1, s34
	s_addc_u32 s75, s2, 0
	s_and_b64 s[2:3], s[20:21], s[40:41]
	v_cndmask_b32_e64 v2, 0, 1, s[2:3]
	s_and_b64 s[2:3], s[18:19], s[42:43]
	v_cndmask_b32_e64 v6, 0, 1, s[2:3]
	s_and_b64 s[2:3], s[16:17], s[44:45]
	v_cndmask_b32_e64 v7, 0, 1, s[2:3]
	s_and_b64 s[2:3], s[14:15], s[46:47]
	v_cndmask_b32_e64 v8, 0, 1, s[2:3]
	v_cmp_ne_u32_e64 s[2:3], 0, v2
	v_cmp_ne_u32_e64 s[34:35], 0, v6
	v_cmp_ne_u32_e64 s[36:37], 0, v7
	v_cmp_ne_u32_e64 s[38:39], 0, v8
	s_bcnt1_i32_b64 s1, s[2:3]
	s_bcnt1_i32_b64 s2, s[34:35]
	s_bcnt1_i32_b64 s3, s[36:37]
	s_bcnt1_i32_b64 s34, s[38:39]
	s_add_u32 s1, s1, s86
	s_addc_u32 s35, 0, s87
	s_add_u32 s1, s1, s2
	s_addc_u32 s2, s35, 0
	s_add_u32 s1, s1, s3
	s_addc_u32 s2, s2, 0
	s_add_u32 s86, s1, s34
	s_addc_u32 s87, s2, 0
	s_and_b64 s[2:3], s[20:21], s[48:49]
	v_cndmask_b32_e64 v2, 0, 1, s[2:3]
	s_and_b64 s[2:3], s[18:19], s[50:51]
	v_cndmask_b32_e64 v8, 0, 1, s[2:3]
	s_and_b64 s[2:3], s[16:17], s[52:53]
	v_cndmask_b32_e64 v9, 0, 1, s[2:3]
	s_and_b64 s[2:3], s[14:15], s[54:55]
	;; [unrolled: 24-line block ×3, first 2 shown]
	v_cndmask_b32_e64 v57, 0, 1, s[2:3]
	v_cmp_ne_u32_e64 s[2:3], 0, v2
	v_cmp_ne_u32_e64 s[14:15], 0, v10
	;; [unrolled: 1-line block ×4, first 2 shown]
	s_bcnt1_i32_b64 s1, s[2:3]
	s_bcnt1_i32_b64 s2, s[14:15]
	;; [unrolled: 1-line block ×4, first 2 shown]
	s_add_u32 s1, s1, s94
	s_addc_u32 s15, 0, s95
	s_add_u32 s1, s1, s2
	s_addc_u32 s2, s15, 0
	;; [unrolled: 2-line block ×4, first 2 shown]
	v_mov_b64_e32 v[4:5], s[74:75]
	v_mov_b64_e32 v[6:7], s[86:87]
	;; [unrolled: 1-line block ×3, first 2 shown]
	s_or_b64 s[88:89], vcc, s[88:89]
	v_mov_b64_e32 v[10:11], s[94:95]
	s_andn2_b64 exec, exec, s[88:89]
	s_cbranch_execnz .LBB39_79
; %bb.80:                               ;   in Loop: Header=BB39_32 Depth=1
	s_or_b64 exec, exec, s[88:89]
	s_mov_b64 s[94:95], s[70:71]
	v_readlane_b32 s70, v69, 42
	v_readlane_b32 s74, v69, 44
	;; [unrolled: 1-line block ×3, first 2 shown]
	s_mov_b32 s93, s96
	v_readlane_b32 s75, v69, 45
	v_readlane_b32 s55, v69, 46
	;; [unrolled: 1-line block ×6, first 2 shown]
	s_mov_b32 s92, s97
.LBB39_81:                              ;   in Loop: Header=BB39_32 Depth=1
	s_or_b64 exec, exec, s[6:7]
	v_lshl_add_u64 v[36:37], s[90:91], 0, v[0:1]
	v_cmp_gt_i64_e32 vcc, s[56:57], v[36:37]
	s_and_saveexec_b64 s[6:7], vcc
	v_readlane_b32 s88, v69, 51
	v_readlane_b32 s89, v69, 52
	;; [unrolled: 1-line block ×3, first 2 shown]
	s_mov_b32 s91, 0x5040100
	s_cbranch_execz .LBB39_87
; %bb.82:                               ;   in Loop: Header=BB39_32 Depth=1
	v_mul_lo_u32 v2, v37, s62
	v_mul_lo_u32 v40, v36, s63
	v_mad_u64_u32 v[38:39], s[2:3], v36, s62, 0
	v_add3_u32 v39, v39, v40, v2
	v_lshl_add_u64 v[38:39], v[38:39], 1, s[84:85]
	global_load_ushort v2, v[38:39], off
	v_lshl_add_u64 v[38:39], v[32:33], 0, s[72:73]
	v_mov_b32_e32 v40, s9
	v_subrev_co_u32_e32 v41, vcc, s8, v38
	v_readlane_b32 s2, v69, 36
	s_nop 0
	v_subb_co_u32_e32 v38, vcc, v39, v40, vcc
	v_readlane_b32 s8, v69, 38
	v_readlane_b32 s3, v69, 37
	;; [unrolled: 1-line block ×3, first 2 shown]
	v_mul_lo_u32 v40, s8, v38
	v_mov_b64_e32 v[38:39], s[2:3]
	v_mad_u64_u32 v[38:39], s[2:3], s8, v41, v[38:39]
	v_mul_lo_u32 v42, s9, v41
	s_mul_i32 s1, s9, s72
	s_mul_hi_u32 s2, s8, s72
	v_add3_u32 v39, v42, v39, v40
	s_add_i32 s9, s2, s1
	s_mul_i32 s8, s8, s72
	s_mov_b64 s[14:15], 0
	s_branch .LBB39_84
.LBB39_83:                              ;   in Loop: Header=BB39_84 Depth=2
	s_or_b64 exec, exec, s[16:17]
	s_waitcnt vmcnt(0)
	v_add_u32_sdwa v2, sext(v2), s64 dst_sel:DWORD dst_unused:UNUSED_PAD src0_sel:WORD_0 src1_sel:DWORD
	s_and_b64 s[2:3], exec, vcc
	v_and_b32_e32 v41, v2, v55
	v_bfe_u32 v2, v2, s65, 2
	s_or_b64 s[14:15], s[2:3], s[14:15]
	v_cmp_eq_u32_e32 vcc, v41, v53
	v_cmp_eq_u32_e64 s[2:3], 0, v2
	s_and_b64 s[2:3], vcc, s[2:3]
	v_lshl_add_u64 v[38:39], v[38:39], 0, s[8:9]
	v_cndmask_b32_e64 v41, 0, 1, s[2:3]
	v_cmp_ne_u32_e64 s[2:3], 0, v41
	s_bcnt1_i32_b64 s80, s[2:3]
	v_cmp_eq_u32_e64 s[2:3], 1, v2
	s_and_b64 s[2:3], vcc, s[2:3]
	v_lshl_add_u64 v[4:5], s[80:81], 0, v[4:5]
	v_cndmask_b32_e64 v41, 0, 1, s[2:3]
	v_cmp_ne_u32_e64 s[2:3], 0, v41
	s_bcnt1_i32_b64 s80, s[2:3]
	;; [unrolled: 6-line block ×3, first 2 shown]
	v_cmp_eq_u32_e64 s[2:3], 3, v2
	s_and_b64 s[2:3], vcc, s[2:3]
	v_lshl_add_u64 v[8:9], s[80:81], 0, v[8:9]
	v_cndmask_b32_e64 v2, 0, 1, s[2:3]
	v_cmp_ne_u32_e32 vcc, 0, v2
	s_bcnt1_i32_b64 s80, vcc
	v_lshl_add_u64 v[10:11], s[80:81], 0, v[10:11]
	v_mov_b32_e32 v2, v40
	s_andn2_b64 exec, exec, s[14:15]
	s_cbranch_execz .LBB39_86
.LBB39_84:                              ;   Parent Loop BB39_32 Depth=1
                                        ; =>  This Inner Loop Header: Depth=2
	v_lshl_add_u64 v[36:37], v[36:37], 0, s[72:73]
	v_cmp_gt_i64_e64 s[2:3], s[56:57], v[36:37]
	v_cmp_le_i64_e32 vcc, s[56:57], v[36:37]
	v_mov_b32_e32 v40, 0
	s_and_saveexec_b64 s[16:17], s[2:3]
	s_cbranch_execz .LBB39_83
; %bb.85:                               ;   in Loop: Header=BB39_84 Depth=2
	global_load_ushort v40, v[38:39], off
	s_branch .LBB39_83
.LBB39_86:                              ;   in Loop: Header=BB39_32 Depth=1
	s_or_b64 exec, exec, s[14:15]
.LBB39_87:                              ;   in Loop: Header=BB39_32 Depth=1
	s_or_b64 exec, exec, s[6:7]
	s_branch .LBB39_66
.LBB39_88:                              ;   in Loop: Header=BB39_32 Depth=1
	global_load_ushort v2, v3, s[74:75]
	s_mov_b32 s96, s92
	v_mov_b64_e32 v[8:9], 0
	s_waitcnt vmcnt(0)
	v_readfirstlane_b32 s1, v2
	s_and_b32 s92, 0xffff, s1
	s_lshl_b32 s80, s92, 2
	v_cvt_f32_u32_e32 v4, s80
	s_sub_i32 s1, 0, s80
	v_rcp_iflag_f32_e32 v6, v4
	v_mov_b64_e32 v[4:5], 0
	v_mul_f32_e32 v6, 0x4f7ffffe, v6
	v_cvt_u32_f32_e32 v10, v6
	v_mov_b64_e32 v[6:7], 0
	v_readfirstlane_b32 s2, v10
	s_mul_i32 s1, s1, s2
	s_mul_hi_u32 s1, s2, s1
	s_add_i32 s2, s2, s1
	s_mul_hi_u32 s1, s0, s2
	s_mul_i32 s2, s1, s80
	s_sub_i32 s2, s0, s2
	s_add_i32 s3, s1, 1
	s_sub_i32 s6, s2, s80
	s_cmp_ge_u32 s2, s80
	s_cselect_b32 s1, s3, s1
	s_cselect_b32 s2, s6, s2
	s_add_i32 s3, s1, 1
	s_cmp_ge_u32 s2, s80
	s_cselect_b32 s1, s3, s1
	s_mul_hi_u32 s9, s92, s1
	s_mul_i32 s8, s92, s1
	s_lshl_b64 s[6:7], s[8:9], 2
	v_cmp_gt_u64_e32 vcc, s[6:7], v[16:17]
	v_mov_b64_e32 v[10:11], 0
	s_and_saveexec_b64 s[68:69], vcc
	s_cbranch_execz .LBB39_92
; %bb.89:                               ;   in Loop: Header=BB39_32 Depth=1
	s_lshl_b32 s1, s92, 3
	s_mov_b64 s[72:73], 0
	v_mov_b32_e32 v38, v51
	s_mov_b64 s[74:75], 0
	s_mov_b64 s[86:87], 0
	;; [unrolled: 1-line block ×4, first 2 shown]
	v_mov_b64_e32 v[36:37], v[16:17]
.LBB39_90:                              ;   Parent Loop BB39_32 Depth=1
                                        ; =>  This Inner Loop Header: Depth=2
	ds_read_b64 v[4:5], v38
	v_lshl_add_u64 v[36:37], v[36:37], 0, s[80:81]
	v_cmp_le_u64_e32 vcc, s[6:7], v[36:37]
	v_add_u32_e32 v38, s1, v38
	s_waitcnt lgkmcnt(0)
	v_add_u32_sdwa v6, sext(v4), s64 dst_sel:DWORD dst_unused:UNUSED_PAD src0_sel:WORD_0 src1_sel:DWORD
	v_add_u32_sdwa v4, sext(v4), s64 dst_sel:DWORD dst_unused:UNUSED_PAD src0_sel:WORD_1 src1_sel:DWORD
	v_and_b32_e32 v8, v6, v55
	v_bfe_u32 v6, v6, s65, 2
	v_add_u32_sdwa v7, sext(v5), s64 dst_sel:DWORD dst_unused:UNUSED_PAD src0_sel:WORD_0 src1_sel:DWORD
	v_and_b32_e32 v9, v4, v55
	v_bfe_u32 v4, v4, s65, 2
	v_cmp_eq_u32_e64 s[20:21], v8, v53
	v_cmp_eq_u32_e64 s[2:3], 0, v6
	v_add_u32_sdwa v5, sext(v5), s64 dst_sel:DWORD dst_unused:UNUSED_PAD src0_sel:WORD_1 src1_sel:DWORD
	v_and_b32_e32 v10, v7, v55
	v_bfe_u32 v7, v7, s65, 2
	v_cmp_eq_u32_e64 s[18:19], v9, v53
	v_cmp_eq_u32_e64 s[34:35], 0, v4
	s_and_b64 s[2:3], s[20:21], s[2:3]
	v_and_b32_e32 v11, v5, v55
	v_bfe_u32 v5, v5, s65, 2
	v_cmp_eq_u32_e64 s[16:17], v10, v53
	v_cmp_eq_u32_e64 s[36:37], 0, v7
	;; [unrolled: 1-line block ×5, first 2 shown]
	v_cndmask_b32_e64 v4, 0, 1, s[2:3]
	s_and_b64 s[2:3], s[18:19], s[34:35]
	v_cmp_eq_u32_e64 s[14:15], v11, v53
	v_cmp_eq_u32_e64 s[38:39], 0, v5
	;; [unrolled: 1-line block ×5, first 2 shown]
	v_cndmask_b32_e64 v5, 0, 1, s[2:3]
	s_and_b64 s[2:3], s[16:17], s[36:37]
	v_cmp_eq_u32_e64 s[40:41], 1, v6
	v_cmp_eq_u32_e64 s[48:49], 2, v6
	;; [unrolled: 1-line block ×3, first 2 shown]
	v_cndmask_b32_e64 v6, 0, 1, s[2:3]
	s_and_b64 s[2:3], s[14:15], s[38:39]
	v_cmp_eq_u32_e64 s[44:45], 1, v7
	v_cmp_eq_u32_e64 s[52:53], 2, v7
	;; [unrolled: 1-line block ×3, first 2 shown]
	v_cndmask_b32_e64 v7, 0, 1, s[2:3]
	v_cmp_ne_u32_e64 s[2:3], 0, v4
	v_cmp_ne_u32_e64 s[34:35], 0, v5
	v_cmp_ne_u32_e64 s[36:37], 0, v6
	v_cmp_ne_u32_e64 s[38:39], 0, v7
	s_bcnt1_i32_b64 s2, s[2:3]
	s_bcnt1_i32_b64 s3, s[34:35]
	s_bcnt1_i32_b64 s9, s[36:37]
	s_bcnt1_i32_b64 s34, s[38:39]
	s_add_u32 s2, s2, s90
	s_addc_u32 s35, 0, s91
	s_add_u32 s2, s2, s3
	s_addc_u32 s3, s35, 0
	s_add_u32 s2, s2, s9
	s_addc_u32 s3, s3, 0
	s_add_u32 s90, s2, s34
	s_addc_u32 s91, s3, 0
	s_and_b64 s[2:3], s[20:21], s[40:41]
	v_cndmask_b32_e64 v6, 0, 1, s[2:3]
	s_and_b64 s[2:3], s[18:19], s[42:43]
	v_cndmask_b32_e64 v7, 0, 1, s[2:3]
	s_and_b64 s[2:3], s[16:17], s[44:45]
	v_cndmask_b32_e64 v8, 0, 1, s[2:3]
	s_and_b64 s[2:3], s[14:15], s[46:47]
	v_cndmask_b32_e64 v9, 0, 1, s[2:3]
	v_cmp_ne_u32_e64 s[2:3], 0, v6
	v_cmp_ne_u32_e64 s[34:35], 0, v7
	v_cmp_ne_u32_e64 s[36:37], 0, v8
	v_cmp_ne_u32_e64 s[38:39], 0, v9
	s_bcnt1_i32_b64 s2, s[2:3]
	s_bcnt1_i32_b64 s3, s[34:35]
	s_bcnt1_i32_b64 s9, s[36:37]
	s_bcnt1_i32_b64 s34, s[38:39]
	s_add_u32 s2, s2, s88
	s_addc_u32 s35, 0, s89
	s_add_u32 s2, s2, s3
	s_addc_u32 s3, s35, 0
	s_add_u32 s2, s2, s9
	s_addc_u32 s3, s3, 0
	s_add_u32 s88, s2, s34
	s_addc_u32 s89, s3, 0
	s_and_b64 s[2:3], s[20:21], s[48:49]
	v_cndmask_b32_e64 v8, 0, 1, s[2:3]
	s_and_b64 s[2:3], s[18:19], s[50:51]
	v_cndmask_b32_e64 v9, 0, 1, s[2:3]
	s_and_b64 s[2:3], s[16:17], s[52:53]
	v_cndmask_b32_e64 v10, 0, 1, s[2:3]
	s_and_b64 s[2:3], s[14:15], s[54:55]
	;; [unrolled: 24-line block ×3, first 2 shown]
	v_cndmask_b32_e64 v40, 0, 1, s[2:3]
	v_cmp_ne_u32_e64 s[2:3], 0, v10
	v_cmp_ne_u32_e64 s[14:15], 0, v11
	;; [unrolled: 1-line block ×4, first 2 shown]
	s_bcnt1_i32_b64 s2, s[2:3]
	s_bcnt1_i32_b64 s3, s[14:15]
	;; [unrolled: 1-line block ×4, first 2 shown]
	s_add_u32 s2, s2, s74
	s_addc_u32 s15, 0, s75
	s_add_u32 s2, s2, s3
	s_addc_u32 s3, s15, 0
	;; [unrolled: 2-line block ×4, first 2 shown]
	v_mov_b64_e32 v[4:5], s[90:91]
	v_mov_b64_e32 v[6:7], s[88:89]
	;; [unrolled: 1-line block ×3, first 2 shown]
	s_or_b64 s[72:73], vcc, s[72:73]
	v_mov_b64_e32 v[10:11], s[74:75]
	s_andn2_b64 exec, exec, s[72:73]
	s_cbranch_execnz .LBB39_90
; %bb.91:                               ;   in Loop: Header=BB39_32 Depth=1
	s_or_b64 exec, exec, s[72:73]
	v_readlane_b32 s70, v69, 42
	v_readlane_b32 s74, v69, 44
	;; [unrolled: 1-line block ×12, first 2 shown]
	s_mov_b32 s91, 0x5040100
.LBB39_92:                              ;   in Loop: Header=BB39_32 Depth=1
	s_or_b64 exec, exec, s[68:69]
	s_bitset0_b32 s0, 31
	s_mov_b32 s1, s81
	v_lshl_add_u64 v[36:37], s[6:7], 0, v[0:1]
	v_and_b32_e32 v2, 0xffff, v2
	v_cmp_gt_u64_e32 vcc, s[0:1], v[36:37]
	s_and_saveexec_b64 s[6:7], vcc
	s_cbranch_execz .LBB39_96
; %bb.93:                               ;   in Loop: Header=BB39_32 Depth=1
	v_lshl_add_u32 v38, s8, 3, v47
	s_lshl_b32 s22, s92, 1
	s_mov_b64 s[8:9], 0
.LBB39_94:                              ;   Parent Loop BB39_32 Depth=1
                                        ; =>  This Inner Loop Header: Depth=2
	ds_read_i16 v39, v38
	v_lshl_add_u64 v[36:37], v[36:37], 0, v[2:3]
	v_cmp_le_u64_e32 vcc, s[0:1], v[36:37]
	v_add_u32_e32 v38, s22, v38
	s_waitcnt lgkmcnt(0)
	v_add_u32_e32 v39, 0x8000, v39
	v_and_b32_e32 v40, v39, v55
	v_bfe_u32 v39, v39, s65, 2
	v_cmp_eq_u32_e64 s[2:3], v40, v53
	v_cmp_eq_u32_e64 s[14:15], 0, v39
	;; [unrolled: 1-line block ×3, first 2 shown]
	s_and_b64 s[14:15], s[2:3], s[14:15]
	v_cmp_eq_u32_e64 s[18:19], 2, v39
	v_cmp_eq_u32_e64 s[20:21], 3, v39
	v_cndmask_b32_e64 v39, 0, 1, s[14:15]
	s_and_b64 s[14:15], s[2:3], s[16:17]
	v_cndmask_b32_e64 v40, 0, 1, s[14:15]
	s_and_b64 s[14:15], s[2:3], s[18:19]
	s_and_b64 s[2:3], s[2:3], s[20:21]
	v_cndmask_b32_e64 v42, 0, 1, s[2:3]
	v_cmp_ne_u32_e64 s[2:3], 0, v39
	v_cndmask_b32_e64 v41, 0, 1, s[14:15]
	v_cmp_ne_u32_e64 s[14:15], 0, v40
	s_bcnt1_i32_b64 s80, s[2:3]
	v_cmp_ne_u32_e64 s[16:17], 0, v41
	v_lshl_add_u64 v[4:5], s[80:81], 0, v[4:5]
	s_bcnt1_i32_b64 s80, s[14:15]
	v_cmp_ne_u32_e64 s[18:19], 0, v42
	v_lshl_add_u64 v[6:7], s[80:81], 0, v[6:7]
	s_bcnt1_i32_b64 s80, s[16:17]
	v_lshl_add_u64 v[8:9], s[80:81], 0, v[8:9]
	s_bcnt1_i32_b64 s80, s[18:19]
	s_or_b64 s[8:9], vcc, s[8:9]
	v_lshl_add_u64 v[10:11], s[80:81], 0, v[10:11]
	s_andn2_b64 exec, exec, s[8:9]
	s_cbranch_execnz .LBB39_94
; %bb.95:                               ;   in Loop: Header=BB39_32 Depth=1
	s_or_b64 exec, exec, s[8:9]
.LBB39_96:                              ;   in Loop: Header=BB39_32 Depth=1
	s_or_b64 exec, exec, s[6:7]
	s_mov_b32 s92, s96
	s_lshl_b32 s2, s92, 6
	s_and_saveexec_b64 s[0:1], s[4:5]
	s_cbranch_execnz .LBB39_67
	s_branch .LBB39_68
.LBB39_97:                              ;   in Loop: Header=BB39_32 Depth=1
                                        ; implicit-def: $sgpr8_sgpr9
	s_branch .LBB39_76
.LBB39_98:                              ;   in Loop: Header=BB39_32 Depth=1
	s_or_b64 exec, exec, s[8:9]
	s_waitcnt lgkmcnt(0)
	s_barrier
	s_mov_b64 s[2:3], exec
	v_readlane_b32 s8, v69, 10
	v_readlane_b32 s9, v69, 11
	s_and_b64 s[8:9], s[2:3], s[8:9]
	s_mov_b64 exec, s[8:9]
	s_cbranch_execz .LBB39_100
; %bb.99:                               ;   in Loop: Header=BB39_32 Depth=1
	ds_read_b32 v4, v3 offset:5136
	s_waitcnt lgkmcnt(0)
	v_ashrrev_i32_e32 v5, 31, v4
	ds_write_b64 v3, v[4:5] offset:5120
.LBB39_100:                             ;   in Loop: Header=BB39_32 Depth=1
	s_or_b64 exec, exec, s[2:3]
	s_waitcnt lgkmcnt(0)
	s_barrier
	s_mov_b64 s[2:3], -1
	s_and_b64 vcc, exec, s[6:7]
	s_cbranch_vccnz .LBB39_47
	s_branch .LBB39_62
.LBB39_101:                             ;   in Loop: Header=BB39_32 Depth=1
	s_mov_b32 s3, 0
	v_mov_b64_e32 v[4:5], 0
.LBB39_102:                             ;   in Loop: Header=BB39_32 Depth=1
	v_readlane_b32 s6, v69, 34
	v_readlane_b32 s7, v69, 35
	s_andn2_b64 vcc, exec, s[6:7]
	s_cbranch_vccnz .LBB39_105
; %bb.103:                              ;   in Loop: Header=BB39_32 Depth=1
	s_lshl_b32 s6, s92, 9
	s_lshl_b32 s3, s3, 5
	s_add_i32 s6, s6, s3
	v_add_u32_e32 v2, s6, v52
	v_readlane_b32 s3, v69, 33
.LBB39_104:                             ;   Parent Loop BB39_32 Depth=1
                                        ; =>  This Inner Loop Header: Depth=2
	ds_read_b64 v[6:7], v2
	s_add_i32 s3, s3, -1
	v_add_u32_e32 v2, 32, v2
	s_cmp_lg_u32 s3, 0
	s_waitcnt lgkmcnt(0)
	v_lshl_add_u64 v[4:5], v[6:7], 0, v[4:5]
	s_cbranch_scc1 .LBB39_104
.LBB39_105:                             ;   in Loop: Header=BB39_32 Depth=1
	v_add_lshl_u32 v2, s2, v46, 3
	ds_write_b64 v2, v[4:5] offset:3072
.LBB39_106:                             ;   in Loop: Header=BB39_32 Depth=1
	s_or_b64 exec, exec, s[0:1]
	s_lshl_b32 s0, s2, 3
	v_mov_b32_e32 v2, s0
	s_waitcnt lgkmcnt(0)
	s_barrier
	ds_read_b128 v[8:11], v2 offset:3088
	ds_read_b128 v[4:7], v2 offset:3072
	s_lshl_b32 s72, 3, s65
	v_cmp_eq_u64_e64 s[2:3], 1, v[34:35]
	s_not_b32 s52, s72
	s_waitcnt lgkmcnt(1)
	v_readfirstlane_b32 s22, v8
	s_waitcnt lgkmcnt(0)
	v_cmp_eq_u64_e32 vcc, 1, v[4:5]
	v_readfirstlane_b32 s23, v9
	v_readfirstlane_b32 s14, v10
	;; [unrolled: 1-line block ×3, first 2 shown]
	s_and_b64 s[2:3], vcc, s[2:3]
	s_mov_b64 s[0:1], -1
	s_mov_b64 s[18:19], -1
                                        ; implicit-def: $sgpr8_sgpr9
                                        ; implicit-def: $sgpr6_sgpr7
	s_and_saveexec_b64 s[16:17], s[2:3]
	s_cbranch_execz .LBB39_138
; %bb.107:                              ;   in Loop: Header=BB39_32 Depth=1
	ds_read_b64 v[8:9], v3 offset:5120
	s_waitcnt lgkmcnt(0)
	s_barrier
	v_readfirstlane_b32 s18, v8
	v_readfirstlane_b32 s19, v9
	s_mov_b64 s[6:7], exec
	v_readlane_b32 s8, v69, 14
	v_readlane_b32 s9, v69, 15
	s_and_b64 s[8:9], s[6:7], s[8:9]
	s_mov_b64 exec, s[8:9]
; %bb.108:                              ;   in Loop: Header=BB39_32 Depth=1
	ds_write_b16 v48, v3
; %bb.109:                              ;   in Loop: Header=BB39_32 Depth=1
	s_or_b64 exec, exec, s[6:7]
	v_cmp_lt_i64_e64 s[20:21], s[18:19], 1
	v_and_b32_e32 v53, s52, v53
	v_or_b32_e32 v55, s72, v55
	s_mov_b64 s[6:7], -1
	s_mov_b64 s[8:9], 0
	s_and_b64 vcc, exec, s[20:21]
	s_mov_b64 s[20:21], 0
	s_mov_b64 s[24:25], -1
	s_waitcnt lgkmcnt(0)
	s_barrier
                                        ; implicit-def: $vgpr56
	s_cbranch_vccz .LBB39_123
; %bb.110:                              ;   in Loop: Header=BB39_32 Depth=1
	v_readlane_b32 s38, v69, 24
	v_readlane_b32 s39, v69, 25
	s_mov_b32 s38, s81
	s_cmp_lg_u64 s[38:39], 0
	v_writelane_b32 v69, s38, 24
	s_nop 1
	v_writelane_b32 v69, s39, 25
	s_cbranch_scc0 .LBB39_164
; %bb.111:                              ;   in Loop: Header=BB39_32 Depth=1
	s_add_u32 s20, s78, 0
	s_addc_u32 s21, 0, 0
	s_xor_b64 s[20:21], s[20:21], 0
	v_cvt_f32_u32_e32 v2, s20
	v_cvt_f32_u32_e32 v8, s21
	s_sub_u32 s26, 0, s20
	s_subb_u32 s27, 0, s21
	v_fmac_f32_e32 v2, 0x4f800000, v8
	v_rcp_f32_e32 v2, v2
	s_nop 0
	v_mul_f32_e32 v2, 0x5f7ffffc, v2
	v_mul_f32_e32 v8, 0x2f800000, v2
	v_trunc_f32_e32 v8, v8
	v_fmac_f32_e32 v2, 0xcf800000, v8
	v_cvt_u32_f32_e32 v8, v8
	v_cvt_u32_f32_e32 v2, v2
	v_readfirstlane_b32 s28, v8
	v_readfirstlane_b32 s24, v2
	s_mul_i32 s25, s26, s28
	s_mul_hi_u32 s34, s26, s24
	s_mul_i32 s29, s27, s24
	s_add_i32 s25, s34, s25
	s_mul_i32 s35, s26, s24
	s_add_i32 s25, s25, s29
	s_mul_i32 s34, s24, s25
	s_mul_hi_u32 s36, s24, s35
	s_mul_hi_u32 s29, s24, s25
	s_add_u32 s34, s36, s34
	s_addc_u32 s29, 0, s29
	s_mul_hi_u32 s37, s28, s35
	s_mul_i32 s35, s28, s35
	s_add_u32 s34, s34, s35
	s_mul_hi_u32 s36, s28, s25
	s_addc_u32 s29, s29, s37
	s_addc_u32 s34, s36, 0
	s_mul_i32 s25, s28, s25
	s_add_u32 s25, s29, s25
	s_addc_u32 s29, 0, s34
	s_add_u32 s34, s24, s25
	s_cselect_b64 s[24:25], -1, 0
	s_cmp_lg_u64 s[24:25], 0
	s_addc_u32 s28, s28, s29
	s_mul_i32 s24, s26, s28
	s_mul_hi_u32 s25, s26, s34
	s_add_i32 s24, s25, s24
	s_mul_i32 s27, s27, s34
	s_add_i32 s24, s24, s27
	s_mul_i32 s26, s26, s34
	s_mul_hi_u32 s27, s28, s26
	s_mul_i32 s29, s28, s26
	s_mul_i32 s36, s34, s24
	s_mul_hi_u32 s26, s34, s26
	s_mul_hi_u32 s35, s34, s24
	s_add_u32 s26, s26, s36
	s_addc_u32 s35, 0, s35
	s_add_u32 s26, s26, s29
	s_mul_hi_u32 s25, s28, s24
	s_addc_u32 s26, s35, s27
	s_addc_u32 s25, s25, 0
	s_mul_i32 s24, s28, s24
	s_add_u32 s24, s26, s24
	s_addc_u32 s26, 0, s25
	s_add_u32 s29, s34, s24
	s_cselect_b64 s[24:25], -1, 0
	s_cmp_lg_u64 s[24:25], 0
	s_addc_u32 s28, s28, s26
	s_ashr_i32 s24, s39, 31
	s_add_u32 s26, s93, s24
	s_mov_b32 s25, s24
	s_addc_u32 s27, s39, s24
	s_xor_b64 s[26:27], s[26:27], s[24:25]
	s_mul_i32 s35, s26, s28
	s_mul_hi_u32 s36, s26, s29
	s_mul_hi_u32 s34, s26, s28
	s_add_u32 s35, s36, s35
	s_addc_u32 s34, 0, s34
	s_mul_hi_u32 s37, s27, s29
	s_mul_i32 s29, s27, s29
	s_add_u32 s29, s35, s29
	s_mul_hi_u32 s36, s27, s28
	s_addc_u32 s29, s34, s37
	s_addc_u32 s34, s36, 0
	s_mul_i32 s28, s27, s28
	s_add_u32 s28, s29, s28
	s_addc_u32 s29, 0, s34
	s_mul_i32 s29, s20, s29
	s_mul_hi_u32 s34, s20, s28
	s_add_i32 s29, s34, s29
	s_mul_i32 s34, s21, s28
	s_add_i32 s36, s29, s34
	s_sub_i32 s34, s27, s36
	s_mul_i32 s28, s20, s28
	s_sub_u32 s26, s26, s28
	s_cselect_b64 s[28:29], -1, 0
	s_cmp_lg_u64 s[28:29], 0
	s_subb_u32 s37, s34, s21
	s_sub_u32 s38, s26, s20
	s_cselect_b64 s[34:35], -1, 0
	s_cmp_lg_u64 s[34:35], 0
	s_subb_u32 s39, s37, 0
	s_cmp_ge_u32 s39, s21
	s_cselect_b32 s40, -1, 0
	s_cmp_ge_u32 s38, s20
	s_cselect_b32 s41, -1, 0
	s_cmp_eq_u32 s39, s21
	s_cselect_b32 s40, s41, s40
	s_cmp_lg_u64 s[34:35], 0
	s_subb_u32 s37, s37, s21
	s_sub_u32 s41, s38, s20
	s_cselect_b64 s[34:35], -1, 0
	s_cmp_lg_u64 s[34:35], 0
	s_subb_u32 s34, s37, 0
	s_cmp_lg_u32 s40, 0
	s_cselect_b32 s35, s41, s38
	s_cselect_b32 s34, s34, s39
	s_cmp_lg_u64 s[28:29], 0
	s_subb_u32 s27, s27, s36
	s_cmp_ge_u32 s27, s21
	s_cselect_b32 s28, -1, 0
	s_cmp_ge_u32 s26, s20
	s_cselect_b32 s20, -1, 0
	s_cmp_eq_u32 s27, s21
	s_cselect_b32 s20, s20, s28
	s_cmp_lg_u32 s20, 0
	s_cselect_b32 s21, s34, s27
	s_cselect_b32 s20, s35, s26
	s_xor_b64 s[20:21], s[20:21], s[24:25]
	s_sub_u32 s20, s20, s24
	s_subb_u32 s21, s21, s24
	s_cbranch_execnz .LBB39_113
.LBB39_112:                             ;   in Loop: Header=BB39_32 Depth=1
	v_cvt_f32_u32_e32 v2, s78
	s_sub_i32 s20, 0, s78
	v_rcp_iflag_f32_e32 v2, v2
	s_nop 0
	v_mul_f32_e32 v2, 0x4f7ffffe, v2
	v_cvt_u32_f32_e32 v2, v2
	s_nop 0
	v_readfirstlane_b32 s21, v2
	s_mul_i32 s20, s20, s21
	s_mul_hi_u32 s20, s21, s20
	s_add_i32 s21, s21, s20
	s_mul_hi_u32 s20, s93, s21
	s_mul_i32 s20, s20, s78
	s_sub_i32 s20, s93, s20
	s_sub_i32 s21, s20, s78
	s_cmp_ge_u32 s20, s78
	s_cselect_b32 s20, s21, s20
	s_sub_i32 s21, s20, s78
	s_cmp_ge_u32 s20, s78
	s_cselect_b32 s80, s21, s20
	s_mov_b64 s[20:21], s[80:81]
.LBB39_113:                             ;   in Loop: Header=BB39_32 Depth=1
	v_readlane_b32 s24, v69, 24
	s_sub_u32 s28, s93, s20
	v_readlane_b32 s25, v69, 25
	s_subb_u32 s29, s25, s21
	v_cmp_gt_i64_e32 vcc, s[28:29], v[0:1]
	s_mov_b64 s[24:25], 0
	s_mov_b64 s[20:21], 0
                                        ; implicit-def: $vgpr56
	s_and_saveexec_b64 s[26:27], vcc
	s_cbranch_execz .LBB39_122
; %bb.114:                              ;   in Loop: Header=BB39_32 Depth=1
	v_mov_b64_e32 v[8:9], v[12:13]
	v_mov_b64_e32 v[10:11], v[0:1]
                                        ; implicit-def: $sgpr34_sgpr35
	s_branch .LBB39_117
.LBB39_115:                             ;   in Loop: Header=BB39_117 Depth=2
	s_or_b64 exec, exec, s[36:37]
	s_waitcnt lgkmcnt(0)
	s_barrier
	ds_read_b32 v2, v3 offset:3072
	s_mov_b64 s[36:37], -1
	s_waitcnt lgkmcnt(0)
	s_barrier
	v_cmp_ne_u32_sdwa s[38:39], v2, v3 src0_sel:WORD_0 src1_sel:DWORD
	s_and_b64 vcc, exec, s[38:39]
	s_mov_b64 s[38:39], -1
	s_cbranch_vccz .LBB39_120
.LBB39_116:                             ;   in Loop: Header=BB39_117 Depth=2
	s_and_b64 s[36:37], exec, s[36:37]
	s_or_b64 s[20:21], s[36:37], s[20:21]
	s_andn2_b64 s[34:35], s[34:35], exec
	s_and_b64 s[36:37], s[38:39], exec
	s_or_b64 s[34:35], s[34:35], s[36:37]
	s_andn2_b64 exec, exec, s[20:21]
	s_cbranch_execz .LBB39_121
.LBB39_117:                             ;   Parent Loop BB39_32 Depth=1
                                        ; =>  This Inner Loop Header: Depth=2
	v_cmp_gt_i64_e32 vcc, s[56:57], v[10:11]
	s_and_saveexec_b64 s[36:37], vcc
	s_cbranch_execz .LBB39_115
; %bb.118:                              ;   in Loop: Header=BB39_117 Depth=2
	global_load_ushort v2, v[8:9], off
	s_waitcnt vmcnt(0)
	v_add_u32_sdwa v36, sext(v2), s64 dst_sel:DWORD dst_unused:UNUSED_PAD src0_sel:WORD_0 src1_sel:DWORD
	v_and_b32_e32 v36, v36, v55
	v_cmp_eq_u32_e32 vcc, v36, v53
	s_and_b64 exec, exec, vcc
	s_cbranch_execz .LBB39_115
; %bb.119:                              ;   in Loop: Header=BB39_117 Depth=2
	v_perm_b32 v2, v2, 1, v54
	ds_write_b32 v3, v2 offset:3072
	s_branch .LBB39_115
.LBB39_120:                             ;   in Loop: Header=BB39_117 Depth=2
	v_lshl_add_u64 v[10:11], v[10:11], 0, s[78:79]
	v_cmp_le_i64_e32 vcc, s[28:29], v[10:11]
	v_lshl_add_u64 v[8:9], v[8:9], 0, s[94:95]
	s_mov_b64 s[38:39], 0
	s_orn2_b64 s[36:37], vcc, exec
	s_branch .LBB39_116
.LBB39_121:                             ;   in Loop: Header=BB39_32 Depth=1
	s_or_b64 exec, exec, s[20:21]
	v_lshrrev_b32_e32 v56, 16, v2
	s_and_b64 s[20:21], s[34:35], exec
.LBB39_122:                             ;   in Loop: Header=BB39_32 Depth=1
	s_or_b64 exec, exec, s[26:27]
.LBB39_123:                             ;   in Loop: Header=BB39_32 Depth=1
	s_and_b64 vcc, exec, s[24:25]
	s_cbranch_vccz .LBB39_137
; %bb.124:                              ;   in Loop: Header=BB39_32 Depth=1
	v_readlane_b32 s6, v69, 22
	s_add_u32 s26, s18, s6
	v_readlane_b32 s6, v69, 23
	s_addc_u32 s7, s19, s6
	s_mov_b32 s6, s81
	s_cmp_lg_u64 s[6:7], 0
	s_cbranch_scc0 .LBB39_165
; %bb.125:                              ;   in Loop: Header=BB39_32 Depth=1
	s_add_u32 s8, s78, 0
	s_addc_u32 s9, 0, 0
	s_xor_b64 s[8:9], s[8:9], 0
	v_cvt_f32_u32_e32 v2, s8
	v_cvt_f32_u32_e32 v8, s9
	s_sub_u32 s6, 0, s8
	s_subb_u32 s27, 0, s9
	v_fmac_f32_e32 v2, 0x4f800000, v8
	v_rcp_f32_e32 v2, v2
	s_nop 0
	v_mul_f32_e32 v2, 0x5f7ffffc, v2
	v_mul_f32_e32 v8, 0x2f800000, v2
	v_trunc_f32_e32 v8, v8
	v_fmac_f32_e32 v2, 0xcf800000, v8
	v_cvt_u32_f32_e32 v8, v8
	v_cvt_u32_f32_e32 v2, v2
	v_readfirstlane_b32 s28, v8
	v_readfirstlane_b32 s24, v2
	s_mul_i32 s25, s6, s28
	s_mul_hi_u32 s34, s6, s24
	s_mul_i32 s29, s27, s24
	s_add_i32 s25, s34, s25
	s_mul_i32 s35, s6, s24
	s_add_i32 s25, s25, s29
	s_mul_i32 s34, s24, s25
	s_mul_hi_u32 s36, s24, s35
	s_mul_hi_u32 s29, s24, s25
	s_add_u32 s34, s36, s34
	s_addc_u32 s29, 0, s29
	s_mul_hi_u32 s37, s28, s35
	s_mul_i32 s35, s28, s35
	s_add_u32 s34, s34, s35
	s_mul_hi_u32 s36, s28, s25
	s_addc_u32 s29, s29, s37
	s_addc_u32 s34, s36, 0
	s_mul_i32 s25, s28, s25
	s_add_u32 s25, s29, s25
	s_addc_u32 s29, 0, s34
	s_add_u32 s34, s24, s25
	s_cselect_b64 s[24:25], -1, 0
	s_cmp_lg_u64 s[24:25], 0
	s_addc_u32 s28, s28, s29
	s_mul_i32 s24, s6, s28
	s_mul_hi_u32 s25, s6, s34
	s_add_i32 s24, s25, s24
	s_mul_i32 s27, s27, s34
	s_add_i32 s24, s24, s27
	s_mul_i32 s6, s6, s34
	s_mul_hi_u32 s27, s28, s6
	s_mul_i32 s29, s28, s6
	s_mul_i32 s36, s34, s24
	s_mul_hi_u32 s6, s34, s6
	s_mul_hi_u32 s35, s34, s24
	s_add_u32 s6, s6, s36
	s_addc_u32 s35, 0, s35
	s_add_u32 s6, s6, s29
	s_mul_hi_u32 s25, s28, s24
	s_addc_u32 s6, s35, s27
	s_addc_u32 s25, s25, 0
	s_mul_i32 s24, s28, s24
	s_add_u32 s6, s6, s24
	s_addc_u32 s27, 0, s25
	s_add_u32 s6, s34, s6
	s_cselect_b64 s[24:25], -1, 0
	s_cmp_lg_u64 s[24:25], 0
	s_addc_u32 s27, s28, s27
	s_ashr_i32 s24, s7, 31
	s_add_u32 s28, s26, s24
	s_mov_b32 s25, s24
	s_addc_u32 s29, s7, s24
	s_xor_b64 s[28:29], s[28:29], s[24:25]
	s_mul_i32 s35, s28, s27
	s_mul_hi_u32 s36, s28, s6
	s_mul_hi_u32 s34, s28, s27
	s_add_u32 s35, s36, s35
	s_addc_u32 s34, 0, s34
	s_mul_hi_u32 s37, s29, s6
	s_mul_i32 s6, s29, s6
	s_add_u32 s6, s35, s6
	s_mul_hi_u32 s36, s29, s27
	s_addc_u32 s6, s34, s37
	s_addc_u32 s34, s36, 0
	s_mul_i32 s27, s29, s27
	s_add_u32 s6, s6, s27
	s_addc_u32 s27, 0, s34
	s_mul_i32 s27, s8, s27
	s_mul_hi_u32 s34, s8, s6
	s_add_i32 s27, s34, s27
	s_mul_i32 s34, s9, s6
	s_add_i32 s27, s27, s34
	s_sub_i32 s36, s29, s27
	s_mul_i32 s6, s8, s6
	s_sub_u32 s6, s28, s6
	s_cselect_b64 s[34:35], -1, 0
	s_cmp_lg_u64 s[34:35], 0
	s_subb_u32 s28, s36, s9
	s_sub_u32 s38, s6, s8
	s_cselect_b64 s[36:37], -1, 0
	s_cmp_lg_u64 s[36:37], 0
	s_subb_u32 s39, s28, 0
	s_cmp_ge_u32 s39, s9
	s_cselect_b32 s40, -1, 0
	s_cmp_ge_u32 s38, s8
	s_cselect_b32 s41, -1, 0
	s_cmp_eq_u32 s39, s9
	s_cselect_b32 s40, s41, s40
	s_cmp_lg_u64 s[36:37], 0
	s_subb_u32 s28, s28, s9
	s_sub_u32 s41, s38, s8
	s_cselect_b64 s[36:37], -1, 0
	s_cmp_lg_u64 s[36:37], 0
	s_subb_u32 s28, s28, 0
	s_cmp_lg_u32 s40, 0
	s_cselect_b32 s36, s41, s38
	s_cselect_b32 s28, s28, s39
	s_cmp_lg_u64 s[34:35], 0
	s_subb_u32 s27, s29, s27
	s_cmp_ge_u32 s27, s9
	s_cselect_b32 s29, -1, 0
	s_cmp_ge_u32 s6, s8
	s_cselect_b32 s8, -1, 0
	s_cmp_eq_u32 s27, s9
	s_cselect_b32 s8, s8, s29
	s_cmp_lg_u32 s8, 0
	s_cselect_b32 s9, s28, s27
	s_cselect_b32 s8, s36, s6
	s_xor_b64 s[8:9], s[8:9], s[24:25]
	s_sub_u32 s8, s8, s24
	s_subb_u32 s9, s9, s24
	s_cbranch_execnz .LBB39_127
.LBB39_126:                             ;   in Loop: Header=BB39_32 Depth=1
	v_cvt_f32_u32_e32 v2, s78
	s_sub_i32 s6, 0, s78
	v_rcp_iflag_f32_e32 v2, v2
	s_nop 0
	v_mul_f32_e32 v2, 0x4f7ffffe, v2
	v_cvt_u32_f32_e32 v2, v2
	s_nop 0
	v_readfirstlane_b32 s8, v2
	s_mul_i32 s6, s6, s8
	s_mul_hi_u32 s6, s8, s6
	s_add_i32 s8, s8, s6
	s_mul_hi_u32 s6, s26, s8
	s_mul_i32 s6, s6, s78
	s_sub_i32 s6, s26, s6
	s_sub_i32 s8, s6, s78
	s_cmp_ge_u32 s6, s78
	s_cselect_b32 s6, s8, s6
	s_sub_i32 s8, s6, s78
	s_cmp_ge_u32 s6, s78
	s_cselect_b32 s80, s8, s6
	s_mov_b64 s[8:9], s[80:81]
.LBB39_127:                             ;   in Loop: Header=BB39_32 Depth=1
	s_sub_u32 s8, s26, s8
	s_subb_u32 s9, s7, s9
	v_cmp_gt_i64_e32 vcc, s[8:9], v[0:1]
                                        ; implicit-def: $vgpr56
	s_and_saveexec_b64 s[6:7], vcc
	s_cbranch_execz .LBB39_136
; %bb.128:                              ;   in Loop: Header=BB39_32 Depth=1
	s_mov_b64 s[24:25], 0
	v_mov_b32_e32 v2, v47
	v_mov_b64_e32 v[8:9], v[0:1]
                                        ; implicit-def: $sgpr26_sgpr27
	s_branch .LBB39_131
.LBB39_129:                             ;   in Loop: Header=BB39_131 Depth=2
	s_or_b64 exec, exec, s[28:29]
	s_waitcnt lgkmcnt(0)
	s_barrier
	ds_read_b32 v10, v3 offset:3072
	s_mov_b64 s[28:29], -1
	s_waitcnt lgkmcnt(0)
	s_barrier
	v_cmp_ne_u32_sdwa s[34:35], v10, v3 src0_sel:WORD_0 src1_sel:DWORD
	s_and_b64 vcc, exec, s[34:35]
	s_mov_b64 s[34:35], -1
	s_cbranch_vccz .LBB39_134
.LBB39_130:                             ;   in Loop: Header=BB39_131 Depth=2
	s_and_b64 s[28:29], exec, s[28:29]
	s_or_b64 s[24:25], s[28:29], s[24:25]
	s_andn2_b64 s[26:27], s[26:27], exec
	s_and_b64 s[28:29], s[34:35], exec
	s_or_b64 s[26:27], s[26:27], s[28:29]
	s_andn2_b64 exec, exec, s[24:25]
	s_cbranch_execz .LBB39_135
.LBB39_131:                             ;   Parent Loop BB39_32 Depth=1
                                        ; =>  This Inner Loop Header: Depth=2
	v_cmp_gt_u64_e32 vcc, s[18:19], v[8:9]
	s_and_saveexec_b64 s[28:29], vcc
	s_cbranch_execz .LBB39_129
; %bb.132:                              ;   in Loop: Header=BB39_131 Depth=2
	ds_read_u16 v10, v2
	s_waitcnt lgkmcnt(0)
	v_add_u32_sdwa v11, sext(v10), s64 dst_sel:DWORD dst_unused:UNUSED_PAD src0_sel:WORD_0 src1_sel:DWORD
	v_and_b32_e32 v11, v11, v55
	v_cmp_eq_u32_e32 vcc, v11, v53
	s_and_b64 exec, exec, vcc
	s_cbranch_execz .LBB39_129
; %bb.133:                              ;   in Loop: Header=BB39_131 Depth=2
	v_perm_b32 v10, v10, 1, v54
	ds_write_b32 v3, v10 offset:3072
	s_branch .LBB39_129
.LBB39_134:                             ;   in Loop: Header=BB39_131 Depth=2
	v_lshl_add_u64 v[8:9], v[8:9], 0, s[78:79]
	v_cmp_le_i64_e32 vcc, s[8:9], v[8:9]
	v_add_u32_e32 v2, s90, v2
	s_mov_b64 s[34:35], 0
	s_orn2_b64 s[28:29], vcc, exec
	s_branch .LBB39_130
.LBB39_135:                             ;   in Loop: Header=BB39_32 Depth=1
	s_or_b64 exec, exec, s[24:25]
	s_andn2_b64 s[8:9], s[20:21], exec
	s_and_b64 s[18:19], s[26:27], exec
	v_lshrrev_b32_e32 v56, 16, v10
	s_or_b64 s[20:21], s[8:9], s[18:19]
.LBB39_136:                             ;   in Loop: Header=BB39_32 Depth=1
	s_or_b64 exec, exec, s[6:7]
	s_mov_b64 s[6:7], 0
	s_mov_b64 s[8:9], -1
.LBB39_137:                             ;   in Loop: Header=BB39_32 Depth=1
	s_orn2_b64 s[18:19], s[20:21], exec
.LBB39_138:                             ;   in Loop: Header=BB39_32 Depth=1
	s_or_b64 exec, exec, s[16:17]
	s_andn2_b64 s[16:17], s[30:31], exec
	s_and_b64 s[8:9], s[8:9], exec
	s_or_b64 s[86:87], s[16:17], s[8:9]
	s_andn2_b64 s[8:9], s[58:59], exec
	s_and_b64 s[6:7], s[6:7], exec
	s_andn2_b64 s[96:97], s[98:99], exec
	s_or_b64 s[98:99], s[8:9], s[6:7]
                                        ; implicit-def: $vgpr8_vgpr9
	s_and_saveexec_b64 s[16:17], s[18:19]
	s_cbranch_execz .LBB39_31
; %bb.139:                              ;   in Loop: Header=BB39_32 Depth=1
	s_xor_b64 s[2:3], s[2:3], -1
	v_mov_b32_e32 v2, 1
	s_mov_b64 s[6:7], 0
	v_mov_b64_e32 v[8:9], 1
	s_and_saveexec_b64 s[0:1], s[2:3]
	s_cbranch_execz .LBB39_148
; %bb.140:                              ;   in Loop: Header=BB39_32 Depth=1
	v_cmp_le_i64_e32 vcc, v[34:35], v[4:5]
	s_and_saveexec_b64 s[2:3], vcc
	s_xor_b64 s[2:3], exec, s[2:3]
	s_cbranch_execz .LBB39_145
; %bb.141:                              ;   in Loop: Header=BB39_32 Depth=1
	ds_read_b64 v[8:9], v3 offset:5120
	v_and_b32_e32 v53, s52, v53
	v_or_b32_e32 v55, s72, v55
	s_waitcnt lgkmcnt(0)
	v_cmp_ne_u64_e32 vcc, 0, v[8:9]
	s_cbranch_vccnz .LBB39_145
; %bb.142:                              ;   in Loop: Header=BB39_32 Depth=1
	s_mov_b64 s[6:7], exec
	v_readlane_b32 s8, v69, 10
	v_readlane_b32 s9, v69, 11
	s_and_b64 s[8:9], s[6:7], s[8:9]
	s_mov_b64 exec, s[8:9]
; %bb.143:                              ;   in Loop: Header=BB39_32 Depth=1
	ds_write_b64 v3, v[4:5] offset:5128
; %bb.144:                              ;   in Loop: Header=BB39_32 Depth=1
	s_or_b64 exec, exec, s[6:7]
	s_waitcnt lgkmcnt(0)
	s_barrier
.LBB39_145:                             ;   in Loop: Header=BB39_32 Depth=1
	s_or_saveexec_b64 s[2:3], s[2:3]
	s_mov_b64 s[6:7], 0
	v_mov_b32_e32 v2, 8
	s_xor_b64 exec, exec, s[2:3]
; %bb.146:                              ;   in Loop: Header=BB39_32 Depth=1
	v_sub_co_u32_e32 v34, vcc, v34, v4
	s_mov_b64 s[6:7], exec
	s_nop 0
	v_subb_co_u32_e32 v35, vcc, v35, v5, vcc
	v_mov_b32_e32 v2, 0
; %bb.147:                              ;   in Loop: Header=BB39_32 Depth=1
	s_or_b64 exec, exec, s[2:3]
	s_and_b64 s[6:7], s[6:7], exec
	v_mov_b64_e32 v[8:9], v[34:35]
.LBB39_148:                             ;   in Loop: Header=BB39_32 Depth=1
	s_or_b64 exec, exec, s[0:1]
	s_mov_b64 s[18:19], -1
	s_mov_b64 s[0:1], -1
                                        ; implicit-def: $sgpr2_sgpr3
                                        ; implicit-def: $sgpr24_sgpr25
	s_and_saveexec_b64 s[8:9], s[6:7]
	s_xor_b64 s[20:21], exec, s[8:9]
	s_cbranch_execz .LBB39_290
; %bb.149:                              ;   in Loop: Header=BB39_32 Depth=1
	v_cmp_eq_u64_e32 vcc, 1, v[6:7]
	v_cmp_eq_u64_e64 s[2:3], 1, v[8:9]
	s_and_b64 s[0:1], vcc, s[2:3]
	s_mov_b64 s[6:7], -1
                                        ; implicit-def: $sgpr24_sgpr25
                                        ; implicit-def: $sgpr2_sgpr3
	s_and_saveexec_b64 s[26:27], s[0:1]
	s_cbranch_execz .LBB39_183
; %bb.150:                              ;   in Loop: Header=BB39_32 Depth=1
	ds_read_b64 v[4:5], v3 offset:5120
	s_waitcnt lgkmcnt(0)
	s_barrier
	v_readfirstlane_b32 s28, v4
	v_readfirstlane_b32 s29, v5
	s_mov_b64 s[2:3], exec
	v_readlane_b32 s6, v69, 14
	v_readlane_b32 s7, v69, 15
	s_and_b64 s[6:7], s[2:3], s[6:7]
	s_mov_b64 exec, s[6:7]
; %bb.151:                              ;   in Loop: Header=BB39_32 Depth=1
	ds_write_b16 v48, v3
; %bb.152:                              ;   in Loop: Header=BB39_32 Depth=1
	s_or_b64 exec, exec, s[2:3]
	v_and_b32_e32 v4, s52, v53
	v_cmp_gt_i64_e64 s[6:7], s[28:29], 0
	v_lshl_or_b32 v53, 1, s65, v4
	v_or_b32_e32 v55, s72, v55
	s_mov_b64 s[2:3], -1
	s_mov_b64 s[24:25], 0
	s_and_b64 vcc, exec, s[6:7]
	s_mov_b64 s[6:7], 0
	s_mov_b64 s[8:9], -1
	s_waitcnt lgkmcnt(0)
	s_barrier
                                        ; implicit-def: $vgpr56
	s_cbranch_vccnz .LBB39_168
; %bb.153:                              ;   in Loop: Header=BB39_32 Depth=1
	v_readlane_b32 s42, v69, 24
	v_readlane_b32 s43, v69, 25
	s_mov_b32 s42, s81
	s_cmp_lg_u64 s[42:43], 0
	v_writelane_b32 v69, s42, 24
	s_nop 1
	v_writelane_b32 v69, s43, 25
	s_cbranch_scc0 .LBB39_210
; %bb.154:                              ;   in Loop: Header=BB39_32 Depth=1
	s_add_u32 s6, s78, 0
	s_addc_u32 s7, 0, 0
	s_xor_b64 s[6:7], s[6:7], 0
	v_cvt_f32_u32_e32 v4, s6
	v_cvt_f32_u32_e32 v5, s7
	s_sub_u32 s34, 0, s6
	s_subb_u32 s35, 0, s7
	v_fmac_f32_e32 v4, 0x4f800000, v5
	v_rcp_f32_e32 v4, v4
	s_nop 0
	v_mul_f32_e32 v4, 0x5f7ffffc, v4
	v_mul_f32_e32 v5, 0x2f800000, v4
	v_trunc_f32_e32 v5, v5
	v_fmac_f32_e32 v4, 0xcf800000, v5
	v_cvt_u32_f32_e32 v5, v5
	v_cvt_u32_f32_e32 v4, v4
	v_readfirstlane_b32 s36, v5
	v_readfirstlane_b32 s8, v4
	s_mul_i32 s9, s34, s36
	s_mul_hi_u32 s38, s34, s8
	s_mul_i32 s37, s35, s8
	s_add_i32 s9, s38, s9
	s_mul_i32 s39, s34, s8
	s_add_i32 s9, s9, s37
	s_mul_i32 s38, s8, s9
	s_mul_hi_u32 s40, s8, s39
	s_mul_hi_u32 s37, s8, s9
	s_add_u32 s38, s40, s38
	s_addc_u32 s37, 0, s37
	s_mul_hi_u32 s41, s36, s39
	s_mul_i32 s39, s36, s39
	s_add_u32 s38, s38, s39
	s_mul_hi_u32 s40, s36, s9
	s_addc_u32 s37, s37, s41
	s_addc_u32 s38, s40, 0
	s_mul_i32 s9, s36, s9
	s_add_u32 s9, s37, s9
	s_addc_u32 s37, 0, s38
	s_add_u32 s38, s8, s9
	s_cselect_b64 s[8:9], -1, 0
	s_cmp_lg_u64 s[8:9], 0
	s_addc_u32 s36, s36, s37
	s_mul_i32 s8, s34, s36
	s_mul_hi_u32 s9, s34, s38
	s_add_i32 s8, s9, s8
	s_mul_i32 s35, s35, s38
	s_add_i32 s8, s8, s35
	s_mul_i32 s34, s34, s38
	s_mul_hi_u32 s35, s36, s34
	s_mul_i32 s37, s36, s34
	s_mul_i32 s40, s38, s8
	s_mul_hi_u32 s34, s38, s34
	s_mul_hi_u32 s39, s38, s8
	s_add_u32 s34, s34, s40
	s_addc_u32 s39, 0, s39
	s_add_u32 s34, s34, s37
	s_mul_hi_u32 s9, s36, s8
	s_addc_u32 s34, s39, s35
	s_addc_u32 s9, s9, 0
	s_mul_i32 s8, s36, s8
	s_add_u32 s8, s34, s8
	s_addc_u32 s34, 0, s9
	s_add_u32 s37, s38, s8
	s_cselect_b64 s[8:9], -1, 0
	s_cmp_lg_u64 s[8:9], 0
	s_addc_u32 s36, s36, s34
	s_ashr_i32 s8, s43, 31
	s_add_u32 s34, s93, s8
	s_mov_b32 s9, s8
	s_addc_u32 s35, s43, s8
	s_xor_b64 s[34:35], s[34:35], s[8:9]
	s_mul_i32 s39, s34, s36
	s_mul_hi_u32 s40, s34, s37
	s_mul_hi_u32 s38, s34, s36
	s_add_u32 s39, s40, s39
	s_addc_u32 s38, 0, s38
	s_mul_hi_u32 s41, s35, s37
	s_mul_i32 s37, s35, s37
	s_add_u32 s37, s39, s37
	s_mul_hi_u32 s40, s35, s36
	s_addc_u32 s37, s38, s41
	s_addc_u32 s38, s40, 0
	s_mul_i32 s36, s35, s36
	s_add_u32 s36, s37, s36
	s_addc_u32 s37, 0, s38
	s_mul_i32 s37, s6, s37
	s_mul_hi_u32 s38, s6, s36
	s_add_i32 s37, s38, s37
	s_mul_i32 s38, s7, s36
	s_add_i32 s40, s37, s38
	s_sub_i32 s38, s35, s40
	s_mul_i32 s36, s6, s36
	s_sub_u32 s34, s34, s36
	s_cselect_b64 s[36:37], -1, 0
	s_cmp_lg_u64 s[36:37], 0
	s_subb_u32 s41, s38, s7
	s_sub_u32 s42, s34, s6
	s_cselect_b64 s[38:39], -1, 0
	s_cmp_lg_u64 s[38:39], 0
	s_subb_u32 s43, s41, 0
	s_cmp_ge_u32 s43, s7
	s_cselect_b32 s44, -1, 0
	s_cmp_ge_u32 s42, s6
	s_cselect_b32 s45, -1, 0
	s_cmp_eq_u32 s43, s7
	s_cselect_b32 s44, s45, s44
	s_cmp_lg_u64 s[38:39], 0
	s_subb_u32 s41, s41, s7
	s_sub_u32 s45, s42, s6
	s_cselect_b64 s[38:39], -1, 0
	s_cmp_lg_u64 s[38:39], 0
	s_subb_u32 s38, s41, 0
	s_cmp_lg_u32 s44, 0
	s_cselect_b32 s39, s45, s42
	s_cselect_b32 s38, s38, s43
	s_cmp_lg_u64 s[36:37], 0
	s_subb_u32 s35, s35, s40
	s_cmp_ge_u32 s35, s7
	s_cselect_b32 s36, -1, 0
	s_cmp_ge_u32 s34, s6
	s_cselect_b32 s6, -1, 0
	s_cmp_eq_u32 s35, s7
	s_cselect_b32 s6, s6, s36
	s_cmp_lg_u32 s6, 0
	s_cselect_b32 s7, s38, s35
	s_cselect_b32 s6, s39, s34
	s_xor_b64 s[6:7], s[6:7], s[8:9]
	s_sub_u32 s6, s6, s8
	s_subb_u32 s7, s7, s8
	s_cbranch_execnz .LBB39_156
.LBB39_155:                             ;   in Loop: Header=BB39_32 Depth=1
	v_cvt_f32_u32_e32 v4, s78
	s_sub_i32 s6, 0, s78
	v_rcp_iflag_f32_e32 v4, v4
	s_nop 0
	v_mul_f32_e32 v4, 0x4f7ffffe, v4
	v_cvt_u32_f32_e32 v4, v4
	s_nop 0
	v_readfirstlane_b32 s7, v4
	s_mul_i32 s6, s6, s7
	s_mul_hi_u32 s6, s7, s6
	s_add_i32 s7, s7, s6
	s_mul_hi_u32 s6, s93, s7
	s_mul_i32 s6, s6, s78
	s_sub_i32 s6, s93, s6
	s_sub_i32 s7, s6, s78
	s_cmp_ge_u32 s6, s78
	s_cselect_b32 s6, s7, s6
	s_sub_i32 s7, s6, s78
	s_cmp_ge_u32 s6, s78
	s_cselect_b32 s80, s7, s6
	s_mov_b64 s[6:7], s[80:81]
.LBB39_156:                             ;   in Loop: Header=BB39_32 Depth=1
	v_readlane_b32 s8, v69, 24
	s_sub_u32 s36, s93, s6
	v_readlane_b32 s9, v69, 25
	s_subb_u32 s37, s9, s7
	v_cmp_gt_i64_e32 vcc, s[36:37], v[0:1]
	s_mov_b64 s[8:9], 0
	s_mov_b64 s[6:7], 0
                                        ; implicit-def: $vgpr56
	s_and_saveexec_b64 s[34:35], vcc
	s_cbranch_execz .LBB39_167
; %bb.157:                              ;   in Loop: Header=BB39_32 Depth=1
	v_mov_b64_e32 v[4:5], v[12:13]
	v_mov_b64_e32 v[10:11], v[0:1]
                                        ; implicit-def: $sgpr38_sgpr39
	s_branch .LBB39_160
.LBB39_158:                             ;   in Loop: Header=BB39_160 Depth=2
	s_or_b64 exec, exec, s[40:41]
	s_waitcnt lgkmcnt(0)
	s_barrier
	ds_read_b32 v34, v3 offset:3072
	s_mov_b64 s[40:41], -1
	s_waitcnt lgkmcnt(0)
	s_barrier
	v_cmp_ne_u32_sdwa s[42:43], v34, v3 src0_sel:WORD_0 src1_sel:DWORD
	s_and_b64 vcc, exec, s[42:43]
	s_mov_b64 s[42:43], -1
	s_cbranch_vccz .LBB39_163
.LBB39_159:                             ;   in Loop: Header=BB39_160 Depth=2
	s_and_b64 s[40:41], exec, s[40:41]
	s_or_b64 s[6:7], s[40:41], s[6:7]
	s_andn2_b64 s[38:39], s[38:39], exec
	s_and_b64 s[40:41], s[42:43], exec
	s_or_b64 s[38:39], s[38:39], s[40:41]
	s_andn2_b64 exec, exec, s[6:7]
	s_cbranch_execz .LBB39_166
.LBB39_160:                             ;   Parent Loop BB39_32 Depth=1
                                        ; =>  This Inner Loop Header: Depth=2
	v_cmp_gt_i64_e32 vcc, s[56:57], v[10:11]
	s_and_saveexec_b64 s[40:41], vcc
	s_cbranch_execz .LBB39_158
; %bb.161:                              ;   in Loop: Header=BB39_160 Depth=2
	global_load_ushort v34, v[4:5], off
	s_waitcnt vmcnt(0)
	v_add_u32_sdwa v35, sext(v34), s64 dst_sel:DWORD dst_unused:UNUSED_PAD src0_sel:WORD_0 src1_sel:DWORD
	v_and_b32_e32 v35, v35, v55
	v_cmp_eq_u32_e32 vcc, v35, v53
	s_and_b64 exec, exec, vcc
	s_cbranch_execz .LBB39_158
; %bb.162:                              ;   in Loop: Header=BB39_160 Depth=2
	v_perm_b32 v34, v34, 1, v54
	ds_write_b32 v3, v34 offset:3072
	s_branch .LBB39_158
.LBB39_163:                             ;   in Loop: Header=BB39_160 Depth=2
	v_lshl_add_u64 v[10:11], v[10:11], 0, s[78:79]
	v_cmp_le_i64_e32 vcc, s[36:37], v[10:11]
	v_lshl_add_u64 v[4:5], v[4:5], 0, s[94:95]
	s_mov_b64 s[42:43], 0
	s_orn2_b64 s[40:41], vcc, exec
	s_branch .LBB39_159
.LBB39_164:                             ;   in Loop: Header=BB39_32 Depth=1
                                        ; implicit-def: $sgpr20_sgpr21
	s_andn2_b64 vcc, exec, s[24:25]
	s_cbranch_vccz .LBB39_112
	s_branch .LBB39_113
.LBB39_165:                             ;   in Loop: Header=BB39_32 Depth=1
                                        ; implicit-def: $sgpr8_sgpr9
	s_branch .LBB39_126
.LBB39_166:                             ;   in Loop: Header=BB39_32 Depth=1
	s_or_b64 exec, exec, s[6:7]
	v_lshrrev_b32_e32 v56, 16, v34
	s_and_b64 s[6:7], s[38:39], exec
.LBB39_167:                             ;   in Loop: Header=BB39_32 Depth=1
	s_or_b64 exec, exec, s[34:35]
.LBB39_168:                             ;   in Loop: Header=BB39_32 Depth=1
	s_and_b64 vcc, exec, s[8:9]
	s_cbranch_vccz .LBB39_182
; %bb.169:                              ;   in Loop: Header=BB39_32 Depth=1
	v_readlane_b32 s2, v69, 22
	s_add_u32 s34, s28, s2
	v_readlane_b32 s2, v69, 23
	s_addc_u32 s3, s29, s2
	s_mov_b32 s2, s81
	s_cmp_lg_u64 s[2:3], 0
	s_cbranch_scc0 .LBB39_211
; %bb.170:                              ;   in Loop: Header=BB39_32 Depth=1
	s_add_u32 s8, s78, 0
	s_addc_u32 s9, 0, 0
	s_xor_b64 s[8:9], s[8:9], 0
	v_cvt_f32_u32_e32 v4, s8
	v_cvt_f32_u32_e32 v5, s9
	s_sub_u32 s2, 0, s8
	s_subb_u32 s35, 0, s9
	v_fmac_f32_e32 v4, 0x4f800000, v5
	v_rcp_f32_e32 v4, v4
	s_nop 0
	v_mul_f32_e32 v4, 0x5f7ffffc, v4
	v_mul_f32_e32 v5, 0x2f800000, v4
	v_trunc_f32_e32 v5, v5
	v_fmac_f32_e32 v4, 0xcf800000, v5
	v_cvt_u32_f32_e32 v5, v5
	v_cvt_u32_f32_e32 v4, v4
	v_readfirstlane_b32 s36, v5
	v_readfirstlane_b32 s24, v4
	s_mul_i32 s25, s2, s36
	s_mul_hi_u32 s38, s2, s24
	s_mul_i32 s37, s35, s24
	s_add_i32 s25, s38, s25
	s_mul_i32 s39, s2, s24
	s_add_i32 s25, s25, s37
	s_mul_i32 s38, s24, s25
	s_mul_hi_u32 s40, s24, s39
	s_mul_hi_u32 s37, s24, s25
	s_add_u32 s38, s40, s38
	s_addc_u32 s37, 0, s37
	s_mul_hi_u32 s41, s36, s39
	s_mul_i32 s39, s36, s39
	s_add_u32 s38, s38, s39
	s_mul_hi_u32 s40, s36, s25
	s_addc_u32 s37, s37, s41
	s_addc_u32 s38, s40, 0
	s_mul_i32 s25, s36, s25
	s_add_u32 s25, s37, s25
	s_addc_u32 s37, 0, s38
	s_add_u32 s38, s24, s25
	s_cselect_b64 s[24:25], -1, 0
	s_cmp_lg_u64 s[24:25], 0
	s_addc_u32 s36, s36, s37
	s_mul_i32 s24, s2, s36
	s_mul_hi_u32 s25, s2, s38
	s_add_i32 s24, s25, s24
	s_mul_i32 s35, s35, s38
	s_add_i32 s24, s24, s35
	s_mul_i32 s2, s2, s38
	s_mul_hi_u32 s35, s36, s2
	s_mul_i32 s37, s36, s2
	s_mul_i32 s40, s38, s24
	s_mul_hi_u32 s2, s38, s2
	s_mul_hi_u32 s39, s38, s24
	s_add_u32 s2, s2, s40
	s_addc_u32 s39, 0, s39
	s_add_u32 s2, s2, s37
	s_mul_hi_u32 s25, s36, s24
	s_addc_u32 s2, s39, s35
	s_addc_u32 s25, s25, 0
	s_mul_i32 s24, s36, s24
	s_add_u32 s2, s2, s24
	s_addc_u32 s35, 0, s25
	s_add_u32 s2, s38, s2
	s_cselect_b64 s[24:25], -1, 0
	s_cmp_lg_u64 s[24:25], 0
	s_addc_u32 s35, s36, s35
	s_ashr_i32 s24, s3, 31
	s_add_u32 s36, s34, s24
	s_mov_b32 s25, s24
	s_addc_u32 s37, s3, s24
	s_xor_b64 s[36:37], s[36:37], s[24:25]
	s_mul_i32 s39, s36, s35
	s_mul_hi_u32 s40, s36, s2
	s_mul_hi_u32 s38, s36, s35
	s_add_u32 s39, s40, s39
	s_addc_u32 s38, 0, s38
	s_mul_hi_u32 s41, s37, s2
	s_mul_i32 s2, s37, s2
	s_add_u32 s2, s39, s2
	s_mul_hi_u32 s40, s37, s35
	s_addc_u32 s2, s38, s41
	s_addc_u32 s38, s40, 0
	s_mul_i32 s35, s37, s35
	s_add_u32 s2, s2, s35
	s_addc_u32 s35, 0, s38
	s_mul_i32 s35, s8, s35
	s_mul_hi_u32 s38, s8, s2
	s_add_i32 s35, s38, s35
	s_mul_i32 s38, s9, s2
	s_add_i32 s35, s35, s38
	s_sub_i32 s40, s37, s35
	s_mul_i32 s2, s8, s2
	s_sub_u32 s2, s36, s2
	s_cselect_b64 s[38:39], -1, 0
	s_cmp_lg_u64 s[38:39], 0
	s_subb_u32 s36, s40, s9
	s_sub_u32 s42, s2, s8
	s_cselect_b64 s[40:41], -1, 0
	s_cmp_lg_u64 s[40:41], 0
	s_subb_u32 s43, s36, 0
	s_cmp_ge_u32 s43, s9
	s_cselect_b32 s44, -1, 0
	s_cmp_ge_u32 s42, s8
	s_cselect_b32 s45, -1, 0
	s_cmp_eq_u32 s43, s9
	s_cselect_b32 s44, s45, s44
	s_cmp_lg_u64 s[40:41], 0
	s_subb_u32 s36, s36, s9
	s_sub_u32 s45, s42, s8
	s_cselect_b64 s[40:41], -1, 0
	s_cmp_lg_u64 s[40:41], 0
	s_subb_u32 s36, s36, 0
	s_cmp_lg_u32 s44, 0
	s_cselect_b32 s40, s45, s42
	s_cselect_b32 s36, s36, s43
	s_cmp_lg_u64 s[38:39], 0
	s_subb_u32 s35, s37, s35
	s_cmp_ge_u32 s35, s9
	s_cselect_b32 s37, -1, 0
	s_cmp_ge_u32 s2, s8
	s_cselect_b32 s8, -1, 0
	s_cmp_eq_u32 s35, s9
	s_cselect_b32 s8, s8, s37
	s_cmp_lg_u32 s8, 0
	s_cselect_b32 s9, s36, s35
	s_cselect_b32 s8, s40, s2
	s_xor_b64 s[8:9], s[8:9], s[24:25]
	s_sub_u32 s8, s8, s24
	s_subb_u32 s9, s9, s24
	s_cbranch_execnz .LBB39_172
.LBB39_171:                             ;   in Loop: Header=BB39_32 Depth=1
	v_cvt_f32_u32_e32 v4, s78
	s_sub_i32 s2, 0, s78
	v_rcp_iflag_f32_e32 v4, v4
	s_nop 0
	v_mul_f32_e32 v4, 0x4f7ffffe, v4
	v_cvt_u32_f32_e32 v4, v4
	s_nop 0
	v_readfirstlane_b32 s8, v4
	s_mul_i32 s2, s2, s8
	s_mul_hi_u32 s2, s8, s2
	s_add_i32 s8, s8, s2
	s_mul_hi_u32 s2, s34, s8
	s_mul_i32 s2, s2, s78
	s_sub_i32 s2, s34, s2
	s_sub_i32 s8, s2, s78
	s_cmp_ge_u32 s2, s78
	s_cselect_b32 s2, s8, s2
	s_sub_i32 s8, s2, s78
	s_cmp_ge_u32 s2, s78
	s_cselect_b32 s80, s8, s2
	s_mov_b64 s[8:9], s[80:81]
.LBB39_172:                             ;   in Loop: Header=BB39_32 Depth=1
	s_sub_u32 s8, s34, s8
	s_subb_u32 s9, s3, s9
	v_cmp_gt_i64_e32 vcc, s[8:9], v[0:1]
                                        ; implicit-def: $vgpr56
	s_and_saveexec_b64 s[2:3], vcc
	s_cbranch_execz .LBB39_181
; %bb.173:                              ;   in Loop: Header=BB39_32 Depth=1
	s_mov_b64 s[24:25], 0
	v_mov_b32_e32 v10, v47
	v_mov_b64_e32 v[4:5], v[0:1]
                                        ; implicit-def: $sgpr34_sgpr35
	s_branch .LBB39_176
.LBB39_174:                             ;   in Loop: Header=BB39_176 Depth=2
	s_or_b64 exec, exec, s[36:37]
	s_waitcnt lgkmcnt(0)
	s_barrier
	ds_read_b32 v11, v3 offset:3072
	s_mov_b64 s[36:37], -1
	s_waitcnt lgkmcnt(0)
	s_barrier
	v_cmp_eq_u32_sdwa s[38:39], v11, v3 src0_sel:WORD_0 src1_sel:DWORD
	s_and_b64 vcc, exec, s[38:39]
	s_mov_b64 s[38:39], -1
	s_cbranch_vccnz .LBB39_179
.LBB39_175:                             ;   in Loop: Header=BB39_176 Depth=2
	s_and_b64 s[36:37], exec, s[36:37]
	s_or_b64 s[24:25], s[36:37], s[24:25]
	s_andn2_b64 s[34:35], s[34:35], exec
	s_and_b64 s[36:37], s[38:39], exec
	s_or_b64 s[34:35], s[34:35], s[36:37]
	s_andn2_b64 exec, exec, s[24:25]
	s_cbranch_execz .LBB39_180
.LBB39_176:                             ;   Parent Loop BB39_32 Depth=1
                                        ; =>  This Inner Loop Header: Depth=2
	v_cmp_gt_u64_e32 vcc, s[28:29], v[4:5]
	s_and_saveexec_b64 s[36:37], vcc
	s_cbranch_execz .LBB39_174
; %bb.177:                              ;   in Loop: Header=BB39_176 Depth=2
	ds_read_u16 v11, v10
	s_waitcnt lgkmcnt(0)
	v_add_u32_sdwa v34, sext(v11), s64 dst_sel:DWORD dst_unused:UNUSED_PAD src0_sel:WORD_0 src1_sel:DWORD
	v_and_b32_e32 v34, v34, v55
	v_cmp_eq_u32_e32 vcc, v34, v53
	s_and_b64 exec, exec, vcc
	s_cbranch_execz .LBB39_174
; %bb.178:                              ;   in Loop: Header=BB39_176 Depth=2
	v_perm_b32 v11, v11, 1, v54
	ds_write_b32 v3, v11 offset:3072
	s_branch .LBB39_174
.LBB39_179:                             ;   in Loop: Header=BB39_176 Depth=2
	v_lshl_add_u64 v[4:5], v[4:5], 0, s[78:79]
	v_cmp_le_i64_e32 vcc, s[8:9], v[4:5]
	v_add_u32_e32 v10, s90, v10
	s_mov_b64 s[38:39], 0
	s_orn2_b64 s[36:37], vcc, exec
	s_branch .LBB39_175
.LBB39_180:                             ;   in Loop: Header=BB39_32 Depth=1
	s_or_b64 exec, exec, s[24:25]
	s_andn2_b64 s[6:7], s[6:7], exec
	s_and_b64 s[8:9], s[34:35], exec
	v_lshrrev_b32_e32 v56, 16, v11
	s_or_b64 s[6:7], s[6:7], s[8:9]
.LBB39_181:                             ;   in Loop: Header=BB39_32 Depth=1
	s_or_b64 exec, exec, s[2:3]
	s_mov_b64 s[2:3], 0
	s_mov_b64 s[24:25], -1
.LBB39_182:                             ;   in Loop: Header=BB39_32 Depth=1
	s_orn2_b64 s[6:7], s[6:7], exec
.LBB39_183:                             ;   in Loop: Header=BB39_32 Depth=1
	s_or_b64 exec, exec, s[26:27]
	s_mov_b64 s[8:9], 0
	s_and_saveexec_b64 s[26:27], s[6:7]
	s_cbranch_execz .LBB39_289
; %bb.184:                              ;   in Loop: Header=BB39_32 Depth=1
	s_xor_b64 s[6:7], s[0:1], -1
	v_mov_b32_e32 v2, 1
	v_mov_b64_e32 v[4:5], 1
	s_and_saveexec_b64 s[0:1], s[6:7]
	s_cbranch_execz .LBB39_194
; %bb.185:                              ;   in Loop: Header=BB39_32 Depth=1
	v_cmp_le_i64_e32 vcc, v[8:9], v[6:7]
	s_and_saveexec_b64 s[6:7], vcc
	s_xor_b64 s[6:7], exec, s[6:7]
	s_cbranch_execz .LBB39_191
; %bb.186:                              ;   in Loop: Header=BB39_32 Depth=1
	ds_read_b64 v[4:5], v3 offset:5120
	v_and_b32_e32 v2, s52, v53
	v_lshl_or_b32 v53, 1, s65, v2
	v_or_b32_e32 v55, s72, v55
	s_waitcnt lgkmcnt(0)
	v_cmp_ne_u64_e32 vcc, 0, v[4:5]
	s_cbranch_vccnz .LBB39_190
; %bb.187:                              ;   in Loop: Header=BB39_32 Depth=1
	s_mov_b64 s[8:9], exec
	v_readlane_b32 s28, v69, 10
	v_readlane_b32 s29, v69, 11
	s_and_b64 s[28:29], s[8:9], s[28:29]
	s_mov_b64 exec, s[28:29]
; %bb.188:                              ;   in Loop: Header=BB39_32 Depth=1
	ds_write_b64 v3, v[6:7] offset:5128
; %bb.189:                              ;   in Loop: Header=BB39_32 Depth=1
	s_or_b64 exec, exec, s[8:9]
	s_waitcnt lgkmcnt(0)
	s_barrier
.LBB39_190:                             ;   in Loop: Header=BB39_32 Depth=1
                                        ; implicit-def: $vgpr4_vgpr5_vgpr6_vgpr7
.LBB39_191:                             ;   in Loop: Header=BB39_32 Depth=1
	s_or_saveexec_b64 s[6:7], s[6:7]
	s_mov_b64 s[8:9], 0
	v_mov_b32_e32 v2, 8
	s_xor_b64 exec, exec, s[6:7]
; %bb.192:                              ;   in Loop: Header=BB39_32 Depth=1
	v_sub_co_u32_e32 v8, vcc, v8, v6
	s_mov_b64 s[8:9], exec
	s_nop 0
	v_subb_co_u32_e32 v9, vcc, v9, v7, vcc
	v_mov_b32_e32 v2, 0
; %bb.193:                              ;   in Loop: Header=BB39_32 Depth=1
	s_or_b64 exec, exec, s[6:7]
	s_and_b64 s[8:9], s[8:9], exec
	v_mov_b64_e32 v[4:5], v[8:9]
.LBB39_194:                             ;   in Loop: Header=BB39_32 Depth=1
	s_or_b64 exec, exec, s[0:1]
	s_mov_b64 s[6:7], -1
                                        ; implicit-def: $sgpr0_sgpr1
                                        ; implicit-def: $sgpr34_sgpr35
	s_and_saveexec_b64 s[28:29], s[8:9]
	s_cbranch_execz .LBB39_288
; %bb.195:                              ;   in Loop: Header=BB39_32 Depth=1
	s_cmp_eq_u64 s[22:23], 1
	s_cselect_b64 s[0:1], -1, 0
	v_cmp_eq_u64_e32 vcc, 1, v[4:5]
	s_and_b64 s[38:39], s[0:1], vcc
                                        ; implicit-def: $sgpr34_sgpr35
                                        ; implicit-def: $sgpr0_sgpr1
	s_and_saveexec_b64 s[36:37], s[38:39]
	s_cbranch_execz .LBB39_229
; %bb.196:                              ;   in Loop: Header=BB39_32 Depth=1
	ds_read_b64 v[6:7], v3 offset:5120
	s_waitcnt lgkmcnt(0)
	s_barrier
	v_readfirstlane_b32 s40, v6
	v_readfirstlane_b32 s41, v7
	s_mov_b64 s[0:1], exec
	v_readlane_b32 s6, v69, 14
	v_readlane_b32 s7, v69, 15
	s_and_b64 s[6:7], s[0:1], s[6:7]
	s_mov_b64 exec, s[6:7]
; %bb.197:                              ;   in Loop: Header=BB39_32 Depth=1
	ds_write_b16 v48, v3
; %bb.198:                              ;   in Loop: Header=BB39_32 Depth=1
	s_or_b64 exec, exec, s[0:1]
	v_and_b32_e32 v6, s52, v53
	v_cmp_gt_i64_e64 s[6:7], s[40:41], 0
	v_lshl_or_b32 v53, 2, s65, v6
	v_or_b32_e32 v55, s72, v55
	s_mov_b64 s[0:1], -1
	s_mov_b64 s[34:35], 0
	s_and_b64 vcc, exec, s[6:7]
	s_mov_b64 s[6:7], 0
	s_mov_b64 s[8:9], -1
	s_waitcnt lgkmcnt(0)
	s_barrier
                                        ; implicit-def: $vgpr56
	s_cbranch_vccnz .LBB39_214
; %bb.199:                              ;   in Loop: Header=BB39_32 Depth=1
	v_readlane_b32 s50, v69, 24
	v_readlane_b32 s51, v69, 25
	s_mov_b32 s50, s81
	s_cmp_lg_u64 s[50:51], 0
	v_writelane_b32 v69, s50, 24
	s_nop 1
	v_writelane_b32 v69, s51, 25
	s_cbranch_scc0 .LBB39_255
; %bb.200:                              ;   in Loop: Header=BB39_32 Depth=1
	s_add_u32 s6, s78, 0
	s_addc_u32 s7, 0, 0
	s_xor_b64 s[6:7], s[6:7], 0
	v_cvt_f32_u32_e32 v6, s6
	v_cvt_f32_u32_e32 v7, s7
	s_sub_u32 s42, 0, s6
	s_subb_u32 s43, 0, s7
	v_fmac_f32_e32 v6, 0x4f800000, v7
	v_rcp_f32_e32 v6, v6
	s_nop 0
	v_mul_f32_e32 v6, 0x5f7ffffc, v6
	v_mul_f32_e32 v7, 0x2f800000, v6
	v_trunc_f32_e32 v7, v7
	v_fmac_f32_e32 v6, 0xcf800000, v7
	v_cvt_u32_f32_e32 v7, v7
	v_cvt_u32_f32_e32 v6, v6
	v_readfirstlane_b32 s44, v7
	v_readfirstlane_b32 s8, v6
	s_mul_i32 s9, s42, s44
	s_mul_hi_u32 s46, s42, s8
	s_mul_i32 s45, s43, s8
	s_add_i32 s9, s46, s9
	s_mul_i32 s47, s42, s8
	s_add_i32 s9, s9, s45
	s_mul_i32 s46, s8, s9
	s_mul_hi_u32 s48, s8, s47
	s_mul_hi_u32 s45, s8, s9
	s_add_u32 s46, s48, s46
	s_addc_u32 s45, 0, s45
	s_mul_hi_u32 s49, s44, s47
	s_mul_i32 s47, s44, s47
	s_add_u32 s46, s46, s47
	s_mul_hi_u32 s48, s44, s9
	s_addc_u32 s45, s45, s49
	s_addc_u32 s46, s48, 0
	s_mul_i32 s9, s44, s9
	s_add_u32 s9, s45, s9
	s_addc_u32 s45, 0, s46
	s_add_u32 s46, s8, s9
	s_cselect_b64 s[8:9], -1, 0
	s_cmp_lg_u64 s[8:9], 0
	s_addc_u32 s44, s44, s45
	s_mul_i32 s8, s42, s44
	s_mul_hi_u32 s9, s42, s46
	s_add_i32 s8, s9, s8
	s_mul_i32 s43, s43, s46
	s_add_i32 s8, s8, s43
	s_mul_i32 s42, s42, s46
	s_mul_hi_u32 s43, s44, s42
	s_mul_i32 s45, s44, s42
	s_mul_i32 s48, s46, s8
	s_mul_hi_u32 s42, s46, s42
	s_mul_hi_u32 s47, s46, s8
	s_add_u32 s42, s42, s48
	s_addc_u32 s47, 0, s47
	s_add_u32 s42, s42, s45
	s_mul_hi_u32 s9, s44, s8
	s_addc_u32 s42, s47, s43
	s_addc_u32 s9, s9, 0
	s_mul_i32 s8, s44, s8
	s_add_u32 s8, s42, s8
	s_addc_u32 s42, 0, s9
	s_add_u32 s45, s46, s8
	s_cselect_b64 s[8:9], -1, 0
	s_cmp_lg_u64 s[8:9], 0
	s_addc_u32 s44, s44, s42
	s_ashr_i32 s8, s51, 31
	s_add_u32 s42, s93, s8
	s_mov_b32 s9, s8
	s_addc_u32 s43, s51, s8
	s_xor_b64 s[42:43], s[42:43], s[8:9]
	s_mul_i32 s47, s42, s44
	s_mul_hi_u32 s48, s42, s45
	s_mul_hi_u32 s46, s42, s44
	s_add_u32 s47, s48, s47
	s_addc_u32 s46, 0, s46
	s_mul_hi_u32 s49, s43, s45
	s_mul_i32 s45, s43, s45
	s_add_u32 s45, s47, s45
	s_mul_hi_u32 s48, s43, s44
	s_addc_u32 s45, s46, s49
	s_addc_u32 s46, s48, 0
	s_mul_i32 s44, s43, s44
	s_add_u32 s44, s45, s44
	s_addc_u32 s45, 0, s46
	s_mul_i32 s45, s6, s45
	s_mul_hi_u32 s46, s6, s44
	s_add_i32 s45, s46, s45
	s_mul_i32 s46, s7, s44
	s_add_i32 s48, s45, s46
	s_sub_i32 s46, s43, s48
	s_mul_i32 s44, s6, s44
	s_sub_u32 s42, s42, s44
	s_cselect_b64 s[44:45], -1, 0
	s_cmp_lg_u64 s[44:45], 0
	s_subb_u32 s49, s46, s7
	s_sub_u32 s50, s42, s6
	s_cselect_b64 s[46:47], -1, 0
	s_cmp_lg_u64 s[46:47], 0
	s_subb_u32 s51, s49, 0
	s_cmp_ge_u32 s51, s7
	s_cselect_b32 s53, -1, 0
	s_cmp_ge_u32 s50, s6
	s_cselect_b32 s54, -1, 0
	s_cmp_eq_u32 s51, s7
	s_cselect_b32 s53, s54, s53
	s_cmp_lg_u64 s[46:47], 0
	s_subb_u32 s49, s49, s7
	s_sub_u32 s54, s50, s6
	s_cselect_b64 s[46:47], -1, 0
	s_cmp_lg_u64 s[46:47], 0
	s_subb_u32 s46, s49, 0
	s_cmp_lg_u32 s53, 0
	s_cselect_b32 s47, s54, s50
	s_cselect_b32 s46, s46, s51
	s_cmp_lg_u64 s[44:45], 0
	s_subb_u32 s43, s43, s48
	s_cmp_ge_u32 s43, s7
	s_cselect_b32 s44, -1, 0
	s_cmp_ge_u32 s42, s6
	s_cselect_b32 s6, -1, 0
	s_cmp_eq_u32 s43, s7
	s_cselect_b32 s6, s6, s44
	s_cmp_lg_u32 s6, 0
	s_cselect_b32 s7, s46, s43
	s_cselect_b32 s6, s47, s42
	s_xor_b64 s[6:7], s[6:7], s[8:9]
	s_sub_u32 s6, s6, s8
	s_subb_u32 s7, s7, s8
	s_cbranch_execnz .LBB39_202
.LBB39_201:                             ;   in Loop: Header=BB39_32 Depth=1
	v_cvt_f32_u32_e32 v6, s78
	s_sub_i32 s6, 0, s78
	v_rcp_iflag_f32_e32 v6, v6
	s_nop 0
	v_mul_f32_e32 v6, 0x4f7ffffe, v6
	v_cvt_u32_f32_e32 v6, v6
	s_nop 0
	v_readfirstlane_b32 s7, v6
	s_mul_i32 s6, s6, s7
	s_mul_hi_u32 s6, s7, s6
	s_add_i32 s7, s7, s6
	s_mul_hi_u32 s6, s93, s7
	s_mul_i32 s6, s6, s78
	s_sub_i32 s6, s93, s6
	s_sub_i32 s7, s6, s78
	s_cmp_ge_u32 s6, s78
	s_cselect_b32 s6, s7, s6
	s_sub_i32 s7, s6, s78
	s_cmp_ge_u32 s6, s78
	s_cselect_b32 s80, s7, s6
	s_mov_b64 s[6:7], s[80:81]
.LBB39_202:                             ;   in Loop: Header=BB39_32 Depth=1
	v_readlane_b32 s8, v69, 24
	s_sub_u32 s44, s93, s6
	v_readlane_b32 s9, v69, 25
	s_subb_u32 s45, s9, s7
	v_cmp_gt_i64_e32 vcc, s[44:45], v[0:1]
	s_mov_b64 s[8:9], 0
	s_mov_b64 s[6:7], 0
                                        ; implicit-def: $vgpr56
	s_and_saveexec_b64 s[42:43], vcc
	v_readlane_b32 s54, v69, 47
	s_cbranch_execz .LBB39_213
; %bb.203:                              ;   in Loop: Header=BB39_32 Depth=1
	v_mov_b64_e32 v[6:7], v[12:13]
	v_mov_b64_e32 v[8:9], v[0:1]
                                        ; implicit-def: $sgpr46_sgpr47
	s_branch .LBB39_206
.LBB39_204:                             ;   in Loop: Header=BB39_206 Depth=2
	s_or_b64 exec, exec, s[48:49]
	s_waitcnt lgkmcnt(0)
	s_barrier
	ds_read_b32 v10, v3 offset:3072
	s_mov_b64 s[48:49], -1
	s_waitcnt lgkmcnt(0)
	s_barrier
	v_cmp_ne_u32_sdwa s[50:51], v10, v3 src0_sel:WORD_0 src1_sel:DWORD
	s_and_b64 vcc, exec, s[50:51]
	s_mov_b64 s[50:51], -1
	s_cbranch_vccz .LBB39_209
.LBB39_205:                             ;   in Loop: Header=BB39_206 Depth=2
	s_and_b64 s[48:49], exec, s[48:49]
	s_or_b64 s[6:7], s[48:49], s[6:7]
	s_andn2_b64 s[46:47], s[46:47], exec
	s_and_b64 s[48:49], s[50:51], exec
	s_or_b64 s[46:47], s[46:47], s[48:49]
	s_andn2_b64 exec, exec, s[6:7]
	s_cbranch_execz .LBB39_212
.LBB39_206:                             ;   Parent Loop BB39_32 Depth=1
                                        ; =>  This Inner Loop Header: Depth=2
	v_cmp_gt_i64_e32 vcc, s[56:57], v[8:9]
	s_and_saveexec_b64 s[48:49], vcc
	s_cbranch_execz .LBB39_204
; %bb.207:                              ;   in Loop: Header=BB39_206 Depth=2
	global_load_ushort v10, v[6:7], off
	s_waitcnt vmcnt(0)
	v_add_u32_sdwa v11, sext(v10), s64 dst_sel:DWORD dst_unused:UNUSED_PAD src0_sel:WORD_0 src1_sel:DWORD
	v_and_b32_e32 v11, v11, v55
	v_cmp_eq_u32_e32 vcc, v11, v53
	s_and_b64 exec, exec, vcc
	s_cbranch_execz .LBB39_204
; %bb.208:                              ;   in Loop: Header=BB39_206 Depth=2
	v_perm_b32 v10, v10, 1, v54
	ds_write_b32 v3, v10 offset:3072
	s_branch .LBB39_204
.LBB39_209:                             ;   in Loop: Header=BB39_206 Depth=2
	v_lshl_add_u64 v[8:9], v[8:9], 0, s[78:79]
	v_cmp_le_i64_e32 vcc, s[44:45], v[8:9]
	v_lshl_add_u64 v[6:7], v[6:7], 0, s[94:95]
	s_mov_b64 s[50:51], 0
	s_orn2_b64 s[48:49], vcc, exec
	s_branch .LBB39_205
.LBB39_210:                             ;   in Loop: Header=BB39_32 Depth=1
                                        ; implicit-def: $sgpr6_sgpr7
	s_andn2_b64 vcc, exec, s[8:9]
	s_cbranch_vccz .LBB39_155
	s_branch .LBB39_156
.LBB39_211:                             ;   in Loop: Header=BB39_32 Depth=1
                                        ; implicit-def: $sgpr8_sgpr9
	s_branch .LBB39_171
.LBB39_212:                             ;   in Loop: Header=BB39_32 Depth=1
	s_or_b64 exec, exec, s[6:7]
	v_lshrrev_b32_e32 v56, 16, v10
	s_and_b64 s[6:7], s[46:47], exec
.LBB39_213:                             ;   in Loop: Header=BB39_32 Depth=1
	s_or_b64 exec, exec, s[42:43]
	v_readlane_b32 s49, v69, 48
	v_readlane_b32 s50, v69, 49
	;; [unrolled: 1-line block ×3, first 2 shown]
.LBB39_214:                             ;   in Loop: Header=BB39_32 Depth=1
	s_and_b64 vcc, exec, s[8:9]
	s_cbranch_vccz .LBB39_228
; %bb.215:                              ;   in Loop: Header=BB39_32 Depth=1
	v_readlane_b32 s0, v69, 22
	s_add_u32 s42, s40, s0
	v_readlane_b32 s0, v69, 23
	s_addc_u32 s1, s41, s0
	s_mov_b32 s0, s81
	s_cmp_lg_u64 s[0:1], 0
	s_cbranch_scc0 .LBB39_256
; %bb.216:                              ;   in Loop: Header=BB39_32 Depth=1
	s_add_u32 s8, s78, 0
	s_addc_u32 s9, 0, 0
	s_xor_b64 s[8:9], s[8:9], 0
	v_cvt_f32_u32_e32 v6, s8
	v_cvt_f32_u32_e32 v7, s9
	s_sub_u32 s0, 0, s8
	s_subb_u32 s43, 0, s9
	v_fmac_f32_e32 v6, 0x4f800000, v7
	v_rcp_f32_e32 v6, v6
	s_nop 0
	v_mul_f32_e32 v6, 0x5f7ffffc, v6
	v_mul_f32_e32 v7, 0x2f800000, v6
	v_trunc_f32_e32 v7, v7
	v_fmac_f32_e32 v6, 0xcf800000, v7
	v_cvt_u32_f32_e32 v7, v7
	v_cvt_u32_f32_e32 v6, v6
	v_readfirstlane_b32 s44, v7
	v_readfirstlane_b32 s34, v6
	s_mul_i32 s35, s0, s44
	s_mul_hi_u32 s46, s0, s34
	s_mul_i32 s45, s43, s34
	s_add_i32 s35, s46, s35
	s_mul_i32 s47, s0, s34
	s_add_i32 s35, s35, s45
	s_mul_i32 s46, s34, s35
	s_mul_hi_u32 s48, s34, s47
	s_mul_hi_u32 s45, s34, s35
	s_add_u32 s46, s48, s46
	s_addc_u32 s45, 0, s45
	s_mul_hi_u32 s49, s44, s47
	s_mul_i32 s47, s44, s47
	s_add_u32 s46, s46, s47
	s_mul_hi_u32 s48, s44, s35
	s_addc_u32 s45, s45, s49
	s_addc_u32 s46, s48, 0
	s_mul_i32 s35, s44, s35
	s_add_u32 s35, s45, s35
	s_addc_u32 s45, 0, s46
	s_add_u32 s46, s34, s35
	s_cselect_b64 s[34:35], -1, 0
	s_cmp_lg_u64 s[34:35], 0
	s_addc_u32 s44, s44, s45
	s_mul_i32 s34, s0, s44
	s_mul_hi_u32 s35, s0, s46
	s_add_i32 s34, s35, s34
	s_mul_i32 s43, s43, s46
	s_add_i32 s34, s34, s43
	s_mul_i32 s0, s0, s46
	s_mul_hi_u32 s43, s44, s0
	s_mul_i32 s45, s44, s0
	s_mul_i32 s48, s46, s34
	s_mul_hi_u32 s0, s46, s0
	s_mul_hi_u32 s47, s46, s34
	s_add_u32 s0, s0, s48
	s_addc_u32 s47, 0, s47
	s_add_u32 s0, s0, s45
	s_mul_hi_u32 s35, s44, s34
	s_addc_u32 s0, s47, s43
	s_addc_u32 s35, s35, 0
	s_mul_i32 s34, s44, s34
	s_add_u32 s0, s0, s34
	s_addc_u32 s43, 0, s35
	s_add_u32 s0, s46, s0
	s_cselect_b64 s[34:35], -1, 0
	s_cmp_lg_u64 s[34:35], 0
	s_addc_u32 s43, s44, s43
	s_ashr_i32 s34, s1, 31
	s_add_u32 s44, s42, s34
	s_mov_b32 s35, s34
	s_addc_u32 s45, s1, s34
	s_xor_b64 s[44:45], s[44:45], s[34:35]
	s_mul_i32 s47, s44, s43
	s_mul_hi_u32 s48, s44, s0
	s_mul_hi_u32 s46, s44, s43
	s_add_u32 s47, s48, s47
	s_addc_u32 s46, 0, s46
	s_mul_hi_u32 s49, s45, s0
	s_mul_i32 s0, s45, s0
	s_add_u32 s0, s47, s0
	s_mul_hi_u32 s48, s45, s43
	s_addc_u32 s0, s46, s49
	s_addc_u32 s46, s48, 0
	s_mul_i32 s43, s45, s43
	s_add_u32 s0, s0, s43
	s_addc_u32 s43, 0, s46
	s_mul_i32 s43, s8, s43
	s_mul_hi_u32 s46, s8, s0
	s_add_i32 s43, s46, s43
	s_mul_i32 s46, s9, s0
	s_add_i32 s43, s43, s46
	s_sub_i32 s48, s45, s43
	s_mul_i32 s0, s8, s0
	s_sub_u32 s0, s44, s0
	s_cselect_b64 s[46:47], -1, 0
	s_cmp_lg_u64 s[46:47], 0
	s_subb_u32 s44, s48, s9
	s_sub_u32 s50, s0, s8
	s_cselect_b64 s[48:49], -1, 0
	s_cmp_lg_u64 s[48:49], 0
	s_subb_u32 s51, s44, 0
	s_cmp_ge_u32 s51, s9
	s_cselect_b32 s53, -1, 0
	s_cmp_ge_u32 s50, s8
	s_cselect_b32 s54, -1, 0
	s_cmp_eq_u32 s51, s9
	s_cselect_b32 s53, s54, s53
	s_cmp_lg_u64 s[48:49], 0
	s_subb_u32 s44, s44, s9
	s_sub_u32 s54, s50, s8
	s_cselect_b64 s[48:49], -1, 0
	s_cmp_lg_u64 s[48:49], 0
	s_subb_u32 s44, s44, 0
	s_cmp_lg_u32 s53, 0
	s_cselect_b32 s48, s54, s50
	s_cselect_b32 s44, s44, s51
	s_cmp_lg_u64 s[46:47], 0
	s_subb_u32 s43, s45, s43
	s_cmp_ge_u32 s43, s9
	s_cselect_b32 s45, -1, 0
	s_cmp_ge_u32 s0, s8
	s_cselect_b32 s8, -1, 0
	s_cmp_eq_u32 s43, s9
	s_cselect_b32 s8, s8, s45
	s_cmp_lg_u32 s8, 0
	s_cselect_b32 s9, s44, s43
	s_cselect_b32 s8, s48, s0
	s_xor_b64 s[8:9], s[8:9], s[34:35]
	s_sub_u32 s8, s8, s34
	v_readlane_b32 s50, v69, 49
	v_readlane_b32 s49, v69, 48
	;; [unrolled: 1-line block ×4, first 2 shown]
	s_subb_u32 s9, s9, s34
	s_cbranch_execnz .LBB39_218
.LBB39_217:                             ;   in Loop: Header=BB39_32 Depth=1
	v_cvt_f32_u32_e32 v6, s78
	s_sub_i32 s0, 0, s78
	v_rcp_iflag_f32_e32 v6, v6
	s_nop 0
	v_mul_f32_e32 v6, 0x4f7ffffe, v6
	v_cvt_u32_f32_e32 v6, v6
	s_nop 0
	v_readfirstlane_b32 s8, v6
	s_mul_i32 s0, s0, s8
	s_mul_hi_u32 s0, s8, s0
	s_add_i32 s8, s8, s0
	s_mul_hi_u32 s0, s42, s8
	s_mul_i32 s0, s0, s78
	s_sub_i32 s0, s42, s0
	s_sub_i32 s8, s0, s78
	s_cmp_ge_u32 s0, s78
	s_cselect_b32 s0, s8, s0
	s_sub_i32 s8, s0, s78
	s_cmp_ge_u32 s0, s78
	s_cselect_b32 s80, s8, s0
	s_mov_b64 s[8:9], s[80:81]
.LBB39_218:                             ;   in Loop: Header=BB39_32 Depth=1
	s_sub_u32 s8, s42, s8
	s_subb_u32 s9, s1, s9
	v_cmp_gt_i64_e32 vcc, s[8:9], v[0:1]
                                        ; implicit-def: $vgpr56
	s_and_saveexec_b64 s[0:1], vcc
	s_cbranch_execz .LBB39_227
; %bb.219:                              ;   in Loop: Header=BB39_32 Depth=1
	s_mov_b64 s[34:35], 0
	v_mov_b32_e32 v8, v47
	v_mov_b64_e32 v[6:7], v[0:1]
                                        ; implicit-def: $sgpr42_sgpr43
	s_branch .LBB39_222
.LBB39_220:                             ;   in Loop: Header=BB39_222 Depth=2
	s_or_b64 exec, exec, s[44:45]
	s_waitcnt lgkmcnt(0)
	s_barrier
	ds_read_b32 v9, v3 offset:3072
	s_mov_b64 s[44:45], -1
	s_waitcnt lgkmcnt(0)
	s_barrier
	v_cmp_eq_u32_sdwa s[46:47], v9, v3 src0_sel:WORD_0 src1_sel:DWORD
	s_and_b64 vcc, exec, s[46:47]
	s_mov_b64 s[46:47], -1
	s_cbranch_vccnz .LBB39_225
.LBB39_221:                             ;   in Loop: Header=BB39_222 Depth=2
	s_and_b64 s[44:45], exec, s[44:45]
	s_or_b64 s[34:35], s[44:45], s[34:35]
	s_andn2_b64 s[42:43], s[42:43], exec
	s_and_b64 s[44:45], s[46:47], exec
	s_or_b64 s[42:43], s[42:43], s[44:45]
	s_andn2_b64 exec, exec, s[34:35]
	s_cbranch_execz .LBB39_226
.LBB39_222:                             ;   Parent Loop BB39_32 Depth=1
                                        ; =>  This Inner Loop Header: Depth=2
	v_cmp_gt_u64_e32 vcc, s[40:41], v[6:7]
	s_and_saveexec_b64 s[44:45], vcc
	s_cbranch_execz .LBB39_220
; %bb.223:                              ;   in Loop: Header=BB39_222 Depth=2
	ds_read_u16 v9, v8
	s_waitcnt lgkmcnt(0)
	v_add_u32_sdwa v10, sext(v9), s64 dst_sel:DWORD dst_unused:UNUSED_PAD src0_sel:WORD_0 src1_sel:DWORD
	v_and_b32_e32 v10, v10, v55
	v_cmp_eq_u32_e32 vcc, v10, v53
	s_and_b64 exec, exec, vcc
	s_cbranch_execz .LBB39_220
; %bb.224:                              ;   in Loop: Header=BB39_222 Depth=2
	v_perm_b32 v9, v9, 1, v54
	ds_write_b32 v3, v9 offset:3072
	s_branch .LBB39_220
.LBB39_225:                             ;   in Loop: Header=BB39_222 Depth=2
	v_lshl_add_u64 v[6:7], v[6:7], 0, s[78:79]
	v_cmp_le_i64_e32 vcc, s[8:9], v[6:7]
	v_add_u32_e32 v8, s90, v8
	s_mov_b64 s[46:47], 0
	s_orn2_b64 s[44:45], vcc, exec
	s_branch .LBB39_221
.LBB39_226:                             ;   in Loop: Header=BB39_32 Depth=1
	s_or_b64 exec, exec, s[34:35]
	s_andn2_b64 s[6:7], s[6:7], exec
	s_and_b64 s[8:9], s[42:43], exec
	v_lshrrev_b32_e32 v56, 16, v9
	s_or_b64 s[6:7], s[6:7], s[8:9]
.LBB39_227:                             ;   in Loop: Header=BB39_32 Depth=1
	s_or_b64 exec, exec, s[0:1]
	s_mov_b64 s[0:1], 0
	s_mov_b64 s[34:35], -1
.LBB39_228:                             ;   in Loop: Header=BB39_32 Depth=1
	s_orn2_b64 s[6:7], s[6:7], exec
.LBB39_229:                             ;   in Loop: Header=BB39_32 Depth=1
	s_or_b64 exec, exec, s[36:37]
	s_mov_b64 s[8:9], 0
	s_and_saveexec_b64 s[36:37], s[6:7]
	s_cbranch_execz .LBB39_287
; %bb.230:                              ;   in Loop: Header=BB39_32 Depth=1
	s_xor_b64 s[38:39], s[38:39], -1
	v_mov_b32_e32 v2, 1
	v_mov_b64_e32 v[6:7], 1
	s_and_saveexec_b64 s[6:7], s[38:39]
	s_cbranch_execz .LBB39_239
; %bb.231:                              ;   in Loop: Header=BB39_32 Depth=1
	v_cmp_ge_i64_e32 vcc, s[22:23], v[4:5]
	s_and_saveexec_b64 s[8:9], vcc
	s_xor_b64 s[8:9], exec, s[8:9]
	s_cbranch_execz .LBB39_236
; %bb.232:                              ;   in Loop: Header=BB39_32 Depth=1
	ds_read_b64 v[6:7], v3 offset:5120
	v_and_b32_e32 v2, s52, v53
	v_lshl_or_b32 v53, 2, s65, v2
	v_or_b32_e32 v55, s72, v55
	s_waitcnt lgkmcnt(0)
	v_cmp_ne_u64_e32 vcc, 0, v[6:7]
	s_cbranch_vccnz .LBB39_236
; %bb.233:                              ;   in Loop: Header=BB39_32 Depth=1
	s_mov_b64 s[38:39], exec
	v_readlane_b32 s40, v69, 10
	v_readlane_b32 s41, v69, 11
	s_and_b64 s[40:41], s[38:39], s[40:41]
	s_mov_b64 exec, s[40:41]
; %bb.234:                              ;   in Loop: Header=BB39_32 Depth=1
	v_mov_b64_e32 v[6:7], s[22:23]
	ds_write_b64 v3, v[6:7] offset:5128
; %bb.235:                              ;   in Loop: Header=BB39_32 Depth=1
	s_or_b64 exec, exec, s[38:39]
	s_waitcnt lgkmcnt(0)
	s_barrier
.LBB39_236:                             ;   in Loop: Header=BB39_32 Depth=1
	s_or_saveexec_b64 s[8:9], s[8:9]
	s_mov_b64 s[38:39], 0
	v_mov_b32_e32 v2, 8
	s_xor_b64 exec, exec, s[8:9]
; %bb.237:                              ;   in Loop: Header=BB39_32 Depth=1
	v_mov_b32_e32 v2, s23
	v_subrev_co_u32_e32 v4, vcc, s22, v4
	s_mov_b64 s[38:39], exec
	s_nop 0
	v_subb_co_u32_e32 v5, vcc, v5, v2, vcc
	v_mov_b32_e32 v2, 0
; %bb.238:                              ;   in Loop: Header=BB39_32 Depth=1
	s_or_b64 exec, exec, s[8:9]
	s_and_b64 s[8:9], s[38:39], exec
	v_mov_b64_e32 v[6:7], v[4:5]
.LBB39_239:                             ;   in Loop: Header=BB39_32 Depth=1
	s_or_b64 exec, exec, s[6:7]
	s_mov_b64 s[6:7], -1
                                        ; implicit-def: $sgpr46_sgpr47
                                        ; implicit-def: $sgpr44_sgpr45
	s_and_saveexec_b64 s[22:23], s[8:9]
	s_cbranch_execz .LBB39_286
; %bb.240:                              ;   in Loop: Header=BB39_32 Depth=1
	s_cmp_eq_u64 s[14:15], 1
	s_cselect_b64 s[6:7], -1, 0
	v_cmp_eq_u64_e32 vcc, 1, v[6:7]
	s_and_b64 s[38:39], s[6:7], vcc
	s_mov_b64 s[8:9], -1
                                        ; implicit-def: $sgpr46_sgpr47
                                        ; implicit-def: $sgpr44_sgpr45
	s_and_saveexec_b64 s[40:41], s[38:39]
	s_cbranch_execz .LBB39_274
; %bb.241:                              ;   in Loop: Header=BB39_32 Depth=1
	ds_read_b64 v[4:5], v3 offset:5120
	s_waitcnt lgkmcnt(0)
	s_barrier
	v_readfirstlane_b32 s42, v4
	v_readfirstlane_b32 s43, v5
	s_mov_b64 s[6:7], exec
	v_readlane_b32 s8, v69, 14
	v_readlane_b32 s9, v69, 15
	s_and_b64 s[8:9], s[6:7], s[8:9]
	s_mov_b64 exec, s[8:9]
; %bb.242:                              ;   in Loop: Header=BB39_32 Depth=1
	ds_write_b16 v48, v3
; %bb.243:                              ;   in Loop: Header=BB39_32 Depth=1
	s_or_b64 exec, exec, s[6:7]
	v_cmp_gt_i64_e64 s[6:7], s[42:43], 0
	v_or_b32_e32 v53, s72, v53
	v_or_b32_e32 v55, s72, v55
	s_mov_b64 s[44:45], -1
	s_mov_b64 s[46:47], 0
	s_and_b64 vcc, exec, s[6:7]
	s_mov_b64 s[6:7], 0
	s_mov_b64 s[8:9], -1
	s_waitcnt lgkmcnt(0)
	s_barrier
                                        ; implicit-def: $vgpr56
	s_cbranch_vccnz .LBB39_259
; %bb.244:                              ;   in Loop: Header=BB39_32 Depth=1
	v_readlane_b32 s68, v69, 24
	v_readlane_b32 s69, v69, 25
	s_mov_b32 s68, s81
	s_cmp_lg_u64 s[68:69], 0
	v_writelane_b32 v69, s68, 24
	s_nop 1
	v_writelane_b32 v69, s69, 25
	s_cbranch_scc0 .LBB39_293
; %bb.245:                              ;   in Loop: Header=BB39_32 Depth=1
	s_add_u32 s6, s78, 0
	s_addc_u32 s7, 0, 0
	s_xor_b64 s[6:7], s[6:7], 0
	v_cvt_f32_u32_e32 v4, s6
	v_cvt_f32_u32_e32 v5, s7
	s_sub_u32 s48, 0, s6
	s_subb_u32 s49, 0, s7
	v_fmac_f32_e32 v4, 0x4f800000, v5
	v_rcp_f32_e32 v4, v4
	s_nop 0
	v_mul_f32_e32 v4, 0x5f7ffffc, v4
	v_mul_f32_e32 v5, 0x2f800000, v4
	v_trunc_f32_e32 v5, v5
	v_fmac_f32_e32 v4, 0xcf800000, v5
	v_cvt_u32_f32_e32 v5, v5
	v_cvt_u32_f32_e32 v4, v4
	v_readfirstlane_b32 s50, v5
	v_readfirstlane_b32 s8, v4
	s_mul_i32 s9, s48, s50
	s_mul_hi_u32 s52, s48, s8
	s_mul_i32 s51, s49, s8
	s_add_i32 s9, s52, s9
	s_mul_i32 s53, s48, s8
	s_add_i32 s9, s9, s51
	s_mul_i32 s52, s8, s9
	s_mul_hi_u32 s54, s8, s53
	s_mul_hi_u32 s51, s8, s9
	s_add_u32 s52, s54, s52
	s_addc_u32 s51, 0, s51
	s_mul_hi_u32 s55, s50, s53
	s_mul_i32 s53, s50, s53
	s_add_u32 s52, s52, s53
	s_mul_hi_u32 s54, s50, s9
	s_addc_u32 s51, s51, s55
	s_addc_u32 s52, s54, 0
	s_mul_i32 s9, s50, s9
	s_add_u32 s9, s51, s9
	s_addc_u32 s51, 0, s52
	s_add_u32 s52, s8, s9
	s_cselect_b64 s[8:9], -1, 0
	s_cmp_lg_u64 s[8:9], 0
	s_addc_u32 s50, s50, s51
	s_mul_i32 s8, s48, s50
	s_mul_hi_u32 s9, s48, s52
	s_add_i32 s8, s9, s8
	s_mul_i32 s49, s49, s52
	s_add_i32 s8, s8, s49
	s_mul_i32 s48, s48, s52
	s_mul_hi_u32 s49, s50, s48
	s_mul_i32 s51, s50, s48
	s_mul_i32 s54, s52, s8
	s_mul_hi_u32 s48, s52, s48
	s_mul_hi_u32 s53, s52, s8
	s_add_u32 s48, s48, s54
	s_addc_u32 s53, 0, s53
	s_add_u32 s48, s48, s51
	s_mul_hi_u32 s9, s50, s8
	s_addc_u32 s48, s53, s49
	s_addc_u32 s9, s9, 0
	s_mul_i32 s8, s50, s8
	s_add_u32 s8, s48, s8
	s_addc_u32 s48, 0, s9
	s_add_u32 s51, s52, s8
	s_cselect_b64 s[8:9], -1, 0
	s_cmp_lg_u64 s[8:9], 0
	s_addc_u32 s50, s50, s48
	s_ashr_i32 s8, s69, 31
	s_add_u32 s48, s93, s8
	s_mov_b32 s9, s8
	s_addc_u32 s49, s69, s8
	s_xor_b64 s[48:49], s[48:49], s[8:9]
	s_mul_i32 s53, s48, s50
	s_mul_hi_u32 s54, s48, s51
	s_mul_hi_u32 s52, s48, s50
	s_add_u32 s53, s54, s53
	s_addc_u32 s52, 0, s52
	s_mul_hi_u32 s55, s49, s51
	s_mul_i32 s51, s49, s51
	s_add_u32 s51, s53, s51
	s_mul_hi_u32 s54, s49, s50
	s_addc_u32 s51, s52, s55
	s_addc_u32 s52, s54, 0
	s_mul_i32 s50, s49, s50
	s_add_u32 s50, s51, s50
	s_addc_u32 s51, 0, s52
	s_mul_i32 s51, s6, s51
	s_mul_hi_u32 s52, s6, s50
	s_add_i32 s51, s52, s51
	s_mul_i32 s52, s7, s50
	s_add_i32 s54, s51, s52
	s_sub_i32 s52, s49, s54
	s_mul_i32 s50, s6, s50
	s_sub_u32 s48, s48, s50
	s_cselect_b64 s[50:51], -1, 0
	s_cmp_lg_u64 s[50:51], 0
	s_subb_u32 s55, s52, s7
	s_sub_u32 s68, s48, s6
	s_cselect_b64 s[52:53], -1, 0
	s_cmp_lg_u64 s[52:53], 0
	s_subb_u32 s69, s55, 0
	s_cmp_ge_u32 s69, s7
	s_cselect_b32 s73, -1, 0
	s_cmp_ge_u32 s68, s6
	s_cselect_b32 s74, -1, 0
	s_cmp_eq_u32 s69, s7
	s_cselect_b32 s73, s74, s73
	s_cmp_lg_u64 s[52:53], 0
	s_subb_u32 s55, s55, s7
	s_sub_u32 s74, s68, s6
	s_cselect_b64 s[52:53], -1, 0
	s_cmp_lg_u64 s[52:53], 0
	s_subb_u32 s52, s55, 0
	s_cmp_lg_u32 s73, 0
	s_cselect_b32 s53, s74, s68
	s_cselect_b32 s52, s52, s69
	s_cmp_lg_u64 s[50:51], 0
	s_subb_u32 s49, s49, s54
	s_cmp_ge_u32 s49, s7
	s_cselect_b32 s50, -1, 0
	s_cmp_ge_u32 s48, s6
	s_cselect_b32 s6, -1, 0
	s_cmp_eq_u32 s49, s7
	s_cselect_b32 s6, s6, s50
	s_cmp_lg_u32 s6, 0
	s_cselect_b32 s7, s52, s49
	s_cselect_b32 s6, s53, s48
	s_xor_b64 s[6:7], s[6:7], s[8:9]
	s_sub_u32 s6, s6, s8
	s_subb_u32 s7, s7, s8
	s_cbranch_execnz .LBB39_247
.LBB39_246:                             ;   in Loop: Header=BB39_32 Depth=1
	v_cvt_f32_u32_e32 v4, s78
	s_sub_i32 s6, 0, s78
	v_rcp_iflag_f32_e32 v4, v4
	s_nop 0
	v_mul_f32_e32 v4, 0x4f7ffffe, v4
	v_cvt_u32_f32_e32 v4, v4
	s_nop 0
	v_readfirstlane_b32 s7, v4
	s_mul_i32 s6, s6, s7
	s_mul_hi_u32 s6, s7, s6
	s_add_i32 s7, s7, s6
	s_mul_hi_u32 s6, s93, s7
	s_mul_i32 s6, s6, s78
	s_sub_i32 s6, s93, s6
	s_sub_i32 s7, s6, s78
	s_cmp_ge_u32 s6, s78
	s_cselect_b32 s6, s7, s6
	s_sub_i32 s7, s6, s78
	s_cmp_ge_u32 s6, s78
	s_cselect_b32 s80, s7, s6
	s_mov_b64 s[6:7], s[80:81]
.LBB39_247:                             ;   in Loop: Header=BB39_32 Depth=1
	v_readlane_b32 s8, v69, 24
	s_sub_u32 s50, s93, s6
	v_readlane_b32 s9, v69, 25
	s_subb_u32 s51, s9, s7
	v_cmp_gt_i64_e32 vcc, s[50:51], v[0:1]
	s_mov_b64 s[8:9], 0
	s_mov_b64 s[6:7], 0
                                        ; implicit-def: $vgpr56
	s_and_saveexec_b64 s[48:49], vcc
	v_readlane_b32 s74, v69, 44
	v_readlane_b32 s75, v69, 45
	s_cbranch_execz .LBB39_258
; %bb.248:                              ;   in Loop: Header=BB39_32 Depth=1
	v_mov_b64_e32 v[4:5], v[12:13]
	v_mov_b64_e32 v[8:9], v[0:1]
                                        ; implicit-def: $sgpr52_sgpr53
	s_branch .LBB39_251
.LBB39_249:                             ;   in Loop: Header=BB39_251 Depth=2
	s_or_b64 exec, exec, s[54:55]
	s_waitcnt lgkmcnt(0)
	s_barrier
	ds_read_b32 v10, v3 offset:3072
	s_mov_b64 s[54:55], -1
	s_waitcnt lgkmcnt(0)
	s_barrier
	v_cmp_ne_u32_sdwa s[68:69], v10, v3 src0_sel:WORD_0 src1_sel:DWORD
	s_and_b64 vcc, exec, s[68:69]
	s_mov_b64 s[68:69], -1
	s_cbranch_vccz .LBB39_254
.LBB39_250:                             ;   in Loop: Header=BB39_251 Depth=2
	s_and_b64 s[54:55], exec, s[54:55]
	s_or_b64 s[6:7], s[54:55], s[6:7]
	s_andn2_b64 s[52:53], s[52:53], exec
	s_and_b64 s[54:55], s[68:69], exec
	s_or_b64 s[52:53], s[52:53], s[54:55]
	s_andn2_b64 exec, exec, s[6:7]
	s_cbranch_execz .LBB39_257
.LBB39_251:                             ;   Parent Loop BB39_32 Depth=1
                                        ; =>  This Inner Loop Header: Depth=2
	v_cmp_gt_i64_e32 vcc, s[56:57], v[8:9]
	s_and_saveexec_b64 s[54:55], vcc
	s_cbranch_execz .LBB39_249
; %bb.252:                              ;   in Loop: Header=BB39_251 Depth=2
	global_load_ushort v10, v[4:5], off
	s_waitcnt vmcnt(0)
	v_add_u32_sdwa v11, sext(v10), s64 dst_sel:DWORD dst_unused:UNUSED_PAD src0_sel:WORD_0 src1_sel:DWORD
	v_and_b32_e32 v11, v11, v55
	v_cmp_eq_u32_e32 vcc, v11, v53
	s_and_b64 exec, exec, vcc
	s_cbranch_execz .LBB39_249
; %bb.253:                              ;   in Loop: Header=BB39_251 Depth=2
	v_perm_b32 v10, v10, 1, v54
	ds_write_b32 v3, v10 offset:3072
	s_branch .LBB39_249
.LBB39_254:                             ;   in Loop: Header=BB39_251 Depth=2
	v_lshl_add_u64 v[8:9], v[8:9], 0, s[78:79]
	v_cmp_le_i64_e32 vcc, s[50:51], v[8:9]
	v_lshl_add_u64 v[4:5], v[4:5], 0, s[94:95]
	s_mov_b64 s[68:69], 0
	s_orn2_b64 s[54:55], vcc, exec
	s_branch .LBB39_250
.LBB39_255:                             ;   in Loop: Header=BB39_32 Depth=1
                                        ; implicit-def: $sgpr6_sgpr7
	s_andn2_b64 vcc, exec, s[8:9]
	s_cbranch_vccz .LBB39_201
	s_branch .LBB39_202
.LBB39_256:                             ;   in Loop: Header=BB39_32 Depth=1
                                        ; implicit-def: $sgpr8_sgpr9
	s_branch .LBB39_217
.LBB39_257:                             ;   in Loop: Header=BB39_32 Depth=1
	s_or_b64 exec, exec, s[6:7]
	v_lshrrev_b32_e32 v56, 16, v10
	s_and_b64 s[6:7], s[52:53], exec
.LBB39_258:                             ;   in Loop: Header=BB39_32 Depth=1
	s_or_b64 exec, exec, s[48:49]
	v_readlane_b32 s55, v69, 46
	v_readlane_b32 s54, v69, 47
	;; [unrolled: 1-line block ×5, first 2 shown]
.LBB39_259:                             ;   in Loop: Header=BB39_32 Depth=1
	s_and_b64 vcc, exec, s[8:9]
	s_cbranch_vccz .LBB39_273
; %bb.260:                              ;   in Loop: Header=BB39_32 Depth=1
	v_readlane_b32 s8, v69, 22
	s_add_u32 s48, s42, s8
	v_readlane_b32 s8, v69, 23
	s_addc_u32 s9, s43, s8
	s_mov_b32 s8, s81
	s_cmp_lg_u64 s[8:9], 0
	s_cbranch_scc0 .LBB39_294
; %bb.261:                              ;   in Loop: Header=BB39_32 Depth=1
	s_add_u32 s44, s78, 0
	s_addc_u32 s45, 0, 0
	s_xor_b64 s[44:45], s[44:45], 0
	v_cvt_f32_u32_e32 v4, s44
	v_cvt_f32_u32_e32 v5, s45
	s_sub_u32 s8, 0, s44
	s_subb_u32 s49, 0, s45
	v_fmac_f32_e32 v4, 0x4f800000, v5
	v_rcp_f32_e32 v4, v4
	s_nop 0
	v_mul_f32_e32 v4, 0x5f7ffffc, v4
	v_mul_f32_e32 v5, 0x2f800000, v4
	v_trunc_f32_e32 v5, v5
	v_fmac_f32_e32 v4, 0xcf800000, v5
	v_cvt_u32_f32_e32 v5, v5
	v_cvt_u32_f32_e32 v4, v4
	v_readfirstlane_b32 s50, v5
	v_readfirstlane_b32 s46, v4
	s_mul_i32 s47, s8, s50
	s_mul_hi_u32 s52, s8, s46
	s_mul_i32 s51, s49, s46
	s_add_i32 s47, s52, s47
	s_mul_i32 s53, s8, s46
	s_add_i32 s47, s47, s51
	s_mul_i32 s52, s46, s47
	s_mul_hi_u32 s54, s46, s53
	s_mul_hi_u32 s51, s46, s47
	s_add_u32 s52, s54, s52
	s_addc_u32 s51, 0, s51
	s_mul_hi_u32 s55, s50, s53
	s_mul_i32 s53, s50, s53
	s_add_u32 s52, s52, s53
	s_mul_hi_u32 s54, s50, s47
	s_addc_u32 s51, s51, s55
	s_addc_u32 s52, s54, 0
	s_mul_i32 s47, s50, s47
	s_add_u32 s47, s51, s47
	s_addc_u32 s51, 0, s52
	s_add_u32 s52, s46, s47
	s_cselect_b64 s[46:47], -1, 0
	s_cmp_lg_u64 s[46:47], 0
	s_addc_u32 s50, s50, s51
	s_mul_i32 s46, s8, s50
	s_mul_hi_u32 s47, s8, s52
	s_add_i32 s46, s47, s46
	s_mul_i32 s49, s49, s52
	s_add_i32 s46, s46, s49
	s_mul_i32 s8, s8, s52
	s_mul_hi_u32 s49, s50, s8
	s_mul_i32 s51, s50, s8
	s_mul_i32 s54, s52, s46
	s_mul_hi_u32 s8, s52, s8
	s_mul_hi_u32 s53, s52, s46
	s_add_u32 s8, s8, s54
	s_addc_u32 s53, 0, s53
	s_add_u32 s8, s8, s51
	s_mul_hi_u32 s47, s50, s46
	s_addc_u32 s8, s53, s49
	s_addc_u32 s47, s47, 0
	s_mul_i32 s46, s50, s46
	s_add_u32 s8, s8, s46
	s_addc_u32 s49, 0, s47
	s_add_u32 s8, s52, s8
	s_cselect_b64 s[46:47], -1, 0
	s_cmp_lg_u64 s[46:47], 0
	s_addc_u32 s49, s50, s49
	s_ashr_i32 s46, s9, 31
	s_add_u32 s50, s48, s46
	s_mov_b32 s47, s46
	s_addc_u32 s51, s9, s46
	s_xor_b64 s[50:51], s[50:51], s[46:47]
	s_mul_i32 s53, s50, s49
	s_mul_hi_u32 s54, s50, s8
	s_mul_hi_u32 s52, s50, s49
	s_add_u32 s53, s54, s53
	s_addc_u32 s52, 0, s52
	s_mul_hi_u32 s55, s51, s8
	s_mul_i32 s8, s51, s8
	s_add_u32 s8, s53, s8
	s_mul_hi_u32 s54, s51, s49
	s_addc_u32 s8, s52, s55
	s_addc_u32 s52, s54, 0
	s_mul_i32 s49, s51, s49
	s_add_u32 s8, s8, s49
	s_addc_u32 s49, 0, s52
	s_mul_i32 s49, s44, s49
	s_mul_hi_u32 s52, s44, s8
	s_add_i32 s49, s52, s49
	s_mul_i32 s52, s45, s8
	s_add_i32 s49, s49, s52
	s_sub_i32 s54, s51, s49
	s_mul_i32 s8, s44, s8
	s_sub_u32 s8, s50, s8
	s_cselect_b64 s[52:53], -1, 0
	s_cmp_lg_u64 s[52:53], 0
	s_subb_u32 s50, s54, s45
	s_sub_u32 s68, s8, s44
	s_cselect_b64 s[54:55], -1, 0
	s_cmp_lg_u64 s[54:55], 0
	s_subb_u32 s69, s50, 0
	s_cmp_ge_u32 s69, s45
	s_cselect_b32 s73, -1, 0
	s_cmp_ge_u32 s68, s44
	s_cselect_b32 s74, -1, 0
	s_cmp_eq_u32 s69, s45
	s_cselect_b32 s73, s74, s73
	s_cmp_lg_u64 s[54:55], 0
	s_subb_u32 s50, s50, s45
	s_sub_u32 s74, s68, s44
	s_cselect_b64 s[54:55], -1, 0
	s_cmp_lg_u64 s[54:55], 0
	s_subb_u32 s50, s50, 0
	s_cmp_lg_u32 s73, 0
	s_cselect_b32 s54, s74, s68
	s_cselect_b32 s50, s50, s69
	s_cmp_lg_u64 s[52:53], 0
	s_subb_u32 s49, s51, s49
	s_cmp_ge_u32 s49, s45
	s_cselect_b32 s51, -1, 0
	s_cmp_ge_u32 s8, s44
	s_cselect_b32 s44, -1, 0
	s_cmp_eq_u32 s49, s45
	s_cselect_b32 s44, s44, s51
	s_cmp_lg_u32 s44, 0
	s_cselect_b32 s45, s50, s49
	s_cselect_b32 s44, s54, s8
	s_xor_b64 s[44:45], s[44:45], s[46:47]
	v_readlane_b32 s74, v69, 44
	s_sub_u32 s44, s44, s46
	v_readlane_b32 s55, v69, 46
	v_readlane_b32 s75, v69, 45
	;; [unrolled: 1-line block ×6, first 2 shown]
	s_subb_u32 s45, s45, s46
	s_cbranch_execnz .LBB39_263
.LBB39_262:                             ;   in Loop: Header=BB39_32 Depth=1
	v_cvt_f32_u32_e32 v4, s78
	s_sub_i32 s8, 0, s78
	v_rcp_iflag_f32_e32 v4, v4
	s_nop 0
	v_mul_f32_e32 v4, 0x4f7ffffe, v4
	v_cvt_u32_f32_e32 v4, v4
	s_nop 0
	v_readfirstlane_b32 s44, v4
	s_mul_i32 s8, s8, s44
	s_mul_hi_u32 s8, s44, s8
	s_add_i32 s44, s44, s8
	s_mul_hi_u32 s8, s48, s44
	s_mul_i32 s8, s8, s78
	s_sub_i32 s8, s48, s8
	s_sub_i32 s44, s8, s78
	s_cmp_ge_u32 s8, s78
	s_cselect_b32 s8, s44, s8
	s_sub_i32 s44, s8, s78
	s_cmp_ge_u32 s8, s78
	s_cselect_b32 s80, s44, s8
	s_mov_b64 s[44:45], s[80:81]
.LBB39_263:                             ;   in Loop: Header=BB39_32 Depth=1
	s_sub_u32 s44, s48, s44
	s_subb_u32 s45, s9, s45
	v_cmp_gt_i64_e32 vcc, s[44:45], v[0:1]
                                        ; implicit-def: $vgpr56
	s_and_saveexec_b64 s[8:9], vcc
	s_cbranch_execz .LBB39_272
; %bb.264:                              ;   in Loop: Header=BB39_32 Depth=1
	s_mov_b64 s[46:47], 0
	v_mov_b32_e32 v8, v47
	v_mov_b64_e32 v[4:5], v[0:1]
                                        ; implicit-def: $sgpr48_sgpr49
	s_branch .LBB39_267
.LBB39_265:                             ;   in Loop: Header=BB39_267 Depth=2
	s_or_b64 exec, exec, s[50:51]
	s_waitcnt lgkmcnt(0)
	s_barrier
	ds_read_b32 v9, v3 offset:3072
	s_mov_b64 s[50:51], -1
	s_waitcnt lgkmcnt(0)
	s_barrier
	v_cmp_eq_u32_sdwa s[52:53], v9, v3 src0_sel:WORD_0 src1_sel:DWORD
	s_and_b64 vcc, exec, s[52:53]
	s_mov_b64 s[52:53], -1
	s_cbranch_vccnz .LBB39_270
.LBB39_266:                             ;   in Loop: Header=BB39_267 Depth=2
	s_and_b64 s[50:51], exec, s[50:51]
	s_or_b64 s[46:47], s[50:51], s[46:47]
	s_andn2_b64 s[48:49], s[48:49], exec
	s_and_b64 s[50:51], s[52:53], exec
	s_or_b64 s[48:49], s[48:49], s[50:51]
	s_andn2_b64 exec, exec, s[46:47]
	s_cbranch_execz .LBB39_271
.LBB39_267:                             ;   Parent Loop BB39_32 Depth=1
                                        ; =>  This Inner Loop Header: Depth=2
	v_cmp_gt_u64_e32 vcc, s[42:43], v[4:5]
	s_and_saveexec_b64 s[50:51], vcc
	s_cbranch_execz .LBB39_265
; %bb.268:                              ;   in Loop: Header=BB39_267 Depth=2
	ds_read_u16 v9, v8
	s_waitcnt lgkmcnt(0)
	v_add_u32_sdwa v10, sext(v9), s64 dst_sel:DWORD dst_unused:UNUSED_PAD src0_sel:WORD_0 src1_sel:DWORD
	v_and_b32_e32 v10, v10, v55
	v_cmp_eq_u32_e32 vcc, v10, v53
	s_and_b64 exec, exec, vcc
	s_cbranch_execz .LBB39_265
; %bb.269:                              ;   in Loop: Header=BB39_267 Depth=2
	v_perm_b32 v9, v9, 1, v54
	ds_write_b32 v3, v9 offset:3072
	s_branch .LBB39_265
.LBB39_270:                             ;   in Loop: Header=BB39_267 Depth=2
	v_lshl_add_u64 v[4:5], v[4:5], 0, s[78:79]
	v_cmp_le_i64_e32 vcc, s[44:45], v[4:5]
	v_add_u32_e32 v8, s90, v8
	s_mov_b64 s[52:53], 0
	s_orn2_b64 s[50:51], vcc, exec
	s_branch .LBB39_266
.LBB39_271:                             ;   in Loop: Header=BB39_32 Depth=1
	s_or_b64 exec, exec, s[46:47]
	s_andn2_b64 s[6:7], s[6:7], exec
	s_and_b64 s[42:43], s[48:49], exec
	v_lshrrev_b32_e32 v56, 16, v9
	s_or_b64 s[6:7], s[6:7], s[42:43]
	v_readlane_b32 s49, v69, 48
	v_readlane_b32 s50, v69, 49
	;; [unrolled: 1-line block ×3, first 2 shown]
.LBB39_272:                             ;   in Loop: Header=BB39_32 Depth=1
	s_or_b64 exec, exec, s[8:9]
	s_mov_b64 s[44:45], 0
	s_mov_b64 s[46:47], -1
.LBB39_273:                             ;   in Loop: Header=BB39_32 Depth=1
	s_orn2_b64 s[8:9], s[6:7], exec
.LBB39_274:                             ;   in Loop: Header=BB39_32 Depth=1
	s_or_b64 exec, exec, s[40:41]
	s_mov_b64 s[40:41], 0
	s_and_saveexec_b64 s[6:7], s[8:9]
	s_cbranch_execz .LBB39_285
; %bb.275:                              ;   in Loop: Header=BB39_32 Depth=1
	s_xor_b64 s[38:39], s[38:39], -1
	v_mov_b64_e32 v[4:5], 1
	v_mov_b32_e32 v2, 1
	s_and_saveexec_b64 s[8:9], s[38:39]
	s_cbranch_execz .LBB39_284
; %bb.276:                              ;   in Loop: Header=BB39_32 Depth=1
	v_cmp_ge_i64_e32 vcc, s[14:15], v[6:7]
	s_and_saveexec_b64 s[38:39], vcc
	s_xor_b64 s[38:39], exec, s[38:39]
	s_cbranch_execz .LBB39_281
; %bb.277:                              ;   in Loop: Header=BB39_32 Depth=1
	ds_read_b64 v[4:5], v3 offset:5120
	v_or_b32_e32 v53, s72, v53
	v_or_b32_e32 v55, s72, v55
	s_waitcnt lgkmcnt(0)
	v_cmp_ne_u64_e32 vcc, 0, v[4:5]
	s_cbranch_vccnz .LBB39_281
; %bb.278:                              ;   in Loop: Header=BB39_32 Depth=1
	s_mov_b64 s[40:41], exec
	v_readlane_b32 s42, v69, 10
	v_readlane_b32 s43, v69, 11
	s_and_b64 s[42:43], s[40:41], s[42:43]
	s_mov_b64 exec, s[42:43]
; %bb.279:                              ;   in Loop: Header=BB39_32 Depth=1
	v_mov_b64_e32 v[4:5], s[14:15]
	ds_write_b64 v3, v[4:5] offset:5128
; %bb.280:                              ;   in Loop: Header=BB39_32 Depth=1
	s_or_b64 exec, exec, s[40:41]
	s_waitcnt lgkmcnt(0)
	s_barrier
.LBB39_281:                             ;   in Loop: Header=BB39_32 Depth=1
	s_andn2_saveexec_b64 s[38:39], s[38:39]
; %bb.282:                              ;   in Loop: Header=BB39_32 Depth=1
	v_mov_b32_e32 v2, s15
	v_subrev_co_u32_e32 v6, vcc, s14, v6
	s_nop 1
	v_subb_co_u32_e32 v7, vcc, v7, v2, vcc
; %bb.283:                              ;   in Loop: Header=BB39_32 Depth=1
	s_or_b64 exec, exec, s[38:39]
	v_mov_b32_e32 v2, 8
	v_mov_b64_e32 v[4:5], v[6:7]
.LBB39_284:                             ;   in Loop: Header=BB39_32 Depth=1
	s_or_b64 exec, exec, s[8:9]
	s_mov_b64 s[40:41], exec
	v_mov_b64_e32 v[6:7], v[4:5]
.LBB39_285:                             ;   in Loop: Header=BB39_32 Depth=1
	s_or_b64 exec, exec, s[6:7]
	s_orn2_b64 s[6:7], s[40:41], exec
.LBB39_286:                             ;   in Loop: Header=BB39_32 Depth=1
	s_or_b64 exec, exec, s[22:23]
	s_andn2_b64 s[8:9], s[34:35], exec
	s_and_b64 s[14:15], s[46:47], exec
	s_or_b64 s[34:35], s[8:9], s[14:15]
	s_andn2_b64 s[0:1], s[0:1], exec
	s_and_b64 s[8:9], s[44:45], exec
	s_or_b64 s[0:1], s[0:1], s[8:9]
	s_and_b64 s[8:9], s[6:7], exec
	v_mov_b64_e32 v[4:5], v[6:7]
.LBB39_287:                             ;   in Loop: Header=BB39_32 Depth=1
	s_or_b64 exec, exec, s[36:37]
	s_orn2_b64 s[6:7], s[8:9], exec
.LBB39_288:                             ;   in Loop: Header=BB39_32 Depth=1
	s_or_b64 exec, exec, s[28:29]
	s_andn2_b64 s[8:9], s[24:25], exec
	s_and_b64 s[14:15], s[34:35], exec
	s_andn2_b64 s[2:3], s[2:3], exec
	s_and_b64 s[0:1], s[0:1], exec
	s_or_b64 s[24:25], s[8:9], s[14:15]
	s_or_b64 s[2:3], s[2:3], s[0:1]
	s_and_b64 s[8:9], s[6:7], exec
	v_mov_b64_e32 v[8:9], v[4:5]
.LBB39_289:                             ;   in Loop: Header=BB39_32 Depth=1
	s_or_b64 exec, exec, s[26:27]
	s_orn2_b64 s[0:1], s[8:9], exec
.LBB39_290:                             ;   in Loop: Header=BB39_32 Depth=1
	s_or_b64 exec, exec, s[20:21]
	s_mov_b64 s[6:7], 0
	s_and_saveexec_b64 s[8:9], s[0:1]
	s_xor_b64 s[0:1], exec, s[8:9]
	s_cbranch_execz .LBB39_30
; %bb.291:                              ;   in Loop: Header=BB39_32 Depth=1
	v_and_b32_e32 v2, 7, v2
	v_cmp_eq_u32_e32 vcc, 0, v2
	s_mov_b64 s[8:9], -1
	s_mov_b64 s[6:7], -1
	s_and_saveexec_b64 s[14:15], vcc
	s_cbranch_execz .LBB39_29
; %bb.292:                              ;   in Loop: Header=BB39_32 Depth=1
	s_xor_b32 s92, s92, 1
	s_add_i32 s18, s65, -2
	s_cmp_eq_u32 s65, 0
	s_cselect_b64 s[8:9], -1, 0
	s_xor_b64 s[6:7], exec, -1
	s_orn2_b64 s[8:9], s[8:9], exec
	s_mov_b32 s65, s18
	s_branch .LBB39_29
.LBB39_293:                             ;   in Loop: Header=BB39_32 Depth=1
                                        ; implicit-def: $sgpr6_sgpr7
	s_andn2_b64 vcc, exec, s[8:9]
	s_cbranch_vccz .LBB39_246
	s_branch .LBB39_247
.LBB39_294:                             ;   in Loop: Header=BB39_32 Depth=1
                                        ; implicit-def: $sgpr44_sgpr45
	s_branch .LBB39_262
.LBB39_295:
	s_or_b64 exec, exec, s[76:77]
	s_xor_b64 s[6:7], s[10:11], -1
	s_xor_b64 s[0:1], s[0:1], -1
	;; [unrolled: 1-line block ×3, first 2 shown]
	s_mov_b64 s[2:3], 0
	s_and_saveexec_b64 s[8:9], s[0:1]
	s_xor_b64 s[0:1], exec, s[8:9]
	s_cbranch_execnz .LBB39_300
; %bb.296:
	s_andn2_saveexec_b64 s[0:1], s[0:1]
	s_cbranch_execnz .LBB39_322
.LBB39_297:
	s_or_b64 exec, exec, s[0:1]
	s_and_saveexec_b64 s[0:1], s[2:3]
.LBB39_298:
	; divergent unreachable
.LBB39_299:
	s_endpgm
.LBB39_300:
	s_and_saveexec_b64 s[2:3], s[6:7]
	s_xor_b64 s[2:3], exec, s[2:3]
	s_cbranch_execz .LBB39_320
; %bb.301:
	s_and_saveexec_b64 s[6:7], s[4:5]
	s_xor_b64 s[4:5], exec, s[6:7]
; %bb.302:
	v_xor_b32_e32 v56, 0xffff8000, v53
; %bb.303:
	s_or_b64 exec, exec, s[4:5]
	s_mov_b64 s[4:5], exec
	v_readlane_b32 s6, v69, 10
	v_readlane_b32 s7, v69, 11
	s_and_b64 s[6:7], s[4:5], s[6:7]
	s_mov_b64 exec, s[6:7]
; %bb.304:
	v_mov_b32_e32 v2, 0
	v_mov_b32_e32 v3, s56
	ds_write_b32 v2, v3 offset:5140
; %bb.305:
	s_or_b64 exec, exec, s[4:5]
	s_waitcnt lgkmcnt(0)
	s_barrier
	s_mov_b64 s[4:5], exec
	v_readlane_b32 s6, v69, 18
	v_readlane_b32 s7, v69, 19
	s_and_b64 s[6:7], s[4:5], s[6:7]
	s_mov_b64 exec, s[6:7]
	s_cbranch_execz .LBB39_317
; %bb.306:
	v_mov_b32_e32 v2, 0
	ds_read_b32 v4, v2 offset:5140
	s_mov_b64 s[6:7], 0
                                        ; implicit-def: $sgpr8_sgpr9
                                        ; implicit-def: $sgpr10_sgpr11
                                        ; implicit-def: $sgpr12_sgpr13
	s_waitcnt lgkmcnt(0)
	v_ashrrev_i32_e32 v5, 31, v4
	s_branch .LBB39_309
.LBB39_307:                             ;   in Loop: Header=BB39_309 Depth=1
	s_or_b64 exec, exec, s[20:21]
	s_andn2_b64 s[12:13], s[12:13], exec
	s_and_b64 s[18:19], s[18:19], exec
	s_andn2_b64 s[10:11], s[10:11], exec
	s_and_b64 s[16:17], s[16:17], exec
	s_or_b64 s[12:13], s[12:13], s[18:19]
	s_or_b64 s[10:11], s[10:11], s[16:17]
.LBB39_308:                             ;   in Loop: Header=BB39_309 Depth=1
	s_or_b64 exec, exec, s[14:15]
	s_and_b64 s[14:15], exec, s[10:11]
	s_or_b64 s[6:7], s[14:15], s[6:7]
	s_andn2_b64 s[8:9], s[8:9], exec
	s_and_b64 s[14:15], s[12:13], exec
	s_or_b64 s[8:9], s[8:9], s[14:15]
	s_andn2_b64 exec, exec, s[6:7]
	s_cbranch_execz .LBB39_312
.LBB39_309:                             ; =>This Inner Loop Header: Depth=1
	v_mov_b64_e32 v[2:3], v[0:1]
	v_cmp_lt_i64_e32 vcc, v[2:3], v[4:5]
	s_or_b64 s[12:13], s[12:13], exec
	s_or_b64 s[10:11], s[10:11], exec
                                        ; implicit-def: $vgpr0_vgpr1
	s_and_saveexec_b64 s[14:15], vcc
	s_cbranch_execz .LBB39_308
; %bb.310:                              ;   in Loop: Header=BB39_309 Depth=1
	global_load_ushort v0, v[12:13], off
	s_mov_b64 s[16:17], -1
	s_mov_b64 s[18:19], 0
	s_waitcnt vmcnt(0)
	v_cmp_ne_u16_e32 vcc, v0, v56
                                        ; implicit-def: $vgpr0_vgpr1
	s_and_saveexec_b64 s[20:21], vcc
	s_cbranch_execz .LBB39_307
; %bb.311:                              ;   in Loop: Header=BB39_309 Depth=1
	v_lshl_add_u64 v[0:1], v[2:3], 0, s[78:79]
	v_cmp_le_i64_e32 vcc, s[56:57], v[0:1]
	s_mov_b64 s[18:19], exec
	v_lshl_add_u64 v[12:13], v[12:13], 0, s[94:95]
	s_orn2_b64 s[16:17], vcc, exec
	s_branch .LBB39_307
.LBB39_312:
	s_or_b64 exec, exec, s[6:7]
	s_xor_b64 s[6:7], s[8:9], -1
	s_and_saveexec_b64 s[8:9], s[6:7]
	s_xor_b64 s[8:9], exec, s[8:9]
	s_cbranch_execz .LBB39_317
; %bb.313:
	s_mov_b64 s[6:7], exec
	s_brev_b32 s8, -2
.LBB39_314:                             ; =>This Inner Loop Header: Depth=1
	s_ff1_i32_b64 s9, s[6:7]
	v_readlane_b32 s12, v2, s9
	s_lshl_b64 s[10:11], 1, s9
	s_min_i32 s8, s8, s12
	s_andn2_b64 s[6:7], s[6:7], s[10:11]
	s_cmp_lg_u64 s[6:7], 0
	s_cbranch_scc1 .LBB39_314
; %bb.315:
	v_mbcnt_lo_u32_b32 v0, exec_lo, 0
	v_mbcnt_hi_u32_b32 v0, exec_hi, v0
	v_cmp_eq_u32_e32 vcc, 0, v0
	s_and_saveexec_b64 s[6:7], vcc
	s_xor_b64 s[6:7], exec, s[6:7]
; %bb.316:
	v_mov_b32_e32 v0, 0
	v_mov_b32_e32 v1, s8
	ds_min_i32 v0, v1 offset:5140
.LBB39_317:
	s_or_b64 exec, exec, s[4:5]
	s_waitcnt lgkmcnt(0)
	s_barrier
	s_mov_b64 s[4:5], exec
	v_readlane_b32 s6, v69, 10
	v_readlane_b32 s7, v69, 11
	s_and_b64 s[6:7], s[4:5], s[6:7]
	s_mov_b64 exec, s[6:7]
	s_cbranch_execz .LBB39_319
; %bb.318:
	v_readlane_b32 s8, v69, 0
	v_readlane_b32 s9, v69, 1
	;; [unrolled: 1-line block ×4, first 2 shown]
	s_mul_i32 s6, s10, s9
	s_mul_hi_u32 s7, s10, s8
	s_add_i32 s6, s7, s6
	s_mul_i32 s7, s11, s8
	s_add_i32 s7, s6, s7
	s_mul_i32 s6, s10, s8
	v_readlane_b32 s10, v69, 4
	v_readlane_b32 s11, v69, 5
	s_mul_i32 s8, s10, s71
	s_mul_hi_u32 s9, s10, s70
	s_add_i32 s8, s9, s8
	s_mul_i32 s9, s11, s70
	s_add_i32 s9, s8, s9
	s_mul_i32 s8, s10, s70
	s_lshl_b64 s[6:7], s[6:7], 1
	v_readlane_b32 s10, v69, 6
	v_readlane_b32 s11, v69, 7
	s_add_u32 s10, s10, s6
	s_addc_u32 s11, s11, s7
	s_lshl_b64 s[6:7], s[60:61], 1
	v_mov_b32_e32 v2, 0
	s_add_u32 s6, s10, s6
	ds_read_b32 v0, v2 offset:5140
	s_addc_u32 s7, s11, s7
	s_lshl_b64 s[8:9], s[8:9], 3
	v_readlane_b32 s10, v69, 8
	v_readlane_b32 s11, v69, 9
	s_add_u32 s10, s10, s8
	s_addc_u32 s11, s11, s9
	s_lshl_b64 s[8:9], s[66:67], 3
	s_add_u32 s8, s10, s8
	s_addc_u32 s9, s11, s9
	s_waitcnt lgkmcnt(0)
	v_ashrrev_i32_e32 v1, 31, v0
	global_store_dwordx2 v2, v[0:1], s[8:9]
	global_store_short v2, v56, s[6:7]
.LBB39_319:
	s_or_b64 exec, exec, s[4:5]
.LBB39_320:
	s_or_saveexec_b64 s[2:3], s[2:3]
	s_mov_b64 s[4:5], 0
	s_xor_b64 exec, exec, s[2:3]
	s_cbranch_execnz .LBB39_323
.LBB39_321:
	s_or_b64 exec, exec, s[2:3]
	s_and_b64 s[2:3], s[4:5], exec
	s_andn2_saveexec_b64 s[0:1], s[0:1]
	s_cbranch_execz .LBB39_297
.LBB39_322:
	s_or_b64 s[2:3], s[2:3], exec
	s_trap 2
	s_or_b64 exec, exec, s[0:1]
	s_and_saveexec_b64 s[0:1], s[2:3]
	s_cbranch_execnz .LBB39_298
	s_branch .LBB39_299
.LBB39_323:
	s_mov_b64 s[4:5], exec
	s_trap 2
	s_branch .LBB39_321
	.section	.rodata,"a",@progbits
	.p2align	6, 0x0
	.amdhsa_kernel _ZN2at6native12_GLOBAL__N_114gatherKthValueIslLin1EEEvNS_4cuda6detail10TensorInfoIKT_T0_EES8_S8_S8_S8_NS5_IS6_S8_EENS5_IlS8_EE
		.amdhsa_group_segment_fixed_size 5144
		.amdhsa_private_segment_fixed_size 0
		.amdhsa_kernarg_size 1536
		.amdhsa_user_sgpr_count 2
		.amdhsa_user_sgpr_dispatch_ptr 0
		.amdhsa_user_sgpr_queue_ptr 0
		.amdhsa_user_sgpr_kernarg_segment_ptr 1
		.amdhsa_user_sgpr_dispatch_id 0
		.amdhsa_user_sgpr_kernarg_preload_length 0
		.amdhsa_user_sgpr_kernarg_preload_offset 0
		.amdhsa_user_sgpr_private_segment_size 0
		.amdhsa_uses_dynamic_stack 0
		.amdhsa_enable_private_segment 0
		.amdhsa_system_sgpr_workgroup_id_x 1
		.amdhsa_system_sgpr_workgroup_id_y 1
		.amdhsa_system_sgpr_workgroup_id_z 1
		.amdhsa_system_sgpr_workgroup_info 0
		.amdhsa_system_vgpr_workitem_id 0
		.amdhsa_next_free_vgpr 70
		.amdhsa_next_free_sgpr 100
		.amdhsa_accum_offset 72
		.amdhsa_reserve_vcc 1
		.amdhsa_float_round_mode_32 0
		.amdhsa_float_round_mode_16_64 0
		.amdhsa_float_denorm_mode_32 3
		.amdhsa_float_denorm_mode_16_64 3
		.amdhsa_dx10_clamp 1
		.amdhsa_ieee_mode 1
		.amdhsa_fp16_overflow 0
		.amdhsa_tg_split 0
		.amdhsa_exception_fp_ieee_invalid_op 0
		.amdhsa_exception_fp_denorm_src 0
		.amdhsa_exception_fp_ieee_div_zero 0
		.amdhsa_exception_fp_ieee_overflow 0
		.amdhsa_exception_fp_ieee_underflow 0
		.amdhsa_exception_fp_ieee_inexact 0
		.amdhsa_exception_int_div_zero 0
	.end_amdhsa_kernel
	.section	.text._ZN2at6native12_GLOBAL__N_114gatherKthValueIslLin1EEEvNS_4cuda6detail10TensorInfoIKT_T0_EES8_S8_S8_S8_NS5_IS6_S8_EENS5_IlS8_EE,"axG",@progbits,_ZN2at6native12_GLOBAL__N_114gatherKthValueIslLin1EEEvNS_4cuda6detail10TensorInfoIKT_T0_EES8_S8_S8_S8_NS5_IS6_S8_EENS5_IlS8_EE,comdat
.Lfunc_end39:
	.size	_ZN2at6native12_GLOBAL__N_114gatherKthValueIslLin1EEEvNS_4cuda6detail10TensorInfoIKT_T0_EES8_S8_S8_S8_NS5_IS6_S8_EENS5_IlS8_EE, .Lfunc_end39-_ZN2at6native12_GLOBAL__N_114gatherKthValueIslLin1EEEvNS_4cuda6detail10TensorInfoIKT_T0_EES8_S8_S8_S8_NS5_IS6_S8_EENS5_IlS8_EE
                                        ; -- End function
	.set _ZN2at6native12_GLOBAL__N_114gatherKthValueIslLin1EEEvNS_4cuda6detail10TensorInfoIKT_T0_EES8_S8_S8_S8_NS5_IS6_S8_EENS5_IlS8_EE.num_vgpr, 70
	.set _ZN2at6native12_GLOBAL__N_114gatherKthValueIslLin1EEEvNS_4cuda6detail10TensorInfoIKT_T0_EES8_S8_S8_S8_NS5_IS6_S8_EENS5_IlS8_EE.num_agpr, 0
	.set _ZN2at6native12_GLOBAL__N_114gatherKthValueIslLin1EEEvNS_4cuda6detail10TensorInfoIKT_T0_EES8_S8_S8_S8_NS5_IS6_S8_EENS5_IlS8_EE.numbered_sgpr, 100
	.set _ZN2at6native12_GLOBAL__N_114gatherKthValueIslLin1EEEvNS_4cuda6detail10TensorInfoIKT_T0_EES8_S8_S8_S8_NS5_IS6_S8_EENS5_IlS8_EE.num_named_barrier, 0
	.set _ZN2at6native12_GLOBAL__N_114gatherKthValueIslLin1EEEvNS_4cuda6detail10TensorInfoIKT_T0_EES8_S8_S8_S8_NS5_IS6_S8_EENS5_IlS8_EE.private_seg_size, 0
	.set _ZN2at6native12_GLOBAL__N_114gatherKthValueIslLin1EEEvNS_4cuda6detail10TensorInfoIKT_T0_EES8_S8_S8_S8_NS5_IS6_S8_EENS5_IlS8_EE.uses_vcc, 1
	.set _ZN2at6native12_GLOBAL__N_114gatherKthValueIslLin1EEEvNS_4cuda6detail10TensorInfoIKT_T0_EES8_S8_S8_S8_NS5_IS6_S8_EENS5_IlS8_EE.uses_flat_scratch, 0
	.set _ZN2at6native12_GLOBAL__N_114gatherKthValueIslLin1EEEvNS_4cuda6detail10TensorInfoIKT_T0_EES8_S8_S8_S8_NS5_IS6_S8_EENS5_IlS8_EE.has_dyn_sized_stack, 0
	.set _ZN2at6native12_GLOBAL__N_114gatherKthValueIslLin1EEEvNS_4cuda6detail10TensorInfoIKT_T0_EES8_S8_S8_S8_NS5_IS6_S8_EENS5_IlS8_EE.has_recursion, 0
	.set _ZN2at6native12_GLOBAL__N_114gatherKthValueIslLin1EEEvNS_4cuda6detail10TensorInfoIKT_T0_EES8_S8_S8_S8_NS5_IS6_S8_EENS5_IlS8_EE.has_indirect_call, 0
	.section	.AMDGPU.csdata,"",@progbits
; Kernel info:
; codeLenInByte = 19736
; TotalNumSgprs: 106
; NumVgprs: 70
; NumAgprs: 0
; TotalNumVgprs: 70
; ScratchSize: 0
; MemoryBound: 0
; FloatMode: 240
; IeeeMode: 1
; LDSByteSize: 5144 bytes/workgroup (compile time only)
; SGPRBlocks: 13
; VGPRBlocks: 8
; NumSGPRsForWavesPerEU: 106
; NumVGPRsForWavesPerEU: 70
; AccumOffset: 72
; Occupancy: 7
; WaveLimiterHint : 1
; COMPUTE_PGM_RSRC2:SCRATCH_EN: 0
; COMPUTE_PGM_RSRC2:USER_SGPR: 2
; COMPUTE_PGM_RSRC2:TRAP_HANDLER: 0
; COMPUTE_PGM_RSRC2:TGID_X_EN: 1
; COMPUTE_PGM_RSRC2:TGID_Y_EN: 1
; COMPUTE_PGM_RSRC2:TGID_Z_EN: 1
; COMPUTE_PGM_RSRC2:TIDIG_COMP_CNT: 0
; COMPUTE_PGM_RSRC3_GFX90A:ACCUM_OFFSET: 17
; COMPUTE_PGM_RSRC3_GFX90A:TG_SPLIT: 0
	.section	.text._ZN2at6native12_GLOBAL__N_114gatherKthValueIdiLi1EEEvNS_4cuda6detail10TensorInfoIKT_T0_EES8_S8_S8_S8_NS5_IS6_S8_EENS5_IlS8_EE,"axG",@progbits,_ZN2at6native12_GLOBAL__N_114gatherKthValueIdiLi1EEEvNS_4cuda6detail10TensorInfoIKT_T0_EES8_S8_S8_S8_NS5_IS6_S8_EENS5_IlS8_EE,comdat
	.globl	_ZN2at6native12_GLOBAL__N_114gatherKthValueIdiLi1EEEvNS_4cuda6detail10TensorInfoIKT_T0_EES8_S8_S8_S8_NS5_IS6_S8_EENS5_IlS8_EE ; -- Begin function _ZN2at6native12_GLOBAL__N_114gatherKthValueIdiLi1EEEvNS_4cuda6detail10TensorInfoIKT_T0_EES8_S8_S8_S8_NS5_IS6_S8_EENS5_IlS8_EE
	.p2align	8
	.type	_ZN2at6native12_GLOBAL__N_114gatherKthValueIdiLi1EEEvNS_4cuda6detail10TensorInfoIKT_T0_EES8_S8_S8_S8_NS5_IS6_S8_EENS5_IlS8_EE,@function
_ZN2at6native12_GLOBAL__N_114gatherKthValueIdiLi1EEEvNS_4cuda6detail10TensorInfoIKT_T0_EES8_S8_S8_S8_NS5_IS6_S8_EENS5_IlS8_EE: ; @_ZN2at6native12_GLOBAL__N_114gatherKthValueIdiLi1EEEvNS_4cuda6detail10TensorInfoIKT_T0_EES8_S8_S8_S8_NS5_IS6_S8_EENS5_IlS8_EE
; %bb.0:
	s_load_dwordx2 s[12:13], s[0:1], 0x298
	s_load_dwordx4 s[60:63], s[0:1], 0xd8
	s_add_u32 s10, s0, 0x298
	s_addc_u32 s11, s1, 0
	s_waitcnt lgkmcnt(0)
	s_mul_i32 s4, s13, s4
	s_add_i32 s3, s4, s3
	s_mul_i32 s3, s3, s12
	s_add_i32 s13, s3, s2
	s_cmp_ge_i32 s13, s62
	s_cbranch_scc1 .LBB40_246
; %bb.1:
	s_load_dwordx2 s[4:5], s[0:1], 0x1c0
                                        ; implicit-def: $vgpr60 : SGPR spill to VGPR lane
	v_cmp_eq_u32_e64 s[18:19], 0, v0
	s_waitcnt lgkmcnt(0)
	v_writelane_b32 v60, s4, 0
	s_nop 1
	v_writelane_b32 v60, s5, 1
	s_load_dwordx2 s[4:5], s[0:1], 0xe8
	s_waitcnt lgkmcnt(0)
	v_writelane_b32 v60, s4, 2
	s_nop 1
	v_writelane_b32 v60, s5, 3
	s_load_dword s3, s[0:1], 0x6c
	s_load_dwordx2 s[4:5], s[0:1], 0x0
	s_and_saveexec_b64 s[6:7], s[18:19]
; %bb.2:
	v_mov_b32_e32 v2, 0
	v_mov_b32_e32 v3, s60
	;; [unrolled: 1-line block ×3, first 2 shown]
	ds_write_b96 v2, v[2:4] offset:4096
; %bb.3:
	s_or_b64 exec, exec, s[6:7]
	s_load_dword s6, s[0:1], 0x22c
                                        ; kill: killed $sgpr0 killed $sgpr1
	s_waitcnt lgkmcnt(0)
	s_barrier
	v_mbcnt_lo_u32_b32 v1, -1, 0
	v_writelane_b32 v60, s6, 4
	s_load_dword s6, s[0:1], 0x154
	s_mul_i32 s0, s3, s13
	s_load_dword s3, s[10:11], 0xc
	s_ashr_i32 s1, s0, 31
	s_lshl_b64 s[0:1], s[0:1], 3
	s_add_u32 s68, s4, s0
	s_addc_u32 s69, s5, s1
	s_waitcnt lgkmcnt(0)
	s_and_b32 s62, s3, 0xffff
	v_mbcnt_hi_u32_b32 v34, -1, v1
	v_writelane_b32 v60, s6, 5
	v_cmp_gt_u32_e32 vcc, 64, v0
	v_cmp_gt_i32_e64 s[4:5], 4, v34
	s_add_i32 s6, s62, -1
	s_lshl_b32 s70, s62, 2
	s_and_b64 s[72:73], vcc, s[4:5]
	s_add_i32 s79, s6, s60
	s_cmpk_gt_i32 s60, 0x180
	v_writelane_b32 v60, s13, 6
	s_cselect_b64 s[74:75], -1, 0
	s_cmp_gt_u32 s62, 63
	v_writelane_b32 v60, s6, 7
	v_cmp_gt_i32_e64 s[8:9], s60, v0
	s_cselect_b64 s[76:77], -1, 0
	s_cmp_lt_u32 s2, s12
	v_writelane_b32 v60, s8, 8
	s_cselect_b32 s2, 12, 18
	v_lshlrev_b64 v[2:3], v34, -1
	v_writelane_b32 v60, s9, 9
	s_add_u32 s8, s10, s2
	s_addc_u32 s9, s11, 0
	v_writelane_b32 v60, s8, 10
	v_not_b32_e32 v22, v2
	v_lshrrev_b32_e32 v2, 2, v0
	v_writelane_b32 v60, s9, 11
	s_bfe_u32 s8, s3, 0xa0006
	s_add_i32 s2, s8, -2
	s_lshr_b32 s3, s2, 1
	s_add_i32 s3, s3, 1
	s_cmpk_gt_u32 s62, 0x7f
	v_and_b32_e32 v2, 0xf0, v2
	s_cselect_b64 s[10:11], -1, 0
	v_or_b32_e32 v37, 0xc00, v2
	v_writelane_b32 v60, s10, 12
	v_cvt_f32_u32_e32 v2, s70
	s_and_b32 s9, s8, 0x3fe
	v_writelane_b32 v60, s11, 13
	s_and_b32 s10, s3, 7
	s_cmp_gt_u32 s2, 13
	s_cselect_b64 s[12:13], -1, 0
	v_writelane_b32 v60, s12, 14
	v_rcp_iflag_f32_e32 v2, v2
	s_and_b32 s2, s3, -8
	v_writelane_b32 v60, s13, 15
	v_writelane_b32 v60, s2, 16
	s_cmp_lg_u32 s10, 0
	v_writelane_b32 v60, s10, 17
	s_cselect_b64 s[2:3], -1, 0
	v_writelane_b32 v60, s2, 18
	v_mul_f32_e32 v2, 0x4f7ffffe, v2
	v_cvt_u32_f32_e32 v2, v2
	v_writelane_b32 v60, s3, 19
	v_writelane_b32 v60, s8, 20
	s_cmp_lg_u32 s9, s8
	v_writelane_b32 v60, s9, 21
	s_cselect_b64 s[2:3], -1, 0
	v_writelane_b32 v60, s2, 22
	v_not_b32_e32 v1, v3
	v_cvt_f32_u32_e32 v3, s62
	v_writelane_b32 v60, s3, 23
	s_sub_i32 s2, 0, s70
	v_readfirstlane_b32 s3, v2
	s_mul_i32 s2, s2, s3
	s_mul_hi_u32 s2, s3, s2
	s_add_i32 s8, s3, s2
	s_mul_hi_u32 s2, s60, s8
	s_mul_i32 s2, s2, s70
	s_sub_i32 s2, s60, s2
	s_sub_i32 s3, s2, s70
	s_cmp_ge_u32 s2, s70
	s_cselect_b32 s2, s3, s2
	s_sub_i32 s3, s2, s70
	s_cmp_ge_u32 s2, s70
	s_cselect_b32 s2, s3, s2
	s_sub_i32 s9, s60, s2
	v_rcp_iflag_f32_e32 v5, v3
	v_add_u32_e32 v38, s9, v0
	v_mul_lo_u32 v2, v38, s63
	v_ashrrev_i32_e32 v3, 31, v2
	v_lshl_add_u64 v[24:25], v[2:3], 3, s[68:69]
	v_mul_f32_e32 v2, 0x4f7ffffe, v5
	v_cvt_u32_f32_e32 v2, v2
	s_sub_i32 s17, 0, s62
	s_abs_i32 s16, s79
	s_ashr_i32 s3, s79, 31
	v_readfirstlane_b32 s20, v2
	s_mul_i32 s17, s17, s20
	s_mul_hi_u32 s17, s20, s17
	s_add_i32 s17, s20, s17
	v_writelane_b32 v60, s17, 24
	s_mul_hi_u32 s17, s16, s17
	s_mul_i32 s17, s17, s62
	s_sub_i32 s16, s16, s17
	s_sub_i32 s17, s16, s62
	s_cmp_ge_u32 s16, s62
	s_cselect_b32 s16, s17, s16
	s_sub_i32 s17, s16, s62
	s_cmp_ge_u32 s16, s62
	s_cselect_b32 s16, s17, s16
	v_lshlrev_b32_e32 v23, 2, v0
	s_xor_b32 s16, s16, s3
	s_sub_i32 s3, s3, s16
	v_mul_lo_u32 v2, s63, v23
	s_add_i32 s79, s79, s3
	v_add_u32_e32 v39, s63, v2
	v_or_b32_e32 v2, 2, v23
	v_cmp_gt_i32_e64 s[16:17], s79, v0
	v_mul_lo_u32 v40, s63, v2
	v_or_b32_e32 v2, 3, v23
	s_add_i32 s3, s62, s60
	v_mov_b32_e32 v19, 0
	v_writelane_b32 v60, s16, 25
	v_mul_lo_u32 v41, s63, v2
	v_add_u32_e32 v2, s3, v0
	v_lshlrev_b32_e32 v35, 3, v0
	v_mul_lo_u32 v16, s63, v0
	v_mov_b32_e32 v17, v19
	v_lshlrev_b32_e32 v4, 2, v34
	s_mov_b32 s22, 0
	s_mov_b32 s23, 1
	v_writelane_b32 v60, s17, 26
	s_mul_i32 s33, s63, s62
	v_subrev_u32_e32 v2, s2, v2
	v_cmp_eq_u32_e64 s[0:1], 0, v34
	v_cmp_gt_u32_e64 s[4:5], 2, v0
	v_add_u32_e32 v36, 0xc00, v35
	v_cmp_gt_u32_e64 s[6:7], s60, v0
	v_lshl_add_u64 v[20:21], v[16:17], 3, s[68:69]
	v_and_b32_e32 v17, 0x100, v4
	v_cmp_gt_i32_e64 s[10:11], s9, v23
	v_cmp_gt_u32_e64 s[12:13], s60, v38
	v_cmp_gt_i32_e64 s[14:15], s60, v38
	s_lshl_b32 s80, s33, 2
	v_lshlrev_b32_e32 v42, 2, v16
	v_mul_lo_u32 v43, s63, v2
	v_lshlrev_b32_e32 v44, 5, v0
	s_lshl_b32 s81, s62, 5
	s_lshl_b32 s16, s62, 3
	v_or_b32_e32 v45, 0xc00, v4
	s_mov_b32 s17, 62
	v_mov_b64_e32 v[6:7], 0
	s_mov_b64 s[88:89], 0
	v_mov_b32_e32 v47, s61
	v_mov_b64_e32 v[26:27], 0
	v_mov_b64_e32 v[28:29], 0
	v_mov_b32_e32 v49, s60
	v_mov_b32_e32 v3, 0x3ff00000
	;; [unrolled: 1-line block ×5, first 2 shown]
	v_writelane_b32 v60, s22, 27
	s_mov_b32 s61, s22
                                        ; implicit-def: $sgpr90_sgpr91
                                        ; implicit-def: $sgpr94_sgpr95
                                        ; implicit-def: $sgpr92_sgpr93
                                        ; implicit-def: $sgpr98_sgpr99
                                        ; implicit-def: $sgpr64_sgpr65
                                        ; implicit-def: $sgpr96_sgpr97
	s_nop 0
	v_writelane_b32 v60, s23, 28
	s_branch .LBB40_7
.LBB40_4:                               ;   in Loop: Header=BB40_7 Depth=1
	s_or_b64 exec, exec, s[30:31]
	s_and_b64 s[24:25], s[24:25], exec
	s_andn2_b64 s[28:29], s[28:29], exec
	s_andn2_b64 s[26:27], s[26:27], exec
	s_orn2_b64 s[22:23], s[22:23], exec
.LBB40_5:                               ;   in Loop: Header=BB40_7 Depth=1
	s_or_b64 exec, exec, s[2:3]
	s_andn2_b64 s[2:3], s[96:97], exec
	s_and_b64 s[24:25], s[24:25], exec
	s_or_b64 s[96:97], s[2:3], s[24:25]
	s_andn2_b64 s[2:3], s[64:65], exec
	s_and_b64 s[24:25], s[28:29], exec
	s_or_b64 s[64:65], s[2:3], s[24:25]
	;; [unrolled: 3-line block ×3, first 2 shown]
	s_orn2_b64 s[22:23], s[22:23], exec
.LBB40_6:                               ;   in Loop: Header=BB40_7 Depth=1
	s_or_b64 exec, exec, s[20:21]
	s_and_b64 s[2:3], exec, s[22:23]
	s_or_b64 s[88:89], s[2:3], s[88:89]
	s_andn2_b64 s[2:3], s[92:93], exec
	s_and_b64 s[20:21], s[96:97], exec
	s_or_b64 s[92:93], s[2:3], s[20:21]
	s_andn2_b64 s[2:3], s[94:95], exec
	s_and_b64 s[20:21], s[64:65], exec
	;; [unrolled: 3-line block ×3, first 2 shown]
	s_or_b64 s[90:91], s[2:3], s[20:21]
	s_mov_b32 s61, s37
	s_mov_b32 s17, s36
	v_mov_b32_e32 v47, v11
	s_andn2_b64 exec, exec, s[88:89]
	s_cbranch_execz .LBB40_242
.LBB40_7:                               ; =>This Loop Header: Depth=1
                                        ;     Child Loop BB40_13 Depth 2
                                        ;     Child Loop BB40_28 Depth 2
	;; [unrolled: 1-line block ×17, first 2 shown]
	s_waitcnt vmcnt(0)
	ds_read_b64 v[4:5], v19 offset:4096
	s_waitcnt lgkmcnt(0)
	v_readfirstlane_b32 s71, v4
	s_cmp_gt_i32 s71, 0
	s_cbranch_scc1 .LBB40_35
; %bb.8:                                ;   in Loop: Header=BB40_7 Depth=1
	s_and_b64 vcc, exec, s[74:75]
	s_cbranch_vccz .LBB40_21
; %bb.9:                                ;   in Loop: Header=BB40_7 Depth=1
	s_movk_i32 s2, 0x181
	v_cmp_gt_i32_e32 vcc, s2, v5
	s_mov_b64 s[20:21], 0
	s_mov_b64 s[2:3], 0
	s_cbranch_vccz .LBB40_22
; %bb.10:                               ;   in Loop: Header=BB40_7 Depth=1
	s_and_saveexec_b64 s[22:23], s[6:7]
	s_cbranch_execz .LBB40_67
; %bb.11:                               ;   in Loop: Header=BB40_7 Depth=1
	v_readlane_b32 s2, v60, 10
	v_readlane_b32 s3, v60, 11
	s_nop 4
	global_load_ushort v2, v19, s[2:3]
	global_load_dwordx2 v[4:5], v[20:21], off
	s_mov_b64 s[24:25], 0
	v_mov_b32_e32 v11, v0
	s_waitcnt vmcnt(1)
	v_add_u32_e32 v8, v0, v2
	v_mul_lo_u32 v10, s63, v2
	v_mul_lo_u32 v18, s63, v8
	s_branch .LBB40_13
.LBB40_12:                              ;   in Loop: Header=BB40_13 Depth=2
	s_or_b64 exec, exec, s[2:3]
	v_cmp_le_i32_e32 vcc, s60, v11
	v_add_u32_e32 v18, v18, v10
	s_or_b64 s[24:25], vcc, s[24:25]
	v_mov_b64_e32 v[4:5], v[8:9]
	s_andn2_b64 exec, exec, s[24:25]
	s_cbranch_execz .LBB40_67
.LBB40_13:                              ;   Parent Loop BB40_7 Depth=1
                                        ; =>  This Inner Loop Header: Depth=2
	v_add_u32_e32 v11, v11, v2
	v_cmp_gt_u32_e32 vcc, s60, v11
	v_mov_b64_e32 v[8:9], 0
	s_and_saveexec_b64 s[2:3], vcc
	s_cbranch_execz .LBB40_15
; %bb.14:                               ;   in Loop: Header=BB40_13 Depth=2
	v_lshl_add_u64 v[8:9], v[18:19], 3, s[68:69]
	global_load_dwordx2 v[8:9], v[8:9], off
.LBB40_15:                              ;   in Loop: Header=BB40_13 Depth=2
	s_or_b64 exec, exec, s[2:3]
	s_waitcnt vmcnt(0) lgkmcnt(0)
	v_ashrrev_i32_e32 v12, 31, v5
	v_or_b32_e32 v13, 0x80000000, v12
	v_xor_b32_e32 v13, v13, v5
	v_xor_b32_e32 v12, v12, v4
	v_cmp_o_f64_e32 vcc, v[4:5], v[4:5]
	s_nop 1
	v_cndmask_b32_e32 v13, -1, v13, vcc
	v_cndmask_b32_e32 v12, -1, v12, vcc
	v_and_b32_e32 v13, v13, v29
	v_and_b32_e32 v12, v12, v28
	v_cmp_eq_u64_e32 vcc, v[12:13], v[26:27]
	s_cmp_lg_u64 vcc, 0
	s_cselect_b64 s[2:3], -1, 0
	s_and_b64 s[2:3], s[0:1], s[2:3]
	v_mov_b32_e32 v12, 0
	s_and_saveexec_b64 s[26:27], s[2:3]
	s_cbranch_execz .LBB40_19
; %bb.16:                               ;   in Loop: Header=BB40_13 Depth=2
	s_mov_b64 s[30:31], exec
	v_mbcnt_lo_u32_b32 v12, s30, 0
	v_mbcnt_hi_u32_b32 v12, s31, v12
	s_bcnt1_i32_b64 s34, vcc
	v_cmp_eq_u32_e64 s[2:3], 0, v12
                                        ; implicit-def: $vgpr13
	s_and_saveexec_b64 s[28:29], s[2:3]
; %bb.17:                               ;   in Loop: Header=BB40_13 Depth=2
	s_bcnt1_i32_b64 s2, s[30:31]
	s_mul_i32 s2, s34, s2
	v_mov_b32_e32 v13, s2
	ds_add_rtn_u32 v13, v19, v13 offset:4104
; %bb.18:                               ;   in Loop: Header=BB40_13 Depth=2
	s_or_b64 exec, exec, s[28:29]
	s_waitcnt lgkmcnt(0)
	v_readfirstlane_b32 s2, v13
	s_nop 1
	v_mov_b32_e32 v13, s2
	v_mad_u32_u24 v12, s34, v12, v13
.LBB40_19:                              ;   in Loop: Header=BB40_13 Depth=2
	s_or_b64 exec, exec, s[26:27]
	ds_bpermute_b32 v12, v17, v12
	s_and_saveexec_b64 s[2:3], vcc
	s_cbranch_execz .LBB40_12
; %bb.20:                               ;   in Loop: Header=BB40_13 Depth=2
	v_and_b32_e32 v14, vcc_lo, v22
	v_and_b32_e32 v13, vcc_hi, v1
	v_bcnt_u32_b32 v14, v14, 0
	v_bcnt_u32_b32 v13, v13, v14
	v_lshlrev_b32_e32 v13, 3, v13
	s_waitcnt lgkmcnt(0)
	v_lshl_add_u32 v12, v12, 3, v13
	ds_write_b64 v12, v[4:5]
	s_branch .LBB40_12
.LBB40_21:                              ;   in Loop: Header=BB40_7 Depth=1
	s_mov_b64 s[20:21], -1
	s_mov_b64 s[2:3], 0
.LBB40_22:                              ;   in Loop: Header=BB40_7 Depth=1
	s_and_b64 vcc, exec, s[20:21]
	s_cbranch_vccz .LBB40_33
.LBB40_23:                              ;   in Loop: Header=BB40_7 Depth=1
	v_mov_b64_e32 v[4:5], 0
	s_and_saveexec_b64 s[2:3], s[6:7]
	s_cbranch_execz .LBB40_25
; %bb.24:                               ;   in Loop: Header=BB40_7 Depth=1
	global_load_dwordx2 v[4:5], v[20:21], off
.LBB40_25:                              ;   in Loop: Header=BB40_7 Depth=1
	s_or_b64 exec, exec, s[2:3]
	s_mov_b64 s[2:3], exec
	v_readlane_b32 s20, v60, 8
	v_readlane_b32 s21, v60, 9
	s_and_b64 s[20:21], s[2:3], s[20:21]
	s_mov_b64 exec, s[20:21]
	s_cbranch_execz .LBB40_30
; %bb.26:                               ;   in Loop: Header=BB40_7 Depth=1
	v_readlane_b32 s20, v60, 10
	v_readlane_b32 s21, v60, 11
	v_mov_b32_e32 v10, v35
	v_mov_b32_e32 v13, v0
	s_nop 2
	global_load_ushort v2, v19, s[20:21]
	s_mov_b64 s[20:21], 0
	s_waitcnt vmcnt(0)
	v_add_u32_e32 v8, v0, v2
	v_lshlrev_b32_e32 v11, 3, v2
	v_mul_lo_u32 v12, s63, v2
	v_mul_lo_u32 v18, s63, v8
	s_branch .LBB40_28
.LBB40_27:                              ;   in Loop: Header=BB40_28 Depth=2
	s_or_b64 exec, exec, s[22:23]
	v_cmp_le_i32_e32 vcc, s60, v13
	ds_write_b64 v10, v[4:5]
	v_add_u32_e32 v10, v10, v11
	v_add_u32_e32 v18, v18, v12
	s_or_b64 s[20:21], vcc, s[20:21]
	s_waitcnt vmcnt(0)
	v_mov_b64_e32 v[4:5], v[8:9]
	s_andn2_b64 exec, exec, s[20:21]
	s_cbranch_execz .LBB40_30
.LBB40_28:                              ;   Parent Loop BB40_7 Depth=1
                                        ; =>  This Inner Loop Header: Depth=2
	v_add_u32_e32 v13, v13, v2
	v_cmp_gt_u32_e32 vcc, s60, v13
	v_mov_b64_e32 v[8:9], 0
	s_and_saveexec_b64 s[22:23], vcc
	s_cbranch_execz .LBB40_27
; %bb.29:                               ;   in Loop: Header=BB40_28 Depth=2
	v_lshl_add_u64 v[8:9], v[18:19], 3, s[68:69]
	global_load_dwordx2 v[8:9], v[8:9], off
	s_branch .LBB40_27
.LBB40_30:                              ;   in Loop: Header=BB40_7 Depth=1
	s_or_b64 exec, exec, s[2:3]
	s_waitcnt lgkmcnt(0)
	s_barrier
	s_and_saveexec_b64 s[2:3], s[18:19]
; %bb.31:                               ;   in Loop: Header=BB40_7 Depth=1
	ds_write_b32 v19, v49 offset:4096
; %bb.32:                               ;   in Loop: Header=BB40_7 Depth=1
	s_or_b64 exec, exec, s[2:3]
	s_mov_b64 s[2:3], -1
	s_waitcnt lgkmcnt(0)
	s_barrier
.LBB40_33:                              ;   in Loop: Header=BB40_7 Depth=1
	s_and_b64 vcc, exec, s[2:3]
	s_cbranch_vccz .LBB40_35
; %bb.34:                               ;   in Loop: Header=BB40_7 Depth=1
	ds_read_b32 v2, v19 offset:4096
	s_waitcnt lgkmcnt(0)
	v_readfirstlane_b32 s71, v2
.LBB40_35:                              ;   in Loop: Header=BB40_7 Depth=1
	s_cmp_lt_i32 s71, 1
	s_mov_b64 s[2:3], -1
                                        ; implicit-def: $vgpr10_vgpr11
	s_cbranch_scc1 .LBB40_45
; %bb.36:                               ;   in Loop: Header=BB40_7 Depth=1
	s_and_b64 vcc, exec, s[2:3]
	s_cbranch_vccnz .LBB40_58
.LBB40_37:                              ;   in Loop: Header=BB40_7 Depth=1
	s_lshl_b32 s22, s61, 6
	s_and_saveexec_b64 s[2:3], s[0:1]
.LBB40_38:                              ;   in Loop: Header=BB40_7 Depth=1
	v_lshl_add_u32 v2, s22, 2, v37
	ds_write_b128 v2, v[8:11]
.LBB40_39:                              ;   in Loop: Header=BB40_7 Depth=1
	s_or_b64 exec, exec, s[2:3]
	s_waitcnt lgkmcnt(0)
	s_barrier
	s_and_saveexec_b64 s[2:3], s[72:73]
	s_cbranch_execz .LBB40_78
; %bb.40:                               ;   in Loop: Header=BB40_7 Depth=1
	v_add_u32_e32 v2, s22, v34
	s_andn2_b64 vcc, exec, s[76:77]
	s_waitcnt vmcnt(0)
	v_mov_b32_e32 v4, 0
	s_cbranch_vccnz .LBB40_77
; %bb.41:                               ;   in Loop: Header=BB40_7 Depth=1
	v_readlane_b32 s20, v60, 12
	v_readlane_b32 s21, v60, 13
	s_andn2_b64 vcc, exec, s[20:21]
	s_cbranch_vccnz .LBB40_70
; %bb.42:                               ;   in Loop: Header=BB40_7 Depth=1
	v_readlane_b32 s20, v60, 14
	v_readlane_b32 s21, v60, 15
	s_andn2_b64 vcc, exec, s[20:21]
	v_lshl_add_u32 v8, v2, 2, v46
	s_cbranch_vccnz .LBB40_71
; %bb.43:                               ;   in Loop: Header=BB40_7 Depth=1
	s_mov_b32 s21, 1
	s_mov_b32 s20, 0
	v_mov_b32_e32 v4, 0
	v_mov_b32_e32 v5, 0
	v_readlane_b32 s23, v60, 16
.LBB40_44:                              ;   Parent Loop BB40_7 Depth=1
                                        ; =>  This Inner Loop Header: Depth=2
	v_lshl_add_u32 v9, s20, 4, v8
	v_lshl_add_u32 v18, s21, 4, v8
	ds_read2_b32 v[10:11], v9 offset1:8
	ds_read2_b32 v[12:13], v18 offset1:8
	ds_read2_b32 v[14:15], v9 offset0:16 offset1:24
	ds_read2_b32 v[30:31], v18 offset0:16 offset1:24
	;; [unrolled: 1-line block ×6, first 2 shown]
	s_waitcnt lgkmcnt(7)
	v_add3_u32 v4, v10, v4, v11
	s_waitcnt lgkmcnt(6)
	v_add3_u32 v5, v12, v5, v13
	;; [unrolled: 2-line block ×3, first 2 shown]
	v_add3_u32 v4, v14, v4, v15
	s_add_i32 s21, s21, 16
	s_add_i32 s20, s20, 16
	s_add_i32 s23, s23, -8
	s_waitcnt lgkmcnt(3)
	v_add3_u32 v4, v32, v4, v33
	s_waitcnt lgkmcnt(2)
	v_add3_u32 v5, v52, v5, v53
	s_cmp_lg_u32 s23, 0
	s_waitcnt lgkmcnt(0)
	v_add3_u32 v5, v56, v5, v57
	v_add3_u32 v4, v54, v4, v55
	s_cbranch_scc1 .LBB40_44
	s_branch .LBB40_72
.LBB40_45:                              ;   in Loop: Header=BB40_7 Depth=1
	v_mov_b32_e32 v18, v19
	v_mov_b64_e32 v[10:11], v[18:19]
	v_mov_b64_e32 v[8:9], v[18:19]
	s_and_saveexec_b64 s[66:67], s[10:11]
	s_cbranch_execnz .LBB40_48
; %bb.46:                               ;   in Loop: Header=BB40_7 Depth=1
	s_or_b64 exec, exec, s[66:67]
	v_mov_b64_e32 v[12:13], 0
	s_and_saveexec_b64 s[2:3], s[12:13]
	s_cbranch_execnz .LBB40_51
.LBB40_47:                              ;   in Loop: Header=BB40_7 Depth=1
	s_or_b64 exec, exec, s[2:3]
	s_and_saveexec_b64 s[20:21], s[14:15]
	s_cbranch_execnz .LBB40_52
	s_branch .LBB40_57
.LBB40_48:                              ;   in Loop: Header=BB40_7 Depth=1
	s_mov_b32 s78, 0
	s_mov_b64 s[82:83], 0
	v_mov_b32_e32 v2, v23
	s_mov_b32 s84, 0
	s_mov_b32 s85, s78
	s_mov_b32 s86, 0
	s_mov_b32 s87, s78
.LBB40_49:                              ;   Parent Loop BB40_7 Depth=1
                                        ; =>  This Inner Loop Header: Depth=2
	v_add_u32_e32 v12, s78, v42
	v_add_u32_e32 v14, s78, v39
	;; [unrolled: 1-line block ×4, first 2 shown]
	v_ashrrev_i32_e32 v13, 31, v12
	v_ashrrev_i32_e32 v15, 31, v14
	;; [unrolled: 1-line block ×4, first 2 shown]
	v_lshl_add_u64 v[12:13], v[12:13], 3, s[68:69]
	v_lshl_add_u64 v[14:15], v[14:15], 3, s[68:69]
	;; [unrolled: 1-line block ×4, first 2 shown]
	global_load_dwordx2 v[12:13], v[12:13], off
	s_nop 0
	global_load_dwordx2 v[14:15], v[14:15], off
	s_nop 0
	;; [unrolled: 2-line block ×3, first 2 shown]
	global_load_dwordx2 v[32:33], v[32:33], off
	s_waitcnt vmcnt(4)
	v_mov_b32_e32 v5, v19
	v_mov_b32_e32 v9, v19
	;; [unrolled: 1-line block ×3, first 2 shown]
	v_add_u32_e32 v2, s70, v2
	s_add_i32 s78, s78, s80
	v_cmp_le_i32_e32 vcc, s9, v2
	s_waitcnt vmcnt(3)
	v_ashrrev_i32_e32 v4, 31, v13
	s_waitcnt vmcnt(2)
	v_ashrrev_i32_e32 v8, 31, v15
	v_xor_b32_e32 v48, v8, v14
	s_waitcnt vmcnt(0)
	v_ashrrev_i32_e32 v18, 31, v33
	v_cmp_o_f64_e64 s[2:3], v[14:15], v[14:15]
	v_xor_b32_e32 v14, v4, v12
	v_or_b32_e32 v4, 0x80000000, v4
	v_ashrrev_i32_e32 v10, 31, v31
	v_cmp_o_f64_e64 s[24:25], v[12:13], v[12:13]
	v_or_b32_e32 v8, 0x80000000, v8
	v_or_b32_e32 v12, 0x80000000, v18
	v_xor_b32_e32 v4, v4, v13
	v_xor_b32_e32 v52, v10, v30
	v_cmp_o_f64_e64 s[20:21], v[30:31], v[30:31]
	v_xor_b32_e32 v53, v18, v32
	v_cmp_o_f64_e64 s[22:23], v[32:33], v[32:33]
	v_or_b32_e32 v10, 0x80000000, v10
	v_xor_b32_e32 v8, v8, v15
	v_xor_b32_e32 v18, v12, v33
	v_cndmask_b32_e64 v12, -1, v14, s[24:25]
	v_cndmask_b32_e64 v13, -1, v4, s[24:25]
	v_xor_b32_e32 v10, v10, v31
	v_cndmask_b32_e64 v14, -1, v48, s[2:3]
	v_cndmask_b32_e64 v30, -1, v52, s[20:21]
	;; [unrolled: 1-line block ×4, first 2 shown]
	v_and_b32_e32 v52, v12, v28
	v_and_b32_e32 v53, v13, v29
	v_lshrrev_b64 v[12:13], s17, v[12:13]
	v_cndmask_b32_e64 v31, -1, v10, s[20:21]
	v_cndmask_b32_e64 v33, -1, v18, s[22:23]
	v_and_b32_e32 v54, v14, v28
	v_and_b32_e32 v55, v15, v29
	v_lshrrev_b64 v[14:15], s17, v[14:15]
	v_and_b32_e32 v18, 3, v12
	v_and_b32_e32 v56, v30, v28
	;; [unrolled: 1-line block ×3, first 2 shown]
	v_lshrrev_b64 v[30:31], s17, v[30:31]
	v_cmp_eq_u64_e64 s[2:3], v[52:53], v[26:27]
	v_and_b32_e32 v4, 3, v14
	v_cmp_eq_u64_e64 s[26:27], 0, v[18:19]
	v_and_b32_e32 v58, v32, v28
	v_and_b32_e32 v59, v33, v29
	v_lshrrev_b64 v[32:33], s17, v[32:33]
	v_cmp_eq_u64_e64 s[20:21], v[54:55], v[26:27]
	v_and_b32_e32 v8, 3, v30
	v_cmp_eq_u64_e64 s[28:29], 0, v[4:5]
	s_and_b64 s[26:27], s[2:3], s[26:27]
	v_cmp_eq_u64_e64 s[22:23], v[56:57], v[26:27]
	v_and_b32_e32 v10, 3, v32
	v_cmp_eq_u64_e64 s[30:31], 0, v[8:9]
	v_cmp_eq_u64_e64 s[38:39], 1, v[4:5]
	;; [unrolled: 1-line block ×4, first 2 shown]
	v_cndmask_b32_e64 v4, 0, 1, s[26:27]
	s_and_b64 s[26:27], s[20:21], s[28:29]
	v_cmp_eq_u64_e64 s[24:25], v[58:59], v[26:27]
	v_cmp_eq_u64_e64 s[34:35], 0, v[10:11]
	v_cndmask_b32_e64 v5, 0, 1, s[26:27]
	s_and_b64 s[26:27], s[22:23], s[30:31]
	v_cmp_eq_u64_e64 s[36:37], 1, v[18:19]
	v_cmp_eq_u64_e64 s[40:41], 1, v[8:9]
	;; [unrolled: 1-line block ×4, first 2 shown]
	v_cndmask_b32_e64 v8, 0, 1, s[26:27]
	s_and_b64 s[26:27], s[24:25], s[34:35]
	v_cndmask_b32_e64 v9, 0, 1, s[26:27]
	s_and_b64 s[26:27], s[2:3], s[36:37]
	v_cmp_eq_u64_e64 s[42:43], 1, v[10:11]
	v_cmp_eq_u64_e64 s[50:51], 2, v[10:11]
	;; [unrolled: 1-line block ×3, first 2 shown]
	v_cndmask_b32_e64 v10, 0, 1, s[26:27]
	s_and_b64 s[26:27], s[20:21], s[38:39]
	v_cndmask_b32_e64 v11, 0, 1, s[26:27]
	s_and_b64 s[26:27], s[22:23], s[40:41]
	v_cmp_eq_u64_e64 s[44:45], 2, v[18:19]
	v_cmp_eq_u64_e64 s[52:53], 3, v[18:19]
	v_cndmask_b32_e64 v12, 0, 1, s[26:27]
	s_and_b64 s[26:27], s[24:25], s[42:43]
	v_cndmask_b32_e64 v13, 0, 1, s[26:27]
	s_and_b64 s[26:27], s[2:3], s[44:45]
	s_and_b64 s[2:3], s[2:3], s[52:53]
	v_cndmask_b32_e64 v14, 0, 1, s[26:27]
	s_and_b64 s[26:27], s[20:21], s[46:47]
	v_cndmask_b32_e64 v31, 0, 1, s[2:3]
	;; [unrolled: 2-line block ×7, first 2 shown]
	v_cndmask_b32_e64 v48, 0, 1, s[2:3]
	v_cmp_ne_u32_e64 s[2:3], 0, v4
	v_cmp_ne_u32_e64 s[20:21], 0, v5
	;; [unrolled: 1-line block ×11, first 2 shown]
	s_bcnt1_i32_b64 s2, s[2:3]
	s_bcnt1_i32_b64 s3, s[20:21]
	;; [unrolled: 1-line block ×8, first 2 shown]
	v_cmp_ne_u32_e64 s[34:35], 0, v13
	v_cmp_ne_u32_e64 s[40:41], 0, v18
	;; [unrolled: 1-line block ×3, first 2 shown]
	s_bcnt1_i32_b64 s23, s[28:29]
	s_bcnt1_i32_b64 s27, s[38:39]
	;; [unrolled: 1-line block ×3, first 2 shown]
	s_add_i32 s2, s84, s2
	s_add_i32 s22, s85, s22
	;; [unrolled: 1-line block ×4, first 2 shown]
	v_cmp_ne_u32_e64 s[42:43], 0, v30
	v_cmp_ne_u32_e64 s[50:51], 0, v48
	s_bcnt1_i32_b64 s25, s[34:35]
	s_bcnt1_i32_b64 s28, s[40:41]
	;; [unrolled: 1-line block ×3, first 2 shown]
	s_add_i32 s22, s22, s23
	s_add_i32 s2, s2, s3
	;; [unrolled: 1-line block ×4, first 2 shown]
	s_bcnt1_i32_b64 s29, s[42:43]
	s_bcnt1_i32_b64 s35, s[50:51]
	s_add_i32 s2, s2, s20
	s_add_i32 s20, s22, s24
	;; [unrolled: 1-line block ×8, first 2 shown]
	s_or_b64 s[82:83], vcc, s[82:83]
	v_mov_b64_e32 v[8:9], s[84:85]
	v_mov_b64_e32 v[10:11], s[86:87]
	s_andn2_b64 exec, exec, s[82:83]
	s_cbranch_execnz .LBB40_49
; %bb.50:                               ;   in Loop: Header=BB40_7 Depth=1
	s_or_b64 exec, exec, s[82:83]
	s_or_b64 exec, exec, s[66:67]
	v_mov_b64_e32 v[12:13], 0
	s_and_saveexec_b64 s[2:3], s[12:13]
	s_cbranch_execz .LBB40_47
.LBB40_51:                              ;   in Loop: Header=BB40_7 Depth=1
	global_load_dwordx2 v[12:13], v[24:25], off
	s_or_b64 exec, exec, s[2:3]
	s_and_saveexec_b64 s[20:21], s[14:15]
	s_cbranch_execz .LBB40_57
.LBB40_52:                              ;   in Loop: Header=BB40_7 Depth=1
	s_mov_b64 s[22:23], 0
	s_waitcnt vmcnt(0)
	v_mov_b32_e32 v4, v43
	v_mov_b32_e32 v2, v38
	s_branch .LBB40_54
.LBB40_53:                              ;   in Loop: Header=BB40_54 Depth=2
	s_or_b64 exec, exec, s[2:3]
	v_ashrrev_i32_e32 v5, 31, v13
	v_or_b32_e32 v18, 0x80000000, v5
	v_xor_b32_e32 v18, v18, v13
	v_xor_b32_e32 v5, v5, v12
	v_cmp_o_f64_e32 vcc, v[12:13], v[12:13]
	v_add_u32_e32 v4, s33, v4
	s_nop 0
	v_cndmask_b32_e32 v13, -1, v18, vcc
	v_cndmask_b32_e32 v12, -1, v5, vcc
	v_and_b32_e32 v31, v13, v29
	v_and_b32_e32 v30, v12, v28
	v_lshrrev_b64 v[12:13], s17, v[12:13]
	v_and_b32_e32 v18, 3, v12
	v_cmp_eq_u64_e32 vcc, v[30:31], v[26:27]
	v_cmp_eq_u64_e64 s[2:3], 0, v[18:19]
	s_and_b64 s[2:3], vcc, s[2:3]
	s_waitcnt vmcnt(0)
	v_mov_b64_e32 v[12:13], v[14:15]
	v_cndmask_b32_e64 v5, 0, 1, s[2:3]
	v_cmp_ne_u32_e64 s[2:3], 0, v5
	s_bcnt1_i32_b64 s24, s[2:3]
	v_cmp_eq_u64_e64 s[2:3], 1, v[18:19]
	s_and_b64 s[2:3], vcc, s[2:3]
	v_add_u32_e32 v8, s24, v8
	v_cndmask_b32_e64 v5, 0, 1, s[2:3]
	v_cmp_ne_u32_e64 s[2:3], 0, v5
	s_bcnt1_i32_b64 s2, s[2:3]
	s_nop 0
	v_add_u32_e32 v9, s2, v9
	v_cmp_eq_u64_e64 s[2:3], 2, v[18:19]
	s_and_b64 s[2:3], vcc, s[2:3]
	s_nop 0
	v_cndmask_b32_e64 v5, 0, 1, s[2:3]
	v_cmp_ne_u32_e64 s[2:3], 0, v5
	s_bcnt1_i32_b64 s24, s[2:3]
	v_cmp_eq_u64_e64 s[2:3], 3, v[18:19]
	s_and_b64 s[2:3], vcc, s[2:3]
	v_add_u32_e32 v10, s24, v10
	v_cndmask_b32_e64 v5, 0, 1, s[2:3]
	v_cmp_ne_u32_e32 vcc, 0, v5
	s_bcnt1_i32_b64 s2, vcc
	v_cmp_le_i32_e32 vcc, s60, v2
	v_add_u32_e32 v11, s2, v11
	s_or_b64 s[22:23], vcc, s[22:23]
	s_andn2_b64 exec, exec, s[22:23]
	s_cbranch_execz .LBB40_56
.LBB40_54:                              ;   Parent Loop BB40_7 Depth=1
                                        ; =>  This Inner Loop Header: Depth=2
	v_add_u32_e32 v2, s62, v2
	v_cmp_gt_u32_e32 vcc, s60, v2
	v_mov_b64_e32 v[14:15], 0
	s_and_saveexec_b64 s[2:3], vcc
	s_cbranch_execz .LBB40_53
; %bb.55:                               ;   in Loop: Header=BB40_54 Depth=2
	v_ashrrev_i32_e32 v5, 31, v4
	v_lshl_add_u64 v[14:15], v[4:5], 3, s[68:69]
	global_load_dwordx2 v[14:15], v[14:15], off
	s_branch .LBB40_53
.LBB40_56:                              ;   in Loop: Header=BB40_7 Depth=1
	s_or_b64 exec, exec, s[22:23]
.LBB40_57:                              ;   in Loop: Header=BB40_7 Depth=1
	s_or_b64 exec, exec, s[20:21]
	s_branch .LBB40_37
.LBB40_58:                              ;   in Loop: Header=BB40_7 Depth=1
	s_mul_hi_u32 s2, s71, s8
	s_mul_i32 s2, s2, s70
	s_sub_i32 s2, s71, s2
	s_sub_i32 s3, s2, s70
	s_cmp_ge_u32 s2, s70
	s_cselect_b32 s2, s3, s2
	s_sub_i32 s3, s2, s70
	s_cmp_ge_u32 s2, s70
	s_cselect_b32 s2, s3, s2
	s_sub_i32 s78, s71, s2
	v_mov_b32_e32 v18, v19
	v_cmp_gt_u32_e32 vcc, s78, v23
	v_mov_b64_e32 v[10:11], v[18:19]
	v_mov_b64_e32 v[8:9], v[18:19]
	s_and_saveexec_b64 s[66:67], vcc
	s_cbranch_execz .LBB40_62
; %bb.59:                               ;   in Loop: Header=BB40_7 Depth=1
	s_mov_b32 s84, 0
	s_mov_b64 s[82:83], 0
	v_mov_b32_e32 v2, v44
	v_mov_b32_e32 v48, v23
	s_mov_b32 s85, s84
	s_mov_b32 s86, s84
	;; [unrolled: 1-line block ×3, first 2 shown]
.LBB40_60:                              ;   Parent Loop BB40_7 Depth=1
                                        ; =>  This Inner Loop Header: Depth=2
	s_waitcnt vmcnt(0)
	ds_read_b128 v[12:15], v2
	ds_read_b128 v[8:11], v2 offset:16
	v_mov_b32_e32 v5, v19
	v_mov_b32_e32 v31, v19
	;; [unrolled: 1-line block ×3, first 2 shown]
	s_waitcnt lgkmcnt(1)
	v_ashrrev_i32_e32 v4, 31, v13
	v_ashrrev_i32_e32 v18, 31, v15
	s_waitcnt lgkmcnt(0)
	v_ashrrev_i32_e32 v30, 31, v9
	v_ashrrev_i32_e32 v32, 31, v11
	v_xor_b32_e32 v52, v18, v14
	v_cmp_o_f64_e64 s[2:3], v[14:15], v[14:15]
	v_xor_b32_e32 v14, v30, v8
	v_cmp_o_f64_e64 s[20:21], v[8:9], v[8:9]
	v_xor_b32_e32 v8, v4, v12
	v_or_b32_e32 v4, 0x80000000, v4
	v_xor_b32_e32 v53, v32, v10
	v_cmp_o_f64_e64 s[22:23], v[10:11], v[10:11]
	v_cmp_o_f64_e64 s[24:25], v[12:13], v[12:13]
	v_or_b32_e32 v10, 0x80000000, v18
	v_or_b32_e32 v12, 0x80000000, v30
	v_xor_b32_e32 v4, v4, v13
	v_or_b32_e32 v18, 0x80000000, v32
	v_xor_b32_e32 v13, v10, v15
	v_xor_b32_e32 v15, v12, v9
	v_cndmask_b32_e64 v8, -1, v8, s[24:25]
	v_cndmask_b32_e64 v9, -1, v4, s[24:25]
	v_xor_b32_e32 v18, v18, v11
	v_cndmask_b32_e64 v10, -1, v52, s[2:3]
	v_cndmask_b32_e64 v12, -1, v14, s[20:21]
	;; [unrolled: 1-line block ×4, first 2 shown]
	v_and_b32_e32 v52, v8, v28
	v_and_b32_e32 v53, v9, v29
	v_lshrrev_b64 v[8:9], s17, v[8:9]
	v_cndmask_b32_e64 v13, -1, v15, s[20:21]
	v_cndmask_b32_e64 v15, -1, v18, s[22:23]
	v_and_b32_e32 v54, v10, v28
	v_and_b32_e32 v55, v11, v29
	v_lshrrev_b64 v[10:11], s17, v[10:11]
	v_and_b32_e32 v18, 3, v8
	v_and_b32_e32 v56, v12, v28
	v_and_b32_e32 v57, v13, v29
	v_lshrrev_b64 v[12:13], s17, v[12:13]
	v_cmp_eq_u64_e64 s[2:3], v[52:53], v[26:27]
	v_and_b32_e32 v4, 3, v10
	v_cmp_eq_u64_e64 s[26:27], 0, v[18:19]
	v_and_b32_e32 v58, v14, v28
	v_and_b32_e32 v59, v15, v29
	v_lshrrev_b64 v[14:15], s17, v[14:15]
	v_cmp_eq_u64_e64 s[20:21], v[54:55], v[26:27]
	v_and_b32_e32 v30, 3, v12
	v_cmp_eq_u64_e64 s[28:29], 0, v[4:5]
	s_and_b64 s[26:27], s[2:3], s[26:27]
	v_cmp_eq_u64_e64 s[22:23], v[56:57], v[26:27]
	v_and_b32_e32 v32, 3, v14
	v_cmp_eq_u64_e64 s[30:31], 0, v[30:31]
	v_cmp_eq_u64_e64 s[38:39], 1, v[4:5]
	;; [unrolled: 1-line block ×4, first 2 shown]
	v_cndmask_b32_e64 v4, 0, 1, s[26:27]
	s_and_b64 s[26:27], s[20:21], s[28:29]
	v_cmp_eq_u64_e64 s[24:25], v[58:59], v[26:27]
	v_cmp_eq_u64_e64 s[34:35], 0, v[32:33]
	v_cndmask_b32_e64 v5, 0, 1, s[26:27]
	s_and_b64 s[26:27], s[22:23], s[30:31]
	v_cmp_eq_u64_e64 s[36:37], 1, v[18:19]
	v_cndmask_b32_e64 v8, 0, 1, s[26:27]
	s_and_b64 s[26:27], s[24:25], s[34:35]
	v_cndmask_b32_e64 v9, 0, 1, s[26:27]
	s_and_b64 s[26:27], s[2:3], s[36:37]
	v_cmp_eq_u64_e64 s[40:41], 1, v[30:31]
	v_cndmask_b32_e64 v10, 0, 1, s[26:27]
	s_and_b64 s[26:27], s[20:21], s[38:39]
	v_cmp_eq_u64_e64 s[42:43], 1, v[32:33]
	;; [unrolled: 3-line block ×3, first 2 shown]
	v_cmp_eq_u64_e64 s[52:53], 3, v[18:19]
	v_cndmask_b32_e64 v12, 0, 1, s[26:27]
	s_and_b64 s[26:27], s[24:25], s[42:43]
	v_cndmask_b32_e64 v13, 0, 1, s[26:27]
	s_and_b64 s[26:27], s[2:3], s[44:45]
	s_and_b64 s[2:3], s[2:3], s[52:53]
	v_cmp_eq_u64_e64 s[48:49], 2, v[30:31]
	v_cmp_eq_u64_e64 s[56:57], 3, v[30:31]
	v_cndmask_b32_e64 v14, 0, 1, s[26:27]
	s_and_b64 s[26:27], s[20:21], s[46:47]
	v_cndmask_b32_e64 v31, 0, 1, s[2:3]
	s_and_b64 s[2:3], s[20:21], s[54:55]
	v_cmp_eq_u64_e64 s[50:51], 2, v[32:33]
	v_cmp_eq_u64_e64 s[58:59], 3, v[32:33]
	v_cndmask_b32_e64 v15, 0, 1, s[26:27]
	s_and_b64 s[26:27], s[22:23], s[48:49]
	v_cndmask_b32_e64 v32, 0, 1, s[2:3]
	s_and_b64 s[2:3], s[22:23], s[56:57]
	;; [unrolled: 2-line block ×4, first 2 shown]
	v_cndmask_b32_e64 v30, 0, 1, s[26:27]
	v_cndmask_b32_e64 v52, 0, 1, s[2:3]
	v_cmp_ne_u32_e64 s[2:3], 0, v4
	v_cmp_ne_u32_e64 s[20:21], 0, v5
	;; [unrolled: 1-line block ×11, first 2 shown]
	s_bcnt1_i32_b64 s2, s[2:3]
	s_bcnt1_i32_b64 s3, s[20:21]
	;; [unrolled: 1-line block ×8, first 2 shown]
	v_cmp_ne_u32_e64 s[34:35], 0, v13
	v_cmp_ne_u32_e64 s[40:41], 0, v18
	;; [unrolled: 1-line block ×3, first 2 shown]
	s_bcnt1_i32_b64 s23, s[28:29]
	s_bcnt1_i32_b64 s27, s[38:39]
	;; [unrolled: 1-line block ×3, first 2 shown]
	s_add_i32 s2, s84, s2
	s_add_i32 s22, s85, s22
	;; [unrolled: 1-line block ×4, first 2 shown]
	v_cmp_ne_u32_e64 s[42:43], 0, v30
	v_cmp_ne_u32_e64 s[50:51], 0, v52
	s_bcnt1_i32_b64 s25, s[34:35]
	s_bcnt1_i32_b64 s28, s[40:41]
	;; [unrolled: 1-line block ×3, first 2 shown]
	s_add_i32 s22, s22, s23
	s_add_i32 s2, s2, s3
	;; [unrolled: 1-line block ×4, first 2 shown]
	v_add_u32_e32 v48, s70, v48
	s_bcnt1_i32_b64 s29, s[42:43]
	s_bcnt1_i32_b64 s35, s[50:51]
	s_add_i32 s2, s2, s20
	s_add_i32 s20, s22, s24
	;; [unrolled: 1-line block ×4, first 2 shown]
	v_cmp_le_i32_e32 vcc, s78, v48
	s_add_i32 s85, s20, s25
	s_add_i32 s84, s2, s21
	;; [unrolled: 1-line block ×4, first 2 shown]
	v_add_u32_e32 v2, s81, v2
	s_or_b64 s[82:83], vcc, s[82:83]
	v_mov_b64_e32 v[8:9], s[84:85]
	v_mov_b64_e32 v[10:11], s[86:87]
	s_andn2_b64 exec, exec, s[82:83]
	s_cbranch_execnz .LBB40_60
; %bb.61:                               ;   in Loop: Header=BB40_7 Depth=1
	s_or_b64 exec, exec, s[82:83]
.LBB40_62:                              ;   in Loop: Header=BB40_7 Depth=1
	s_or_b64 exec, exec, s[66:67]
	v_add_u32_e32 v2, s78, v0
	v_cmp_gt_i32_e32 vcc, s71, v2
	s_and_saveexec_b64 s[28:29], vcc
	s_cbranch_execz .LBB40_66
; %bb.63:                               ;   in Loop: Header=BB40_7 Depth=1
	s_waitcnt vmcnt(0)
	v_lshlrev_b32_e32 v4, 3, v2
	s_mov_b64 s[30:31], 0
.LBB40_64:                              ;   Parent Loop BB40_7 Depth=1
                                        ; =>  This Inner Loop Header: Depth=2
	ds_read_b64 v[12:13], v4
	v_add_u32_e32 v2, s62, v2
	v_cmp_le_i32_e32 vcc, s71, v2
	v_add_u32_e32 v4, s16, v4
	s_waitcnt lgkmcnt(0)
	v_ashrrev_i32_e32 v5, 31, v13
	v_or_b32_e32 v14, 0x80000000, v5
	v_xor_b32_e32 v5, v5, v12
	v_xor_b32_e32 v14, v14, v13
	v_cmp_o_f64_e64 s[2:3], v[12:13], v[12:13]
	s_nop 1
	v_cndmask_b32_e64 v13, -1, v14, s[2:3]
	v_cndmask_b32_e64 v12, -1, v5, s[2:3]
	v_and_b32_e32 v15, v13, v29
	v_and_b32_e32 v14, v12, v28
	v_lshrrev_b64 v[12:13], s17, v[12:13]
	v_and_b32_e32 v18, 3, v12
	v_cmp_eq_u64_e64 s[2:3], v[14:15], v[26:27]
	v_cmp_eq_u64_e64 s[20:21], 0, v[18:19]
	;; [unrolled: 1-line block ×3, first 2 shown]
	s_and_b64 s[20:21], s[2:3], s[20:21]
	v_cmp_eq_u64_e64 s[24:25], 2, v[18:19]
	v_cmp_eq_u64_e64 s[26:27], 3, v[18:19]
	v_cndmask_b32_e64 v5, 0, 1, s[20:21]
	s_and_b64 s[20:21], s[2:3], s[22:23]
	v_cndmask_b32_e64 v12, 0, 1, s[20:21]
	s_and_b64 s[20:21], s[2:3], s[24:25]
	s_and_b64 s[2:3], s[2:3], s[26:27]
	v_cndmask_b32_e64 v13, 0, 1, s[20:21]
	v_cndmask_b32_e64 v14, 0, 1, s[2:3]
	v_cmp_ne_u32_e64 s[2:3], 0, v5
	v_cmp_ne_u32_e64 s[20:21], 0, v12
	;; [unrolled: 1-line block ×4, first 2 shown]
	s_bcnt1_i32_b64 s2, s[2:3]
	s_bcnt1_i32_b64 s3, s[20:21]
	;; [unrolled: 1-line block ×4, first 2 shown]
	v_add_u32_e32 v9, s3, v9
	v_add_u32_e32 v8, s2, v8
	;; [unrolled: 1-line block ×3, first 2 shown]
	s_or_b64 s[30:31], vcc, s[30:31]
	v_add_u32_e32 v10, s20, v10
	s_andn2_b64 exec, exec, s[30:31]
	s_cbranch_execnz .LBB40_64
; %bb.65:                               ;   in Loop: Header=BB40_7 Depth=1
	s_or_b64 exec, exec, s[30:31]
.LBB40_66:                              ;   in Loop: Header=BB40_7 Depth=1
	s_or_b64 exec, exec, s[28:29]
	s_lshl_b32 s22, s61, 6
	s_and_saveexec_b64 s[2:3], s[0:1]
	s_cbranch_execnz .LBB40_38
	s_branch .LBB40_39
.LBB40_67:                              ;   in Loop: Header=BB40_7 Depth=1
	s_or_b64 exec, exec, s[22:23]
	s_waitcnt lgkmcnt(0)
	s_barrier
	s_and_saveexec_b64 s[2:3], s[18:19]
	s_cbranch_execz .LBB40_69
; %bb.68:                               ;   in Loop: Header=BB40_7 Depth=1
	ds_read_b32 v2, v19 offset:4104
	s_waitcnt lgkmcnt(0)
	ds_write_b32 v19, v2 offset:4096
.LBB40_69:                              ;   in Loop: Header=BB40_7 Depth=1
	s_or_b64 exec, exec, s[2:3]
	s_waitcnt lgkmcnt(0)
	s_barrier
	s_mov_b64 s[2:3], -1
	s_and_b64 vcc, exec, s[20:21]
	s_cbranch_vccnz .LBB40_23
	s_branch .LBB40_33
.LBB40_70:                              ;   in Loop: Header=BB40_7 Depth=1
	v_mov_b32_e32 v4, 0
	s_mov_b32 s23, 0
	s_cbranch_execnz .LBB40_75
	s_branch .LBB40_77
.LBB40_71:                              ;   in Loop: Header=BB40_7 Depth=1
	v_mov_b32_e32 v18, v19
	v_readlane_b32 s20, v60, 27
	v_mov_b64_e32 v[4:5], v[18:19]
	v_readlane_b32 s21, v60, 28
.LBB40_72:                              ;   in Loop: Header=BB40_7 Depth=1
	v_readlane_b32 s24, v60, 18
	v_readlane_b32 s25, v60, 19
	s_andn2_b64 vcc, exec, s[24:25]
	v_readlane_b32 s23, v60, 17
	s_cbranch_vccnz .LBB40_74
.LBB40_73:                              ;   Parent Loop BB40_7 Depth=1
                                        ; =>  This Inner Loop Header: Depth=2
	v_lshl_add_u32 v9, s20, 4, v8
	v_lshl_add_u32 v10, s21, 4, v8
	ds_read_b32 v10, v10
	ds_read_b32 v9, v9
	s_add_i32 s21, s21, 2
	s_add_i32 s20, s20, 2
	s_add_i32 s23, s23, -1
	s_cmp_lg_u32 s23, 0
	s_waitcnt lgkmcnt(1)
	v_add_u32_e32 v5, v10, v5
	s_waitcnt lgkmcnt(0)
	v_add_u32_e32 v4, v9, v4
	s_cbranch_scc1 .LBB40_73
.LBB40_74:                              ;   in Loop: Header=BB40_7 Depth=1
	v_readlane_b32 s20, v60, 22
	v_add_u32_e32 v4, v4, v5
	v_readlane_b32 s23, v60, 21
	v_readlane_b32 s21, v60, 23
	s_and_b64 vcc, exec, s[20:21]
	s_cbranch_vccz .LBB40_77
.LBB40_75:                              ;   in Loop: Header=BB40_7 Depth=1
	s_lshl_b32 s20, s61, 8
	s_lshl_b32 s21, s23, 4
	s_add_i32 s20, s20, s21
	v_add_u32_e32 v5, s20, v45
	v_readlane_b32 s20, v60, 20
	s_sub_i32 s20, s20, s23
.LBB40_76:                              ;   Parent Loop BB40_7 Depth=1
                                        ; =>  This Inner Loop Header: Depth=2
	ds_read_b32 v8, v5
	s_add_i32 s20, s20, -1
	v_add_u32_e32 v5, 16, v5
	s_cmp_eq_u32 s20, 0
	s_waitcnt lgkmcnt(0)
	v_add_u32_e32 v4, v8, v4
	s_cbranch_scc0 .LBB40_76
.LBB40_77:                              ;   in Loop: Header=BB40_7 Depth=1
	v_lshlrev_b32_e32 v2, 2, v2
	ds_write_b32 v2, v4 offset:3072
.LBB40_78:                              ;   in Loop: Header=BB40_7 Depth=1
	s_or_b64 exec, exec, s[2:3]
	s_lshl_b32 s2, s22, 2
	v_mov_b32_e32 v2, s2
	s_waitcnt lgkmcnt(0)
	s_barrier
	ds_read_b128 v[8:11], v2 offset:3072
	s_lshl_b64 s[2:3], 3, s17
	s_not_b64 s[30:31], s[2:3]
	v_cmp_eq_u32_e32 vcc, 1, v47
	s_mov_b64 s[22:23], -1
	s_waitcnt lgkmcnt(0)
	v_readfirstlane_b32 s46, v8
	s_cmp_eq_u32 s46, 1
	s_cselect_b64 s[20:21], -1, 0
	v_readfirstlane_b32 s50, v9
	v_readfirstlane_b32 s58, v10
	;; [unrolled: 1-line block ×3, first 2 shown]
	s_and_b64 s[24:25], s[20:21], vcc
	s_mov_b64 s[34:35], -1
                                        ; implicit-def: $sgpr28_sgpr29
                                        ; implicit-def: $sgpr26_sgpr27
	s_and_saveexec_b64 s[20:21], s[24:25]
	s_cbranch_execz .LBB40_106
; %bb.79:                               ;   in Loop: Header=BB40_7 Depth=1
	ds_read_b32 v2, v19 offset:4096
	s_waitcnt lgkmcnt(0)
	s_barrier
	v_readfirstlane_b32 s47, v2
	s_and_saveexec_b64 s[26:27], s[4:5]
; %bb.80:                               ;   in Loop: Header=BB40_7 Depth=1
	ds_write_b64 v36, v[50:51]
; %bb.81:                               ;   in Loop: Header=BB40_7 Depth=1
	s_or_b64 exec, exec, s[26:27]
	v_and_b32_e32 v27, s31, v27
	v_and_b32_e32 v26, s30, v26
	v_or_b32_e32 v29, s3, v29
	v_or_b32_e32 v28, s2, v28
	s_mov_b64 s[26:27], -1
	s_mov_b64 s[28:29], 0
	s_cmp_lt_i32 s47, 1
	s_mov_b64 s[34:35], 0
	s_mov_b64 s[36:37], -1
	s_waitcnt lgkmcnt(0)
	s_barrier
                                        ; implicit-def: $vgpr6_vgpr7
	s_cbranch_scc0 .LBB40_93
; %bb.82:                               ;   in Loop: Header=BB40_7 Depth=1
	s_mov_b64 s[36:37], 0
                                        ; implicit-def: $vgpr6_vgpr7
	s_mov_b64 s[38:39], exec
	v_readlane_b32 s40, v60, 25
	v_readlane_b32 s41, v60, 26
	s_and_b64 s[40:41], s[38:39], s[40:41]
	s_mov_b64 exec, s[40:41]
	s_cbranch_execz .LBB40_92
; %bb.83:                               ;   in Loop: Header=BB40_7 Depth=1
	v_mov_b32_e32 v8, v16
	v_mov_b32_e32 v10, v0
                                        ; implicit-def: $sgpr40_sgpr41
	s_branch .LBB40_87
.LBB40_84:                              ;   in Loop: Header=BB40_87 Depth=2
	s_or_b64 exec, exec, s[42:43]
	s_waitcnt lgkmcnt(0)
	s_barrier
	s_waitcnt vmcnt(0)
	ds_read_b128 v[4:7], v19 offset:3072
	s_waitcnt lgkmcnt(0)
	s_barrier
	v_cmp_neq_f64_e32 vcc, 0, v[4:5]
	s_cbranch_vccnz .LBB40_90
; %bb.85:                               ;   in Loop: Header=BB40_87 Depth=2
	v_add_u32_e32 v10, s62, v10
	v_cmp_le_i32_e32 vcc, s79, v10
	v_add_u32_e32 v8, s33, v8
	s_mov_b64 s[42:43], 0
	s_orn2_b64 s[44:45], vcc, exec
.LBB40_86:                              ;   in Loop: Header=BB40_87 Depth=2
	s_and_b64 s[44:45], exec, s[44:45]
	s_or_b64 s[34:35], s[44:45], s[34:35]
	s_andn2_b64 s[40:41], s[40:41], exec
	s_and_b64 s[42:43], s[42:43], exec
	s_or_b64 s[40:41], s[40:41], s[42:43]
	s_andn2_b64 exec, exec, s[34:35]
	s_cbranch_execz .LBB40_91
.LBB40_87:                              ;   Parent Loop BB40_7 Depth=1
                                        ; =>  This Inner Loop Header: Depth=2
	v_cmp_gt_i32_e32 vcc, s60, v10
	s_and_saveexec_b64 s[42:43], vcc
	s_cbranch_execz .LBB40_84
; %bb.88:                               ;   in Loop: Header=BB40_87 Depth=2
	v_ashrrev_i32_e32 v9, 31, v8
	s_waitcnt vmcnt(0)
	v_lshl_add_u64 v[4:5], v[8:9], 3, s[68:69]
	global_load_dwordx2 v[4:5], v[4:5], off
	s_waitcnt vmcnt(0)
	v_ashrrev_i32_e32 v2, 31, v5
	v_or_b32_e32 v6, 0x80000000, v2
	v_xor_b32_e32 v2, v2, v4
	v_xor_b32_e32 v6, v6, v5
	v_cmp_o_f64_e32 vcc, v[4:5], v[4:5]
	s_nop 1
	v_cndmask_b32_e32 v2, -1, v2, vcc
	v_cndmask_b32_e32 v6, -1, v6, vcc
	v_and_b32_e32 v7, v6, v29
	v_and_b32_e32 v6, v2, v28
	v_cmp_eq_u64_e32 vcc, v[6:7], v[26:27]
	s_and_b64 exec, exec, vcc
	s_cbranch_execz .LBB40_84
; %bb.89:                               ;   in Loop: Header=BB40_87 Depth=2
	v_mov_b32_e32 v2, v19
	ds_write_b128 v19, v[2:5] offset:3072
	s_branch .LBB40_84
.LBB40_90:                              ;   in Loop: Header=BB40_87 Depth=2
	s_mov_b64 s[44:45], -1
                                        ; implicit-def: $vgpr10
                                        ; implicit-def: $vgpr8
	s_mov_b64 s[42:43], -1
	s_branch .LBB40_86
.LBB40_91:                              ;   in Loop: Header=BB40_7 Depth=1
	s_or_b64 exec, exec, s[34:35]
	s_and_b64 s[34:35], s[40:41], exec
.LBB40_92:                              ;   in Loop: Header=BB40_7 Depth=1
	s_or_b64 exec, exec, s[38:39]
.LBB40_93:                              ;   in Loop: Header=BB40_7 Depth=1
	s_and_b64 vcc, exec, s[36:37]
	s_cbranch_vccz .LBB40_105
; %bb.94:                               ;   in Loop: Header=BB40_7 Depth=1
	v_readlane_b32 s26, v60, 7
	s_add_i32 s42, s47, s26
	s_abs_i32 s27, s42
	v_readlane_b32 s28, v60, 24
	s_mul_hi_u32 s28, s27, s28
	s_mul_i32 s28, s28, s62
	s_sub_i32 s27, s27, s28
	s_ashr_i32 s26, s42, 31
	s_sub_i32 s28, s27, s62
	s_cmp_ge_u32 s27, s62
	s_cselect_b32 s27, s28, s27
	s_sub_i32 s28, s27, s62
	s_cmp_ge_u32 s27, s62
	s_cselect_b32 s27, s28, s27
	s_xor_b32 s27, s27, s26
	s_sub_i32 s26, s26, s27
	s_add_i32 s42, s42, s26
	v_cmp_gt_i32_e32 vcc, s42, v0
                                        ; implicit-def: $vgpr6_vgpr7
	s_and_saveexec_b64 s[26:27], vcc
	s_cbranch_execz .LBB40_104
; %bb.95:                               ;   in Loop: Header=BB40_7 Depth=1
	s_mov_b64 s[36:37], 0
	v_mov_b32_e32 v8, v35
	v_mov_b32_e32 v9, v0
                                        ; implicit-def: $sgpr28_sgpr29
	s_branch .LBB40_99
.LBB40_96:                              ;   in Loop: Header=BB40_99 Depth=2
	s_or_b64 exec, exec, s[38:39]
	s_waitcnt lgkmcnt(0)
	s_barrier
	s_waitcnt vmcnt(0)
	ds_read_b128 v[4:7], v19 offset:3072
	s_waitcnt lgkmcnt(0)
	s_barrier
	v_cmp_neq_f64_e32 vcc, 0, v[4:5]
	s_cbranch_vccnz .LBB40_102
; %bb.97:                               ;   in Loop: Header=BB40_99 Depth=2
	v_add_u32_e32 v9, s62, v9
	v_cmp_le_i32_e32 vcc, s42, v9
	v_add_u32_e32 v8, s16, v8
	s_mov_b64 s[38:39], 0
	s_orn2_b64 s[40:41], vcc, exec
.LBB40_98:                              ;   in Loop: Header=BB40_99 Depth=2
	s_and_b64 s[40:41], exec, s[40:41]
	s_or_b64 s[36:37], s[40:41], s[36:37]
	s_andn2_b64 s[28:29], s[28:29], exec
	s_and_b64 s[38:39], s[38:39], exec
	s_or_b64 s[28:29], s[28:29], s[38:39]
	s_andn2_b64 exec, exec, s[36:37]
	s_cbranch_execz .LBB40_103
.LBB40_99:                              ;   Parent Loop BB40_7 Depth=1
                                        ; =>  This Inner Loop Header: Depth=2
	v_cmp_gt_i32_e32 vcc, s47, v9
	s_and_saveexec_b64 s[38:39], vcc
	s_cbranch_execz .LBB40_96
; %bb.100:                              ;   in Loop: Header=BB40_99 Depth=2
	s_waitcnt vmcnt(0)
	ds_read_b64 v[4:5], v8
	s_waitcnt lgkmcnt(0)
	v_ashrrev_i32_e32 v2, 31, v5
	v_or_b32_e32 v6, 0x80000000, v2
	v_xor_b32_e32 v2, v2, v4
	v_xor_b32_e32 v6, v6, v5
	v_cmp_o_f64_e32 vcc, v[4:5], v[4:5]
	s_nop 1
	v_cndmask_b32_e32 v2, -1, v2, vcc
	v_cndmask_b32_e32 v6, -1, v6, vcc
	v_and_b32_e32 v7, v6, v29
	v_and_b32_e32 v6, v2, v28
	v_cmp_eq_u64_e32 vcc, v[6:7], v[26:27]
	s_and_b64 exec, exec, vcc
	s_cbranch_execz .LBB40_96
; %bb.101:                              ;   in Loop: Header=BB40_99 Depth=2
	v_mov_b32_e32 v2, v19
	ds_write_b128 v19, v[2:5] offset:3072
	s_branch .LBB40_96
.LBB40_102:                             ;   in Loop: Header=BB40_99 Depth=2
	s_mov_b64 s[40:41], -1
                                        ; implicit-def: $vgpr9
                                        ; implicit-def: $vgpr8
	s_mov_b64 s[38:39], -1
	s_branch .LBB40_98
.LBB40_103:                             ;   in Loop: Header=BB40_7 Depth=1
	s_or_b64 exec, exec, s[36:37]
	s_andn2_b64 s[34:35], s[34:35], exec
	s_and_b64 s[28:29], s[28:29], exec
	s_or_b64 s[34:35], s[34:35], s[28:29]
.LBB40_104:                             ;   in Loop: Header=BB40_7 Depth=1
	s_or_b64 exec, exec, s[26:27]
	s_mov_b64 s[26:27], 0
	s_mov_b64 s[28:29], -1
.LBB40_105:                             ;   in Loop: Header=BB40_7 Depth=1
	s_orn2_b64 s[34:35], s[34:35], exec
.LBB40_106:                             ;   in Loop: Header=BB40_7 Depth=1
	s_or_b64 exec, exec, s[20:21]
	s_andn2_b64 s[20:21], s[64:65], exec
	s_and_b64 s[28:29], s[28:29], exec
	s_or_b64 s[64:65], s[20:21], s[28:29]
	s_andn2_b64 s[20:21], s[98:99], exec
	s_and_b64 s[26:27], s[26:27], exec
	v_readfirstlane_b32 s36, v0
	v_readfirstlane_b32 s37, v0
	s_andn2_b64 s[96:97], s[96:97], exec
	s_or_b64 s[98:99], s[20:21], s[26:27]
                                        ; implicit-def: $vgpr11
	s_and_saveexec_b64 s[20:21], s[34:35]
	s_cbranch_execz .LBB40_6
; %bb.107:                              ;   in Loop: Header=BB40_7 Depth=1
	s_xor_b64 s[26:27], s[24:25], -1
	s_mov_b64 s[24:25], 0
	v_mov_b32_e32 v11, 1
	v_mov_b32_e32 v10, 1
	s_and_saveexec_b64 s[22:23], s[26:27]
	s_cbranch_execz .LBB40_116
; %bb.108:                              ;   in Loop: Header=BB40_7 Depth=1
	v_cmp_ge_i32_e32 vcc, s46, v47
	s_and_saveexec_b64 s[24:25], vcc
	s_xor_b64 s[24:25], exec, s[24:25]
	s_cbranch_execz .LBB40_113
; %bb.109:                              ;   in Loop: Header=BB40_7 Depth=1
	ds_read_b32 v2, v19 offset:4096
	v_and_b32_e32 v27, s31, v27
	v_and_b32_e32 v26, s30, v26
	v_or_b32_e32 v29, s3, v29
	v_or_b32_e32 v28, s2, v28
	s_waitcnt lgkmcnt(0)
	v_cmp_ne_u32_e32 vcc, 0, v2
	s_cbranch_vccnz .LBB40_113
; %bb.110:                              ;   in Loop: Header=BB40_7 Depth=1
	s_and_saveexec_b64 s[26:27], s[18:19]
; %bb.111:                              ;   in Loop: Header=BB40_7 Depth=1
	v_mov_b32_e32 v2, s46
	ds_write_b32 v19, v2 offset:4100
; %bb.112:                              ;   in Loop: Header=BB40_7 Depth=1
	s_or_b64 exec, exec, s[26:27]
	s_waitcnt lgkmcnt(0)
	s_barrier
.LBB40_113:                             ;   in Loop: Header=BB40_7 Depth=1
	s_or_saveexec_b64 s[24:25], s[24:25]
	s_mov_b64 s[26:27], 0
	v_mov_b32_e32 v10, 8
	s_xor_b64 exec, exec, s[24:25]
; %bb.114:                              ;   in Loop: Header=BB40_7 Depth=1
	s_mov_b64 s[26:27], exec
	v_subrev_u32_e32 v47, s46, v47
	v_mov_b32_e32 v10, 0
; %bb.115:                              ;   in Loop: Header=BB40_7 Depth=1
	s_or_b64 exec, exec, s[24:25]
	s_and_b64 s[24:25], s[26:27], exec
	v_mov_b32_e32 v11, v47
.LBB40_116:                             ;   in Loop: Header=BB40_7 Depth=1
	s_or_b64 exec, exec, s[22:23]
	s_mov_b64 s[22:23], -1
	s_mov_b64 s[34:35], -1
                                        ; implicit-def: $sgpr26_sgpr27
                                        ; implicit-def: $sgpr28_sgpr29
	s_and_saveexec_b64 s[36:37], s[24:25]
	s_xor_b64 s[24:25], exec, s[36:37]
	s_cbranch_execz .LBB40_239
; %bb.117:                              ;   in Loop: Header=BB40_7 Depth=1
	s_cmp_eq_u32 s50, 1
	s_cselect_b64 s[26:27], -1, 0
	v_cmp_eq_u32_e32 vcc, 1, v11
	s_and_b64 s[36:37], s[26:27], vcc
	s_mov_b64 s[38:39], -1
                                        ; implicit-def: $sgpr28_sgpr29
                                        ; implicit-def: $sgpr26_sgpr27
	s_and_saveexec_b64 s[34:35], s[36:37]
	s_cbranch_execz .LBB40_145
; %bb.118:                              ;   in Loop: Header=BB40_7 Depth=1
	ds_read_b32 v2, v19 offset:4096
	s_waitcnt lgkmcnt(0)
	s_barrier
	v_readfirstlane_b32 s51, v2
	s_and_saveexec_b64 s[26:27], s[4:5]
; %bb.119:                              ;   in Loop: Header=BB40_7 Depth=1
	ds_write_b64 v36, v[50:51]
; %bb.120:                              ;   in Loop: Header=BB40_7 Depth=1
	s_or_b64 exec, exec, s[26:27]
	s_lshl_b64 s[26:27], 1, s17
	v_and_b32_e32 v2, s31, v27
	s_waitcnt vmcnt(0)
	v_and_b32_e32 v4, s30, v26
	v_or_b32_e32 v27, s27, v2
	v_or_b32_e32 v26, s26, v4
	;; [unrolled: 1-line block ×4, first 2 shown]
	s_mov_b64 s[26:27], -1
	s_mov_b64 s[28:29], 0
	s_cmp_gt_i32 s51, 0
	s_mov_b64 s[38:39], 0
	s_mov_b64 s[40:41], -1
	s_waitcnt lgkmcnt(0)
	s_barrier
                                        ; implicit-def: $vgpr6_vgpr7
	s_cbranch_scc1 .LBB40_132
; %bb.121:                              ;   in Loop: Header=BB40_7 Depth=1
	s_mov_b64 s[40:41], 0
                                        ; implicit-def: $vgpr6_vgpr7
	s_mov_b64 s[42:43], exec
	v_readlane_b32 s44, v60, 25
	v_readlane_b32 s45, v60, 26
	s_and_b64 s[44:45], s[42:43], s[44:45]
	s_mov_b64 exec, s[44:45]
	s_cbranch_execz .LBB40_131
; %bb.122:                              ;   in Loop: Header=BB40_7 Depth=1
	v_mov_b32_e32 v8, v16
	v_mov_b32_e32 v12, v0
                                        ; implicit-def: $sgpr44_sgpr45
	s_branch .LBB40_126
.LBB40_123:                             ;   in Loop: Header=BB40_126 Depth=2
	s_or_b64 exec, exec, s[46:47]
	s_waitcnt lgkmcnt(0)
	s_barrier
	ds_read_b128 v[4:7], v19 offset:3072
	s_waitcnt lgkmcnt(0)
	s_barrier
	v_cmp_neq_f64_e32 vcc, 0, v[4:5]
	s_cbranch_vccnz .LBB40_129
; %bb.124:                              ;   in Loop: Header=BB40_126 Depth=2
	v_add_u32_e32 v12, s62, v12
	v_cmp_le_i32_e32 vcc, s79, v12
	v_add_u32_e32 v8, s33, v8
	s_mov_b64 s[46:47], 0
	s_orn2_b64 s[48:49], vcc, exec
.LBB40_125:                             ;   in Loop: Header=BB40_126 Depth=2
	s_and_b64 s[48:49], exec, s[48:49]
	s_or_b64 s[38:39], s[48:49], s[38:39]
	s_andn2_b64 s[44:45], s[44:45], exec
	s_and_b64 s[46:47], s[46:47], exec
	s_or_b64 s[44:45], s[44:45], s[46:47]
	s_andn2_b64 exec, exec, s[38:39]
	s_cbranch_execz .LBB40_130
.LBB40_126:                             ;   Parent Loop BB40_7 Depth=1
                                        ; =>  This Inner Loop Header: Depth=2
	v_cmp_gt_i32_e32 vcc, s60, v12
	s_and_saveexec_b64 s[46:47], vcc
	s_cbranch_execz .LBB40_123
; %bb.127:                              ;   in Loop: Header=BB40_126 Depth=2
	v_ashrrev_i32_e32 v9, 31, v8
	v_lshl_add_u64 v[4:5], v[8:9], 3, s[68:69]
	global_load_dwordx2 v[4:5], v[4:5], off
	s_waitcnt vmcnt(0)
	v_ashrrev_i32_e32 v2, 31, v5
	v_or_b32_e32 v6, 0x80000000, v2
	v_xor_b32_e32 v2, v2, v4
	v_xor_b32_e32 v6, v6, v5
	v_cmp_o_f64_e32 vcc, v[4:5], v[4:5]
	s_nop 1
	v_cndmask_b32_e32 v2, -1, v2, vcc
	v_cndmask_b32_e32 v6, -1, v6, vcc
	v_and_b32_e32 v7, v6, v29
	v_and_b32_e32 v6, v2, v28
	v_cmp_eq_u64_e32 vcc, v[6:7], v[26:27]
	s_and_b64 exec, exec, vcc
	s_cbranch_execz .LBB40_123
; %bb.128:                              ;   in Loop: Header=BB40_126 Depth=2
	v_mov_b32_e32 v2, v19
	ds_write_b128 v19, v[2:5] offset:3072
	s_branch .LBB40_123
.LBB40_129:                             ;   in Loop: Header=BB40_126 Depth=2
	s_mov_b64 s[48:49], -1
                                        ; implicit-def: $vgpr12
                                        ; implicit-def: $vgpr8
	s_mov_b64 s[46:47], -1
	s_branch .LBB40_125
.LBB40_130:                             ;   in Loop: Header=BB40_7 Depth=1
	s_or_b64 exec, exec, s[38:39]
	s_and_b64 s[38:39], s[44:45], exec
.LBB40_131:                             ;   in Loop: Header=BB40_7 Depth=1
	s_or_b64 exec, exec, s[42:43]
.LBB40_132:                             ;   in Loop: Header=BB40_7 Depth=1
	s_and_b64 vcc, exec, s[40:41]
	s_cbranch_vccz .LBB40_144
; %bb.133:                              ;   in Loop: Header=BB40_7 Depth=1
	v_readlane_b32 s26, v60, 7
	s_add_i32 s46, s51, s26
	s_abs_i32 s27, s46
	v_readlane_b32 s28, v60, 24
	s_mul_hi_u32 s28, s27, s28
	s_mul_i32 s28, s28, s62
	s_sub_i32 s27, s27, s28
	s_ashr_i32 s26, s46, 31
	s_sub_i32 s28, s27, s62
	s_cmp_ge_u32 s27, s62
	s_cselect_b32 s27, s28, s27
	s_sub_i32 s28, s27, s62
	s_cmp_ge_u32 s27, s62
	s_cselect_b32 s27, s28, s27
	s_xor_b32 s27, s27, s26
	s_sub_i32 s26, s26, s27
	s_add_i32 s46, s46, s26
	v_cmp_gt_i32_e32 vcc, s46, v0
                                        ; implicit-def: $vgpr6_vgpr7
	s_and_saveexec_b64 s[26:27], vcc
	s_cbranch_execz .LBB40_143
; %bb.134:                              ;   in Loop: Header=BB40_7 Depth=1
	s_mov_b64 s[28:29], 0
	v_mov_b32_e32 v8, v35
	v_mov_b32_e32 v9, v0
                                        ; implicit-def: $sgpr40_sgpr41
	s_branch .LBB40_138
.LBB40_135:                             ;   in Loop: Header=BB40_138 Depth=2
	s_or_b64 exec, exec, s[42:43]
	s_waitcnt lgkmcnt(0)
	s_barrier
	ds_read_b128 v[4:7], v19 offset:3072
	s_waitcnt lgkmcnt(0)
	s_barrier
	v_cmp_eq_f64_e32 vcc, 0, v[4:5]
	s_cbranch_vccz .LBB40_141
; %bb.136:                              ;   in Loop: Header=BB40_138 Depth=2
	v_add_u32_e32 v9, s62, v9
	v_cmp_le_i32_e32 vcc, s46, v9
	v_add_u32_e32 v8, s16, v8
	s_mov_b64 s[42:43], 0
	s_orn2_b64 s[44:45], vcc, exec
.LBB40_137:                             ;   in Loop: Header=BB40_138 Depth=2
	s_and_b64 s[44:45], exec, s[44:45]
	s_or_b64 s[28:29], s[44:45], s[28:29]
	s_andn2_b64 s[40:41], s[40:41], exec
	s_and_b64 s[42:43], s[42:43], exec
	s_or_b64 s[40:41], s[40:41], s[42:43]
	s_andn2_b64 exec, exec, s[28:29]
	s_cbranch_execz .LBB40_142
.LBB40_138:                             ;   Parent Loop BB40_7 Depth=1
                                        ; =>  This Inner Loop Header: Depth=2
	v_cmp_gt_i32_e32 vcc, s51, v9
	s_and_saveexec_b64 s[42:43], vcc
	s_cbranch_execz .LBB40_135
; %bb.139:                              ;   in Loop: Header=BB40_138 Depth=2
	ds_read_b64 v[4:5], v8
	s_waitcnt lgkmcnt(0)
	v_ashrrev_i32_e32 v2, 31, v5
	v_or_b32_e32 v6, 0x80000000, v2
	v_xor_b32_e32 v2, v2, v4
	v_xor_b32_e32 v6, v6, v5
	v_cmp_o_f64_e32 vcc, v[4:5], v[4:5]
	s_nop 1
	v_cndmask_b32_e32 v2, -1, v2, vcc
	v_cndmask_b32_e32 v6, -1, v6, vcc
	v_and_b32_e32 v7, v6, v29
	v_and_b32_e32 v6, v2, v28
	v_cmp_eq_u64_e32 vcc, v[6:7], v[26:27]
	s_and_b64 exec, exec, vcc
	s_cbranch_execz .LBB40_135
; %bb.140:                              ;   in Loop: Header=BB40_138 Depth=2
	v_mov_b32_e32 v2, v19
	ds_write_b128 v19, v[2:5] offset:3072
	s_branch .LBB40_135
.LBB40_141:                             ;   in Loop: Header=BB40_138 Depth=2
	s_mov_b64 s[44:45], -1
                                        ; implicit-def: $vgpr9
                                        ; implicit-def: $vgpr8
	s_mov_b64 s[42:43], -1
	s_branch .LBB40_137
.LBB40_142:                             ;   in Loop: Header=BB40_7 Depth=1
	s_or_b64 exec, exec, s[28:29]
	s_andn2_b64 s[28:29], s[38:39], exec
	s_and_b64 s[38:39], s[40:41], exec
	s_or_b64 s[38:39], s[28:29], s[38:39]
.LBB40_143:                             ;   in Loop: Header=BB40_7 Depth=1
	s_or_b64 exec, exec, s[26:27]
	s_mov_b64 s[26:27], 0
	s_mov_b64 s[28:29], -1
.LBB40_144:                             ;   in Loop: Header=BB40_7 Depth=1
	s_orn2_b64 s[38:39], s[38:39], exec
.LBB40_145:                             ;   in Loop: Header=BB40_7 Depth=1
	s_or_b64 exec, exec, s[34:35]
	s_mov_b64 s[40:41], 0
	s_and_saveexec_b64 s[34:35], s[38:39]
	s_cbranch_execz .LBB40_238
; %bb.146:                              ;   in Loop: Header=BB40_7 Depth=1
	s_xor_b64 s[38:39], s[36:37], -1
	s_mov_b64 s[44:45], 0
	s_waitcnt vmcnt(0)
	v_mov_b32_e32 v12, 1
	v_mov_b32_e32 v10, 1
	s_and_saveexec_b64 s[36:37], s[38:39]
	s_cbranch_execz .LBB40_155
; %bb.147:                              ;   in Loop: Header=BB40_7 Depth=1
	v_cmp_ge_i32_e32 vcc, s50, v11
	s_and_saveexec_b64 s[38:39], vcc
	s_xor_b64 s[38:39], exec, s[38:39]
	s_cbranch_execz .LBB40_152
; %bb.148:                              ;   in Loop: Header=BB40_7 Depth=1
	ds_read_b32 v4, v19 offset:4096
	s_lshl_b64 s[40:41], 1, s17
	v_and_b32_e32 v2, s31, v27
	v_and_b32_e32 v5, s30, v26
	v_or_b32_e32 v27, s41, v2
	s_waitcnt lgkmcnt(0)
	v_cmp_ne_u32_e32 vcc, 0, v4
	v_or_b32_e32 v26, s40, v5
	v_or_b32_e32 v29, s3, v29
	;; [unrolled: 1-line block ×3, first 2 shown]
	s_cbranch_vccnz .LBB40_152
; %bb.149:                              ;   in Loop: Header=BB40_7 Depth=1
	s_and_saveexec_b64 s[40:41], s[18:19]
; %bb.150:                              ;   in Loop: Header=BB40_7 Depth=1
	v_mov_b32_e32 v2, s50
	ds_write_b32 v19, v2 offset:4100
; %bb.151:                              ;   in Loop: Header=BB40_7 Depth=1
	s_or_b64 exec, exec, s[40:41]
	s_waitcnt lgkmcnt(0)
	s_barrier
.LBB40_152:                             ;   in Loop: Header=BB40_7 Depth=1
	s_or_saveexec_b64 s[38:39], s[38:39]
	s_mov_b64 s[40:41], 0
	v_mov_b32_e32 v10, 8
	s_xor_b64 exec, exec, s[38:39]
; %bb.153:                              ;   in Loop: Header=BB40_7 Depth=1
	s_mov_b64 s[40:41], exec
	v_subrev_u32_e32 v11, s50, v11
	v_mov_b32_e32 v10, 0
; %bb.154:                              ;   in Loop: Header=BB40_7 Depth=1
	s_or_b64 exec, exec, s[38:39]
	s_and_b64 s[44:45], s[40:41], exec
	v_mov_b32_e32 v12, v11
.LBB40_155:                             ;   in Loop: Header=BB40_7 Depth=1
	s_or_b64 exec, exec, s[36:37]
	s_mov_b64 s[42:43], -1
                                        ; implicit-def: $sgpr38_sgpr39
                                        ; implicit-def: $sgpr40_sgpr41
	s_and_saveexec_b64 s[36:37], s[44:45]
	s_cbranch_execz .LBB40_237
; %bb.156:                              ;   in Loop: Header=BB40_7 Depth=1
	s_cmp_eq_u32 s58, 1
	s_cselect_b64 s[38:39], -1, 0
	v_cmp_eq_u32_e32 vcc, 1, v12
	s_and_b64 s[44:45], s[38:39], vcc
	s_mov_b64 s[46:47], -1
                                        ; implicit-def: $sgpr40_sgpr41
                                        ; implicit-def: $sgpr38_sgpr39
	s_and_saveexec_b64 s[42:43], s[44:45]
	s_cbranch_execz .LBB40_184
; %bb.157:                              ;   in Loop: Header=BB40_7 Depth=1
	ds_read_b32 v2, v19 offset:4096
	s_waitcnt lgkmcnt(0)
	s_barrier
	v_readfirstlane_b32 s59, v2
	s_and_saveexec_b64 s[38:39], s[4:5]
; %bb.158:                              ;   in Loop: Header=BB40_7 Depth=1
	ds_write_b64 v36, v[50:51]
; %bb.159:                              ;   in Loop: Header=BB40_7 Depth=1
	s_or_b64 exec, exec, s[38:39]
	s_lshl_b64 s[38:39], 2, s17
	v_and_b32_e32 v2, s31, v27
	v_and_b32_e32 v4, s30, v26
	v_or_b32_e32 v27, s39, v2
	v_or_b32_e32 v26, s38, v4
	;; [unrolled: 1-line block ×4, first 2 shown]
	s_mov_b64 s[38:39], -1
	s_mov_b64 s[40:41], 0
	s_cmp_gt_i32 s59, 0
	s_mov_b64 s[46:47], 0
	s_mov_b64 s[48:49], -1
	s_waitcnt lgkmcnt(0)
	s_barrier
                                        ; implicit-def: $vgpr6_vgpr7
	s_cbranch_scc1 .LBB40_171
; %bb.160:                              ;   in Loop: Header=BB40_7 Depth=1
	s_mov_b64 s[48:49], 0
                                        ; implicit-def: $vgpr6_vgpr7
	s_mov_b64 s[50:51], exec
	v_readlane_b32 s52, v60, 25
	v_readlane_b32 s53, v60, 26
	s_and_b64 s[52:53], s[50:51], s[52:53]
	s_mov_b64 exec, s[52:53]
	s_cbranch_execz .LBB40_170
; %bb.161:                              ;   in Loop: Header=BB40_7 Depth=1
	v_mov_b32_e32 v8, v16
	v_mov_b32_e32 v11, v0
                                        ; implicit-def: $sgpr52_sgpr53
	s_branch .LBB40_165
.LBB40_162:                             ;   in Loop: Header=BB40_165 Depth=2
	s_or_b64 exec, exec, s[54:55]
	s_waitcnt lgkmcnt(0)
	s_barrier
	ds_read_b128 v[4:7], v19 offset:3072
	s_waitcnt lgkmcnt(0)
	s_barrier
	v_cmp_neq_f64_e32 vcc, 0, v[4:5]
	s_cbranch_vccnz .LBB40_168
; %bb.163:                              ;   in Loop: Header=BB40_165 Depth=2
	v_add_u32_e32 v11, s62, v11
	v_cmp_le_i32_e32 vcc, s79, v11
	v_add_u32_e32 v8, s33, v8
	s_mov_b64 s[54:55], 0
	s_orn2_b64 s[56:57], vcc, exec
.LBB40_164:                             ;   in Loop: Header=BB40_165 Depth=2
	s_and_b64 s[56:57], exec, s[56:57]
	s_or_b64 s[46:47], s[56:57], s[46:47]
	s_andn2_b64 s[52:53], s[52:53], exec
	s_and_b64 s[54:55], s[54:55], exec
	s_or_b64 s[52:53], s[52:53], s[54:55]
	s_andn2_b64 exec, exec, s[46:47]
	s_cbranch_execz .LBB40_169
.LBB40_165:                             ;   Parent Loop BB40_7 Depth=1
                                        ; =>  This Inner Loop Header: Depth=2
	v_cmp_gt_i32_e32 vcc, s60, v11
	s_and_saveexec_b64 s[54:55], vcc
	s_cbranch_execz .LBB40_162
; %bb.166:                              ;   in Loop: Header=BB40_165 Depth=2
	v_ashrrev_i32_e32 v9, 31, v8
	v_lshl_add_u64 v[4:5], v[8:9], 3, s[68:69]
	global_load_dwordx2 v[4:5], v[4:5], off
	s_waitcnt vmcnt(0)
	v_ashrrev_i32_e32 v2, 31, v5
	v_or_b32_e32 v6, 0x80000000, v2
	v_xor_b32_e32 v2, v2, v4
	v_xor_b32_e32 v6, v6, v5
	v_cmp_o_f64_e32 vcc, v[4:5], v[4:5]
	s_nop 1
	v_cndmask_b32_e32 v2, -1, v2, vcc
	v_cndmask_b32_e32 v6, -1, v6, vcc
	v_and_b32_e32 v7, v6, v29
	v_and_b32_e32 v6, v2, v28
	v_cmp_eq_u64_e32 vcc, v[6:7], v[26:27]
	s_and_b64 exec, exec, vcc
	s_cbranch_execz .LBB40_162
; %bb.167:                              ;   in Loop: Header=BB40_165 Depth=2
	v_mov_b32_e32 v2, v19
	ds_write_b128 v19, v[2:5] offset:3072
	s_branch .LBB40_162
.LBB40_168:                             ;   in Loop: Header=BB40_165 Depth=2
	s_mov_b64 s[56:57], -1
                                        ; implicit-def: $vgpr11
                                        ; implicit-def: $vgpr8
	s_mov_b64 s[54:55], -1
	s_branch .LBB40_164
.LBB40_169:                             ;   in Loop: Header=BB40_7 Depth=1
	s_or_b64 exec, exec, s[46:47]
	s_and_b64 s[46:47], s[52:53], exec
.LBB40_170:                             ;   in Loop: Header=BB40_7 Depth=1
	s_or_b64 exec, exec, s[50:51]
.LBB40_171:                             ;   in Loop: Header=BB40_7 Depth=1
	s_and_b64 vcc, exec, s[48:49]
	s_cbranch_vccz .LBB40_183
; %bb.172:                              ;   in Loop: Header=BB40_7 Depth=1
	v_readlane_b32 s38, v60, 7
	s_add_i32 s54, s59, s38
	s_abs_i32 s39, s54
	v_readlane_b32 s40, v60, 24
	s_mul_hi_u32 s40, s39, s40
	s_mul_i32 s40, s40, s62
	s_sub_i32 s39, s39, s40
	s_ashr_i32 s38, s54, 31
	s_sub_i32 s40, s39, s62
	s_cmp_ge_u32 s39, s62
	s_cselect_b32 s39, s40, s39
	s_sub_i32 s40, s39, s62
	s_cmp_ge_u32 s39, s62
	s_cselect_b32 s39, s40, s39
	s_xor_b32 s39, s39, s38
	s_sub_i32 s38, s38, s39
	s_add_i32 s54, s54, s38
	v_cmp_gt_i32_e32 vcc, s54, v0
                                        ; implicit-def: $vgpr6_vgpr7
	s_and_saveexec_b64 s[38:39], vcc
	s_cbranch_execz .LBB40_182
; %bb.173:                              ;   in Loop: Header=BB40_7 Depth=1
	s_mov_b64 s[40:41], 0
	v_mov_b32_e32 v8, v35
	v_mov_b32_e32 v9, v0
                                        ; implicit-def: $sgpr48_sgpr49
	s_branch .LBB40_177
.LBB40_174:                             ;   in Loop: Header=BB40_177 Depth=2
	s_or_b64 exec, exec, s[50:51]
	s_waitcnt lgkmcnt(0)
	s_barrier
	ds_read_b128 v[4:7], v19 offset:3072
	s_waitcnt lgkmcnt(0)
	s_barrier
	v_cmp_eq_f64_e32 vcc, 0, v[4:5]
	s_cbranch_vccz .LBB40_180
; %bb.175:                              ;   in Loop: Header=BB40_177 Depth=2
	v_add_u32_e32 v9, s62, v9
	v_cmp_le_i32_e32 vcc, s54, v9
	v_add_u32_e32 v8, s16, v8
	s_mov_b64 s[50:51], 0
	s_orn2_b64 s[52:53], vcc, exec
.LBB40_176:                             ;   in Loop: Header=BB40_177 Depth=2
	s_and_b64 s[52:53], exec, s[52:53]
	s_or_b64 s[40:41], s[52:53], s[40:41]
	s_andn2_b64 s[48:49], s[48:49], exec
	s_and_b64 s[50:51], s[50:51], exec
	s_or_b64 s[48:49], s[48:49], s[50:51]
	s_andn2_b64 exec, exec, s[40:41]
	s_cbranch_execz .LBB40_181
.LBB40_177:                             ;   Parent Loop BB40_7 Depth=1
                                        ; =>  This Inner Loop Header: Depth=2
	v_cmp_gt_i32_e32 vcc, s59, v9
	s_and_saveexec_b64 s[50:51], vcc
	s_cbranch_execz .LBB40_174
; %bb.178:                              ;   in Loop: Header=BB40_177 Depth=2
	ds_read_b64 v[4:5], v8
	s_waitcnt lgkmcnt(0)
	v_ashrrev_i32_e32 v2, 31, v5
	v_or_b32_e32 v6, 0x80000000, v2
	v_xor_b32_e32 v2, v2, v4
	v_xor_b32_e32 v6, v6, v5
	v_cmp_o_f64_e32 vcc, v[4:5], v[4:5]
	s_nop 1
	v_cndmask_b32_e32 v2, -1, v2, vcc
	v_cndmask_b32_e32 v6, -1, v6, vcc
	v_and_b32_e32 v7, v6, v29
	v_and_b32_e32 v6, v2, v28
	v_cmp_eq_u64_e32 vcc, v[6:7], v[26:27]
	s_and_b64 exec, exec, vcc
	s_cbranch_execz .LBB40_174
; %bb.179:                              ;   in Loop: Header=BB40_177 Depth=2
	v_mov_b32_e32 v2, v19
	ds_write_b128 v19, v[2:5] offset:3072
	s_branch .LBB40_174
.LBB40_180:                             ;   in Loop: Header=BB40_177 Depth=2
	s_mov_b64 s[52:53], -1
                                        ; implicit-def: $vgpr9
                                        ; implicit-def: $vgpr8
	s_mov_b64 s[50:51], -1
	s_branch .LBB40_176
.LBB40_181:                             ;   in Loop: Header=BB40_7 Depth=1
	s_or_b64 exec, exec, s[40:41]
	s_andn2_b64 s[40:41], s[46:47], exec
	s_and_b64 s[46:47], s[48:49], exec
	s_or_b64 s[46:47], s[40:41], s[46:47]
.LBB40_182:                             ;   in Loop: Header=BB40_7 Depth=1
	s_or_b64 exec, exec, s[38:39]
	s_mov_b64 s[38:39], 0
	s_mov_b64 s[40:41], -1
.LBB40_183:                             ;   in Loop: Header=BB40_7 Depth=1
	s_orn2_b64 s[46:47], s[46:47], exec
.LBB40_184:                             ;   in Loop: Header=BB40_7 Depth=1
	s_or_b64 exec, exec, s[42:43]
	s_mov_b64 s[48:49], 0
	s_and_saveexec_b64 s[42:43], s[46:47]
	s_cbranch_execz .LBB40_236
; %bb.185:                              ;   in Loop: Header=BB40_7 Depth=1
	s_xor_b64 s[46:47], s[44:45], -1
	s_mov_b64 s[50:51], 0
	v_mov_b32_e32 v11, 1
	v_mov_b32_e32 v10, 1
	s_and_saveexec_b64 s[44:45], s[46:47]
	s_cbranch_execz .LBB40_194
; %bb.186:                              ;   in Loop: Header=BB40_7 Depth=1
	v_cmp_ge_i32_e32 vcc, s58, v12
	s_and_saveexec_b64 s[46:47], vcc
	s_xor_b64 s[46:47], exec, s[46:47]
	s_cbranch_execz .LBB40_191
; %bb.187:                              ;   in Loop: Header=BB40_7 Depth=1
	ds_read_b32 v4, v19 offset:4096
	s_lshl_b64 s[48:49], 2, s17
	v_and_b32_e32 v2, s31, v27
	v_and_b32_e32 v5, s30, v26
	v_or_b32_e32 v27, s49, v2
	s_waitcnt lgkmcnt(0)
	v_cmp_ne_u32_e32 vcc, 0, v4
	v_or_b32_e32 v26, s48, v5
	v_or_b32_e32 v29, s3, v29
	;; [unrolled: 1-line block ×3, first 2 shown]
	s_cbranch_vccnz .LBB40_191
; %bb.188:                              ;   in Loop: Header=BB40_7 Depth=1
	s_and_saveexec_b64 s[30:31], s[18:19]
; %bb.189:                              ;   in Loop: Header=BB40_7 Depth=1
	v_mov_b32_e32 v2, s58
	ds_write_b32 v19, v2 offset:4100
; %bb.190:                              ;   in Loop: Header=BB40_7 Depth=1
	s_or_b64 exec, exec, s[30:31]
	s_waitcnt lgkmcnt(0)
	s_barrier
.LBB40_191:                             ;   in Loop: Header=BB40_7 Depth=1
	s_or_saveexec_b64 s[30:31], s[46:47]
	s_mov_b64 s[46:47], 0
	v_mov_b32_e32 v10, 8
	s_xor_b64 exec, exec, s[30:31]
; %bb.192:                              ;   in Loop: Header=BB40_7 Depth=1
	s_mov_b64 s[46:47], exec
	v_subrev_u32_e32 v12, s58, v12
	v_mov_b32_e32 v10, 0
; %bb.193:                              ;   in Loop: Header=BB40_7 Depth=1
	s_or_b64 exec, exec, s[30:31]
	s_and_b64 s[50:51], s[46:47], exec
	v_mov_b32_e32 v11, v12
.LBB40_194:                             ;   in Loop: Header=BB40_7 Depth=1
	s_or_b64 exec, exec, s[44:45]
	s_mov_b64 s[44:45], -1
                                        ; implicit-def: $sgpr48_sgpr49
                                        ; implicit-def: $sgpr46_sgpr47
	s_and_saveexec_b64 s[30:31], s[50:51]
	s_cbranch_execz .LBB40_235
; %bb.195:                              ;   in Loop: Header=BB40_7 Depth=1
	s_cmp_eq_u32 s84, 1
	s_cselect_b64 s[44:45], -1, 0
	v_cmp_eq_u32_e32 vcc, 1, v11
	s_and_b64 s[44:45], s[44:45], vcc
	s_mov_b64 s[52:53], -1
                                        ; implicit-def: $sgpr48_sgpr49
                                        ; implicit-def: $sgpr46_sgpr47
	s_and_saveexec_b64 s[50:51], s[44:45]
	s_cbranch_execz .LBB40_223
; %bb.196:                              ;   in Loop: Header=BB40_7 Depth=1
	ds_read_b32 v2, v19 offset:4096
	s_waitcnt lgkmcnt(0)
	s_barrier
	v_readfirstlane_b32 s71, v2
	s_and_saveexec_b64 s[46:47], s[4:5]
; %bb.197:                              ;   in Loop: Header=BB40_7 Depth=1
	ds_write_b64 v36, v[50:51]
; %bb.198:                              ;   in Loop: Header=BB40_7 Depth=1
	s_or_b64 exec, exec, s[46:47]
	v_or_b32_e32 v27, s3, v27
	v_or_b32_e32 v26, s2, v26
	;; [unrolled: 1-line block ×4, first 2 shown]
	s_mov_b64 s[46:47], -1
	s_mov_b64 s[48:49], 0
	s_cmp_gt_i32 s71, 0
	s_mov_b64 s[52:53], 0
	s_mov_b64 s[54:55], -1
	s_waitcnt lgkmcnt(0)
	s_barrier
                                        ; implicit-def: $vgpr6_vgpr7
	s_cbranch_scc1 .LBB40_210
; %bb.199:                              ;   in Loop: Header=BB40_7 Depth=1
	s_mov_b64 s[54:55], 0
                                        ; implicit-def: $vgpr6_vgpr7
	s_mov_b64 s[56:57], exec
	v_readlane_b32 s58, v60, 25
	v_readlane_b32 s59, v60, 26
	s_and_b64 s[58:59], s[56:57], s[58:59]
	s_mov_b64 exec, s[58:59]
	s_cbranch_execz .LBB40_209
; %bb.200:                              ;   in Loop: Header=BB40_7 Depth=1
	v_mov_b32_e32 v8, v16
	v_mov_b32_e32 v12, v0
                                        ; implicit-def: $sgpr58_sgpr59
	s_branch .LBB40_204
.LBB40_201:                             ;   in Loop: Header=BB40_204 Depth=2
	s_or_b64 exec, exec, s[66:67]
	s_waitcnt lgkmcnt(0)
	s_barrier
	ds_read_b128 v[4:7], v19 offset:3072
	s_waitcnt lgkmcnt(0)
	s_barrier
	v_cmp_neq_f64_e32 vcc, 0, v[4:5]
	s_cbranch_vccnz .LBB40_207
; %bb.202:                              ;   in Loop: Header=BB40_204 Depth=2
	v_add_u32_e32 v12, s62, v12
	v_cmp_le_i32_e32 vcc, s79, v12
	v_add_u32_e32 v8, s33, v8
	s_mov_b64 s[66:67], 0
	s_orn2_b64 s[82:83], vcc, exec
.LBB40_203:                             ;   in Loop: Header=BB40_204 Depth=2
	s_and_b64 s[82:83], exec, s[82:83]
	s_or_b64 s[52:53], s[82:83], s[52:53]
	s_andn2_b64 s[58:59], s[58:59], exec
	s_and_b64 s[66:67], s[66:67], exec
	s_or_b64 s[58:59], s[58:59], s[66:67]
	s_andn2_b64 exec, exec, s[52:53]
	s_cbranch_execz .LBB40_208
.LBB40_204:                             ;   Parent Loop BB40_7 Depth=1
                                        ; =>  This Inner Loop Header: Depth=2
	v_cmp_gt_i32_e32 vcc, s60, v12
	s_and_saveexec_b64 s[66:67], vcc
	s_cbranch_execz .LBB40_201
; %bb.205:                              ;   in Loop: Header=BB40_204 Depth=2
	v_ashrrev_i32_e32 v9, 31, v8
	v_lshl_add_u64 v[4:5], v[8:9], 3, s[68:69]
	global_load_dwordx2 v[4:5], v[4:5], off
	s_waitcnt vmcnt(0)
	v_ashrrev_i32_e32 v2, 31, v5
	v_or_b32_e32 v6, 0x80000000, v2
	v_xor_b32_e32 v2, v2, v4
	v_xor_b32_e32 v6, v6, v5
	v_cmp_o_f64_e32 vcc, v[4:5], v[4:5]
	s_nop 1
	v_cndmask_b32_e32 v2, -1, v2, vcc
	v_cndmask_b32_e32 v6, -1, v6, vcc
	v_and_b32_e32 v7, v6, v29
	v_and_b32_e32 v6, v2, v28
	v_cmp_eq_u64_e32 vcc, v[6:7], v[26:27]
	s_and_b64 exec, exec, vcc
	s_cbranch_execz .LBB40_201
; %bb.206:                              ;   in Loop: Header=BB40_204 Depth=2
	v_mov_b32_e32 v2, v19
	ds_write_b128 v19, v[2:5] offset:3072
	s_branch .LBB40_201
.LBB40_207:                             ;   in Loop: Header=BB40_204 Depth=2
	s_mov_b64 s[82:83], -1
                                        ; implicit-def: $vgpr12
                                        ; implicit-def: $vgpr8
	s_mov_b64 s[66:67], -1
	s_branch .LBB40_203
.LBB40_208:                             ;   in Loop: Header=BB40_7 Depth=1
	s_or_b64 exec, exec, s[52:53]
	s_and_b64 s[52:53], s[58:59], exec
.LBB40_209:                             ;   in Loop: Header=BB40_7 Depth=1
	s_or_b64 exec, exec, s[56:57]
.LBB40_210:                             ;   in Loop: Header=BB40_7 Depth=1
	s_and_b64 vcc, exec, s[54:55]
	s_cbranch_vccz .LBB40_222
; %bb.211:                              ;   in Loop: Header=BB40_7 Depth=1
	v_readlane_b32 s46, v60, 7
	s_add_i32 s66, s71, s46
	s_abs_i32 s47, s66
	v_readlane_b32 s48, v60, 24
	s_mul_hi_u32 s48, s47, s48
	s_mul_i32 s48, s48, s62
	s_sub_i32 s47, s47, s48
	s_ashr_i32 s46, s66, 31
	s_sub_i32 s48, s47, s62
	s_cmp_ge_u32 s47, s62
	s_cselect_b32 s47, s48, s47
	s_sub_i32 s48, s47, s62
	s_cmp_ge_u32 s47, s62
	s_cselect_b32 s47, s48, s47
	s_xor_b32 s47, s47, s46
	s_sub_i32 s46, s46, s47
	s_add_i32 s66, s66, s46
	v_cmp_gt_i32_e32 vcc, s66, v0
                                        ; implicit-def: $vgpr6_vgpr7
	s_and_saveexec_b64 s[46:47], vcc
	s_cbranch_execz .LBB40_221
; %bb.212:                              ;   in Loop: Header=BB40_7 Depth=1
	s_mov_b64 s[48:49], 0
	v_mov_b32_e32 v8, v35
	v_mov_b32_e32 v9, v0
                                        ; implicit-def: $sgpr54_sgpr55
	s_branch .LBB40_216
.LBB40_213:                             ;   in Loop: Header=BB40_216 Depth=2
	s_or_b64 exec, exec, s[56:57]
	s_waitcnt lgkmcnt(0)
	s_barrier
	ds_read_b128 v[4:7], v19 offset:3072
	s_waitcnt lgkmcnt(0)
	s_barrier
	v_cmp_eq_f64_e32 vcc, 0, v[4:5]
	s_cbranch_vccz .LBB40_219
; %bb.214:                              ;   in Loop: Header=BB40_216 Depth=2
	v_add_u32_e32 v9, s62, v9
	v_cmp_le_i32_e32 vcc, s66, v9
	v_add_u32_e32 v8, s16, v8
	s_mov_b64 s[56:57], 0
	s_orn2_b64 s[58:59], vcc, exec
.LBB40_215:                             ;   in Loop: Header=BB40_216 Depth=2
	s_and_b64 s[58:59], exec, s[58:59]
	s_or_b64 s[48:49], s[58:59], s[48:49]
	s_andn2_b64 s[54:55], s[54:55], exec
	s_and_b64 s[56:57], s[56:57], exec
	s_or_b64 s[54:55], s[54:55], s[56:57]
	s_andn2_b64 exec, exec, s[48:49]
	s_cbranch_execz .LBB40_220
.LBB40_216:                             ;   Parent Loop BB40_7 Depth=1
                                        ; =>  This Inner Loop Header: Depth=2
	v_cmp_gt_i32_e32 vcc, s71, v9
	s_and_saveexec_b64 s[56:57], vcc
	s_cbranch_execz .LBB40_213
; %bb.217:                              ;   in Loop: Header=BB40_216 Depth=2
	ds_read_b64 v[4:5], v8
	s_waitcnt lgkmcnt(0)
	v_ashrrev_i32_e32 v2, 31, v5
	v_or_b32_e32 v6, 0x80000000, v2
	v_xor_b32_e32 v2, v2, v4
	v_xor_b32_e32 v6, v6, v5
	v_cmp_o_f64_e32 vcc, v[4:5], v[4:5]
	s_nop 1
	v_cndmask_b32_e32 v2, -1, v2, vcc
	v_cndmask_b32_e32 v6, -1, v6, vcc
	v_and_b32_e32 v7, v6, v29
	v_and_b32_e32 v6, v2, v28
	v_cmp_eq_u64_e32 vcc, v[6:7], v[26:27]
	s_and_b64 exec, exec, vcc
	s_cbranch_execz .LBB40_213
; %bb.218:                              ;   in Loop: Header=BB40_216 Depth=2
	v_mov_b32_e32 v2, v19
	ds_write_b128 v19, v[2:5] offset:3072
	s_branch .LBB40_213
.LBB40_219:                             ;   in Loop: Header=BB40_216 Depth=2
	s_mov_b64 s[58:59], -1
                                        ; implicit-def: $vgpr9
                                        ; implicit-def: $vgpr8
	s_mov_b64 s[56:57], -1
	s_branch .LBB40_215
.LBB40_220:                             ;   in Loop: Header=BB40_7 Depth=1
	s_or_b64 exec, exec, s[48:49]
	s_andn2_b64 s[48:49], s[52:53], exec
	s_and_b64 s[52:53], s[54:55], exec
	s_or_b64 s[52:53], s[48:49], s[52:53]
.LBB40_221:                             ;   in Loop: Header=BB40_7 Depth=1
	s_or_b64 exec, exec, s[46:47]
	s_mov_b64 s[46:47], 0
	s_mov_b64 s[48:49], -1
.LBB40_222:                             ;   in Loop: Header=BB40_7 Depth=1
	s_orn2_b64 s[52:53], s[52:53], exec
.LBB40_223:                             ;   in Loop: Header=BB40_7 Depth=1
	s_or_b64 exec, exec, s[50:51]
	s_mov_b64 s[54:55], 0
	s_and_saveexec_b64 s[50:51], s[52:53]
	s_cbranch_execz .LBB40_234
; %bb.224:                              ;   in Loop: Header=BB40_7 Depth=1
	s_xor_b64 s[52:53], s[44:45], -1
	v_mov_b32_e32 v10, 1
	v_mov_b32_e32 v2, 1
	s_and_saveexec_b64 s[44:45], s[52:53]
	s_cbranch_execz .LBB40_233
; %bb.225:                              ;   in Loop: Header=BB40_7 Depth=1
	v_cmp_ge_i32_e32 vcc, s84, v11
	s_and_saveexec_b64 s[52:53], vcc
	s_xor_b64 s[52:53], exec, s[52:53]
	s_cbranch_execz .LBB40_230
; %bb.226:                              ;   in Loop: Header=BB40_7 Depth=1
	ds_read_b32 v2, v19 offset:4096
	v_or_b32_e32 v27, s3, v27
	v_or_b32_e32 v26, s2, v26
	;; [unrolled: 1-line block ×4, first 2 shown]
	s_waitcnt lgkmcnt(0)
	v_cmp_ne_u32_e32 vcc, 0, v2
	s_cbranch_vccnz .LBB40_230
; %bb.227:                              ;   in Loop: Header=BB40_7 Depth=1
	s_and_saveexec_b64 s[2:3], s[18:19]
; %bb.228:                              ;   in Loop: Header=BB40_7 Depth=1
	v_mov_b32_e32 v2, s84
	ds_write_b32 v19, v2 offset:4100
; %bb.229:                              ;   in Loop: Header=BB40_7 Depth=1
	s_or_b64 exec, exec, s[2:3]
	s_waitcnt lgkmcnt(0)
	s_barrier
.LBB40_230:                             ;   in Loop: Header=BB40_7 Depth=1
	s_andn2_saveexec_b64 s[2:3], s[52:53]
; %bb.231:                              ;   in Loop: Header=BB40_7 Depth=1
	v_subrev_u32_e32 v11, s84, v11
; %bb.232:                              ;   in Loop: Header=BB40_7 Depth=1
	s_or_b64 exec, exec, s[2:3]
	v_mov_b32_e32 v10, 8
	v_mov_b32_e32 v2, v11
.LBB40_233:                             ;   in Loop: Header=BB40_7 Depth=1
	s_or_b64 exec, exec, s[44:45]
	s_mov_b64 s[54:55], exec
	v_mov_b32_e32 v11, v2
.LBB40_234:                             ;   in Loop: Header=BB40_7 Depth=1
	s_or_b64 exec, exec, s[50:51]
	s_orn2_b64 s[44:45], s[54:55], exec
.LBB40_235:                             ;   in Loop: Header=BB40_7 Depth=1
	s_or_b64 exec, exec, s[30:31]
	s_andn2_b64 s[2:3], s[40:41], exec
	s_and_b64 s[30:31], s[48:49], exec
	s_or_b64 s[40:41], s[2:3], s[30:31]
	s_andn2_b64 s[2:3], s[38:39], exec
	s_and_b64 s[30:31], s[46:47], exec
	s_or_b64 s[38:39], s[2:3], s[30:31]
	s_and_b64 s[48:49], s[44:45], exec
	v_mov_b32_e32 v12, v11
.LBB40_236:                             ;   in Loop: Header=BB40_7 Depth=1
	s_or_b64 exec, exec, s[42:43]
	s_orn2_b64 s[42:43], s[48:49], exec
.LBB40_237:                             ;   in Loop: Header=BB40_7 Depth=1
	s_or_b64 exec, exec, s[36:37]
	s_andn2_b64 s[2:3], s[28:29], exec
	s_and_b64 s[28:29], s[40:41], exec
	s_or_b64 s[28:29], s[2:3], s[28:29]
	s_andn2_b64 s[2:3], s[26:27], exec
	s_and_b64 s[26:27], s[38:39], exec
	s_or_b64 s[26:27], s[2:3], s[26:27]
	s_and_b64 s[40:41], s[42:43], exec
	v_mov_b32_e32 v11, v12
.LBB40_238:                             ;   in Loop: Header=BB40_7 Depth=1
	s_or_b64 exec, exec, s[34:35]
	s_orn2_b64 s[34:35], s[40:41], exec
.LBB40_239:                             ;   in Loop: Header=BB40_7 Depth=1
	s_or_b64 exec, exec, s[24:25]
	s_mov_b64 s[24:25], 0
                                        ; implicit-def: $sgpr36
                                        ; implicit-def: $sgpr37
	s_and_saveexec_b64 s[2:3], s[34:35]
	s_xor_b64 s[2:3], exec, s[2:3]
	s_cbranch_execz .LBB40_5
; %bb.240:                              ;   in Loop: Header=BB40_7 Depth=1
	v_and_b32_e32 v2, 7, v10
	v_cmp_eq_u32_e32 vcc, 0, v2
	s_mov_b64 s[22:23], -1
	s_mov_b64 s[24:25], -1
                                        ; implicit-def: $sgpr36
                                        ; implicit-def: $sgpr37
	s_and_saveexec_b64 s[30:31], vcc
	s_cbranch_execz .LBB40_4
; %bb.241:                              ;   in Loop: Header=BB40_7 Depth=1
	s_xor_b32 s37, s61, 1
	s_add_i32 s36, s17, -2
	s_cmp_eq_u32 s17, 0
	s_cselect_b64 s[22:23], -1, 0
	s_xor_b64 s[24:25], exec, -1
	s_orn2_b64 s[22:23], s[22:23], exec
	s_branch .LBB40_4
.LBB40_242:
	s_or_b64 exec, exec, s[88:89]
	s_xor_b64 s[4:5], s[94:95], -1
	s_xor_b64 s[2:3], s[90:91], -1
	;; [unrolled: 1-line block ×3, first 2 shown]
	s_mov_b64 s[0:1], 0
	s_and_saveexec_b64 s[8:9], s[2:3]
	s_xor_b64 s[2:3], exec, s[8:9]
	s_cbranch_execnz .LBB40_247
; %bb.243:
	s_andn2_saveexec_b64 s[2:3], s[2:3]
	s_cbranch_execnz .LBB40_267
.LBB40_244:
	s_or_b64 exec, exec, s[2:3]
	s_and_saveexec_b64 s[2:3], s[0:1]
.LBB40_245:
	; divergent unreachable
.LBB40_246:
	s_endpgm
.LBB40_247:
	s_and_saveexec_b64 s[0:1], s[4:5]
	s_xor_b64 s[4:5], exec, s[0:1]
	s_cbranch_execz .LBB40_265
; %bb.248:
	s_and_saveexec_b64 s[0:1], s[6:7]
	s_xor_b64 s[0:1], exec, s[0:1]
; %bb.249:
	v_lshrrev_b32_e32 v2, 31, v27
	v_mov_b32_e32 v3, 0
	v_lshl_add_u64 v[2:3], v[2:3], 0, -1
	v_or_b32_e32 v1, 0x80000000, v3
	v_xor_b32_e32 v7, v1, v27
	v_xor_b32_e32 v6, v2, v26
; %bb.250:
	s_or_b64 exec, exec, s[0:1]
	s_and_saveexec_b64 s[0:1], s[18:19]
	v_readlane_b32 s22, v60, 6
; %bb.251:
	v_mov_b32_e32 v1, 0
	v_mov_b32_e32 v2, s60
	ds_write_b32 v1, v2 offset:4108
; %bb.252:
	s_or_b64 exec, exec, s[0:1]
	v_mov_b32_e32 v1, 0
	s_waitcnt lgkmcnt(0)
	s_barrier
	ds_read_b32 v1, v1 offset:4108
	s_waitcnt lgkmcnt(0)
	v_min_i32_e32 v2, s60, v1
	v_cmp_lt_i32_e32 vcc, v0, v2
	s_and_saveexec_b64 s[6:7], vcc
	s_cbranch_execz .LBB40_262
; %bb.253:
	v_cmp_u_f64_e32 vcc, v[6:7], v[6:7]
	s_mov_b64 s[8:9], 0
	s_xor_b64 s[12:13], vcc, -1
                                        ; implicit-def: $sgpr10_sgpr11
                                        ; implicit-def: $sgpr16_sgpr17
                                        ; implicit-def: $sgpr14_sgpr15
	s_branch .LBB40_255
.LBB40_254:                             ;   in Loop: Header=BB40_255 Depth=1
	s_or_b64 exec, exec, s[0:1]
	s_and_b64 s[0:1], exec, s[16:17]
	s_or_b64 s[8:9], s[0:1], s[8:9]
	s_andn2_b64 s[0:1], s[10:11], exec
	s_and_b64 s[10:11], s[14:15], exec
	s_or_b64 s[10:11], s[0:1], s[10:11]
	s_andn2_b64 exec, exec, s[8:9]
	s_cbranch_execz .LBB40_257
.LBB40_255:                             ; =>This Inner Loop Header: Depth=1
	v_ashrrev_i32_e32 v17, 31, v16
	s_waitcnt vmcnt(0)
	v_lshl_add_u64 v[4:5], v[16:17], 3, s[68:69]
	global_load_dwordx2 v[4:5], v[4:5], off
	v_mov_b32_e32 v1, v0
	s_or_b64 s[14:15], s[14:15], exec
	s_or_b64 s[16:17], s[16:17], exec
                                        ; implicit-def: $vgpr0
	s_waitcnt vmcnt(0)
	v_cmp_o_f64_e64 s[0:1], v[4:5], v[4:5]
	v_cmp_neq_f64_e32 vcc, v[4:5], v[6:7]
	s_or_b64 s[0:1], s[0:1], s[12:13]
	s_and_b64 s[20:21], vcc, s[0:1]
	s_and_saveexec_b64 s[0:1], s[20:21]
	s_cbranch_execz .LBB40_254
; %bb.256:                              ;   in Loop: Header=BB40_255 Depth=1
	v_add_u32_e32 v0, s62, v1
	v_cmp_ge_i32_e32 vcc, v0, v2
	s_andn2_b64 s[16:17], s[16:17], exec
	s_and_b64 s[20:21], vcc, exec
	v_add_u32_e32 v16, s33, v16
	s_andn2_b64 s[14:15], s[14:15], exec
	s_or_b64 s[16:17], s[16:17], s[20:21]
	s_branch .LBB40_254
.LBB40_257:
	s_or_b64 exec, exec, s[8:9]
	s_and_saveexec_b64 s[0:1], s[10:11]
	s_xor_b64 s[0:1], exec, s[0:1]
	s_cbranch_execz .LBB40_262
; %bb.258:
	s_mov_b64 s[0:1], exec
	s_brev_b32 s8, -2
.LBB40_259:                             ; =>This Inner Loop Header: Depth=1
	s_ff1_i32_b64 s9, s[0:1]
	v_readlane_b32 s12, v1, s9
	s_lshl_b64 s[10:11], 1, s9
	s_min_i32 s8, s8, s12
	s_andn2_b64 s[0:1], s[0:1], s[10:11]
	s_cmp_lg_u64 s[0:1], 0
	s_cbranch_scc1 .LBB40_259
; %bb.260:
	v_mbcnt_lo_u32_b32 v0, exec_lo, 0
	v_mbcnt_hi_u32_b32 v0, exec_hi, v0
	v_cmp_eq_u32_e32 vcc, 0, v0
	s_and_saveexec_b64 s[0:1], vcc
	s_xor_b64 s[0:1], exec, s[0:1]
; %bb.261:
	v_mov_b32_e32 v0, 0
	v_mov_b32_e32 v1, s8
	ds_min_i32 v0, v1 offset:4108
.LBB40_262:
	s_or_b64 exec, exec, s[6:7]
	s_waitcnt lgkmcnt(0)
	s_barrier
	s_and_saveexec_b64 s[0:1], s[18:19]
	s_cbranch_execz .LBB40_264
; %bb.263:
	v_readlane_b32 s6, v60, 5
	s_mul_i32 s6, s6, s22
	v_readlane_b32 s7, v60, 4
	s_mul_i32 s8, s7, s22
	s_ashr_i32 s7, s6, 31
	v_mov_b32_e32 v2, 0
	s_lshl_b64 s[6:7], s[6:7], 3
	v_readlane_b32 s10, v60, 2
	ds_read_b32 v0, v2 offset:4108
	v_readlane_b32 s11, v60, 3
	s_add_u32 s6, s10, s6
	s_addc_u32 s7, s11, s7
	s_ashr_i32 s9, s8, 31
	s_lshl_b64 s[8:9], s[8:9], 3
	v_readlane_b32 s10, v60, 0
	v_readlane_b32 s11, v60, 1
	s_add_u32 s8, s10, s8
	s_addc_u32 s9, s11, s9
	s_waitcnt lgkmcnt(0)
	v_ashrrev_i32_e32 v1, 31, v0
	global_store_dwordx2 v2, v[0:1], s[8:9]
	global_store_dwordx2 v2, v[6:7], s[6:7]
.LBB40_264:
	s_or_b64 exec, exec, s[0:1]
.LBB40_265:
	s_or_saveexec_b64 s[0:1], s[4:5]
	s_mov_b64 s[4:5], 0
	s_xor_b64 exec, exec, s[0:1]
	s_cbranch_execnz .LBB40_268
.LBB40_266:
	s_or_b64 exec, exec, s[0:1]
	s_and_b64 s[0:1], s[4:5], exec
	s_andn2_saveexec_b64 s[2:3], s[2:3]
	s_cbranch_execz .LBB40_244
.LBB40_267:
	s_or_b64 s[0:1], s[0:1], exec
	s_trap 2
	s_or_b64 exec, exec, s[2:3]
	s_and_saveexec_b64 s[2:3], s[0:1]
	s_cbranch_execnz .LBB40_245
	s_branch .LBB40_246
.LBB40_268:
	s_mov_b64 s[4:5], exec
	s_trap 2
	s_branch .LBB40_266
	.section	.rodata,"a",@progbits
	.p2align	6, 0x0
	.amdhsa_kernel _ZN2at6native12_GLOBAL__N_114gatherKthValueIdiLi1EEEvNS_4cuda6detail10TensorInfoIKT_T0_EES8_S8_S8_S8_NS5_IS6_S8_EENS5_IlS8_EE
		.amdhsa_group_segment_fixed_size 4112
		.amdhsa_private_segment_fixed_size 0
		.amdhsa_kernarg_size 920
		.amdhsa_user_sgpr_count 2
		.amdhsa_user_sgpr_dispatch_ptr 0
		.amdhsa_user_sgpr_queue_ptr 0
		.amdhsa_user_sgpr_kernarg_segment_ptr 1
		.amdhsa_user_sgpr_dispatch_id 0
		.amdhsa_user_sgpr_kernarg_preload_length 0
		.amdhsa_user_sgpr_kernarg_preload_offset 0
		.amdhsa_user_sgpr_private_segment_size 0
		.amdhsa_uses_dynamic_stack 0
		.amdhsa_enable_private_segment 0
		.amdhsa_system_sgpr_workgroup_id_x 1
		.amdhsa_system_sgpr_workgroup_id_y 1
		.amdhsa_system_sgpr_workgroup_id_z 1
		.amdhsa_system_sgpr_workgroup_info 0
		.amdhsa_system_vgpr_workitem_id 0
		.amdhsa_next_free_vgpr 61
		.amdhsa_next_free_sgpr 100
		.amdhsa_accum_offset 64
		.amdhsa_reserve_vcc 1
		.amdhsa_float_round_mode_32 0
		.amdhsa_float_round_mode_16_64 0
		.amdhsa_float_denorm_mode_32 3
		.amdhsa_float_denorm_mode_16_64 3
		.amdhsa_dx10_clamp 1
		.amdhsa_ieee_mode 1
		.amdhsa_fp16_overflow 0
		.amdhsa_tg_split 0
		.amdhsa_exception_fp_ieee_invalid_op 0
		.amdhsa_exception_fp_denorm_src 0
		.amdhsa_exception_fp_ieee_div_zero 0
		.amdhsa_exception_fp_ieee_overflow 0
		.amdhsa_exception_fp_ieee_underflow 0
		.amdhsa_exception_fp_ieee_inexact 0
		.amdhsa_exception_int_div_zero 0
	.end_amdhsa_kernel
	.section	.text._ZN2at6native12_GLOBAL__N_114gatherKthValueIdiLi1EEEvNS_4cuda6detail10TensorInfoIKT_T0_EES8_S8_S8_S8_NS5_IS6_S8_EENS5_IlS8_EE,"axG",@progbits,_ZN2at6native12_GLOBAL__N_114gatherKthValueIdiLi1EEEvNS_4cuda6detail10TensorInfoIKT_T0_EES8_S8_S8_S8_NS5_IS6_S8_EENS5_IlS8_EE,comdat
.Lfunc_end40:
	.size	_ZN2at6native12_GLOBAL__N_114gatherKthValueIdiLi1EEEvNS_4cuda6detail10TensorInfoIKT_T0_EES8_S8_S8_S8_NS5_IS6_S8_EENS5_IlS8_EE, .Lfunc_end40-_ZN2at6native12_GLOBAL__N_114gatherKthValueIdiLi1EEEvNS_4cuda6detail10TensorInfoIKT_T0_EES8_S8_S8_S8_NS5_IS6_S8_EENS5_IlS8_EE
                                        ; -- End function
	.set _ZN2at6native12_GLOBAL__N_114gatherKthValueIdiLi1EEEvNS_4cuda6detail10TensorInfoIKT_T0_EES8_S8_S8_S8_NS5_IS6_S8_EENS5_IlS8_EE.num_vgpr, 61
	.set _ZN2at6native12_GLOBAL__N_114gatherKthValueIdiLi1EEEvNS_4cuda6detail10TensorInfoIKT_T0_EES8_S8_S8_S8_NS5_IS6_S8_EENS5_IlS8_EE.num_agpr, 0
	.set _ZN2at6native12_GLOBAL__N_114gatherKthValueIdiLi1EEEvNS_4cuda6detail10TensorInfoIKT_T0_EES8_S8_S8_S8_NS5_IS6_S8_EENS5_IlS8_EE.numbered_sgpr, 100
	.set _ZN2at6native12_GLOBAL__N_114gatherKthValueIdiLi1EEEvNS_4cuda6detail10TensorInfoIKT_T0_EES8_S8_S8_S8_NS5_IS6_S8_EENS5_IlS8_EE.num_named_barrier, 0
	.set _ZN2at6native12_GLOBAL__N_114gatherKthValueIdiLi1EEEvNS_4cuda6detail10TensorInfoIKT_T0_EES8_S8_S8_S8_NS5_IS6_S8_EENS5_IlS8_EE.private_seg_size, 0
	.set _ZN2at6native12_GLOBAL__N_114gatherKthValueIdiLi1EEEvNS_4cuda6detail10TensorInfoIKT_T0_EES8_S8_S8_S8_NS5_IS6_S8_EENS5_IlS8_EE.uses_vcc, 1
	.set _ZN2at6native12_GLOBAL__N_114gatherKthValueIdiLi1EEEvNS_4cuda6detail10TensorInfoIKT_T0_EES8_S8_S8_S8_NS5_IS6_S8_EENS5_IlS8_EE.uses_flat_scratch, 0
	.set _ZN2at6native12_GLOBAL__N_114gatherKthValueIdiLi1EEEvNS_4cuda6detail10TensorInfoIKT_T0_EES8_S8_S8_S8_NS5_IS6_S8_EENS5_IlS8_EE.has_dyn_sized_stack, 0
	.set _ZN2at6native12_GLOBAL__N_114gatherKthValueIdiLi1EEEvNS_4cuda6detail10TensorInfoIKT_T0_EES8_S8_S8_S8_NS5_IS6_S8_EENS5_IlS8_EE.has_recursion, 0
	.set _ZN2at6native12_GLOBAL__N_114gatherKthValueIdiLi1EEEvNS_4cuda6detail10TensorInfoIKT_T0_EES8_S8_S8_S8_NS5_IS6_S8_EENS5_IlS8_EE.has_indirect_call, 0
	.section	.AMDGPU.csdata,"",@progbits
; Kernel info:
; codeLenInByte = 9944
; TotalNumSgprs: 106
; NumVgprs: 61
; NumAgprs: 0
; TotalNumVgprs: 61
; ScratchSize: 0
; MemoryBound: 0
; FloatMode: 240
; IeeeMode: 1
; LDSByteSize: 4112 bytes/workgroup (compile time only)
; SGPRBlocks: 13
; VGPRBlocks: 7
; NumSGPRsForWavesPerEU: 106
; NumVGPRsForWavesPerEU: 61
; AccumOffset: 64
; Occupancy: 7
; WaveLimiterHint : 1
; COMPUTE_PGM_RSRC2:SCRATCH_EN: 0
; COMPUTE_PGM_RSRC2:USER_SGPR: 2
; COMPUTE_PGM_RSRC2:TRAP_HANDLER: 0
; COMPUTE_PGM_RSRC2:TGID_X_EN: 1
; COMPUTE_PGM_RSRC2:TGID_Y_EN: 1
; COMPUTE_PGM_RSRC2:TGID_Z_EN: 1
; COMPUTE_PGM_RSRC2:TIDIG_COMP_CNT: 0
; COMPUTE_PGM_RSRC3_GFX90A:ACCUM_OFFSET: 15
; COMPUTE_PGM_RSRC3_GFX90A:TG_SPLIT: 0
	.section	.text._ZN2at6native12_GLOBAL__N_114gatherKthValueIdiLi2EEEvNS_4cuda6detail10TensorInfoIKT_T0_EES8_S8_S8_S8_NS5_IS6_S8_EENS5_IlS8_EE,"axG",@progbits,_ZN2at6native12_GLOBAL__N_114gatherKthValueIdiLi2EEEvNS_4cuda6detail10TensorInfoIKT_T0_EES8_S8_S8_S8_NS5_IS6_S8_EENS5_IlS8_EE,comdat
	.globl	_ZN2at6native12_GLOBAL__N_114gatherKthValueIdiLi2EEEvNS_4cuda6detail10TensorInfoIKT_T0_EES8_S8_S8_S8_NS5_IS6_S8_EENS5_IlS8_EE ; -- Begin function _ZN2at6native12_GLOBAL__N_114gatherKthValueIdiLi2EEEvNS_4cuda6detail10TensorInfoIKT_T0_EES8_S8_S8_S8_NS5_IS6_S8_EENS5_IlS8_EE
	.p2align	8
	.type	_ZN2at6native12_GLOBAL__N_114gatherKthValueIdiLi2EEEvNS_4cuda6detail10TensorInfoIKT_T0_EES8_S8_S8_S8_NS5_IS6_S8_EENS5_IlS8_EE,@function
_ZN2at6native12_GLOBAL__N_114gatherKthValueIdiLi2EEEvNS_4cuda6detail10TensorInfoIKT_T0_EES8_S8_S8_S8_NS5_IS6_S8_EENS5_IlS8_EE: ; @_ZN2at6native12_GLOBAL__N_114gatherKthValueIdiLi2EEEvNS_4cuda6detail10TensorInfoIKT_T0_EES8_S8_S8_S8_NS5_IS6_S8_EENS5_IlS8_EE
; %bb.0:
	s_load_dwordx2 s[12:13], s[0:1], 0x298
	s_load_dwordx4 s[60:63], s[0:1], 0xd8
	s_add_u32 s10, s0, 0x298
	s_addc_u32 s11, s1, 0
	s_waitcnt lgkmcnt(0)
	s_mul_i32 s4, s13, s4
	s_add_i32 s3, s4, s3
	s_mul_i32 s3, s3, s12
	s_add_i32 s18, s3, s2
	s_cmp_ge_i32 s18, s62
	s_cbranch_scc1 .LBB41_246
; %bb.1:
	s_load_dword s3, s[0:1], 0xc
	s_load_dwordx2 s[4:5], s[0:1], 0xe8
                                        ; implicit-def: $vgpr60 : SGPR spill to VGPR lane
                                        ; kill: killed $sgpr0 killed $sgpr1
	s_abs_i32 s21, s18
	s_ashr_i32 s20, s18, 31
	s_load_dword s22, s[0:1], 0xf4
	s_waitcnt lgkmcnt(0)
	s_abs_i32 s13, s3
	v_writelane_b32 v60, s4, 0
	v_cvt_f32_u32_e32 v1, s13
	s_ashr_i32 s14, s3, 31
	v_writelane_b32 v60, s5, 1
	s_load_dwordx2 s[6:7], s[0:1], 0x6c
	s_load_dwordx2 s[4:5], s[0:1], 0x0
	;; [unrolled: 1-line block ×3, first 2 shown]
	v_rcp_iflag_f32_e32 v1, v1
	s_waitcnt lgkmcnt(0)
	v_writelane_b32 v60, s8, 2
	s_nop 1
	v_writelane_b32 v60, s9, 3
	s_load_dword s19, s[0:1], 0x1cc
	s_load_dwordx2 s[8:9], s[0:1], 0x1c0
	v_mul_f32_e32 v1, 0x4f7ffffe, v1
	v_cvt_u32_f32_e32 v1, v1
	s_waitcnt lgkmcnt(0)
	v_writelane_b32 v60, s8, 4
	s_nop 1
	v_writelane_b32 v60, s9, 5
	s_load_dwordx2 s[8:9], s[0:1], 0x154
	v_readfirstlane_b32 s1, v1
	s_sub_i32 s0, 0, s13
	s_mul_i32 s0, s0, s1
	s_mul_hi_u32 s0, s1, s0
	s_waitcnt lgkmcnt(0)
	v_writelane_b32 v60, s8, 6
	s_add_i32 s1, s1, s0
	s_mul_hi_u32 s15, s21, s1
	v_writelane_b32 v60, s9, 7
	s_abs_i32 s9, s22
	v_cvt_f32_u32_e32 v2, s9
	s_abs_i32 s8, s19
	s_sub_i32 s0, 0, s9
	v_writelane_b32 v60, s9, 8
	v_rcp_iflag_f32_e32 v1, v2
	v_cvt_f32_u32_e32 v2, s8
	v_mul_f32_e32 v1, 0x4f7ffffe, v1
	v_cvt_u32_f32_e32 v1, v1
	v_rcp_iflag_f32_e32 v2, v2
	v_readfirstlane_b32 s1, v1
	v_mul_f32_e32 v1, 0x4f7ffffe, v2
	s_mul_i32 s0, s0, s1
	v_cvt_u32_f32_e32 v1, v1
	s_mul_hi_u32 s0, s1, s0
	s_add_i32 s1, s1, s0
	s_mul_hi_u32 s0, s21, s1
	v_writelane_b32 v60, s0, 9
	s_sub_i32 s0, 0, s8
	v_readfirstlane_b32 s1, v1
	s_mul_i32 s0, s0, s1
	s_mul_hi_u32 s0, s1, s0
	s_add_i32 s1, s1, s0
	v_writelane_b32 v60, s8, 10
	s_mul_hi_u32 s0, s21, s1
	v_writelane_b32 v60, s0, 11
	v_cmp_eq_u32_e64 s[0:1], 0, v0
	s_and_saveexec_b64 s[8:9], s[0:1]
; %bb.2:
	v_mov_b32_e32 v2, 0
	v_mov_b32_e32 v3, s60
	;; [unrolled: 1-line block ×3, first 2 shown]
	ds_write_b96 v2, v[2:4] offset:4096
; %bb.3:
	s_or_b64 exec, exec, s[8:9]
	v_writelane_b32 v60, s22, 12
	s_ashr_i32 s8, s22, 31
	v_writelane_b32 v60, s8, 13
	s_mul_i32 s9, s15, s13
	v_writelane_b32 v60, s19, 14
	s_ashr_i32 s8, s19, 31
	s_sub_i32 s9, s21, s9
	v_writelane_b32 v60, s8, 15
	s_xor_b32 s8, s20, s14
	s_add_i32 s14, s15, 1
	s_sub_i32 s16, s9, s13
	s_cmp_ge_u32 s9, s13
	s_cselect_b32 s14, s14, s15
	s_cselect_b32 s9, s16, s9
	s_add_i32 s15, s14, 1
	s_cmp_ge_u32 s9, s13
	s_cselect_b32 s9, s15, s14
	s_xor_b32 s9, s9, s8
	s_sub_i32 s8, s9, s8
	s_mul_i32 s3, s8, s3
	s_sub_i32 s3, s18, s3
	s_mul_i32 s3, s3, s7
	s_mul_i32 s6, s8, s6
	s_add_i32 s6, s6, s3
	s_waitcnt lgkmcnt(0)
	s_barrier
	s_load_dword s3, s[10:11], 0xc
	s_ashr_i32 s7, s6, 31
	s_lshl_b64 s[6:7], s[6:7], 3
	s_add_u32 s72, s4, s6
	v_mbcnt_lo_u32_b32 v1, -1, 0
	s_addc_u32 s73, s5, s7
	s_waitcnt lgkmcnt(0)
	s_and_b32 s62, s3, 0xffff
	v_mbcnt_hi_u32_b32 v34, -1, v1
	v_cmp_gt_u32_e32 vcc, 64, v0
	v_cmp_gt_i32_e64 s[4:5], 4, v34
	s_add_i32 s6, s62, -1
	v_writelane_b32 v60, s20, 16
	s_lshl_b32 s75, s62, 2
	s_and_b64 s[76:77], vcc, s[4:5]
	s_add_i32 s83, s6, s60
	v_writelane_b32 v60, s21, 17
	s_cmpk_gt_i32 s60, 0x180
	v_writelane_b32 v60, s18, 18
	s_cselect_b64 s[78:79], -1, 0
	s_cmp_gt_u32 s62, 63
	v_writelane_b32 v60, s6, 19
	v_cmp_gt_i32_e64 s[8:9], s60, v0
	s_cselect_b64 s[80:81], -1, 0
	s_cmp_lt_u32 s2, s12
	v_writelane_b32 v60, s8, 20
	s_cselect_b32 s2, 12, 18
	v_lshlrev_b64 v[2:3], v34, -1
	v_writelane_b32 v60, s9, 21
	s_add_u32 s8, s10, s2
	s_addc_u32 s9, s11, 0
	v_writelane_b32 v60, s8, 22
	v_not_b32_e32 v22, v2
	v_lshrrev_b32_e32 v2, 2, v0
	v_writelane_b32 v60, s9, 23
	s_bfe_u32 s8, s3, 0xa0006
	s_add_i32 s2, s8, -2
	s_lshr_b32 s3, s2, 1
	s_add_i32 s3, s3, 1
	s_cmpk_gt_u32 s62, 0x7f
	v_and_b32_e32 v2, 0xf0, v2
	s_cselect_b64 s[10:11], -1, 0
	v_or_b32_e32 v37, 0xc00, v2
	v_writelane_b32 v60, s10, 24
	v_cvt_f32_u32_e32 v2, s75
	s_and_b32 s9, s8, 0x3fe
	v_writelane_b32 v60, s11, 25
	s_and_b32 s10, s3, 7
	s_cmp_gt_u32 s2, 13
	s_cselect_b64 s[12:13], -1, 0
	v_writelane_b32 v60, s12, 26
	v_rcp_iflag_f32_e32 v2, v2
	s_and_b32 s2, s3, -8
	v_writelane_b32 v60, s13, 27
	v_writelane_b32 v60, s2, 28
	s_cmp_lg_u32 s10, 0
	v_writelane_b32 v60, s10, 29
	s_cselect_b64 s[2:3], -1, 0
	v_writelane_b32 v60, s2, 30
	v_mul_f32_e32 v2, 0x4f7ffffe, v2
	v_cvt_u32_f32_e32 v2, v2
	v_writelane_b32 v60, s3, 31
	v_writelane_b32 v60, s8, 32
	s_cmp_lg_u32 s9, s8
	v_writelane_b32 v60, s9, 33
	s_cselect_b64 s[2:3], -1, 0
	v_writelane_b32 v60, s2, 34
	v_not_b32_e32 v1, v3
	v_cvt_f32_u32_e32 v3, s62
	v_writelane_b32 v60, s3, 35
	s_sub_i32 s2, 0, s75
	v_readfirstlane_b32 s3, v2
	s_mul_i32 s2, s2, s3
	s_mul_hi_u32 s2, s3, s2
	s_add_i32 s8, s3, s2
	s_mul_hi_u32 s2, s60, s8
	s_mul_i32 s2, s2, s75
	s_sub_i32 s2, s60, s2
	s_sub_i32 s3, s2, s75
	s_cmp_ge_u32 s2, s75
	s_cselect_b32 s2, s3, s2
	s_sub_i32 s3, s2, s75
	s_cmp_ge_u32 s2, s75
	s_cselect_b32 s2, s3, s2
	s_sub_i32 s9, s60, s2
	v_rcp_iflag_f32_e32 v5, v3
	v_add_u32_e32 v38, s9, v0
	v_mul_lo_u32 v2, v38, s63
	v_ashrrev_i32_e32 v3, 31, v2
	v_lshl_add_u64 v[24:25], v[2:3], 3, s[72:73]
	v_mul_f32_e32 v2, 0x4f7ffffe, v5
	v_cvt_u32_f32_e32 v2, v2
	s_sub_i32 s17, 0, s62
	s_abs_i32 s16, s83
	s_ashr_i32 s3, s83, 31
	v_readfirstlane_b32 s20, v2
	s_mul_i32 s17, s17, s20
	s_mul_hi_u32 s17, s20, s17
	s_add_i32 s17, s20, s17
	v_writelane_b32 v60, s17, 36
	s_mul_hi_u32 s17, s16, s17
	s_mul_i32 s17, s17, s62
	s_sub_i32 s16, s16, s17
	s_sub_i32 s17, s16, s62
	s_cmp_ge_u32 s16, s62
	s_cselect_b32 s16, s17, s16
	s_sub_i32 s17, s16, s62
	s_cmp_ge_u32 s16, s62
	s_cselect_b32 s16, s17, s16
	v_lshlrev_b32_e32 v23, 2, v0
	s_xor_b32 s16, s16, s3
	s_sub_i32 s3, s3, s16
	v_mul_lo_u32 v2, s63, v23
	s_add_i32 s83, s83, s3
	v_add_u32_e32 v39, s63, v2
	v_or_b32_e32 v2, 2, v23
	v_cmp_gt_i32_e64 s[16:17], s83, v0
	v_mul_lo_u32 v40, s63, v2
	v_or_b32_e32 v2, 3, v23
	s_add_i32 s3, s62, s60
	v_mov_b32_e32 v19, 0
	v_writelane_b32 v60, s16, 37
	v_mul_lo_u32 v41, s63, v2
	v_add_u32_e32 v2, s3, v0
	s_mov_b32 s22, 0
	s_mov_b32 s23, 1
	v_lshlrev_b32_e32 v35, 3, v0
	v_mul_lo_u32 v16, s63, v0
	v_mov_b32_e32 v17, v19
	v_lshlrev_b32_e32 v4, 2, v34
	v_writelane_b32 v60, s17, 38
	s_mul_i32 s74, s63, s62
	v_subrev_u32_e32 v2, s2, v2
	v_cmp_eq_u32_e64 s[18:19], 0, v34
	v_cmp_gt_u32_e64 s[4:5], 2, v0
	v_add_u32_e32 v36, 0xc00, v35
	v_cmp_gt_u32_e64 s[6:7], s60, v0
	v_lshl_add_u64 v[20:21], v[16:17], 3, s[72:73]
	v_and_b32_e32 v17, 0x100, v4
	v_cmp_gt_i32_e64 s[10:11], s9, v23
	v_cmp_gt_u32_e64 s[12:13], s60, v38
	v_cmp_gt_i32_e64 s[14:15], s60, v38
	s_lshl_b32 s84, s74, 2
	v_lshlrev_b32_e32 v42, 2, v16
	v_mul_lo_u32 v43, s63, v2
	v_lshlrev_b32_e32 v44, 5, v0
	s_lshl_b32 s85, s62, 5
	s_lshl_b32 s16, s62, 3
	v_or_b32_e32 v45, 0xc00, v4
	s_mov_b32 s17, 62
	v_mov_b64_e32 v[6:7], 0
	s_mov_b64 s[92:93], 0
	v_mov_b32_e32 v47, s61
	v_mov_b64_e32 v[26:27], 0
	v_mov_b64_e32 v[28:29], 0
	v_mov_b32_e32 v49, s60
	v_mov_b32_e32 v3, 0x3ff00000
	;; [unrolled: 1-line block ×5, first 2 shown]
	v_writelane_b32 v60, s22, 39
	s_mov_b32 s61, s22
                                        ; implicit-def: $sgpr94_sgpr95
                                        ; implicit-def: $sgpr98_sgpr99
                                        ; implicit-def: $sgpr96_sgpr97
                                        ; implicit-def: $sgpr64_sgpr65
                                        ; implicit-def: $sgpr66_sgpr67
                                        ; implicit-def: $sgpr68_sgpr69
	s_nop 0
	v_writelane_b32 v60, s23, 40
	s_branch .LBB41_7
.LBB41_4:                               ;   in Loop: Header=BB41_7 Depth=1
	s_or_b64 exec, exec, s[30:31]
	s_and_b64 s[24:25], s[24:25], exec
	s_andn2_b64 s[28:29], s[28:29], exec
	s_andn2_b64 s[26:27], s[26:27], exec
	s_orn2_b64 s[22:23], s[22:23], exec
.LBB41_5:                               ;   in Loop: Header=BB41_7 Depth=1
	s_or_b64 exec, exec, s[2:3]
	s_andn2_b64 s[2:3], s[68:69], exec
	s_and_b64 s[24:25], s[24:25], exec
	s_or_b64 s[68:69], s[2:3], s[24:25]
	s_andn2_b64 s[2:3], s[66:67], exec
	s_and_b64 s[24:25], s[28:29], exec
	s_or_b64 s[66:67], s[2:3], s[24:25]
	;; [unrolled: 3-line block ×3, first 2 shown]
	s_orn2_b64 s[22:23], s[22:23], exec
.LBB41_6:                               ;   in Loop: Header=BB41_7 Depth=1
	s_or_b64 exec, exec, s[20:21]
	s_and_b64 s[2:3], exec, s[22:23]
	s_or_b64 s[92:93], s[2:3], s[92:93]
	s_andn2_b64 s[2:3], s[96:97], exec
	s_and_b64 s[20:21], s[68:69], exec
	s_or_b64 s[96:97], s[2:3], s[20:21]
	s_andn2_b64 s[2:3], s[98:99], exec
	s_and_b64 s[20:21], s[66:67], exec
	;; [unrolled: 3-line block ×3, first 2 shown]
	s_or_b64 s[94:95], s[2:3], s[20:21]
	s_mov_b32 s61, s37
	s_mov_b32 s17, s36
	v_mov_b32_e32 v47, v11
	s_andn2_b64 exec, exec, s[92:93]
	s_cbranch_execz .LBB41_242
.LBB41_7:                               ; =>This Loop Header: Depth=1
                                        ;     Child Loop BB41_13 Depth 2
                                        ;     Child Loop BB41_28 Depth 2
	;; [unrolled: 1-line block ×17, first 2 shown]
	s_waitcnt vmcnt(0)
	ds_read_b64 v[4:5], v19 offset:4096
	s_waitcnt lgkmcnt(0)
	v_readfirstlane_b32 s33, v4
	s_cmp_gt_i32 s33, 0
	s_cbranch_scc1 .LBB41_35
; %bb.8:                                ;   in Loop: Header=BB41_7 Depth=1
	s_and_b64 vcc, exec, s[78:79]
	s_cbranch_vccz .LBB41_21
; %bb.9:                                ;   in Loop: Header=BB41_7 Depth=1
	s_movk_i32 s2, 0x181
	v_cmp_gt_i32_e32 vcc, s2, v5
	s_mov_b64 s[20:21], 0
	s_mov_b64 s[2:3], 0
	s_cbranch_vccz .LBB41_22
; %bb.10:                               ;   in Loop: Header=BB41_7 Depth=1
	s_and_saveexec_b64 s[22:23], s[6:7]
	s_cbranch_execz .LBB41_67
; %bb.11:                               ;   in Loop: Header=BB41_7 Depth=1
	v_readlane_b32 s2, v60, 22
	v_readlane_b32 s3, v60, 23
	s_nop 4
	global_load_ushort v2, v19, s[2:3]
	global_load_dwordx2 v[4:5], v[20:21], off
	s_mov_b64 s[24:25], 0
	v_mov_b32_e32 v11, v0
	s_waitcnt vmcnt(1)
	v_add_u32_e32 v8, v0, v2
	v_mul_lo_u32 v10, s63, v2
	v_mul_lo_u32 v18, s63, v8
	s_branch .LBB41_13
.LBB41_12:                              ;   in Loop: Header=BB41_13 Depth=2
	s_or_b64 exec, exec, s[2:3]
	v_cmp_le_i32_e32 vcc, s60, v11
	v_add_u32_e32 v18, v18, v10
	s_or_b64 s[24:25], vcc, s[24:25]
	v_mov_b64_e32 v[4:5], v[8:9]
	s_andn2_b64 exec, exec, s[24:25]
	s_cbranch_execz .LBB41_67
.LBB41_13:                              ;   Parent Loop BB41_7 Depth=1
                                        ; =>  This Inner Loop Header: Depth=2
	v_add_u32_e32 v11, v11, v2
	v_cmp_gt_u32_e32 vcc, s60, v11
	v_mov_b64_e32 v[8:9], 0
	s_and_saveexec_b64 s[2:3], vcc
	s_cbranch_execz .LBB41_15
; %bb.14:                               ;   in Loop: Header=BB41_13 Depth=2
	v_lshl_add_u64 v[8:9], v[18:19], 3, s[72:73]
	global_load_dwordx2 v[8:9], v[8:9], off
.LBB41_15:                              ;   in Loop: Header=BB41_13 Depth=2
	s_or_b64 exec, exec, s[2:3]
	s_waitcnt vmcnt(0) lgkmcnt(0)
	v_ashrrev_i32_e32 v12, 31, v5
	v_or_b32_e32 v13, 0x80000000, v12
	v_xor_b32_e32 v13, v13, v5
	v_xor_b32_e32 v12, v12, v4
	v_cmp_o_f64_e32 vcc, v[4:5], v[4:5]
	s_nop 1
	v_cndmask_b32_e32 v13, -1, v13, vcc
	v_cndmask_b32_e32 v12, -1, v12, vcc
	v_and_b32_e32 v13, v13, v29
	v_and_b32_e32 v12, v12, v28
	v_cmp_eq_u64_e32 vcc, v[12:13], v[26:27]
	s_cmp_lg_u64 vcc, 0
	s_cselect_b64 s[2:3], -1, 0
	s_and_b64 s[2:3], s[18:19], s[2:3]
	v_mov_b32_e32 v12, 0
	s_and_saveexec_b64 s[26:27], s[2:3]
	s_cbranch_execz .LBB41_19
; %bb.16:                               ;   in Loop: Header=BB41_13 Depth=2
	s_mov_b64 s[30:31], exec
	v_mbcnt_lo_u32_b32 v12, s30, 0
	v_mbcnt_hi_u32_b32 v12, s31, v12
	s_bcnt1_i32_b64 s34, vcc
	v_cmp_eq_u32_e64 s[2:3], 0, v12
                                        ; implicit-def: $vgpr13
	s_and_saveexec_b64 s[28:29], s[2:3]
; %bb.17:                               ;   in Loop: Header=BB41_13 Depth=2
	s_bcnt1_i32_b64 s2, s[30:31]
	s_mul_i32 s2, s34, s2
	v_mov_b32_e32 v13, s2
	ds_add_rtn_u32 v13, v19, v13 offset:4104
; %bb.18:                               ;   in Loop: Header=BB41_13 Depth=2
	s_or_b64 exec, exec, s[28:29]
	s_waitcnt lgkmcnt(0)
	v_readfirstlane_b32 s2, v13
	s_nop 1
	v_mov_b32_e32 v13, s2
	v_mad_u32_u24 v12, s34, v12, v13
.LBB41_19:                              ;   in Loop: Header=BB41_13 Depth=2
	s_or_b64 exec, exec, s[26:27]
	ds_bpermute_b32 v12, v17, v12
	s_and_saveexec_b64 s[2:3], vcc
	s_cbranch_execz .LBB41_12
; %bb.20:                               ;   in Loop: Header=BB41_13 Depth=2
	v_and_b32_e32 v14, vcc_lo, v22
	v_and_b32_e32 v13, vcc_hi, v1
	v_bcnt_u32_b32 v14, v14, 0
	v_bcnt_u32_b32 v13, v13, v14
	v_lshlrev_b32_e32 v13, 3, v13
	s_waitcnt lgkmcnt(0)
	v_lshl_add_u32 v12, v12, 3, v13
	ds_write_b64 v12, v[4:5]
	s_branch .LBB41_12
.LBB41_21:                              ;   in Loop: Header=BB41_7 Depth=1
	s_mov_b64 s[20:21], -1
	s_mov_b64 s[2:3], 0
.LBB41_22:                              ;   in Loop: Header=BB41_7 Depth=1
	s_and_b64 vcc, exec, s[20:21]
	s_cbranch_vccz .LBB41_33
.LBB41_23:                              ;   in Loop: Header=BB41_7 Depth=1
	v_mov_b64_e32 v[4:5], 0
	s_and_saveexec_b64 s[2:3], s[6:7]
	s_cbranch_execz .LBB41_25
; %bb.24:                               ;   in Loop: Header=BB41_7 Depth=1
	global_load_dwordx2 v[4:5], v[20:21], off
.LBB41_25:                              ;   in Loop: Header=BB41_7 Depth=1
	s_or_b64 exec, exec, s[2:3]
	s_mov_b64 s[2:3], exec
	v_readlane_b32 s20, v60, 20
	v_readlane_b32 s21, v60, 21
	s_and_b64 s[20:21], s[2:3], s[20:21]
	s_mov_b64 exec, s[20:21]
	s_cbranch_execz .LBB41_30
; %bb.26:                               ;   in Loop: Header=BB41_7 Depth=1
	v_readlane_b32 s20, v60, 22
	v_readlane_b32 s21, v60, 23
	v_mov_b32_e32 v10, v35
	v_mov_b32_e32 v13, v0
	s_nop 2
	global_load_ushort v2, v19, s[20:21]
	s_mov_b64 s[20:21], 0
	s_waitcnt vmcnt(0)
	v_add_u32_e32 v8, v0, v2
	v_lshlrev_b32_e32 v11, 3, v2
	v_mul_lo_u32 v12, s63, v2
	v_mul_lo_u32 v18, s63, v8
	s_branch .LBB41_28
.LBB41_27:                              ;   in Loop: Header=BB41_28 Depth=2
	s_or_b64 exec, exec, s[22:23]
	v_cmp_le_i32_e32 vcc, s60, v13
	ds_write_b64 v10, v[4:5]
	v_add_u32_e32 v10, v10, v11
	v_add_u32_e32 v18, v18, v12
	s_or_b64 s[20:21], vcc, s[20:21]
	s_waitcnt vmcnt(0)
	v_mov_b64_e32 v[4:5], v[8:9]
	s_andn2_b64 exec, exec, s[20:21]
	s_cbranch_execz .LBB41_30
.LBB41_28:                              ;   Parent Loop BB41_7 Depth=1
                                        ; =>  This Inner Loop Header: Depth=2
	v_add_u32_e32 v13, v13, v2
	v_cmp_gt_u32_e32 vcc, s60, v13
	v_mov_b64_e32 v[8:9], 0
	s_and_saveexec_b64 s[22:23], vcc
	s_cbranch_execz .LBB41_27
; %bb.29:                               ;   in Loop: Header=BB41_28 Depth=2
	v_lshl_add_u64 v[8:9], v[18:19], 3, s[72:73]
	global_load_dwordx2 v[8:9], v[8:9], off
	s_branch .LBB41_27
.LBB41_30:                              ;   in Loop: Header=BB41_7 Depth=1
	s_or_b64 exec, exec, s[2:3]
	s_waitcnt lgkmcnt(0)
	s_barrier
	s_and_saveexec_b64 s[2:3], s[0:1]
; %bb.31:                               ;   in Loop: Header=BB41_7 Depth=1
	ds_write_b32 v19, v49 offset:4096
; %bb.32:                               ;   in Loop: Header=BB41_7 Depth=1
	s_or_b64 exec, exec, s[2:3]
	s_mov_b64 s[2:3], -1
	s_waitcnt lgkmcnt(0)
	s_barrier
.LBB41_33:                              ;   in Loop: Header=BB41_7 Depth=1
	s_and_b64 vcc, exec, s[2:3]
	s_cbranch_vccz .LBB41_35
; %bb.34:                               ;   in Loop: Header=BB41_7 Depth=1
	ds_read_b32 v2, v19 offset:4096
	s_waitcnt lgkmcnt(0)
	v_readfirstlane_b32 s33, v2
.LBB41_35:                              ;   in Loop: Header=BB41_7 Depth=1
	s_cmp_lt_i32 s33, 1
	s_mov_b64 s[2:3], -1
                                        ; implicit-def: $vgpr10_vgpr11
	s_cbranch_scc1 .LBB41_45
; %bb.36:                               ;   in Loop: Header=BB41_7 Depth=1
	s_and_b64 vcc, exec, s[2:3]
	s_cbranch_vccnz .LBB41_58
.LBB41_37:                              ;   in Loop: Header=BB41_7 Depth=1
	s_lshl_b32 s22, s61, 6
	s_and_saveexec_b64 s[2:3], s[18:19]
.LBB41_38:                              ;   in Loop: Header=BB41_7 Depth=1
	v_lshl_add_u32 v2, s22, 2, v37
	ds_write_b128 v2, v[8:11]
.LBB41_39:                              ;   in Loop: Header=BB41_7 Depth=1
	s_or_b64 exec, exec, s[2:3]
	s_waitcnt lgkmcnt(0)
	s_barrier
	s_and_saveexec_b64 s[2:3], s[76:77]
	s_cbranch_execz .LBB41_78
; %bb.40:                               ;   in Loop: Header=BB41_7 Depth=1
	v_add_u32_e32 v2, s22, v34
	s_andn2_b64 vcc, exec, s[80:81]
	s_waitcnt vmcnt(0)
	v_mov_b32_e32 v4, 0
	s_cbranch_vccnz .LBB41_77
; %bb.41:                               ;   in Loop: Header=BB41_7 Depth=1
	v_readlane_b32 s20, v60, 24
	v_readlane_b32 s21, v60, 25
	s_andn2_b64 vcc, exec, s[20:21]
	s_cbranch_vccnz .LBB41_70
; %bb.42:                               ;   in Loop: Header=BB41_7 Depth=1
	v_readlane_b32 s20, v60, 26
	v_readlane_b32 s21, v60, 27
	s_andn2_b64 vcc, exec, s[20:21]
	v_lshl_add_u32 v8, v2, 2, v46
	s_cbranch_vccnz .LBB41_71
; %bb.43:                               ;   in Loop: Header=BB41_7 Depth=1
	s_mov_b32 s21, 1
	s_mov_b32 s20, 0
	v_mov_b32_e32 v4, 0
	v_mov_b32_e32 v5, 0
	v_readlane_b32 s23, v60, 28
.LBB41_44:                              ;   Parent Loop BB41_7 Depth=1
                                        ; =>  This Inner Loop Header: Depth=2
	v_lshl_add_u32 v9, s20, 4, v8
	v_lshl_add_u32 v18, s21, 4, v8
	ds_read2_b32 v[10:11], v9 offset1:8
	ds_read2_b32 v[12:13], v18 offset1:8
	ds_read2_b32 v[14:15], v9 offset0:16 offset1:24
	ds_read2_b32 v[30:31], v18 offset0:16 offset1:24
	;; [unrolled: 1-line block ×6, first 2 shown]
	s_waitcnt lgkmcnt(7)
	v_add3_u32 v4, v10, v4, v11
	s_waitcnt lgkmcnt(6)
	v_add3_u32 v5, v12, v5, v13
	;; [unrolled: 2-line block ×3, first 2 shown]
	v_add3_u32 v4, v14, v4, v15
	s_add_i32 s21, s21, 16
	s_add_i32 s20, s20, 16
	s_add_i32 s23, s23, -8
	s_waitcnt lgkmcnt(3)
	v_add3_u32 v4, v32, v4, v33
	s_waitcnt lgkmcnt(2)
	v_add3_u32 v5, v52, v5, v53
	s_cmp_lg_u32 s23, 0
	s_waitcnt lgkmcnt(0)
	v_add3_u32 v5, v56, v5, v57
	v_add3_u32 v4, v54, v4, v55
	s_cbranch_scc1 .LBB41_44
	s_branch .LBB41_72
.LBB41_45:                              ;   in Loop: Header=BB41_7 Depth=1
	v_mov_b32_e32 v18, v19
	v_mov_b64_e32 v[10:11], v[18:19]
	v_mov_b64_e32 v[8:9], v[18:19]
	s_and_saveexec_b64 s[70:71], s[10:11]
	s_cbranch_execnz .LBB41_48
; %bb.46:                               ;   in Loop: Header=BB41_7 Depth=1
	s_or_b64 exec, exec, s[70:71]
	v_mov_b64_e32 v[12:13], 0
	s_and_saveexec_b64 s[2:3], s[12:13]
	s_cbranch_execnz .LBB41_51
.LBB41_47:                              ;   in Loop: Header=BB41_7 Depth=1
	s_or_b64 exec, exec, s[2:3]
	s_and_saveexec_b64 s[20:21], s[14:15]
	s_cbranch_execnz .LBB41_52
	s_branch .LBB41_57
.LBB41_48:                              ;   in Loop: Header=BB41_7 Depth=1
	s_mov_b32 s82, 0
	s_mov_b64 s[86:87], 0
	v_mov_b32_e32 v2, v23
	s_mov_b32 s88, 0
	s_mov_b32 s89, s82
	;; [unrolled: 1-line block ×4, first 2 shown]
.LBB41_49:                              ;   Parent Loop BB41_7 Depth=1
                                        ; =>  This Inner Loop Header: Depth=2
	v_add_u32_e32 v12, s82, v42
	v_add_u32_e32 v14, s82, v39
	;; [unrolled: 1-line block ×4, first 2 shown]
	v_ashrrev_i32_e32 v13, 31, v12
	v_ashrrev_i32_e32 v15, 31, v14
	;; [unrolled: 1-line block ×4, first 2 shown]
	v_lshl_add_u64 v[12:13], v[12:13], 3, s[72:73]
	v_lshl_add_u64 v[14:15], v[14:15], 3, s[72:73]
	;; [unrolled: 1-line block ×4, first 2 shown]
	global_load_dwordx2 v[12:13], v[12:13], off
	s_nop 0
	global_load_dwordx2 v[14:15], v[14:15], off
	s_nop 0
	;; [unrolled: 2-line block ×3, first 2 shown]
	global_load_dwordx2 v[32:33], v[32:33], off
	s_waitcnt vmcnt(4)
	v_mov_b32_e32 v5, v19
	v_mov_b32_e32 v9, v19
	;; [unrolled: 1-line block ×3, first 2 shown]
	v_add_u32_e32 v2, s75, v2
	s_add_i32 s82, s82, s84
	v_cmp_le_i32_e32 vcc, s9, v2
	s_waitcnt vmcnt(3)
	v_ashrrev_i32_e32 v4, 31, v13
	s_waitcnt vmcnt(2)
	v_ashrrev_i32_e32 v8, 31, v15
	v_xor_b32_e32 v48, v8, v14
	s_waitcnt vmcnt(0)
	v_ashrrev_i32_e32 v18, 31, v33
	v_cmp_o_f64_e64 s[2:3], v[14:15], v[14:15]
	v_xor_b32_e32 v14, v4, v12
	v_or_b32_e32 v4, 0x80000000, v4
	v_ashrrev_i32_e32 v10, 31, v31
	v_cmp_o_f64_e64 s[24:25], v[12:13], v[12:13]
	v_or_b32_e32 v8, 0x80000000, v8
	v_or_b32_e32 v12, 0x80000000, v18
	v_xor_b32_e32 v4, v4, v13
	v_xor_b32_e32 v52, v10, v30
	v_cmp_o_f64_e64 s[20:21], v[30:31], v[30:31]
	v_xor_b32_e32 v53, v18, v32
	v_cmp_o_f64_e64 s[22:23], v[32:33], v[32:33]
	v_or_b32_e32 v10, 0x80000000, v10
	v_xor_b32_e32 v8, v8, v15
	v_xor_b32_e32 v18, v12, v33
	v_cndmask_b32_e64 v12, -1, v14, s[24:25]
	v_cndmask_b32_e64 v13, -1, v4, s[24:25]
	v_xor_b32_e32 v10, v10, v31
	v_cndmask_b32_e64 v14, -1, v48, s[2:3]
	v_cndmask_b32_e64 v30, -1, v52, s[20:21]
	;; [unrolled: 1-line block ×4, first 2 shown]
	v_and_b32_e32 v52, v12, v28
	v_and_b32_e32 v53, v13, v29
	v_lshrrev_b64 v[12:13], s17, v[12:13]
	v_cndmask_b32_e64 v31, -1, v10, s[20:21]
	v_cndmask_b32_e64 v33, -1, v18, s[22:23]
	v_and_b32_e32 v54, v14, v28
	v_and_b32_e32 v55, v15, v29
	v_lshrrev_b64 v[14:15], s17, v[14:15]
	v_and_b32_e32 v18, 3, v12
	v_and_b32_e32 v56, v30, v28
	;; [unrolled: 1-line block ×3, first 2 shown]
	v_lshrrev_b64 v[30:31], s17, v[30:31]
	v_cmp_eq_u64_e64 s[2:3], v[52:53], v[26:27]
	v_and_b32_e32 v4, 3, v14
	v_cmp_eq_u64_e64 s[26:27], 0, v[18:19]
	v_and_b32_e32 v58, v32, v28
	v_and_b32_e32 v59, v33, v29
	v_lshrrev_b64 v[32:33], s17, v[32:33]
	v_cmp_eq_u64_e64 s[20:21], v[54:55], v[26:27]
	v_and_b32_e32 v8, 3, v30
	v_cmp_eq_u64_e64 s[28:29], 0, v[4:5]
	s_and_b64 s[26:27], s[2:3], s[26:27]
	v_cmp_eq_u64_e64 s[22:23], v[56:57], v[26:27]
	v_and_b32_e32 v10, 3, v32
	v_cmp_eq_u64_e64 s[30:31], 0, v[8:9]
	v_cmp_eq_u64_e64 s[38:39], 1, v[4:5]
	;; [unrolled: 1-line block ×4, first 2 shown]
	v_cndmask_b32_e64 v4, 0, 1, s[26:27]
	s_and_b64 s[26:27], s[20:21], s[28:29]
	v_cmp_eq_u64_e64 s[24:25], v[58:59], v[26:27]
	v_cmp_eq_u64_e64 s[34:35], 0, v[10:11]
	v_cndmask_b32_e64 v5, 0, 1, s[26:27]
	s_and_b64 s[26:27], s[22:23], s[30:31]
	v_cmp_eq_u64_e64 s[36:37], 1, v[18:19]
	v_cmp_eq_u64_e64 s[40:41], 1, v[8:9]
	;; [unrolled: 1-line block ×4, first 2 shown]
	v_cndmask_b32_e64 v8, 0, 1, s[26:27]
	s_and_b64 s[26:27], s[24:25], s[34:35]
	v_cndmask_b32_e64 v9, 0, 1, s[26:27]
	s_and_b64 s[26:27], s[2:3], s[36:37]
	v_cmp_eq_u64_e64 s[42:43], 1, v[10:11]
	v_cmp_eq_u64_e64 s[50:51], 2, v[10:11]
	;; [unrolled: 1-line block ×3, first 2 shown]
	v_cndmask_b32_e64 v10, 0, 1, s[26:27]
	s_and_b64 s[26:27], s[20:21], s[38:39]
	v_cndmask_b32_e64 v11, 0, 1, s[26:27]
	s_and_b64 s[26:27], s[22:23], s[40:41]
	v_cmp_eq_u64_e64 s[44:45], 2, v[18:19]
	v_cmp_eq_u64_e64 s[52:53], 3, v[18:19]
	v_cndmask_b32_e64 v12, 0, 1, s[26:27]
	s_and_b64 s[26:27], s[24:25], s[42:43]
	v_cndmask_b32_e64 v13, 0, 1, s[26:27]
	s_and_b64 s[26:27], s[2:3], s[44:45]
	s_and_b64 s[2:3], s[2:3], s[52:53]
	v_cndmask_b32_e64 v14, 0, 1, s[26:27]
	s_and_b64 s[26:27], s[20:21], s[46:47]
	v_cndmask_b32_e64 v31, 0, 1, s[2:3]
	s_and_b64 s[2:3], s[20:21], s[54:55]
	v_cndmask_b32_e64 v15, 0, 1, s[26:27]
	s_and_b64 s[26:27], s[22:23], s[48:49]
	v_cndmask_b32_e64 v32, 0, 1, s[2:3]
	s_and_b64 s[2:3], s[22:23], s[56:57]
	v_cndmask_b32_e64 v18, 0, 1, s[26:27]
	s_and_b64 s[26:27], s[24:25], s[50:51]
	v_cndmask_b32_e64 v33, 0, 1, s[2:3]
	s_and_b64 s[2:3], s[24:25], s[58:59]
	v_cndmask_b32_e64 v30, 0, 1, s[26:27]
	v_cndmask_b32_e64 v48, 0, 1, s[2:3]
	v_cmp_ne_u32_e64 s[2:3], 0, v4
	v_cmp_ne_u32_e64 s[20:21], 0, v5
	;; [unrolled: 1-line block ×11, first 2 shown]
	s_bcnt1_i32_b64 s2, s[2:3]
	s_bcnt1_i32_b64 s3, s[20:21]
	;; [unrolled: 1-line block ×8, first 2 shown]
	v_cmp_ne_u32_e64 s[34:35], 0, v13
	v_cmp_ne_u32_e64 s[40:41], 0, v18
	v_cmp_ne_u32_e64 s[48:49], 0, v33
	s_bcnt1_i32_b64 s23, s[28:29]
	s_bcnt1_i32_b64 s27, s[38:39]
	s_bcnt1_i32_b64 s31, s[46:47]
	s_add_i32 s2, s88, s2
	s_add_i32 s22, s89, s22
	;; [unrolled: 1-line block ×4, first 2 shown]
	v_cmp_ne_u32_e64 s[42:43], 0, v30
	v_cmp_ne_u32_e64 s[50:51], 0, v48
	s_bcnt1_i32_b64 s25, s[34:35]
	s_bcnt1_i32_b64 s28, s[40:41]
	s_bcnt1_i32_b64 s34, s[48:49]
	s_add_i32 s22, s22, s23
	s_add_i32 s2, s2, s3
	;; [unrolled: 1-line block ×4, first 2 shown]
	s_bcnt1_i32_b64 s29, s[42:43]
	s_bcnt1_i32_b64 s35, s[50:51]
	s_add_i32 s2, s2, s20
	s_add_i32 s20, s22, s24
	;; [unrolled: 1-line block ×8, first 2 shown]
	s_or_b64 s[86:87], vcc, s[86:87]
	v_mov_b64_e32 v[8:9], s[88:89]
	v_mov_b64_e32 v[10:11], s[90:91]
	s_andn2_b64 exec, exec, s[86:87]
	s_cbranch_execnz .LBB41_49
; %bb.50:                               ;   in Loop: Header=BB41_7 Depth=1
	s_or_b64 exec, exec, s[86:87]
	s_or_b64 exec, exec, s[70:71]
	v_mov_b64_e32 v[12:13], 0
	s_and_saveexec_b64 s[2:3], s[12:13]
	s_cbranch_execz .LBB41_47
.LBB41_51:                              ;   in Loop: Header=BB41_7 Depth=1
	global_load_dwordx2 v[12:13], v[24:25], off
	s_or_b64 exec, exec, s[2:3]
	s_and_saveexec_b64 s[20:21], s[14:15]
	s_cbranch_execz .LBB41_57
.LBB41_52:                              ;   in Loop: Header=BB41_7 Depth=1
	s_mov_b64 s[22:23], 0
	s_waitcnt vmcnt(0)
	v_mov_b32_e32 v4, v43
	v_mov_b32_e32 v2, v38
	s_branch .LBB41_54
.LBB41_53:                              ;   in Loop: Header=BB41_54 Depth=2
	s_or_b64 exec, exec, s[2:3]
	v_ashrrev_i32_e32 v5, 31, v13
	v_or_b32_e32 v18, 0x80000000, v5
	v_xor_b32_e32 v18, v18, v13
	v_xor_b32_e32 v5, v5, v12
	v_cmp_o_f64_e32 vcc, v[12:13], v[12:13]
	v_add_u32_e32 v4, s74, v4
	s_nop 0
	v_cndmask_b32_e32 v13, -1, v18, vcc
	v_cndmask_b32_e32 v12, -1, v5, vcc
	v_and_b32_e32 v31, v13, v29
	v_and_b32_e32 v30, v12, v28
	v_lshrrev_b64 v[12:13], s17, v[12:13]
	v_and_b32_e32 v18, 3, v12
	v_cmp_eq_u64_e32 vcc, v[30:31], v[26:27]
	v_cmp_eq_u64_e64 s[2:3], 0, v[18:19]
	s_and_b64 s[2:3], vcc, s[2:3]
	s_waitcnt vmcnt(0)
	v_mov_b64_e32 v[12:13], v[14:15]
	v_cndmask_b32_e64 v5, 0, 1, s[2:3]
	v_cmp_ne_u32_e64 s[2:3], 0, v5
	s_bcnt1_i32_b64 s24, s[2:3]
	v_cmp_eq_u64_e64 s[2:3], 1, v[18:19]
	s_and_b64 s[2:3], vcc, s[2:3]
	v_add_u32_e32 v8, s24, v8
	v_cndmask_b32_e64 v5, 0, 1, s[2:3]
	v_cmp_ne_u32_e64 s[2:3], 0, v5
	s_bcnt1_i32_b64 s2, s[2:3]
	s_nop 0
	v_add_u32_e32 v9, s2, v9
	v_cmp_eq_u64_e64 s[2:3], 2, v[18:19]
	s_and_b64 s[2:3], vcc, s[2:3]
	s_nop 0
	v_cndmask_b32_e64 v5, 0, 1, s[2:3]
	v_cmp_ne_u32_e64 s[2:3], 0, v5
	s_bcnt1_i32_b64 s24, s[2:3]
	v_cmp_eq_u64_e64 s[2:3], 3, v[18:19]
	s_and_b64 s[2:3], vcc, s[2:3]
	v_add_u32_e32 v10, s24, v10
	v_cndmask_b32_e64 v5, 0, 1, s[2:3]
	v_cmp_ne_u32_e32 vcc, 0, v5
	s_bcnt1_i32_b64 s2, vcc
	v_cmp_le_i32_e32 vcc, s60, v2
	v_add_u32_e32 v11, s2, v11
	s_or_b64 s[22:23], vcc, s[22:23]
	s_andn2_b64 exec, exec, s[22:23]
	s_cbranch_execz .LBB41_56
.LBB41_54:                              ;   Parent Loop BB41_7 Depth=1
                                        ; =>  This Inner Loop Header: Depth=2
	v_add_u32_e32 v2, s62, v2
	v_cmp_gt_u32_e32 vcc, s60, v2
	v_mov_b64_e32 v[14:15], 0
	s_and_saveexec_b64 s[2:3], vcc
	s_cbranch_execz .LBB41_53
; %bb.55:                               ;   in Loop: Header=BB41_54 Depth=2
	v_ashrrev_i32_e32 v5, 31, v4
	v_lshl_add_u64 v[14:15], v[4:5], 3, s[72:73]
	global_load_dwordx2 v[14:15], v[14:15], off
	s_branch .LBB41_53
.LBB41_56:                              ;   in Loop: Header=BB41_7 Depth=1
	s_or_b64 exec, exec, s[22:23]
.LBB41_57:                              ;   in Loop: Header=BB41_7 Depth=1
	s_or_b64 exec, exec, s[20:21]
	s_branch .LBB41_37
.LBB41_58:                              ;   in Loop: Header=BB41_7 Depth=1
	s_mul_hi_u32 s2, s33, s8
	s_mul_i32 s2, s2, s75
	s_sub_i32 s2, s33, s2
	s_sub_i32 s3, s2, s75
	s_cmp_ge_u32 s2, s75
	s_cselect_b32 s2, s3, s2
	s_sub_i32 s3, s2, s75
	s_cmp_ge_u32 s2, s75
	s_cselect_b32 s2, s3, s2
	s_sub_i32 s82, s33, s2
	v_mov_b32_e32 v18, v19
	v_cmp_gt_u32_e32 vcc, s82, v23
	v_mov_b64_e32 v[10:11], v[18:19]
	v_mov_b64_e32 v[8:9], v[18:19]
	s_and_saveexec_b64 s[70:71], vcc
	s_cbranch_execz .LBB41_62
; %bb.59:                               ;   in Loop: Header=BB41_7 Depth=1
	s_mov_b32 s88, 0
	s_mov_b64 s[86:87], 0
	v_mov_b32_e32 v2, v44
	v_mov_b32_e32 v48, v23
	s_mov_b32 s89, s88
	s_mov_b32 s90, s88
	;; [unrolled: 1-line block ×3, first 2 shown]
.LBB41_60:                              ;   Parent Loop BB41_7 Depth=1
                                        ; =>  This Inner Loop Header: Depth=2
	s_waitcnt vmcnt(0)
	ds_read_b128 v[12:15], v2
	ds_read_b128 v[8:11], v2 offset:16
	v_mov_b32_e32 v5, v19
	v_mov_b32_e32 v31, v19
	;; [unrolled: 1-line block ×3, first 2 shown]
	s_waitcnt lgkmcnt(1)
	v_ashrrev_i32_e32 v4, 31, v13
	v_ashrrev_i32_e32 v18, 31, v15
	s_waitcnt lgkmcnt(0)
	v_ashrrev_i32_e32 v30, 31, v9
	v_ashrrev_i32_e32 v32, 31, v11
	v_xor_b32_e32 v52, v18, v14
	v_cmp_o_f64_e64 s[2:3], v[14:15], v[14:15]
	v_xor_b32_e32 v14, v30, v8
	v_cmp_o_f64_e64 s[20:21], v[8:9], v[8:9]
	v_xor_b32_e32 v8, v4, v12
	v_or_b32_e32 v4, 0x80000000, v4
	v_xor_b32_e32 v53, v32, v10
	v_cmp_o_f64_e64 s[22:23], v[10:11], v[10:11]
	v_cmp_o_f64_e64 s[24:25], v[12:13], v[12:13]
	v_or_b32_e32 v10, 0x80000000, v18
	v_or_b32_e32 v12, 0x80000000, v30
	v_xor_b32_e32 v4, v4, v13
	v_or_b32_e32 v18, 0x80000000, v32
	v_xor_b32_e32 v13, v10, v15
	v_xor_b32_e32 v15, v12, v9
	v_cndmask_b32_e64 v8, -1, v8, s[24:25]
	v_cndmask_b32_e64 v9, -1, v4, s[24:25]
	v_xor_b32_e32 v18, v18, v11
	v_cndmask_b32_e64 v10, -1, v52, s[2:3]
	v_cndmask_b32_e64 v12, -1, v14, s[20:21]
	;; [unrolled: 1-line block ×4, first 2 shown]
	v_and_b32_e32 v52, v8, v28
	v_and_b32_e32 v53, v9, v29
	v_lshrrev_b64 v[8:9], s17, v[8:9]
	v_cndmask_b32_e64 v13, -1, v15, s[20:21]
	v_cndmask_b32_e64 v15, -1, v18, s[22:23]
	v_and_b32_e32 v54, v10, v28
	v_and_b32_e32 v55, v11, v29
	v_lshrrev_b64 v[10:11], s17, v[10:11]
	v_and_b32_e32 v18, 3, v8
	v_and_b32_e32 v56, v12, v28
	;; [unrolled: 1-line block ×3, first 2 shown]
	v_lshrrev_b64 v[12:13], s17, v[12:13]
	v_cmp_eq_u64_e64 s[2:3], v[52:53], v[26:27]
	v_and_b32_e32 v4, 3, v10
	v_cmp_eq_u64_e64 s[26:27], 0, v[18:19]
	v_and_b32_e32 v58, v14, v28
	v_and_b32_e32 v59, v15, v29
	v_lshrrev_b64 v[14:15], s17, v[14:15]
	v_cmp_eq_u64_e64 s[20:21], v[54:55], v[26:27]
	v_and_b32_e32 v30, 3, v12
	v_cmp_eq_u64_e64 s[28:29], 0, v[4:5]
	s_and_b64 s[26:27], s[2:3], s[26:27]
	v_cmp_eq_u64_e64 s[22:23], v[56:57], v[26:27]
	v_and_b32_e32 v32, 3, v14
	v_cmp_eq_u64_e64 s[30:31], 0, v[30:31]
	v_cmp_eq_u64_e64 s[38:39], 1, v[4:5]
	;; [unrolled: 1-line block ×4, first 2 shown]
	v_cndmask_b32_e64 v4, 0, 1, s[26:27]
	s_and_b64 s[26:27], s[20:21], s[28:29]
	v_cmp_eq_u64_e64 s[24:25], v[58:59], v[26:27]
	v_cmp_eq_u64_e64 s[34:35], 0, v[32:33]
	v_cndmask_b32_e64 v5, 0, 1, s[26:27]
	s_and_b64 s[26:27], s[22:23], s[30:31]
	v_cmp_eq_u64_e64 s[36:37], 1, v[18:19]
	v_cndmask_b32_e64 v8, 0, 1, s[26:27]
	s_and_b64 s[26:27], s[24:25], s[34:35]
	v_cndmask_b32_e64 v9, 0, 1, s[26:27]
	s_and_b64 s[26:27], s[2:3], s[36:37]
	v_cmp_eq_u64_e64 s[40:41], 1, v[30:31]
	v_cndmask_b32_e64 v10, 0, 1, s[26:27]
	s_and_b64 s[26:27], s[20:21], s[38:39]
	v_cmp_eq_u64_e64 s[42:43], 1, v[32:33]
	;; [unrolled: 3-line block ×3, first 2 shown]
	v_cmp_eq_u64_e64 s[52:53], 3, v[18:19]
	v_cndmask_b32_e64 v12, 0, 1, s[26:27]
	s_and_b64 s[26:27], s[24:25], s[42:43]
	v_cndmask_b32_e64 v13, 0, 1, s[26:27]
	s_and_b64 s[26:27], s[2:3], s[44:45]
	s_and_b64 s[2:3], s[2:3], s[52:53]
	v_cmp_eq_u64_e64 s[48:49], 2, v[30:31]
	v_cmp_eq_u64_e64 s[56:57], 3, v[30:31]
	v_cndmask_b32_e64 v14, 0, 1, s[26:27]
	s_and_b64 s[26:27], s[20:21], s[46:47]
	v_cndmask_b32_e64 v31, 0, 1, s[2:3]
	s_and_b64 s[2:3], s[20:21], s[54:55]
	v_cmp_eq_u64_e64 s[50:51], 2, v[32:33]
	v_cmp_eq_u64_e64 s[58:59], 3, v[32:33]
	v_cndmask_b32_e64 v15, 0, 1, s[26:27]
	s_and_b64 s[26:27], s[22:23], s[48:49]
	v_cndmask_b32_e64 v32, 0, 1, s[2:3]
	s_and_b64 s[2:3], s[22:23], s[56:57]
	;; [unrolled: 2-line block ×4, first 2 shown]
	v_cndmask_b32_e64 v30, 0, 1, s[26:27]
	v_cndmask_b32_e64 v52, 0, 1, s[2:3]
	v_cmp_ne_u32_e64 s[2:3], 0, v4
	v_cmp_ne_u32_e64 s[20:21], 0, v5
	;; [unrolled: 1-line block ×11, first 2 shown]
	s_bcnt1_i32_b64 s2, s[2:3]
	s_bcnt1_i32_b64 s3, s[20:21]
	;; [unrolled: 1-line block ×8, first 2 shown]
	v_cmp_ne_u32_e64 s[34:35], 0, v13
	v_cmp_ne_u32_e64 s[40:41], 0, v18
	;; [unrolled: 1-line block ×3, first 2 shown]
	s_bcnt1_i32_b64 s23, s[28:29]
	s_bcnt1_i32_b64 s27, s[38:39]
	;; [unrolled: 1-line block ×3, first 2 shown]
	s_add_i32 s2, s88, s2
	s_add_i32 s22, s89, s22
	;; [unrolled: 1-line block ×4, first 2 shown]
	v_cmp_ne_u32_e64 s[42:43], 0, v30
	v_cmp_ne_u32_e64 s[50:51], 0, v52
	s_bcnt1_i32_b64 s25, s[34:35]
	s_bcnt1_i32_b64 s28, s[40:41]
	;; [unrolled: 1-line block ×3, first 2 shown]
	s_add_i32 s22, s22, s23
	s_add_i32 s2, s2, s3
	;; [unrolled: 1-line block ×4, first 2 shown]
	v_add_u32_e32 v48, s75, v48
	s_bcnt1_i32_b64 s29, s[42:43]
	s_bcnt1_i32_b64 s35, s[50:51]
	s_add_i32 s2, s2, s20
	s_add_i32 s20, s22, s24
	;; [unrolled: 1-line block ×4, first 2 shown]
	v_cmp_le_i32_e32 vcc, s82, v48
	s_add_i32 s89, s20, s25
	s_add_i32 s88, s2, s21
	;; [unrolled: 1-line block ×4, first 2 shown]
	v_add_u32_e32 v2, s85, v2
	s_or_b64 s[86:87], vcc, s[86:87]
	v_mov_b64_e32 v[8:9], s[88:89]
	v_mov_b64_e32 v[10:11], s[90:91]
	s_andn2_b64 exec, exec, s[86:87]
	s_cbranch_execnz .LBB41_60
; %bb.61:                               ;   in Loop: Header=BB41_7 Depth=1
	s_or_b64 exec, exec, s[86:87]
.LBB41_62:                              ;   in Loop: Header=BB41_7 Depth=1
	s_or_b64 exec, exec, s[70:71]
	v_add_u32_e32 v2, s82, v0
	v_cmp_gt_i32_e32 vcc, s33, v2
	s_and_saveexec_b64 s[28:29], vcc
	s_cbranch_execz .LBB41_66
; %bb.63:                               ;   in Loop: Header=BB41_7 Depth=1
	s_waitcnt vmcnt(0)
	v_lshlrev_b32_e32 v4, 3, v2
	s_mov_b64 s[30:31], 0
.LBB41_64:                              ;   Parent Loop BB41_7 Depth=1
                                        ; =>  This Inner Loop Header: Depth=2
	ds_read_b64 v[12:13], v4
	v_add_u32_e32 v2, s62, v2
	v_cmp_le_i32_e32 vcc, s33, v2
	v_add_u32_e32 v4, s16, v4
	s_waitcnt lgkmcnt(0)
	v_ashrrev_i32_e32 v5, 31, v13
	v_xor_b32_e32 v14, v5, v12
	v_or_b32_e32 v5, 0x80000000, v5
	v_cmp_o_f64_e64 s[2:3], v[12:13], v[12:13]
	v_xor_b32_e32 v5, v5, v13
	s_nop 0
	v_cndmask_b32_e64 v12, -1, v14, s[2:3]
	v_cndmask_b32_e64 v13, -1, v5, s[2:3]
	v_and_b32_e32 v14, v12, v28
	v_and_b32_e32 v15, v13, v29
	v_lshrrev_b64 v[12:13], s17, v[12:13]
	v_and_b32_e32 v18, 3, v12
	v_cmp_eq_u64_e64 s[2:3], v[14:15], v[26:27]
	v_cmp_eq_u64_e64 s[20:21], 0, v[18:19]
	;; [unrolled: 1-line block ×3, first 2 shown]
	s_and_b64 s[20:21], s[2:3], s[20:21]
	v_cmp_eq_u64_e64 s[24:25], 2, v[18:19]
	v_cmp_eq_u64_e64 s[26:27], 3, v[18:19]
	v_cndmask_b32_e64 v5, 0, 1, s[20:21]
	s_and_b64 s[20:21], s[2:3], s[22:23]
	v_cndmask_b32_e64 v12, 0, 1, s[20:21]
	s_and_b64 s[20:21], s[2:3], s[24:25]
	s_and_b64 s[2:3], s[2:3], s[26:27]
	v_cndmask_b32_e64 v13, 0, 1, s[20:21]
	v_cndmask_b32_e64 v14, 0, 1, s[2:3]
	v_cmp_ne_u32_e64 s[2:3], 0, v5
	v_cmp_ne_u32_e64 s[20:21], 0, v12
	;; [unrolled: 1-line block ×4, first 2 shown]
	s_bcnt1_i32_b64 s2, s[2:3]
	s_bcnt1_i32_b64 s3, s[20:21]
	;; [unrolled: 1-line block ×4, first 2 shown]
	v_add_u32_e32 v9, s3, v9
	v_add_u32_e32 v8, s2, v8
	;; [unrolled: 1-line block ×3, first 2 shown]
	s_or_b64 s[30:31], vcc, s[30:31]
	v_add_u32_e32 v10, s20, v10
	s_andn2_b64 exec, exec, s[30:31]
	s_cbranch_execnz .LBB41_64
; %bb.65:                               ;   in Loop: Header=BB41_7 Depth=1
	s_or_b64 exec, exec, s[30:31]
.LBB41_66:                              ;   in Loop: Header=BB41_7 Depth=1
	s_or_b64 exec, exec, s[28:29]
	s_lshl_b32 s22, s61, 6
	s_and_saveexec_b64 s[2:3], s[18:19]
	s_cbranch_execnz .LBB41_38
	s_branch .LBB41_39
.LBB41_67:                              ;   in Loop: Header=BB41_7 Depth=1
	s_or_b64 exec, exec, s[22:23]
	s_waitcnt lgkmcnt(0)
	s_barrier
	s_and_saveexec_b64 s[2:3], s[0:1]
	s_cbranch_execz .LBB41_69
; %bb.68:                               ;   in Loop: Header=BB41_7 Depth=1
	ds_read_b32 v2, v19 offset:4104
	s_waitcnt lgkmcnt(0)
	ds_write_b32 v19, v2 offset:4096
.LBB41_69:                              ;   in Loop: Header=BB41_7 Depth=1
	s_or_b64 exec, exec, s[2:3]
	s_waitcnt lgkmcnt(0)
	s_barrier
	s_mov_b64 s[2:3], -1
	s_and_b64 vcc, exec, s[20:21]
	s_cbranch_vccnz .LBB41_23
	s_branch .LBB41_33
.LBB41_70:                              ;   in Loop: Header=BB41_7 Depth=1
	v_mov_b32_e32 v4, 0
	s_mov_b32 s23, 0
	s_cbranch_execnz .LBB41_75
	s_branch .LBB41_77
.LBB41_71:                              ;   in Loop: Header=BB41_7 Depth=1
	v_mov_b32_e32 v18, v19
	v_readlane_b32 s20, v60, 39
	v_mov_b64_e32 v[4:5], v[18:19]
	v_readlane_b32 s21, v60, 40
.LBB41_72:                              ;   in Loop: Header=BB41_7 Depth=1
	v_readlane_b32 s24, v60, 30
	v_readlane_b32 s25, v60, 31
	s_andn2_b64 vcc, exec, s[24:25]
	v_readlane_b32 s23, v60, 29
	s_cbranch_vccnz .LBB41_74
.LBB41_73:                              ;   Parent Loop BB41_7 Depth=1
                                        ; =>  This Inner Loop Header: Depth=2
	v_lshl_add_u32 v9, s20, 4, v8
	v_lshl_add_u32 v10, s21, 4, v8
	ds_read_b32 v10, v10
	ds_read_b32 v9, v9
	s_add_i32 s21, s21, 2
	s_add_i32 s20, s20, 2
	s_add_i32 s23, s23, -1
	s_cmp_lg_u32 s23, 0
	s_waitcnt lgkmcnt(1)
	v_add_u32_e32 v5, v10, v5
	s_waitcnt lgkmcnt(0)
	v_add_u32_e32 v4, v9, v4
	s_cbranch_scc1 .LBB41_73
.LBB41_74:                              ;   in Loop: Header=BB41_7 Depth=1
	v_readlane_b32 s20, v60, 34
	v_add_u32_e32 v4, v4, v5
	v_readlane_b32 s23, v60, 33
	v_readlane_b32 s21, v60, 35
	s_and_b64 vcc, exec, s[20:21]
	s_cbranch_vccz .LBB41_77
.LBB41_75:                              ;   in Loop: Header=BB41_7 Depth=1
	s_lshl_b32 s20, s61, 8
	s_lshl_b32 s21, s23, 4
	s_add_i32 s20, s20, s21
	v_add_u32_e32 v5, s20, v45
	v_readlane_b32 s20, v60, 32
	s_sub_i32 s20, s20, s23
.LBB41_76:                              ;   Parent Loop BB41_7 Depth=1
                                        ; =>  This Inner Loop Header: Depth=2
	ds_read_b32 v8, v5
	s_add_i32 s20, s20, -1
	v_add_u32_e32 v5, 16, v5
	s_cmp_eq_u32 s20, 0
	s_waitcnt lgkmcnt(0)
	v_add_u32_e32 v4, v8, v4
	s_cbranch_scc0 .LBB41_76
.LBB41_77:                              ;   in Loop: Header=BB41_7 Depth=1
	v_lshlrev_b32_e32 v2, 2, v2
	ds_write_b32 v2, v4 offset:3072
.LBB41_78:                              ;   in Loop: Header=BB41_7 Depth=1
	s_or_b64 exec, exec, s[2:3]
	s_lshl_b32 s2, s22, 2
	v_mov_b32_e32 v2, s2
	s_waitcnt lgkmcnt(0)
	s_barrier
	ds_read_b128 v[8:11], v2 offset:3072
	s_lshl_b64 s[2:3], 3, s17
	s_not_b64 s[30:31], s[2:3]
	v_cmp_eq_u32_e32 vcc, 1, v47
	s_mov_b64 s[22:23], -1
	s_waitcnt lgkmcnt(0)
	v_readfirstlane_b32 s46, v8
	s_cmp_eq_u32 s46, 1
	s_cselect_b64 s[20:21], -1, 0
	v_readfirstlane_b32 s33, v9
	v_readfirstlane_b32 s58, v10
	;; [unrolled: 1-line block ×3, first 2 shown]
	s_and_b64 s[24:25], s[20:21], vcc
	s_mov_b64 s[34:35], -1
                                        ; implicit-def: $sgpr28_sgpr29
                                        ; implicit-def: $sgpr26_sgpr27
	s_and_saveexec_b64 s[20:21], s[24:25]
	s_cbranch_execz .LBB41_106
; %bb.79:                               ;   in Loop: Header=BB41_7 Depth=1
	ds_read_b32 v2, v19 offset:4096
	s_waitcnt lgkmcnt(0)
	s_barrier
	v_readfirstlane_b32 s47, v2
	s_and_saveexec_b64 s[26:27], s[4:5]
; %bb.80:                               ;   in Loop: Header=BB41_7 Depth=1
	ds_write_b64 v36, v[50:51]
; %bb.81:                               ;   in Loop: Header=BB41_7 Depth=1
	s_or_b64 exec, exec, s[26:27]
	v_and_b32_e32 v27, s31, v27
	v_and_b32_e32 v26, s30, v26
	v_or_b32_e32 v29, s3, v29
	v_or_b32_e32 v28, s2, v28
	s_mov_b64 s[26:27], -1
	s_mov_b64 s[28:29], 0
	s_cmp_lt_i32 s47, 1
	s_mov_b64 s[34:35], 0
	s_mov_b64 s[36:37], -1
	s_waitcnt lgkmcnt(0)
	s_barrier
                                        ; implicit-def: $vgpr6_vgpr7
	s_cbranch_scc0 .LBB41_93
; %bb.82:                               ;   in Loop: Header=BB41_7 Depth=1
	s_mov_b64 s[36:37], 0
                                        ; implicit-def: $vgpr6_vgpr7
	s_mov_b64 s[38:39], exec
	v_readlane_b32 s40, v60, 37
	v_readlane_b32 s41, v60, 38
	s_and_b64 s[40:41], s[38:39], s[40:41]
	s_mov_b64 exec, s[40:41]
	s_cbranch_execz .LBB41_92
; %bb.83:                               ;   in Loop: Header=BB41_7 Depth=1
	v_mov_b32_e32 v8, v16
	v_mov_b32_e32 v10, v0
                                        ; implicit-def: $sgpr40_sgpr41
	s_branch .LBB41_87
.LBB41_84:                              ;   in Loop: Header=BB41_87 Depth=2
	s_or_b64 exec, exec, s[42:43]
	s_waitcnt lgkmcnt(0)
	s_barrier
	s_waitcnt vmcnt(0)
	ds_read_b128 v[4:7], v19 offset:3072
	s_waitcnt lgkmcnt(0)
	s_barrier
	v_cmp_neq_f64_e32 vcc, 0, v[4:5]
	s_cbranch_vccnz .LBB41_90
; %bb.85:                               ;   in Loop: Header=BB41_87 Depth=2
	v_add_u32_e32 v10, s62, v10
	v_cmp_le_i32_e32 vcc, s83, v10
	v_add_u32_e32 v8, s74, v8
	s_mov_b64 s[42:43], 0
	s_orn2_b64 s[44:45], vcc, exec
.LBB41_86:                              ;   in Loop: Header=BB41_87 Depth=2
	s_and_b64 s[44:45], exec, s[44:45]
	s_or_b64 s[34:35], s[44:45], s[34:35]
	s_andn2_b64 s[40:41], s[40:41], exec
	s_and_b64 s[42:43], s[42:43], exec
	s_or_b64 s[40:41], s[40:41], s[42:43]
	s_andn2_b64 exec, exec, s[34:35]
	s_cbranch_execz .LBB41_91
.LBB41_87:                              ;   Parent Loop BB41_7 Depth=1
                                        ; =>  This Inner Loop Header: Depth=2
	v_cmp_gt_i32_e32 vcc, s60, v10
	s_and_saveexec_b64 s[42:43], vcc
	s_cbranch_execz .LBB41_84
; %bb.88:                               ;   in Loop: Header=BB41_87 Depth=2
	v_ashrrev_i32_e32 v9, 31, v8
	s_waitcnt vmcnt(0)
	v_lshl_add_u64 v[4:5], v[8:9], 3, s[72:73]
	global_load_dwordx2 v[4:5], v[4:5], off
	s_waitcnt vmcnt(0)
	v_ashrrev_i32_e32 v2, 31, v5
	v_or_b32_e32 v6, 0x80000000, v2
	v_xor_b32_e32 v2, v2, v4
	v_xor_b32_e32 v6, v6, v5
	v_cmp_o_f64_e32 vcc, v[4:5], v[4:5]
	s_nop 1
	v_cndmask_b32_e32 v2, -1, v2, vcc
	v_cndmask_b32_e32 v6, -1, v6, vcc
	v_and_b32_e32 v7, v6, v29
	v_and_b32_e32 v6, v2, v28
	v_cmp_eq_u64_e32 vcc, v[6:7], v[26:27]
	s_and_b64 exec, exec, vcc
	s_cbranch_execz .LBB41_84
; %bb.89:                               ;   in Loop: Header=BB41_87 Depth=2
	v_mov_b32_e32 v2, v19
	ds_write_b128 v19, v[2:5] offset:3072
	s_branch .LBB41_84
.LBB41_90:                              ;   in Loop: Header=BB41_87 Depth=2
	s_mov_b64 s[44:45], -1
                                        ; implicit-def: $vgpr10
                                        ; implicit-def: $vgpr8
	s_mov_b64 s[42:43], -1
	s_branch .LBB41_86
.LBB41_91:                              ;   in Loop: Header=BB41_7 Depth=1
	s_or_b64 exec, exec, s[34:35]
	s_and_b64 s[34:35], s[40:41], exec
.LBB41_92:                              ;   in Loop: Header=BB41_7 Depth=1
	s_or_b64 exec, exec, s[38:39]
.LBB41_93:                              ;   in Loop: Header=BB41_7 Depth=1
	s_and_b64 vcc, exec, s[36:37]
	s_cbranch_vccz .LBB41_105
; %bb.94:                               ;   in Loop: Header=BB41_7 Depth=1
	v_readlane_b32 s26, v60, 19
	s_add_i32 s42, s47, s26
	s_abs_i32 s27, s42
	v_readlane_b32 s28, v60, 36
	s_mul_hi_u32 s28, s27, s28
	s_mul_i32 s28, s28, s62
	s_sub_i32 s27, s27, s28
	s_ashr_i32 s26, s42, 31
	s_sub_i32 s28, s27, s62
	s_cmp_ge_u32 s27, s62
	s_cselect_b32 s27, s28, s27
	s_sub_i32 s28, s27, s62
	s_cmp_ge_u32 s27, s62
	s_cselect_b32 s27, s28, s27
	s_xor_b32 s27, s27, s26
	s_sub_i32 s26, s26, s27
	s_add_i32 s42, s42, s26
	v_cmp_gt_i32_e32 vcc, s42, v0
                                        ; implicit-def: $vgpr6_vgpr7
	s_and_saveexec_b64 s[26:27], vcc
	s_cbranch_execz .LBB41_104
; %bb.95:                               ;   in Loop: Header=BB41_7 Depth=1
	s_mov_b64 s[36:37], 0
	v_mov_b32_e32 v8, v35
	v_mov_b32_e32 v9, v0
                                        ; implicit-def: $sgpr28_sgpr29
	s_branch .LBB41_99
.LBB41_96:                              ;   in Loop: Header=BB41_99 Depth=2
	s_or_b64 exec, exec, s[38:39]
	s_waitcnt lgkmcnt(0)
	s_barrier
	s_waitcnt vmcnt(0)
	ds_read_b128 v[4:7], v19 offset:3072
	s_waitcnt lgkmcnt(0)
	s_barrier
	v_cmp_neq_f64_e32 vcc, 0, v[4:5]
	s_cbranch_vccnz .LBB41_102
; %bb.97:                               ;   in Loop: Header=BB41_99 Depth=2
	v_add_u32_e32 v9, s62, v9
	v_cmp_le_i32_e32 vcc, s42, v9
	v_add_u32_e32 v8, s16, v8
	s_mov_b64 s[38:39], 0
	s_orn2_b64 s[40:41], vcc, exec
.LBB41_98:                              ;   in Loop: Header=BB41_99 Depth=2
	s_and_b64 s[40:41], exec, s[40:41]
	s_or_b64 s[36:37], s[40:41], s[36:37]
	s_andn2_b64 s[28:29], s[28:29], exec
	s_and_b64 s[38:39], s[38:39], exec
	s_or_b64 s[28:29], s[28:29], s[38:39]
	s_andn2_b64 exec, exec, s[36:37]
	s_cbranch_execz .LBB41_103
.LBB41_99:                              ;   Parent Loop BB41_7 Depth=1
                                        ; =>  This Inner Loop Header: Depth=2
	v_cmp_gt_i32_e32 vcc, s47, v9
	s_and_saveexec_b64 s[38:39], vcc
	s_cbranch_execz .LBB41_96
; %bb.100:                              ;   in Loop: Header=BB41_99 Depth=2
	s_waitcnt vmcnt(0)
	ds_read_b64 v[4:5], v8
	s_waitcnt lgkmcnt(0)
	v_ashrrev_i32_e32 v2, 31, v5
	v_or_b32_e32 v6, 0x80000000, v2
	v_xor_b32_e32 v2, v2, v4
	v_xor_b32_e32 v6, v6, v5
	v_cmp_o_f64_e32 vcc, v[4:5], v[4:5]
	s_nop 1
	v_cndmask_b32_e32 v2, -1, v2, vcc
	v_cndmask_b32_e32 v6, -1, v6, vcc
	v_and_b32_e32 v7, v6, v29
	v_and_b32_e32 v6, v2, v28
	v_cmp_eq_u64_e32 vcc, v[6:7], v[26:27]
	s_and_b64 exec, exec, vcc
	s_cbranch_execz .LBB41_96
; %bb.101:                              ;   in Loop: Header=BB41_99 Depth=2
	v_mov_b32_e32 v2, v19
	ds_write_b128 v19, v[2:5] offset:3072
	s_branch .LBB41_96
.LBB41_102:                             ;   in Loop: Header=BB41_99 Depth=2
	s_mov_b64 s[40:41], -1
                                        ; implicit-def: $vgpr9
                                        ; implicit-def: $vgpr8
	s_mov_b64 s[38:39], -1
	s_branch .LBB41_98
.LBB41_103:                             ;   in Loop: Header=BB41_7 Depth=1
	s_or_b64 exec, exec, s[36:37]
	s_andn2_b64 s[34:35], s[34:35], exec
	s_and_b64 s[28:29], s[28:29], exec
	s_or_b64 s[34:35], s[34:35], s[28:29]
.LBB41_104:                             ;   in Loop: Header=BB41_7 Depth=1
	s_or_b64 exec, exec, s[26:27]
	s_mov_b64 s[26:27], 0
	s_mov_b64 s[28:29], -1
.LBB41_105:                             ;   in Loop: Header=BB41_7 Depth=1
	s_orn2_b64 s[34:35], s[34:35], exec
.LBB41_106:                             ;   in Loop: Header=BB41_7 Depth=1
	s_or_b64 exec, exec, s[20:21]
	s_andn2_b64 s[20:21], s[66:67], exec
	s_and_b64 s[28:29], s[28:29], exec
	s_or_b64 s[66:67], s[20:21], s[28:29]
	s_andn2_b64 s[20:21], s[64:65], exec
	s_and_b64 s[26:27], s[26:27], exec
	v_readfirstlane_b32 s36, v0
	v_readfirstlane_b32 s37, v0
	s_andn2_b64 s[68:69], s[68:69], exec
	s_or_b64 s[64:65], s[20:21], s[26:27]
                                        ; implicit-def: $vgpr11
	s_and_saveexec_b64 s[20:21], s[34:35]
	s_cbranch_execz .LBB41_6
; %bb.107:                              ;   in Loop: Header=BB41_7 Depth=1
	s_xor_b64 s[26:27], s[24:25], -1
	s_mov_b64 s[24:25], 0
	v_mov_b32_e32 v11, 1
	v_mov_b32_e32 v10, 1
	s_and_saveexec_b64 s[22:23], s[26:27]
	s_cbranch_execz .LBB41_116
; %bb.108:                              ;   in Loop: Header=BB41_7 Depth=1
	v_cmp_ge_i32_e32 vcc, s46, v47
	s_and_saveexec_b64 s[24:25], vcc
	s_xor_b64 s[24:25], exec, s[24:25]
	s_cbranch_execz .LBB41_113
; %bb.109:                              ;   in Loop: Header=BB41_7 Depth=1
	ds_read_b32 v2, v19 offset:4096
	v_and_b32_e32 v27, s31, v27
	v_and_b32_e32 v26, s30, v26
	v_or_b32_e32 v29, s3, v29
	v_or_b32_e32 v28, s2, v28
	s_waitcnt lgkmcnt(0)
	v_cmp_ne_u32_e32 vcc, 0, v2
	s_cbranch_vccnz .LBB41_113
; %bb.110:                              ;   in Loop: Header=BB41_7 Depth=1
	s_and_saveexec_b64 s[26:27], s[0:1]
; %bb.111:                              ;   in Loop: Header=BB41_7 Depth=1
	v_mov_b32_e32 v2, s46
	ds_write_b32 v19, v2 offset:4100
; %bb.112:                              ;   in Loop: Header=BB41_7 Depth=1
	s_or_b64 exec, exec, s[26:27]
	s_waitcnt lgkmcnt(0)
	s_barrier
.LBB41_113:                             ;   in Loop: Header=BB41_7 Depth=1
	s_or_saveexec_b64 s[24:25], s[24:25]
	s_mov_b64 s[26:27], 0
	v_mov_b32_e32 v10, 8
	s_xor_b64 exec, exec, s[24:25]
; %bb.114:                              ;   in Loop: Header=BB41_7 Depth=1
	s_mov_b64 s[26:27], exec
	v_subrev_u32_e32 v47, s46, v47
	v_mov_b32_e32 v10, 0
; %bb.115:                              ;   in Loop: Header=BB41_7 Depth=1
	s_or_b64 exec, exec, s[24:25]
	s_and_b64 s[24:25], s[26:27], exec
	v_mov_b32_e32 v11, v47
.LBB41_116:                             ;   in Loop: Header=BB41_7 Depth=1
	s_or_b64 exec, exec, s[22:23]
	s_mov_b64 s[22:23], -1
	s_mov_b64 s[34:35], -1
                                        ; implicit-def: $sgpr26_sgpr27
                                        ; implicit-def: $sgpr28_sgpr29
	s_and_saveexec_b64 s[36:37], s[24:25]
	s_xor_b64 s[24:25], exec, s[36:37]
	s_cbranch_execz .LBB41_239
; %bb.117:                              ;   in Loop: Header=BB41_7 Depth=1
	s_cmp_eq_u32 s33, 1
	s_cselect_b64 s[26:27], -1, 0
	v_cmp_eq_u32_e32 vcc, 1, v11
	s_and_b64 s[36:37], s[26:27], vcc
	s_mov_b64 s[38:39], -1
                                        ; implicit-def: $sgpr28_sgpr29
                                        ; implicit-def: $sgpr26_sgpr27
	s_and_saveexec_b64 s[34:35], s[36:37]
	s_cbranch_execz .LBB41_145
; %bb.118:                              ;   in Loop: Header=BB41_7 Depth=1
	ds_read_b32 v2, v19 offset:4096
	s_waitcnt lgkmcnt(0)
	s_barrier
	v_readfirstlane_b32 s50, v2
	s_and_saveexec_b64 s[26:27], s[4:5]
; %bb.119:                              ;   in Loop: Header=BB41_7 Depth=1
	ds_write_b64 v36, v[50:51]
; %bb.120:                              ;   in Loop: Header=BB41_7 Depth=1
	s_or_b64 exec, exec, s[26:27]
	s_lshl_b64 s[26:27], 1, s17
	v_and_b32_e32 v2, s31, v27
	s_waitcnt vmcnt(0)
	v_and_b32_e32 v4, s30, v26
	v_or_b32_e32 v27, s27, v2
	v_or_b32_e32 v26, s26, v4
	;; [unrolled: 1-line block ×4, first 2 shown]
	s_mov_b64 s[26:27], -1
	s_mov_b64 s[28:29], 0
	s_cmp_gt_i32 s50, 0
	s_mov_b64 s[38:39], 0
	s_mov_b64 s[40:41], -1
	s_waitcnt lgkmcnt(0)
	s_barrier
                                        ; implicit-def: $vgpr6_vgpr7
	s_cbranch_scc1 .LBB41_132
; %bb.121:                              ;   in Loop: Header=BB41_7 Depth=1
	s_mov_b64 s[40:41], 0
                                        ; implicit-def: $vgpr6_vgpr7
	s_mov_b64 s[42:43], exec
	v_readlane_b32 s44, v60, 37
	v_readlane_b32 s45, v60, 38
	s_and_b64 s[44:45], s[42:43], s[44:45]
	s_mov_b64 exec, s[44:45]
	s_cbranch_execz .LBB41_131
; %bb.122:                              ;   in Loop: Header=BB41_7 Depth=1
	v_mov_b32_e32 v8, v16
	v_mov_b32_e32 v12, v0
                                        ; implicit-def: $sgpr44_sgpr45
	s_branch .LBB41_126
.LBB41_123:                             ;   in Loop: Header=BB41_126 Depth=2
	s_or_b64 exec, exec, s[46:47]
	s_waitcnt lgkmcnt(0)
	s_barrier
	ds_read_b128 v[4:7], v19 offset:3072
	s_waitcnt lgkmcnt(0)
	s_barrier
	v_cmp_neq_f64_e32 vcc, 0, v[4:5]
	s_cbranch_vccnz .LBB41_129
; %bb.124:                              ;   in Loop: Header=BB41_126 Depth=2
	v_add_u32_e32 v12, s62, v12
	v_cmp_le_i32_e32 vcc, s83, v12
	v_add_u32_e32 v8, s74, v8
	s_mov_b64 s[46:47], 0
	s_orn2_b64 s[48:49], vcc, exec
.LBB41_125:                             ;   in Loop: Header=BB41_126 Depth=2
	s_and_b64 s[48:49], exec, s[48:49]
	s_or_b64 s[38:39], s[48:49], s[38:39]
	s_andn2_b64 s[44:45], s[44:45], exec
	s_and_b64 s[46:47], s[46:47], exec
	s_or_b64 s[44:45], s[44:45], s[46:47]
	s_andn2_b64 exec, exec, s[38:39]
	s_cbranch_execz .LBB41_130
.LBB41_126:                             ;   Parent Loop BB41_7 Depth=1
                                        ; =>  This Inner Loop Header: Depth=2
	v_cmp_gt_i32_e32 vcc, s60, v12
	s_and_saveexec_b64 s[46:47], vcc
	s_cbranch_execz .LBB41_123
; %bb.127:                              ;   in Loop: Header=BB41_126 Depth=2
	v_ashrrev_i32_e32 v9, 31, v8
	v_lshl_add_u64 v[4:5], v[8:9], 3, s[72:73]
	global_load_dwordx2 v[4:5], v[4:5], off
	s_waitcnt vmcnt(0)
	v_ashrrev_i32_e32 v2, 31, v5
	v_or_b32_e32 v6, 0x80000000, v2
	v_xor_b32_e32 v2, v2, v4
	v_xor_b32_e32 v6, v6, v5
	v_cmp_o_f64_e32 vcc, v[4:5], v[4:5]
	s_nop 1
	v_cndmask_b32_e32 v2, -1, v2, vcc
	v_cndmask_b32_e32 v6, -1, v6, vcc
	v_and_b32_e32 v7, v6, v29
	v_and_b32_e32 v6, v2, v28
	v_cmp_eq_u64_e32 vcc, v[6:7], v[26:27]
	s_and_b64 exec, exec, vcc
	s_cbranch_execz .LBB41_123
; %bb.128:                              ;   in Loop: Header=BB41_126 Depth=2
	v_mov_b32_e32 v2, v19
	ds_write_b128 v19, v[2:5] offset:3072
	s_branch .LBB41_123
.LBB41_129:                             ;   in Loop: Header=BB41_126 Depth=2
	s_mov_b64 s[48:49], -1
                                        ; implicit-def: $vgpr12
                                        ; implicit-def: $vgpr8
	s_mov_b64 s[46:47], -1
	s_branch .LBB41_125
.LBB41_130:                             ;   in Loop: Header=BB41_7 Depth=1
	s_or_b64 exec, exec, s[38:39]
	s_and_b64 s[38:39], s[44:45], exec
.LBB41_131:                             ;   in Loop: Header=BB41_7 Depth=1
	s_or_b64 exec, exec, s[42:43]
.LBB41_132:                             ;   in Loop: Header=BB41_7 Depth=1
	s_and_b64 vcc, exec, s[40:41]
	s_cbranch_vccz .LBB41_144
; %bb.133:                              ;   in Loop: Header=BB41_7 Depth=1
	v_readlane_b32 s26, v60, 19
	s_add_i32 s46, s50, s26
	s_abs_i32 s27, s46
	v_readlane_b32 s28, v60, 36
	s_mul_hi_u32 s28, s27, s28
	s_mul_i32 s28, s28, s62
	s_sub_i32 s27, s27, s28
	s_ashr_i32 s26, s46, 31
	s_sub_i32 s28, s27, s62
	s_cmp_ge_u32 s27, s62
	s_cselect_b32 s27, s28, s27
	s_sub_i32 s28, s27, s62
	s_cmp_ge_u32 s27, s62
	s_cselect_b32 s27, s28, s27
	s_xor_b32 s27, s27, s26
	s_sub_i32 s26, s26, s27
	s_add_i32 s46, s46, s26
	v_cmp_gt_i32_e32 vcc, s46, v0
                                        ; implicit-def: $vgpr6_vgpr7
	s_and_saveexec_b64 s[26:27], vcc
	s_cbranch_execz .LBB41_143
; %bb.134:                              ;   in Loop: Header=BB41_7 Depth=1
	s_mov_b64 s[28:29], 0
	v_mov_b32_e32 v8, v35
	v_mov_b32_e32 v9, v0
                                        ; implicit-def: $sgpr40_sgpr41
	s_branch .LBB41_138
.LBB41_135:                             ;   in Loop: Header=BB41_138 Depth=2
	s_or_b64 exec, exec, s[42:43]
	s_waitcnt lgkmcnt(0)
	s_barrier
	ds_read_b128 v[4:7], v19 offset:3072
	s_waitcnt lgkmcnt(0)
	s_barrier
	v_cmp_eq_f64_e32 vcc, 0, v[4:5]
	s_cbranch_vccz .LBB41_141
; %bb.136:                              ;   in Loop: Header=BB41_138 Depth=2
	v_add_u32_e32 v9, s62, v9
	v_cmp_le_i32_e32 vcc, s46, v9
	v_add_u32_e32 v8, s16, v8
	s_mov_b64 s[42:43], 0
	s_orn2_b64 s[44:45], vcc, exec
.LBB41_137:                             ;   in Loop: Header=BB41_138 Depth=2
	s_and_b64 s[44:45], exec, s[44:45]
	s_or_b64 s[28:29], s[44:45], s[28:29]
	s_andn2_b64 s[40:41], s[40:41], exec
	s_and_b64 s[42:43], s[42:43], exec
	s_or_b64 s[40:41], s[40:41], s[42:43]
	s_andn2_b64 exec, exec, s[28:29]
	s_cbranch_execz .LBB41_142
.LBB41_138:                             ;   Parent Loop BB41_7 Depth=1
                                        ; =>  This Inner Loop Header: Depth=2
	v_cmp_gt_i32_e32 vcc, s50, v9
	s_and_saveexec_b64 s[42:43], vcc
	s_cbranch_execz .LBB41_135
; %bb.139:                              ;   in Loop: Header=BB41_138 Depth=2
	ds_read_b64 v[4:5], v8
	s_waitcnt lgkmcnt(0)
	v_ashrrev_i32_e32 v2, 31, v5
	v_or_b32_e32 v6, 0x80000000, v2
	v_xor_b32_e32 v2, v2, v4
	v_xor_b32_e32 v6, v6, v5
	v_cmp_o_f64_e32 vcc, v[4:5], v[4:5]
	s_nop 1
	v_cndmask_b32_e32 v2, -1, v2, vcc
	v_cndmask_b32_e32 v6, -1, v6, vcc
	v_and_b32_e32 v7, v6, v29
	v_and_b32_e32 v6, v2, v28
	v_cmp_eq_u64_e32 vcc, v[6:7], v[26:27]
	s_and_b64 exec, exec, vcc
	s_cbranch_execz .LBB41_135
; %bb.140:                              ;   in Loop: Header=BB41_138 Depth=2
	v_mov_b32_e32 v2, v19
	ds_write_b128 v19, v[2:5] offset:3072
	s_branch .LBB41_135
.LBB41_141:                             ;   in Loop: Header=BB41_138 Depth=2
	s_mov_b64 s[44:45], -1
                                        ; implicit-def: $vgpr9
                                        ; implicit-def: $vgpr8
	s_mov_b64 s[42:43], -1
	s_branch .LBB41_137
.LBB41_142:                             ;   in Loop: Header=BB41_7 Depth=1
	s_or_b64 exec, exec, s[28:29]
	s_andn2_b64 s[28:29], s[38:39], exec
	s_and_b64 s[38:39], s[40:41], exec
	s_or_b64 s[38:39], s[28:29], s[38:39]
.LBB41_143:                             ;   in Loop: Header=BB41_7 Depth=1
	s_or_b64 exec, exec, s[26:27]
	s_mov_b64 s[26:27], 0
	s_mov_b64 s[28:29], -1
.LBB41_144:                             ;   in Loop: Header=BB41_7 Depth=1
	s_orn2_b64 s[38:39], s[38:39], exec
.LBB41_145:                             ;   in Loop: Header=BB41_7 Depth=1
	s_or_b64 exec, exec, s[34:35]
	s_mov_b64 s[40:41], 0
	s_and_saveexec_b64 s[34:35], s[38:39]
	s_cbranch_execz .LBB41_238
; %bb.146:                              ;   in Loop: Header=BB41_7 Depth=1
	s_xor_b64 s[38:39], s[36:37], -1
	s_mov_b64 s[44:45], 0
	s_waitcnt vmcnt(0)
	v_mov_b32_e32 v12, 1
	v_mov_b32_e32 v10, 1
	s_and_saveexec_b64 s[36:37], s[38:39]
	s_cbranch_execz .LBB41_155
; %bb.147:                              ;   in Loop: Header=BB41_7 Depth=1
	v_cmp_ge_i32_e32 vcc, s33, v11
	s_and_saveexec_b64 s[38:39], vcc
	s_xor_b64 s[38:39], exec, s[38:39]
	s_cbranch_execz .LBB41_152
; %bb.148:                              ;   in Loop: Header=BB41_7 Depth=1
	ds_read_b32 v4, v19 offset:4096
	s_lshl_b64 s[40:41], 1, s17
	v_and_b32_e32 v2, s31, v27
	v_and_b32_e32 v5, s30, v26
	v_or_b32_e32 v27, s41, v2
	s_waitcnt lgkmcnt(0)
	v_cmp_ne_u32_e32 vcc, 0, v4
	v_or_b32_e32 v26, s40, v5
	v_or_b32_e32 v29, s3, v29
	;; [unrolled: 1-line block ×3, first 2 shown]
	s_cbranch_vccnz .LBB41_152
; %bb.149:                              ;   in Loop: Header=BB41_7 Depth=1
	s_and_saveexec_b64 s[40:41], s[0:1]
; %bb.150:                              ;   in Loop: Header=BB41_7 Depth=1
	v_mov_b32_e32 v2, s33
	ds_write_b32 v19, v2 offset:4100
; %bb.151:                              ;   in Loop: Header=BB41_7 Depth=1
	s_or_b64 exec, exec, s[40:41]
	s_waitcnt lgkmcnt(0)
	s_barrier
.LBB41_152:                             ;   in Loop: Header=BB41_7 Depth=1
	s_or_saveexec_b64 s[38:39], s[38:39]
	s_mov_b64 s[40:41], 0
	v_mov_b32_e32 v10, 8
	s_xor_b64 exec, exec, s[38:39]
; %bb.153:                              ;   in Loop: Header=BB41_7 Depth=1
	s_mov_b64 s[40:41], exec
	v_subrev_u32_e32 v11, s33, v11
	v_mov_b32_e32 v10, 0
; %bb.154:                              ;   in Loop: Header=BB41_7 Depth=1
	s_or_b64 exec, exec, s[38:39]
	s_and_b64 s[44:45], s[40:41], exec
	v_mov_b32_e32 v12, v11
.LBB41_155:                             ;   in Loop: Header=BB41_7 Depth=1
	s_or_b64 exec, exec, s[36:37]
	s_mov_b64 s[42:43], -1
                                        ; implicit-def: $sgpr38_sgpr39
                                        ; implicit-def: $sgpr40_sgpr41
	s_and_saveexec_b64 s[36:37], s[44:45]
	s_cbranch_execz .LBB41_237
; %bb.156:                              ;   in Loop: Header=BB41_7 Depth=1
	s_cmp_eq_u32 s58, 1
	s_cselect_b64 s[38:39], -1, 0
	v_cmp_eq_u32_e32 vcc, 1, v12
	s_and_b64 s[44:45], s[38:39], vcc
	s_mov_b64 s[46:47], -1
                                        ; implicit-def: $sgpr40_sgpr41
                                        ; implicit-def: $sgpr38_sgpr39
	s_and_saveexec_b64 s[42:43], s[44:45]
	s_cbranch_execz .LBB41_184
; %bb.157:                              ;   in Loop: Header=BB41_7 Depth=1
	ds_read_b32 v2, v19 offset:4096
	s_waitcnt lgkmcnt(0)
	s_barrier
	v_readfirstlane_b32 s33, v2
	s_and_saveexec_b64 s[38:39], s[4:5]
; %bb.158:                              ;   in Loop: Header=BB41_7 Depth=1
	ds_write_b64 v36, v[50:51]
; %bb.159:                              ;   in Loop: Header=BB41_7 Depth=1
	s_or_b64 exec, exec, s[38:39]
	s_lshl_b64 s[38:39], 2, s17
	v_and_b32_e32 v2, s31, v27
	v_and_b32_e32 v4, s30, v26
	v_or_b32_e32 v27, s39, v2
	v_or_b32_e32 v26, s38, v4
	;; [unrolled: 1-line block ×4, first 2 shown]
	s_mov_b64 s[38:39], -1
	s_mov_b64 s[40:41], 0
	s_cmp_gt_i32 s33, 0
	s_mov_b64 s[46:47], 0
	s_mov_b64 s[48:49], -1
	s_waitcnt lgkmcnt(0)
	s_barrier
                                        ; implicit-def: $vgpr6_vgpr7
	s_cbranch_scc1 .LBB41_171
; %bb.160:                              ;   in Loop: Header=BB41_7 Depth=1
	s_mov_b64 s[48:49], 0
                                        ; implicit-def: $vgpr6_vgpr7
	s_mov_b64 s[50:51], exec
	v_readlane_b32 s52, v60, 37
	v_readlane_b32 s53, v60, 38
	s_and_b64 s[52:53], s[50:51], s[52:53]
	s_mov_b64 exec, s[52:53]
	s_cbranch_execz .LBB41_170
; %bb.161:                              ;   in Loop: Header=BB41_7 Depth=1
	v_mov_b32_e32 v8, v16
	v_mov_b32_e32 v11, v0
                                        ; implicit-def: $sgpr52_sgpr53
	s_branch .LBB41_165
.LBB41_162:                             ;   in Loop: Header=BB41_165 Depth=2
	s_or_b64 exec, exec, s[54:55]
	s_waitcnt lgkmcnt(0)
	s_barrier
	ds_read_b128 v[4:7], v19 offset:3072
	s_waitcnt lgkmcnt(0)
	s_barrier
	v_cmp_neq_f64_e32 vcc, 0, v[4:5]
	s_cbranch_vccnz .LBB41_168
; %bb.163:                              ;   in Loop: Header=BB41_165 Depth=2
	v_add_u32_e32 v11, s62, v11
	v_cmp_le_i32_e32 vcc, s83, v11
	v_add_u32_e32 v8, s74, v8
	s_mov_b64 s[54:55], 0
	s_orn2_b64 s[56:57], vcc, exec
.LBB41_164:                             ;   in Loop: Header=BB41_165 Depth=2
	s_and_b64 s[56:57], exec, s[56:57]
	s_or_b64 s[46:47], s[56:57], s[46:47]
	s_andn2_b64 s[52:53], s[52:53], exec
	s_and_b64 s[54:55], s[54:55], exec
	s_or_b64 s[52:53], s[52:53], s[54:55]
	s_andn2_b64 exec, exec, s[46:47]
	s_cbranch_execz .LBB41_169
.LBB41_165:                             ;   Parent Loop BB41_7 Depth=1
                                        ; =>  This Inner Loop Header: Depth=2
	v_cmp_gt_i32_e32 vcc, s60, v11
	s_and_saveexec_b64 s[54:55], vcc
	s_cbranch_execz .LBB41_162
; %bb.166:                              ;   in Loop: Header=BB41_165 Depth=2
	v_ashrrev_i32_e32 v9, 31, v8
	v_lshl_add_u64 v[4:5], v[8:9], 3, s[72:73]
	global_load_dwordx2 v[4:5], v[4:5], off
	s_waitcnt vmcnt(0)
	v_ashrrev_i32_e32 v2, 31, v5
	v_or_b32_e32 v6, 0x80000000, v2
	v_xor_b32_e32 v2, v2, v4
	v_xor_b32_e32 v6, v6, v5
	v_cmp_o_f64_e32 vcc, v[4:5], v[4:5]
	s_nop 1
	v_cndmask_b32_e32 v2, -1, v2, vcc
	v_cndmask_b32_e32 v6, -1, v6, vcc
	v_and_b32_e32 v7, v6, v29
	v_and_b32_e32 v6, v2, v28
	v_cmp_eq_u64_e32 vcc, v[6:7], v[26:27]
	s_and_b64 exec, exec, vcc
	s_cbranch_execz .LBB41_162
; %bb.167:                              ;   in Loop: Header=BB41_165 Depth=2
	v_mov_b32_e32 v2, v19
	ds_write_b128 v19, v[2:5] offset:3072
	s_branch .LBB41_162
.LBB41_168:                             ;   in Loop: Header=BB41_165 Depth=2
	s_mov_b64 s[56:57], -1
                                        ; implicit-def: $vgpr11
                                        ; implicit-def: $vgpr8
	s_mov_b64 s[54:55], -1
	s_branch .LBB41_164
.LBB41_169:                             ;   in Loop: Header=BB41_7 Depth=1
	s_or_b64 exec, exec, s[46:47]
	s_and_b64 s[46:47], s[52:53], exec
.LBB41_170:                             ;   in Loop: Header=BB41_7 Depth=1
	s_or_b64 exec, exec, s[50:51]
.LBB41_171:                             ;   in Loop: Header=BB41_7 Depth=1
	s_and_b64 vcc, exec, s[48:49]
	s_cbranch_vccz .LBB41_183
; %bb.172:                              ;   in Loop: Header=BB41_7 Depth=1
	v_readlane_b32 s38, v60, 19
	s_add_i32 s54, s33, s38
	s_abs_i32 s39, s54
	v_readlane_b32 s40, v60, 36
	s_mul_hi_u32 s40, s39, s40
	s_mul_i32 s40, s40, s62
	s_sub_i32 s39, s39, s40
	s_ashr_i32 s38, s54, 31
	s_sub_i32 s40, s39, s62
	s_cmp_ge_u32 s39, s62
	s_cselect_b32 s39, s40, s39
	s_sub_i32 s40, s39, s62
	s_cmp_ge_u32 s39, s62
	s_cselect_b32 s39, s40, s39
	s_xor_b32 s39, s39, s38
	s_sub_i32 s38, s38, s39
	s_add_i32 s54, s54, s38
	v_cmp_gt_i32_e32 vcc, s54, v0
                                        ; implicit-def: $vgpr6_vgpr7
	s_and_saveexec_b64 s[38:39], vcc
	s_cbranch_execz .LBB41_182
; %bb.173:                              ;   in Loop: Header=BB41_7 Depth=1
	s_mov_b64 s[40:41], 0
	v_mov_b32_e32 v8, v35
	v_mov_b32_e32 v9, v0
                                        ; implicit-def: $sgpr48_sgpr49
	s_branch .LBB41_177
.LBB41_174:                             ;   in Loop: Header=BB41_177 Depth=2
	s_or_b64 exec, exec, s[50:51]
	s_waitcnt lgkmcnt(0)
	s_barrier
	ds_read_b128 v[4:7], v19 offset:3072
	s_waitcnt lgkmcnt(0)
	s_barrier
	v_cmp_eq_f64_e32 vcc, 0, v[4:5]
	s_cbranch_vccz .LBB41_180
; %bb.175:                              ;   in Loop: Header=BB41_177 Depth=2
	v_add_u32_e32 v9, s62, v9
	v_cmp_le_i32_e32 vcc, s54, v9
	v_add_u32_e32 v8, s16, v8
	s_mov_b64 s[50:51], 0
	s_orn2_b64 s[52:53], vcc, exec
.LBB41_176:                             ;   in Loop: Header=BB41_177 Depth=2
	s_and_b64 s[52:53], exec, s[52:53]
	s_or_b64 s[40:41], s[52:53], s[40:41]
	s_andn2_b64 s[48:49], s[48:49], exec
	s_and_b64 s[50:51], s[50:51], exec
	s_or_b64 s[48:49], s[48:49], s[50:51]
	s_andn2_b64 exec, exec, s[40:41]
	s_cbranch_execz .LBB41_181
.LBB41_177:                             ;   Parent Loop BB41_7 Depth=1
                                        ; =>  This Inner Loop Header: Depth=2
	v_cmp_gt_i32_e32 vcc, s33, v9
	s_and_saveexec_b64 s[50:51], vcc
	s_cbranch_execz .LBB41_174
; %bb.178:                              ;   in Loop: Header=BB41_177 Depth=2
	ds_read_b64 v[4:5], v8
	s_waitcnt lgkmcnt(0)
	v_ashrrev_i32_e32 v2, 31, v5
	v_or_b32_e32 v6, 0x80000000, v2
	v_xor_b32_e32 v2, v2, v4
	v_xor_b32_e32 v6, v6, v5
	v_cmp_o_f64_e32 vcc, v[4:5], v[4:5]
	s_nop 1
	v_cndmask_b32_e32 v2, -1, v2, vcc
	v_cndmask_b32_e32 v6, -1, v6, vcc
	v_and_b32_e32 v7, v6, v29
	v_and_b32_e32 v6, v2, v28
	v_cmp_eq_u64_e32 vcc, v[6:7], v[26:27]
	s_and_b64 exec, exec, vcc
	s_cbranch_execz .LBB41_174
; %bb.179:                              ;   in Loop: Header=BB41_177 Depth=2
	v_mov_b32_e32 v2, v19
	ds_write_b128 v19, v[2:5] offset:3072
	s_branch .LBB41_174
.LBB41_180:                             ;   in Loop: Header=BB41_177 Depth=2
	s_mov_b64 s[52:53], -1
                                        ; implicit-def: $vgpr9
                                        ; implicit-def: $vgpr8
	s_mov_b64 s[50:51], -1
	s_branch .LBB41_176
.LBB41_181:                             ;   in Loop: Header=BB41_7 Depth=1
	s_or_b64 exec, exec, s[40:41]
	s_andn2_b64 s[40:41], s[46:47], exec
	s_and_b64 s[46:47], s[48:49], exec
	s_or_b64 s[46:47], s[40:41], s[46:47]
.LBB41_182:                             ;   in Loop: Header=BB41_7 Depth=1
	s_or_b64 exec, exec, s[38:39]
	s_mov_b64 s[38:39], 0
	s_mov_b64 s[40:41], -1
.LBB41_183:                             ;   in Loop: Header=BB41_7 Depth=1
	s_orn2_b64 s[46:47], s[46:47], exec
.LBB41_184:                             ;   in Loop: Header=BB41_7 Depth=1
	s_or_b64 exec, exec, s[42:43]
	s_mov_b64 s[48:49], 0
	s_and_saveexec_b64 s[42:43], s[46:47]
	s_cbranch_execz .LBB41_236
; %bb.185:                              ;   in Loop: Header=BB41_7 Depth=1
	s_xor_b64 s[46:47], s[44:45], -1
	s_mov_b64 s[50:51], 0
	v_mov_b32_e32 v11, 1
	v_mov_b32_e32 v10, 1
	s_and_saveexec_b64 s[44:45], s[46:47]
	s_cbranch_execz .LBB41_194
; %bb.186:                              ;   in Loop: Header=BB41_7 Depth=1
	v_cmp_ge_i32_e32 vcc, s58, v12
	s_and_saveexec_b64 s[46:47], vcc
	s_xor_b64 s[46:47], exec, s[46:47]
	s_cbranch_execz .LBB41_191
; %bb.187:                              ;   in Loop: Header=BB41_7 Depth=1
	ds_read_b32 v4, v19 offset:4096
	s_lshl_b64 s[48:49], 2, s17
	v_and_b32_e32 v2, s31, v27
	v_and_b32_e32 v5, s30, v26
	v_or_b32_e32 v27, s49, v2
	s_waitcnt lgkmcnt(0)
	v_cmp_ne_u32_e32 vcc, 0, v4
	v_or_b32_e32 v26, s48, v5
	v_or_b32_e32 v29, s3, v29
	;; [unrolled: 1-line block ×3, first 2 shown]
	s_cbranch_vccnz .LBB41_191
; %bb.188:                              ;   in Loop: Header=BB41_7 Depth=1
	s_and_saveexec_b64 s[30:31], s[0:1]
; %bb.189:                              ;   in Loop: Header=BB41_7 Depth=1
	v_mov_b32_e32 v2, s58
	ds_write_b32 v19, v2 offset:4100
; %bb.190:                              ;   in Loop: Header=BB41_7 Depth=1
	s_or_b64 exec, exec, s[30:31]
	s_waitcnt lgkmcnt(0)
	s_barrier
.LBB41_191:                             ;   in Loop: Header=BB41_7 Depth=1
	s_or_saveexec_b64 s[30:31], s[46:47]
	s_mov_b64 s[46:47], 0
	v_mov_b32_e32 v10, 8
	s_xor_b64 exec, exec, s[30:31]
; %bb.192:                              ;   in Loop: Header=BB41_7 Depth=1
	s_mov_b64 s[46:47], exec
	v_subrev_u32_e32 v12, s58, v12
	v_mov_b32_e32 v10, 0
; %bb.193:                              ;   in Loop: Header=BB41_7 Depth=1
	s_or_b64 exec, exec, s[30:31]
	s_and_b64 s[50:51], s[46:47], exec
	v_mov_b32_e32 v11, v12
.LBB41_194:                             ;   in Loop: Header=BB41_7 Depth=1
	s_or_b64 exec, exec, s[44:45]
	s_mov_b64 s[44:45], -1
                                        ; implicit-def: $sgpr48_sgpr49
                                        ; implicit-def: $sgpr46_sgpr47
	s_and_saveexec_b64 s[30:31], s[50:51]
	s_cbranch_execz .LBB41_235
; %bb.195:                              ;   in Loop: Header=BB41_7 Depth=1
	s_cmp_eq_u32 s88, 1
	s_cselect_b64 s[44:45], -1, 0
	v_cmp_eq_u32_e32 vcc, 1, v11
	s_and_b64 s[44:45], s[44:45], vcc
	s_mov_b64 s[52:53], -1
                                        ; implicit-def: $sgpr48_sgpr49
                                        ; implicit-def: $sgpr46_sgpr47
	s_and_saveexec_b64 s[50:51], s[44:45]
	s_cbranch_execz .LBB41_223
; %bb.196:                              ;   in Loop: Header=BB41_7 Depth=1
	ds_read_b32 v2, v19 offset:4096
	s_waitcnt lgkmcnt(0)
	s_barrier
	v_readfirstlane_b32 s33, v2
	s_and_saveexec_b64 s[46:47], s[4:5]
; %bb.197:                              ;   in Loop: Header=BB41_7 Depth=1
	ds_write_b64 v36, v[50:51]
; %bb.198:                              ;   in Loop: Header=BB41_7 Depth=1
	s_or_b64 exec, exec, s[46:47]
	v_or_b32_e32 v27, s3, v27
	v_or_b32_e32 v26, s2, v26
	v_or_b32_e32 v29, s3, v29
	v_or_b32_e32 v28, s2, v28
	s_mov_b64 s[46:47], -1
	s_mov_b64 s[48:49], 0
	s_cmp_gt_i32 s33, 0
	s_mov_b64 s[52:53], 0
	s_mov_b64 s[54:55], -1
	s_waitcnt lgkmcnt(0)
	s_barrier
                                        ; implicit-def: $vgpr6_vgpr7
	s_cbranch_scc1 .LBB41_210
; %bb.199:                              ;   in Loop: Header=BB41_7 Depth=1
	s_mov_b64 s[54:55], 0
                                        ; implicit-def: $vgpr6_vgpr7
	s_mov_b64 s[56:57], exec
	v_readlane_b32 s58, v60, 37
	v_readlane_b32 s59, v60, 38
	s_and_b64 s[58:59], s[56:57], s[58:59]
	s_mov_b64 exec, s[58:59]
	s_cbranch_execz .LBB41_209
; %bb.200:                              ;   in Loop: Header=BB41_7 Depth=1
	v_mov_b32_e32 v8, v16
	v_mov_b32_e32 v12, v0
                                        ; implicit-def: $sgpr58_sgpr59
	s_branch .LBB41_204
.LBB41_201:                             ;   in Loop: Header=BB41_204 Depth=2
	s_or_b64 exec, exec, s[70:71]
	s_waitcnt lgkmcnt(0)
	s_barrier
	ds_read_b128 v[4:7], v19 offset:3072
	s_waitcnt lgkmcnt(0)
	s_barrier
	v_cmp_neq_f64_e32 vcc, 0, v[4:5]
	s_cbranch_vccnz .LBB41_207
; %bb.202:                              ;   in Loop: Header=BB41_204 Depth=2
	v_add_u32_e32 v12, s62, v12
	v_cmp_le_i32_e32 vcc, s83, v12
	v_add_u32_e32 v8, s74, v8
	s_mov_b64 s[70:71], 0
	s_orn2_b64 s[86:87], vcc, exec
.LBB41_203:                             ;   in Loop: Header=BB41_204 Depth=2
	s_and_b64 s[86:87], exec, s[86:87]
	s_or_b64 s[52:53], s[86:87], s[52:53]
	s_andn2_b64 s[58:59], s[58:59], exec
	s_and_b64 s[70:71], s[70:71], exec
	s_or_b64 s[58:59], s[58:59], s[70:71]
	s_andn2_b64 exec, exec, s[52:53]
	s_cbranch_execz .LBB41_208
.LBB41_204:                             ;   Parent Loop BB41_7 Depth=1
                                        ; =>  This Inner Loop Header: Depth=2
	v_cmp_gt_i32_e32 vcc, s60, v12
	s_and_saveexec_b64 s[70:71], vcc
	s_cbranch_execz .LBB41_201
; %bb.205:                              ;   in Loop: Header=BB41_204 Depth=2
	v_ashrrev_i32_e32 v9, 31, v8
	v_lshl_add_u64 v[4:5], v[8:9], 3, s[72:73]
	global_load_dwordx2 v[4:5], v[4:5], off
	s_waitcnt vmcnt(0)
	v_ashrrev_i32_e32 v2, 31, v5
	v_or_b32_e32 v6, 0x80000000, v2
	v_xor_b32_e32 v2, v2, v4
	v_xor_b32_e32 v6, v6, v5
	v_cmp_o_f64_e32 vcc, v[4:5], v[4:5]
	s_nop 1
	v_cndmask_b32_e32 v2, -1, v2, vcc
	v_cndmask_b32_e32 v6, -1, v6, vcc
	v_and_b32_e32 v7, v6, v29
	v_and_b32_e32 v6, v2, v28
	v_cmp_eq_u64_e32 vcc, v[6:7], v[26:27]
	s_and_b64 exec, exec, vcc
	s_cbranch_execz .LBB41_201
; %bb.206:                              ;   in Loop: Header=BB41_204 Depth=2
	v_mov_b32_e32 v2, v19
	ds_write_b128 v19, v[2:5] offset:3072
	s_branch .LBB41_201
.LBB41_207:                             ;   in Loop: Header=BB41_204 Depth=2
	s_mov_b64 s[86:87], -1
                                        ; implicit-def: $vgpr12
                                        ; implicit-def: $vgpr8
	s_mov_b64 s[70:71], -1
	s_branch .LBB41_203
.LBB41_208:                             ;   in Loop: Header=BB41_7 Depth=1
	s_or_b64 exec, exec, s[52:53]
	s_and_b64 s[52:53], s[58:59], exec
.LBB41_209:                             ;   in Loop: Header=BB41_7 Depth=1
	s_or_b64 exec, exec, s[56:57]
.LBB41_210:                             ;   in Loop: Header=BB41_7 Depth=1
	s_and_b64 vcc, exec, s[54:55]
	s_cbranch_vccz .LBB41_222
; %bb.211:                              ;   in Loop: Header=BB41_7 Depth=1
	v_readlane_b32 s46, v60, 19
	s_add_i32 s70, s33, s46
	s_abs_i32 s47, s70
	v_readlane_b32 s48, v60, 36
	s_mul_hi_u32 s48, s47, s48
	s_mul_i32 s48, s48, s62
	s_sub_i32 s47, s47, s48
	s_ashr_i32 s46, s70, 31
	s_sub_i32 s48, s47, s62
	s_cmp_ge_u32 s47, s62
	s_cselect_b32 s47, s48, s47
	s_sub_i32 s48, s47, s62
	s_cmp_ge_u32 s47, s62
	s_cselect_b32 s47, s48, s47
	s_xor_b32 s47, s47, s46
	s_sub_i32 s46, s46, s47
	s_add_i32 s70, s70, s46
	v_cmp_gt_i32_e32 vcc, s70, v0
                                        ; implicit-def: $vgpr6_vgpr7
	s_and_saveexec_b64 s[46:47], vcc
	s_cbranch_execz .LBB41_221
; %bb.212:                              ;   in Loop: Header=BB41_7 Depth=1
	s_mov_b64 s[48:49], 0
	v_mov_b32_e32 v8, v35
	v_mov_b32_e32 v9, v0
                                        ; implicit-def: $sgpr54_sgpr55
	s_branch .LBB41_216
.LBB41_213:                             ;   in Loop: Header=BB41_216 Depth=2
	s_or_b64 exec, exec, s[56:57]
	s_waitcnt lgkmcnt(0)
	s_barrier
	ds_read_b128 v[4:7], v19 offset:3072
	s_waitcnt lgkmcnt(0)
	s_barrier
	v_cmp_eq_f64_e32 vcc, 0, v[4:5]
	s_cbranch_vccz .LBB41_219
; %bb.214:                              ;   in Loop: Header=BB41_216 Depth=2
	v_add_u32_e32 v9, s62, v9
	v_cmp_le_i32_e32 vcc, s70, v9
	v_add_u32_e32 v8, s16, v8
	s_mov_b64 s[56:57], 0
	s_orn2_b64 s[58:59], vcc, exec
.LBB41_215:                             ;   in Loop: Header=BB41_216 Depth=2
	s_and_b64 s[58:59], exec, s[58:59]
	s_or_b64 s[48:49], s[58:59], s[48:49]
	s_andn2_b64 s[54:55], s[54:55], exec
	s_and_b64 s[56:57], s[56:57], exec
	s_or_b64 s[54:55], s[54:55], s[56:57]
	s_andn2_b64 exec, exec, s[48:49]
	s_cbranch_execz .LBB41_220
.LBB41_216:                             ;   Parent Loop BB41_7 Depth=1
                                        ; =>  This Inner Loop Header: Depth=2
	v_cmp_gt_i32_e32 vcc, s33, v9
	s_and_saveexec_b64 s[56:57], vcc
	s_cbranch_execz .LBB41_213
; %bb.217:                              ;   in Loop: Header=BB41_216 Depth=2
	ds_read_b64 v[4:5], v8
	s_waitcnt lgkmcnt(0)
	v_ashrrev_i32_e32 v2, 31, v5
	v_or_b32_e32 v6, 0x80000000, v2
	v_xor_b32_e32 v2, v2, v4
	v_xor_b32_e32 v6, v6, v5
	v_cmp_o_f64_e32 vcc, v[4:5], v[4:5]
	s_nop 1
	v_cndmask_b32_e32 v2, -1, v2, vcc
	v_cndmask_b32_e32 v6, -1, v6, vcc
	v_and_b32_e32 v7, v6, v29
	v_and_b32_e32 v6, v2, v28
	v_cmp_eq_u64_e32 vcc, v[6:7], v[26:27]
	s_and_b64 exec, exec, vcc
	s_cbranch_execz .LBB41_213
; %bb.218:                              ;   in Loop: Header=BB41_216 Depth=2
	v_mov_b32_e32 v2, v19
	ds_write_b128 v19, v[2:5] offset:3072
	s_branch .LBB41_213
.LBB41_219:                             ;   in Loop: Header=BB41_216 Depth=2
	s_mov_b64 s[58:59], -1
                                        ; implicit-def: $vgpr9
                                        ; implicit-def: $vgpr8
	s_mov_b64 s[56:57], -1
	s_branch .LBB41_215
.LBB41_220:                             ;   in Loop: Header=BB41_7 Depth=1
	s_or_b64 exec, exec, s[48:49]
	s_andn2_b64 s[48:49], s[52:53], exec
	s_and_b64 s[52:53], s[54:55], exec
	s_or_b64 s[52:53], s[48:49], s[52:53]
.LBB41_221:                             ;   in Loop: Header=BB41_7 Depth=1
	s_or_b64 exec, exec, s[46:47]
	s_mov_b64 s[46:47], 0
	s_mov_b64 s[48:49], -1
.LBB41_222:                             ;   in Loop: Header=BB41_7 Depth=1
	s_orn2_b64 s[52:53], s[52:53], exec
.LBB41_223:                             ;   in Loop: Header=BB41_7 Depth=1
	s_or_b64 exec, exec, s[50:51]
	s_mov_b64 s[54:55], 0
	s_and_saveexec_b64 s[50:51], s[52:53]
	s_cbranch_execz .LBB41_234
; %bb.224:                              ;   in Loop: Header=BB41_7 Depth=1
	s_xor_b64 s[52:53], s[44:45], -1
	v_mov_b32_e32 v10, 1
	v_mov_b32_e32 v2, 1
	s_and_saveexec_b64 s[44:45], s[52:53]
	s_cbranch_execz .LBB41_233
; %bb.225:                              ;   in Loop: Header=BB41_7 Depth=1
	v_cmp_ge_i32_e32 vcc, s88, v11
	s_and_saveexec_b64 s[52:53], vcc
	s_xor_b64 s[52:53], exec, s[52:53]
	s_cbranch_execz .LBB41_230
; %bb.226:                              ;   in Loop: Header=BB41_7 Depth=1
	ds_read_b32 v2, v19 offset:4096
	v_or_b32_e32 v27, s3, v27
	v_or_b32_e32 v26, s2, v26
	;; [unrolled: 1-line block ×4, first 2 shown]
	s_waitcnt lgkmcnt(0)
	v_cmp_ne_u32_e32 vcc, 0, v2
	s_cbranch_vccnz .LBB41_230
; %bb.227:                              ;   in Loop: Header=BB41_7 Depth=1
	s_and_saveexec_b64 s[2:3], s[0:1]
; %bb.228:                              ;   in Loop: Header=BB41_7 Depth=1
	v_mov_b32_e32 v2, s88
	ds_write_b32 v19, v2 offset:4100
; %bb.229:                              ;   in Loop: Header=BB41_7 Depth=1
	s_or_b64 exec, exec, s[2:3]
	s_waitcnt lgkmcnt(0)
	s_barrier
.LBB41_230:                             ;   in Loop: Header=BB41_7 Depth=1
	s_andn2_saveexec_b64 s[2:3], s[52:53]
; %bb.231:                              ;   in Loop: Header=BB41_7 Depth=1
	v_subrev_u32_e32 v11, s88, v11
; %bb.232:                              ;   in Loop: Header=BB41_7 Depth=1
	s_or_b64 exec, exec, s[2:3]
	v_mov_b32_e32 v10, 8
	v_mov_b32_e32 v2, v11
.LBB41_233:                             ;   in Loop: Header=BB41_7 Depth=1
	s_or_b64 exec, exec, s[44:45]
	s_mov_b64 s[54:55], exec
	v_mov_b32_e32 v11, v2
.LBB41_234:                             ;   in Loop: Header=BB41_7 Depth=1
	s_or_b64 exec, exec, s[50:51]
	s_orn2_b64 s[44:45], s[54:55], exec
.LBB41_235:                             ;   in Loop: Header=BB41_7 Depth=1
	s_or_b64 exec, exec, s[30:31]
	s_andn2_b64 s[2:3], s[40:41], exec
	s_and_b64 s[30:31], s[48:49], exec
	s_or_b64 s[40:41], s[2:3], s[30:31]
	s_andn2_b64 s[2:3], s[38:39], exec
	s_and_b64 s[30:31], s[46:47], exec
	s_or_b64 s[38:39], s[2:3], s[30:31]
	s_and_b64 s[48:49], s[44:45], exec
	v_mov_b32_e32 v12, v11
.LBB41_236:                             ;   in Loop: Header=BB41_7 Depth=1
	s_or_b64 exec, exec, s[42:43]
	s_orn2_b64 s[42:43], s[48:49], exec
.LBB41_237:                             ;   in Loop: Header=BB41_7 Depth=1
	s_or_b64 exec, exec, s[36:37]
	s_andn2_b64 s[2:3], s[28:29], exec
	s_and_b64 s[28:29], s[40:41], exec
	s_or_b64 s[28:29], s[2:3], s[28:29]
	s_andn2_b64 s[2:3], s[26:27], exec
	s_and_b64 s[26:27], s[38:39], exec
	s_or_b64 s[26:27], s[2:3], s[26:27]
	s_and_b64 s[40:41], s[42:43], exec
	v_mov_b32_e32 v11, v12
.LBB41_238:                             ;   in Loop: Header=BB41_7 Depth=1
	s_or_b64 exec, exec, s[34:35]
	s_orn2_b64 s[34:35], s[40:41], exec
.LBB41_239:                             ;   in Loop: Header=BB41_7 Depth=1
	s_or_b64 exec, exec, s[24:25]
	s_mov_b64 s[24:25], 0
                                        ; implicit-def: $sgpr36
                                        ; implicit-def: $sgpr37
	s_and_saveexec_b64 s[2:3], s[34:35]
	s_xor_b64 s[2:3], exec, s[2:3]
	s_cbranch_execz .LBB41_5
; %bb.240:                              ;   in Loop: Header=BB41_7 Depth=1
	v_and_b32_e32 v2, 7, v10
	v_cmp_eq_u32_e32 vcc, 0, v2
	s_mov_b64 s[22:23], -1
	s_mov_b64 s[24:25], -1
                                        ; implicit-def: $sgpr36
                                        ; implicit-def: $sgpr37
	s_and_saveexec_b64 s[30:31], vcc
	s_cbranch_execz .LBB41_4
; %bb.241:                              ;   in Loop: Header=BB41_7 Depth=1
	s_xor_b32 s37, s61, 1
	s_add_i32 s36, s17, -2
	s_cmp_eq_u32 s17, 0
	s_cselect_b64 s[22:23], -1, 0
	s_xor_b64 s[24:25], exec, -1
	s_orn2_b64 s[22:23], s[22:23], exec
	s_branch .LBB41_4
.LBB41_242:
	s_or_b64 exec, exec, s[92:93]
	s_xor_b64 s[6:7], s[98:99], -1
	s_xor_b64 s[4:5], s[94:95], -1
	;; [unrolled: 1-line block ×3, first 2 shown]
	s_mov_b64 s[2:3], 0
	s_and_saveexec_b64 s[10:11], s[4:5]
	s_xor_b64 s[4:5], exec, s[10:11]
	s_cbranch_execnz .LBB41_247
; %bb.243:
	s_andn2_saveexec_b64 s[0:1], s[4:5]
	s_cbranch_execnz .LBB41_267
.LBB41_244:
	s_or_b64 exec, exec, s[0:1]
	s_and_saveexec_b64 s[0:1], s[2:3]
.LBB41_245:
	; divergent unreachable
.LBB41_246:
	s_endpgm
.LBB41_247:
	s_and_saveexec_b64 s[2:3], s[6:7]
	s_xor_b64 s[6:7], exec, s[2:3]
	s_cbranch_execz .LBB41_265
; %bb.248:
	s_and_saveexec_b64 s[2:3], s[8:9]
	s_xor_b64 s[2:3], exec, s[2:3]
; %bb.249:
	v_lshrrev_b32_e32 v2, 31, v27
	v_mov_b32_e32 v3, 0
	v_lshl_add_u64 v[2:3], v[2:3], 0, -1
	v_or_b32_e32 v1, 0x80000000, v3
	v_xor_b32_e32 v7, v1, v27
	v_xor_b32_e32 v6, v2, v26
; %bb.250:
	s_or_b64 exec, exec, s[2:3]
	s_and_saveexec_b64 s[2:3], s[0:1]
	v_readlane_b32 s22, v60, 18
	v_readlane_b32 s23, v60, 14
	;; [unrolled: 1-line block ×5, first 2 shown]
; %bb.251:
	v_mov_b32_e32 v1, 0
	v_mov_b32_e32 v2, s60
	ds_write_b32 v1, v2 offset:4108
; %bb.252:
	s_or_b64 exec, exec, s[2:3]
	v_mov_b32_e32 v1, 0
	s_waitcnt lgkmcnt(0)
	s_barrier
	ds_read_b32 v1, v1 offset:4108
	s_waitcnt lgkmcnt(0)
	v_min_i32_e32 v2, s60, v1
	v_cmp_lt_i32_e32 vcc, v0, v2
	s_and_saveexec_b64 s[8:9], vcc
	s_cbranch_execz .LBB41_262
; %bb.253:
	v_cmp_u_f64_e32 vcc, v[6:7], v[6:7]
	s_mov_b64 s[10:11], 0
	s_xor_b64 s[14:15], vcc, -1
                                        ; implicit-def: $sgpr12_sgpr13
                                        ; implicit-def: $sgpr18_sgpr19
                                        ; implicit-def: $sgpr16_sgpr17
	s_branch .LBB41_255
.LBB41_254:                             ;   in Loop: Header=BB41_255 Depth=1
	s_or_b64 exec, exec, s[2:3]
	s_and_b64 s[2:3], exec, s[18:19]
	s_or_b64 s[10:11], s[2:3], s[10:11]
	s_andn2_b64 s[2:3], s[12:13], exec
	s_and_b64 s[12:13], s[16:17], exec
	s_or_b64 s[12:13], s[2:3], s[12:13]
	s_andn2_b64 exec, exec, s[10:11]
	s_cbranch_execz .LBB41_257
.LBB41_255:                             ; =>This Inner Loop Header: Depth=1
	v_ashrrev_i32_e32 v17, 31, v16
	s_waitcnt vmcnt(0)
	v_lshl_add_u64 v[4:5], v[16:17], 3, s[72:73]
	global_load_dwordx2 v[4:5], v[4:5], off
	v_mov_b32_e32 v1, v0
	s_or_b64 s[16:17], s[16:17], exec
	s_or_b64 s[18:19], s[18:19], exec
                                        ; implicit-def: $vgpr0
	s_waitcnt vmcnt(0)
	v_cmp_o_f64_e64 s[2:3], v[4:5], v[4:5]
	v_cmp_neq_f64_e32 vcc, v[4:5], v[6:7]
	s_or_b64 s[2:3], s[2:3], s[14:15]
	s_and_b64 s[20:21], vcc, s[2:3]
	s_and_saveexec_b64 s[2:3], s[20:21]
	s_cbranch_execz .LBB41_254
; %bb.256:                              ;   in Loop: Header=BB41_255 Depth=1
	v_add_u32_e32 v0, s62, v1
	v_cmp_ge_i32_e32 vcc, v0, v2
	s_andn2_b64 s[18:19], s[18:19], exec
	s_and_b64 s[20:21], vcc, exec
	v_add_u32_e32 v16, s74, v16
	s_andn2_b64 s[16:17], s[16:17], exec
	s_or_b64 s[18:19], s[18:19], s[20:21]
	s_branch .LBB41_254
.LBB41_257:
	s_or_b64 exec, exec, s[10:11]
	s_and_saveexec_b64 s[2:3], s[12:13]
	s_xor_b64 s[2:3], exec, s[2:3]
	s_cbranch_execz .LBB41_262
; %bb.258:
	s_mov_b64 s[2:3], exec
	s_brev_b32 s10, -2
.LBB41_259:                             ; =>This Inner Loop Header: Depth=1
	s_ff1_i32_b64 s11, s[2:3]
	v_readlane_b32 s14, v1, s11
	s_lshl_b64 s[12:13], 1, s11
	s_min_i32 s10, s10, s14
	s_andn2_b64 s[2:3], s[2:3], s[12:13]
	s_cmp_lg_u64 s[2:3], 0
	s_cbranch_scc1 .LBB41_259
; %bb.260:
	v_mbcnt_lo_u32_b32 v0, exec_lo, 0
	v_mbcnt_hi_u32_b32 v0, exec_hi, v0
	v_cmp_eq_u32_e32 vcc, 0, v0
	s_and_saveexec_b64 s[2:3], vcc
	s_xor_b64 s[2:3], exec, s[2:3]
; %bb.261:
	v_mov_b32_e32 v0, 0
	v_mov_b32_e32 v1, s10
	ds_min_i32 v0, v1 offset:4108
.LBB41_262:
	s_or_b64 exec, exec, s[8:9]
	s_waitcnt lgkmcnt(0)
	s_barrier
	s_and_saveexec_b64 s[2:3], s[0:1]
	s_cbranch_execz .LBB41_264
; %bb.263:
	v_readlane_b32 s10, v60, 8
	v_readlane_b32 s11, v60, 9
	s_mul_i32 s1, s11, s10
	v_readlane_b32 s0, v60, 13
	s_sub_i32 s1, s25, s1
	s_xor_b32 s0, s24, s0
	s_add_i32 s8, s11, 1
	s_sub_i32 s9, s1, s10
	s_cmp_ge_u32 s1, s10
	s_cselect_b32 s8, s8, s11
	s_cselect_b32 s1, s9, s1
	s_add_i32 s9, s8, 1
	s_cmp_ge_u32 s1, s10
	s_cselect_b32 s1, s9, s8
	s_xor_b32 s1, s1, s0
	s_sub_i32 s0, s1, s0
	s_mul_i32 s1, s0, s26
	v_readlane_b32 s8, v60, 6
	s_sub_i32 s1, s22, s1
	v_readlane_b32 s9, v60, 7
	v_readlane_b32 s11, v60, 10
	;; [unrolled: 1-line block ×3, first 2 shown]
	s_mul_i32 s1, s1, s9
	s_mul_i32 s0, s0, s8
	;; [unrolled: 1-line block ×3, first 2 shown]
	s_add_i32 s0, s0, s1
	v_readlane_b32 s1, v60, 15
	s_sub_i32 s8, s25, s8
	s_xor_b32 s1, s24, s1
	s_add_i32 s9, s12, 1
	s_sub_i32 s10, s8, s11
	s_cmp_ge_u32 s8, s11
	s_cselect_b32 s9, s9, s12
	s_cselect_b32 s8, s10, s8
	s_add_i32 s10, s9, 1
	s_cmp_ge_u32 s8, s11
	s_cselect_b32 s8, s10, s9
	s_xor_b32 s8, s8, s1
	s_sub_i32 s1, s8, s1
	s_mul_i32 s8, s1, s23
	v_readlane_b32 s10, v60, 2
	s_sub_i32 s8, s22, s8
	v_readlane_b32 s11, v60, 3
	s_mul_i32 s8, s8, s11
	s_mul_i32 s1, s1, s10
	s_add_i32 s8, s1, s8
	s_ashr_i32 s1, s0, 31
	v_mov_b32_e32 v2, 0
	s_lshl_b64 s[0:1], s[0:1], 3
	v_readlane_b32 s10, v60, 0
	ds_read_b32 v0, v2 offset:4108
	v_readlane_b32 s11, v60, 1
	s_add_u32 s0, s10, s0
	s_addc_u32 s1, s11, s1
	s_ashr_i32 s9, s8, 31
	s_lshl_b64 s[8:9], s[8:9], 3
	v_readlane_b32 s10, v60, 4
	v_readlane_b32 s11, v60, 5
	s_add_u32 s8, s10, s8
	s_addc_u32 s9, s11, s9
	s_waitcnt lgkmcnt(0)
	v_ashrrev_i32_e32 v1, 31, v0
	global_store_dwordx2 v2, v[0:1], s[8:9]
	global_store_dwordx2 v2, v[6:7], s[0:1]
.LBB41_264:
	s_or_b64 exec, exec, s[2:3]
.LBB41_265:
	s_or_saveexec_b64 s[0:1], s[6:7]
	s_mov_b64 s[2:3], 0
	s_xor_b64 exec, exec, s[0:1]
	s_cbranch_execnz .LBB41_268
.LBB41_266:
	s_or_b64 exec, exec, s[0:1]
	s_and_b64 s[2:3], s[2:3], exec
	s_andn2_saveexec_b64 s[0:1], s[4:5]
	s_cbranch_execz .LBB41_244
.LBB41_267:
	s_or_b64 s[2:3], s[2:3], exec
	s_trap 2
	s_or_b64 exec, exec, s[0:1]
	s_and_saveexec_b64 s[0:1], s[2:3]
	s_cbranch_execnz .LBB41_245
	s_branch .LBB41_246
.LBB41_268:
	s_mov_b64 s[2:3], exec
	s_trap 2
	s_branch .LBB41_266
	.section	.rodata,"a",@progbits
	.p2align	6, 0x0
	.amdhsa_kernel _ZN2at6native12_GLOBAL__N_114gatherKthValueIdiLi2EEEvNS_4cuda6detail10TensorInfoIKT_T0_EES8_S8_S8_S8_NS5_IS6_S8_EENS5_IlS8_EE
		.amdhsa_group_segment_fixed_size 4112
		.amdhsa_private_segment_fixed_size 0
		.amdhsa_kernarg_size 920
		.amdhsa_user_sgpr_count 2
		.amdhsa_user_sgpr_dispatch_ptr 0
		.amdhsa_user_sgpr_queue_ptr 0
		.amdhsa_user_sgpr_kernarg_segment_ptr 1
		.amdhsa_user_sgpr_dispatch_id 0
		.amdhsa_user_sgpr_kernarg_preload_length 0
		.amdhsa_user_sgpr_kernarg_preload_offset 0
		.amdhsa_user_sgpr_private_segment_size 0
		.amdhsa_uses_dynamic_stack 0
		.amdhsa_enable_private_segment 0
		.amdhsa_system_sgpr_workgroup_id_x 1
		.amdhsa_system_sgpr_workgroup_id_y 1
		.amdhsa_system_sgpr_workgroup_id_z 1
		.amdhsa_system_sgpr_workgroup_info 0
		.amdhsa_system_vgpr_workitem_id 0
		.amdhsa_next_free_vgpr 61
		.amdhsa_next_free_sgpr 100
		.amdhsa_accum_offset 64
		.amdhsa_reserve_vcc 1
		.amdhsa_float_round_mode_32 0
		.amdhsa_float_round_mode_16_64 0
		.amdhsa_float_denorm_mode_32 3
		.amdhsa_float_denorm_mode_16_64 3
		.amdhsa_dx10_clamp 1
		.amdhsa_ieee_mode 1
		.amdhsa_fp16_overflow 0
		.amdhsa_tg_split 0
		.amdhsa_exception_fp_ieee_invalid_op 0
		.amdhsa_exception_fp_denorm_src 0
		.amdhsa_exception_fp_ieee_div_zero 0
		.amdhsa_exception_fp_ieee_overflow 0
		.amdhsa_exception_fp_ieee_underflow 0
		.amdhsa_exception_fp_ieee_inexact 0
		.amdhsa_exception_int_div_zero 0
	.end_amdhsa_kernel
	.section	.text._ZN2at6native12_GLOBAL__N_114gatherKthValueIdiLi2EEEvNS_4cuda6detail10TensorInfoIKT_T0_EES8_S8_S8_S8_NS5_IS6_S8_EENS5_IlS8_EE,"axG",@progbits,_ZN2at6native12_GLOBAL__N_114gatherKthValueIdiLi2EEEvNS_4cuda6detail10TensorInfoIKT_T0_EES8_S8_S8_S8_NS5_IS6_S8_EENS5_IlS8_EE,comdat
.Lfunc_end41:
	.size	_ZN2at6native12_GLOBAL__N_114gatherKthValueIdiLi2EEEvNS_4cuda6detail10TensorInfoIKT_T0_EES8_S8_S8_S8_NS5_IS6_S8_EENS5_IlS8_EE, .Lfunc_end41-_ZN2at6native12_GLOBAL__N_114gatherKthValueIdiLi2EEEvNS_4cuda6detail10TensorInfoIKT_T0_EES8_S8_S8_S8_NS5_IS6_S8_EENS5_IlS8_EE
                                        ; -- End function
	.set _ZN2at6native12_GLOBAL__N_114gatherKthValueIdiLi2EEEvNS_4cuda6detail10TensorInfoIKT_T0_EES8_S8_S8_S8_NS5_IS6_S8_EENS5_IlS8_EE.num_vgpr, 61
	.set _ZN2at6native12_GLOBAL__N_114gatherKthValueIdiLi2EEEvNS_4cuda6detail10TensorInfoIKT_T0_EES8_S8_S8_S8_NS5_IS6_S8_EENS5_IlS8_EE.num_agpr, 0
	.set _ZN2at6native12_GLOBAL__N_114gatherKthValueIdiLi2EEEvNS_4cuda6detail10TensorInfoIKT_T0_EES8_S8_S8_S8_NS5_IS6_S8_EENS5_IlS8_EE.numbered_sgpr, 100
	.set _ZN2at6native12_GLOBAL__N_114gatherKthValueIdiLi2EEEvNS_4cuda6detail10TensorInfoIKT_T0_EES8_S8_S8_S8_NS5_IS6_S8_EENS5_IlS8_EE.num_named_barrier, 0
	.set _ZN2at6native12_GLOBAL__N_114gatherKthValueIdiLi2EEEvNS_4cuda6detail10TensorInfoIKT_T0_EES8_S8_S8_S8_NS5_IS6_S8_EENS5_IlS8_EE.private_seg_size, 0
	.set _ZN2at6native12_GLOBAL__N_114gatherKthValueIdiLi2EEEvNS_4cuda6detail10TensorInfoIKT_T0_EES8_S8_S8_S8_NS5_IS6_S8_EENS5_IlS8_EE.uses_vcc, 1
	.set _ZN2at6native12_GLOBAL__N_114gatherKthValueIdiLi2EEEvNS_4cuda6detail10TensorInfoIKT_T0_EES8_S8_S8_S8_NS5_IS6_S8_EENS5_IlS8_EE.uses_flat_scratch, 0
	.set _ZN2at6native12_GLOBAL__N_114gatherKthValueIdiLi2EEEvNS_4cuda6detail10TensorInfoIKT_T0_EES8_S8_S8_S8_NS5_IS6_S8_EENS5_IlS8_EE.has_dyn_sized_stack, 0
	.set _ZN2at6native12_GLOBAL__N_114gatherKthValueIdiLi2EEEvNS_4cuda6detail10TensorInfoIKT_T0_EES8_S8_S8_S8_NS5_IS6_S8_EENS5_IlS8_EE.has_recursion, 0
	.set _ZN2at6native12_GLOBAL__N_114gatherKthValueIdiLi2EEEvNS_4cuda6detail10TensorInfoIKT_T0_EES8_S8_S8_S8_NS5_IS6_S8_EENS5_IlS8_EE.has_indirect_call, 0
	.section	.AMDGPU.csdata,"",@progbits
; Kernel info:
; codeLenInByte = 10536
; TotalNumSgprs: 106
; NumVgprs: 61
; NumAgprs: 0
; TotalNumVgprs: 61
; ScratchSize: 0
; MemoryBound: 0
; FloatMode: 240
; IeeeMode: 1
; LDSByteSize: 4112 bytes/workgroup (compile time only)
; SGPRBlocks: 13
; VGPRBlocks: 7
; NumSGPRsForWavesPerEU: 106
; NumVGPRsForWavesPerEU: 61
; AccumOffset: 64
; Occupancy: 7
; WaveLimiterHint : 1
; COMPUTE_PGM_RSRC2:SCRATCH_EN: 0
; COMPUTE_PGM_RSRC2:USER_SGPR: 2
; COMPUTE_PGM_RSRC2:TRAP_HANDLER: 0
; COMPUTE_PGM_RSRC2:TGID_X_EN: 1
; COMPUTE_PGM_RSRC2:TGID_Y_EN: 1
; COMPUTE_PGM_RSRC2:TGID_Z_EN: 1
; COMPUTE_PGM_RSRC2:TIDIG_COMP_CNT: 0
; COMPUTE_PGM_RSRC3_GFX90A:ACCUM_OFFSET: 15
; COMPUTE_PGM_RSRC3_GFX90A:TG_SPLIT: 0
	.section	.text._ZN2at6native12_GLOBAL__N_114gatherKthValueIdiLi3EEEvNS_4cuda6detail10TensorInfoIKT_T0_EES8_S8_S8_S8_NS5_IS6_S8_EENS5_IlS8_EE,"axG",@progbits,_ZN2at6native12_GLOBAL__N_114gatherKthValueIdiLi3EEEvNS_4cuda6detail10TensorInfoIKT_T0_EES8_S8_S8_S8_NS5_IS6_S8_EENS5_IlS8_EE,comdat
	.globl	_ZN2at6native12_GLOBAL__N_114gatherKthValueIdiLi3EEEvNS_4cuda6detail10TensorInfoIKT_T0_EES8_S8_S8_S8_NS5_IS6_S8_EENS5_IlS8_EE ; -- Begin function _ZN2at6native12_GLOBAL__N_114gatherKthValueIdiLi3EEEvNS_4cuda6detail10TensorInfoIKT_T0_EES8_S8_S8_S8_NS5_IS6_S8_EENS5_IlS8_EE
	.p2align	8
	.type	_ZN2at6native12_GLOBAL__N_114gatherKthValueIdiLi3EEEvNS_4cuda6detail10TensorInfoIKT_T0_EES8_S8_S8_S8_NS5_IS6_S8_EENS5_IlS8_EE,@function
_ZN2at6native12_GLOBAL__N_114gatherKthValueIdiLi3EEEvNS_4cuda6detail10TensorInfoIKT_T0_EES8_S8_S8_S8_NS5_IS6_S8_EENS5_IlS8_EE: ; @_ZN2at6native12_GLOBAL__N_114gatherKthValueIdiLi3EEEvNS_4cuda6detail10TensorInfoIKT_T0_EES8_S8_S8_S8_NS5_IS6_S8_EENS5_IlS8_EE
; %bb.0:
	s_load_dwordx2 s[12:13], s[0:1], 0x298
	s_load_dwordx4 s[68:71], s[0:1], 0xd8
	s_add_u32 s10, s0, 0x298
	s_addc_u32 s11, s1, 0
	s_waitcnt lgkmcnt(0)
	s_mul_i32 s4, s13, s4
	s_add_i32 s3, s4, s3
	s_mul_i32 s3, s3, s12
	s_add_i32 s24, s3, s2
	s_cmp_ge_i32 s24, s70
	s_cbranch_scc1 .LBB42_246
; %bb.1:
	s_load_dwordx2 s[8:9], s[0:1], 0xc
	s_load_dwordx2 s[26:27], s[0:1], 0xf4
	s_abs_i32 s5, s24
	s_ashr_i32 s4, s24, 31
	s_load_dwordx4 s[28:31], s[0:1], 0x154
	s_waitcnt lgkmcnt(0)
	s_abs_i32 s3, s9
	v_cvt_f32_u32_e32 v1, s3
	s_sub_i32 s7, 0, s3
	s_ashr_i32 s6, s9, 31
	s_xor_b32 s6, s4, s6
	v_rcp_iflag_f32_e32 v1, v1
                                        ; implicit-def: $vgpr60 : SGPR spill to VGPR lane
                                        ; kill: killed $sgpr0 killed $sgpr1
	v_writelane_b32 v60, s28, 0
	v_mul_f32_e32 v1, 0x4f7ffffe, v1
	v_cvt_u32_f32_e32 v1, v1
	v_writelane_b32 v60, s29, 1
	v_writelane_b32 v60, s30, 2
	;; [unrolled: 1-line block ×3, first 2 shown]
	v_readfirstlane_b32 s13, v1
	s_mul_i32 s7, s7, s13
	s_mul_hi_u32 s7, s13, s7
	s_add_i32 s13, s13, s7
	s_mul_hi_u32 s7, s5, s13
	s_mul_i32 s13, s7, s3
	s_sub_i32 s13, s5, s13
	s_add_i32 s14, s7, 1
	s_sub_i32 s15, s13, s3
	s_cmp_ge_u32 s13, s3
	s_cselect_b32 s7, s14, s7
	s_cselect_b32 s13, s15, s13
	s_add_i32 s14, s7, 1
	s_cmp_ge_u32 s13, s3
	s_cselect_b32 s7, s14, s7
	s_abs_i32 s3, s8
	v_cvt_f32_u32_e32 v1, s3
	s_abs_i32 s15, s27
	v_cvt_f32_u32_e32 v2, s15
	s_xor_b32 s7, s7, s6
	v_rcp_iflag_f32_e32 v1, v1
	s_sub_i32 s16, 0, s3
	v_rcp_iflag_f32_e32 v2, v2
	s_sub_i32 s18, s7, s6
	v_mul_f32_e32 v1, 0x4f7ffffe, v1
	v_cvt_u32_f32_e32 v1, v1
	v_mul_f32_e32 v2, 0x4f7ffffe, v2
	v_cvt_u32_f32_e32 v2, v2
	s_ashr_i32 s14, s27, 31
	v_readfirstlane_b32 s6, v1
	s_mul_i32 s16, s16, s6
	s_mul_hi_u32 s7, s6, s16
	s_add_i32 s16, s6, s7
	s_sub_i32 s6, 0, s15
	v_readfirstlane_b32 s7, v2
	s_mul_i32 s6, s6, s7
	s_mul_hi_u32 s6, s7, s6
	s_add_i32 s7, s7, s6
	s_mul_hi_u32 s6, s5, s7
	s_mul_i32 s7, s6, s15
	s_sub_i32 s7, s5, s7
	s_ashr_i32 s13, s8, 31
	s_xor_b32 s17, s4, s14
	s_ashr_i32 s19, s18, 31
	s_abs_i32 s20, s18
	s_add_i32 s14, s6, 1
	s_sub_i32 s21, s7, s15
	s_cmp_ge_u32 s7, s15
	s_cselect_b32 s6, s14, s6
	s_cselect_b32 s7, s21, s7
	s_add_i32 s14, s6, 1
	s_cmp_ge_u32 s7, s15
	s_cselect_b32 s6, s14, s6
	s_load_dwordx2 s[14:15], s[0:1], 0x0
	s_load_dwordx4 s[28:31], s[0:1], 0x22c
	s_abs_i32 s7, s26
	v_cvt_f32_u32_e32 v1, s7
	s_xor_b32 s6, s6, s17
	s_sub_i32 s25, s6, s17
	s_waitcnt lgkmcnt(0)
	v_writelane_b32 v60, s28, 4
	v_rcp_iflag_f32_e32 v1, v1
	s_nop 0
	v_writelane_b32 v60, s29, 5
	v_writelane_b32 v60, s30, 6
	;; [unrolled: 1-line block ×3, first 2 shown]
	s_load_dwordx2 s[28:29], s[0:1], 0x1cc
	s_load_dwordx2 s[22:23], s[0:1], 0x1c0
	v_mul_f32_e32 v1, 0x4f7ffffe, v1
	v_cvt_u32_f32_e32 v1, v1
	s_waitcnt lgkmcnt(0)
	s_abs_i32 s6, s29
	v_cvt_f32_u32_e32 v2, s6
	v_readfirstlane_b32 s17, v1
	v_writelane_b32 v60, s22, 8
	v_rcp_iflag_f32_e32 v1, v2
	s_nop 0
	v_writelane_b32 v60, s23, 9
	v_writelane_b32 v60, s7, 10
	s_sub_i32 s7, 0, s7
	v_mul_f32_e32 v1, 0x4f7ffffe, v1
	v_cvt_u32_f32_e32 v1, v1
	s_mul_i32 s7, s7, s17
	s_mul_hi_u32 s7, s17, s7
	s_add_i32 s17, s17, s7
	s_ashr_i32 s7, s29, 31
	s_xor_b32 s21, s4, s7
	s_sub_i32 s4, 0, s6
	v_readfirstlane_b32 s7, v1
	s_mul_i32 s4, s4, s7
	s_mul_hi_u32 s4, s7, s4
	s_add_i32 s7, s7, s4
	s_mul_hi_u32 s4, s5, s7
	s_mul_i32 s7, s4, s6
	s_sub_i32 s5, s5, s7
	s_abs_i32 s23, s25
	s_add_i32 s7, s4, 1
	s_sub_i32 s22, s5, s6
	s_cmp_ge_u32 s5, s6
	s_cselect_b32 s4, s7, s4
	s_cselect_b32 s5, s22, s5
	s_add_i32 s7, s4, 1
	s_cmp_ge_u32 s5, s6
	s_cselect_b32 s22, s7, s4
	s_abs_i32 s30, s28
	v_cvt_f32_u32_e32 v1, s30
	s_load_dwordx2 s[4:5], s[0:1], 0xe8
	v_rcp_iflag_f32_e32 v1, v1
	s_waitcnt lgkmcnt(0)
	v_writelane_b32 v60, s4, 11
	v_mul_f32_e32 v1, 0x4f7ffffe, v1
	v_cvt_u32_f32_e32 v1, v1
	v_writelane_b32 v60, s5, 12
	s_load_dwordx4 s[4:7], s[0:1], 0x6c
	v_writelane_b32 v60, s23, 13
	s_mul_hi_u32 s0, s23, s17
	v_writelane_b32 v60, s0, 14
	s_xor_b32 s0, s22, s21
	s_sub_i32 s21, s0, s21
	s_sub_i32 s0, 0, s30
	v_readfirstlane_b32 s1, v1
	s_mul_i32 s0, s0, s1
	s_mul_hi_u32 s0, s1, s0
	s_waitcnt lgkmcnt(0)
	s_mul_hi_u32 s7, s20, s16
	s_abs_i32 s16, s21
	v_writelane_b32 v60, s30, 15
	s_add_i32 s1, s1, s0
	v_writelane_b32 v60, s16, 16
	s_mul_hi_u32 s0, s16, s1
	v_writelane_b32 v60, s0, 17
	v_cmp_eq_u32_e64 s[0:1], 0, v0
	s_and_saveexec_b64 s[16:17], s[0:1]
; %bb.2:
	v_mov_b32_e32 v2, 0
	v_mov_b32_e32 v3, s68
	;; [unrolled: 1-line block ×3, first 2 shown]
	ds_write_b96 v2, v[2:4] offset:4096
; %bb.3:
	s_or_b64 exec, exec, s[16:17]
	v_writelane_b32 v60, s25, 18
	s_ashr_i32 s16, s25, 31
	v_writelane_b32 v60, s16, 19
	v_writelane_b32 v60, s26, 20
	s_ashr_i32 s16, s26, 31
	s_mul_i32 s9, s18, s9
	v_writelane_b32 v60, s27, 21
	v_writelane_b32 v60, s16, 22
	;; [unrolled: 1-line block ×3, first 2 shown]
	s_ashr_i32 s16, s21, 31
	v_writelane_b32 v60, s16, 24
	s_sub_i32 s9, s24, s9
	v_writelane_b32 v60, s28, 25
	s_mul_i32 s9, s9, s6
	s_xor_b32 s6, s19, s13
	s_mul_i32 s13, s7, s3
	v_writelane_b32 v60, s29, 26
	s_ashr_i32 s16, s28, 31
	s_sub_i32 s13, s20, s13
	v_writelane_b32 v60, s16, 27
	s_add_i32 s16, s7, 1
	s_sub_i32 s17, s13, s3
	s_cmp_ge_u32 s13, s3
	s_cselect_b32 s7, s16, s7
	s_cselect_b32 s13, s17, s13
	s_add_i32 s16, s7, 1
	s_cmp_ge_u32 s13, s3
	s_cselect_b32 s3, s16, s7
	s_xor_b32 s3, s3, s6
	s_sub_i32 s3, s3, s6
	s_mul_i32 s6, s3, s8
	s_sub_i32 s6, s18, s6
	s_mul_i32 s5, s6, s5
	s_add_i32 s5, s5, s9
	s_mul_i32 s3, s3, s4
	s_add_i32 s4, s5, s3
	s_waitcnt lgkmcnt(0)
	s_barrier
	s_load_dword s3, s[10:11], 0xc
	s_ashr_i32 s5, s4, 31
	s_lshl_b64 s[4:5], s[4:5], 3
	s_add_u32 s80, s14, s4
	v_mbcnt_lo_u32_b32 v1, -1, 0
	s_addc_u32 s81, s15, s5
	s_waitcnt lgkmcnt(0)
	s_and_b32 s70, s3, 0xffff
	v_mbcnt_hi_u32_b32 v34, -1, v1
	v_cmp_gt_u32_e32 vcc, 64, v0
	v_cmp_gt_i32_e64 s[4:5], 4, v34
	s_add_i32 s6, s70, -1
	s_lshl_b32 s99, s70, 2
	s_and_b64 s[84:85], vcc, s[4:5]
	s_add_i32 s91, s6, s68
	s_cmpk_gt_i32 s68, 0x180
	v_writelane_b32 v60, s24, 28
	s_cselect_b64 s[86:87], -1, 0
	s_cmp_gt_u32 s70, 63
	v_writelane_b32 v60, s6, 29
	v_cmp_gt_i32_e64 s[8:9], s68, v0
	s_cselect_b64 s[88:89], -1, 0
	s_cmp_lt_u32 s2, s12
	v_writelane_b32 v60, s8, 30
	s_cselect_b32 s2, 12, 18
	v_lshlrev_b64 v[2:3], v34, -1
	v_writelane_b32 v60, s9, 31
	s_add_u32 s8, s10, s2
	s_addc_u32 s9, s11, 0
	v_writelane_b32 v60, s8, 32
	v_not_b32_e32 v22, v2
	v_lshrrev_b32_e32 v2, 2, v0
	v_writelane_b32 v60, s9, 33
	s_bfe_u32 s8, s3, 0xa0006
	s_add_i32 s2, s8, -2
	s_lshr_b32 s3, s2, 1
	s_add_i32 s3, s3, 1
	s_cmpk_gt_u32 s70, 0x7f
	v_and_b32_e32 v2, 0xf0, v2
	s_cselect_b64 s[10:11], -1, 0
	v_or_b32_e32 v37, 0xc00, v2
	v_writelane_b32 v60, s10, 34
	v_cvt_f32_u32_e32 v2, s99
	s_and_b32 s9, s8, 0x3fe
	v_writelane_b32 v60, s11, 35
	s_and_b32 s10, s3, 7
	s_cmp_gt_u32 s2, 13
	s_cselect_b64 s[12:13], -1, 0
	v_writelane_b32 v60, s12, 36
	v_rcp_iflag_f32_e32 v2, v2
	s_and_b32 s2, s3, -8
	v_writelane_b32 v60, s13, 37
	v_writelane_b32 v60, s2, 38
	s_cmp_lg_u32 s10, 0
	v_writelane_b32 v60, s10, 39
	s_cselect_b64 s[2:3], -1, 0
	v_writelane_b32 v60, s2, 40
	v_mul_f32_e32 v2, 0x4f7ffffe, v2
	v_cvt_u32_f32_e32 v2, v2
	v_writelane_b32 v60, s3, 41
	v_writelane_b32 v60, s8, 42
	s_cmp_lg_u32 s9, s8
	v_writelane_b32 v60, s9, 43
	s_cselect_b64 s[2:3], -1, 0
	v_writelane_b32 v60, s2, 44
	v_not_b32_e32 v1, v3
	v_cvt_f32_u32_e32 v3, s70
	v_writelane_b32 v60, s3, 45
	s_sub_i32 s2, 0, s99
	v_readfirstlane_b32 s3, v2
	s_mul_i32 s2, s2, s3
	s_mul_hi_u32 s2, s3, s2
	s_add_i32 s8, s3, s2
	s_mul_hi_u32 s2, s68, s8
	s_mul_i32 s2, s2, s99
	s_sub_i32 s2, s68, s2
	s_sub_i32 s3, s2, s99
	s_cmp_ge_u32 s2, s99
	s_cselect_b32 s2, s3, s2
	s_sub_i32 s3, s2, s99
	s_cmp_ge_u32 s2, s99
	s_cselect_b32 s2, s3, s2
	s_sub_i32 s9, s68, s2
	v_rcp_iflag_f32_e32 v5, v3
	v_add_u32_e32 v38, s9, v0
	v_mul_lo_u32 v2, v38, s71
	v_ashrrev_i32_e32 v3, 31, v2
	v_lshl_add_u64 v[24:25], v[2:3], 3, s[80:81]
	v_mul_f32_e32 v2, 0x4f7ffffe, v5
	v_cvt_u32_f32_e32 v2, v2
	s_sub_i32 s17, 0, s70
	s_abs_i32 s16, s91
	s_ashr_i32 s3, s91, 31
	v_readfirstlane_b32 s20, v2
	s_mul_i32 s17, s17, s20
	s_mul_hi_u32 s17, s20, s17
	s_add_i32 s17, s20, s17
	v_writelane_b32 v60, s17, 46
	s_mul_hi_u32 s17, s16, s17
	s_mul_i32 s17, s17, s70
	s_sub_i32 s16, s16, s17
	s_sub_i32 s17, s16, s70
	s_cmp_ge_u32 s16, s70
	s_cselect_b32 s16, s17, s16
	s_sub_i32 s17, s16, s70
	s_cmp_ge_u32 s16, s70
	v_lshlrev_b32_e32 v23, 2, v0
	s_cselect_b32 s16, s17, s16
	s_xor_b32 s16, s16, s3
	v_mul_lo_u32 v2, s71, v23
	s_sub_i32 s3, s3, s16
	v_add_u32_e32 v39, s71, v2
	v_or_b32_e32 v2, 2, v23
	s_add_i32 s91, s91, s3
	v_mul_lo_u32 v40, s71, v2
	v_or_b32_e32 v2, 3, v23
	s_add_i32 s3, s70, s68
	v_mov_b32_e32 v19, 0
	v_cmp_gt_i32_e64 s[16:17], s91, v0
	v_mul_lo_u32 v41, s71, v2
	v_add_u32_e32 v2, s3, v0
	v_lshlrev_b32_e32 v35, 3, v0
	v_mul_lo_u32 v16, s71, v0
	v_mov_b32_e32 v17, v19
	v_lshlrev_b32_e32 v4, 2, v34
	v_writelane_b32 v60, s16, 47
	s_mul_i32 s98, s71, s70
	v_subrev_u32_e32 v2, s2, v2
	s_mov_b32 s2, 0
	v_cmp_eq_u32_e64 s[18:19], 0, v34
	v_cmp_gt_u32_e64 s[4:5], 2, v0
	v_add_u32_e32 v36, 0xc00, v35
	v_cmp_gt_u32_e64 s[6:7], s68, v0
	v_lshl_add_u64 v[20:21], v[16:17], 3, s[80:81]
	v_and_b32_e32 v17, 0x100, v4
	v_cmp_gt_i32_e64 s[10:11], s9, v23
	v_cmp_gt_u32_e64 s[12:13], s68, v38
	v_cmp_gt_i32_e64 s[14:15], s68, v38
	v_writelane_b32 v60, s17, 48
	s_lshl_b32 s92, s98, 2
	v_lshlrev_b32_e32 v42, 2, v16
	v_mul_lo_u32 v43, s71, v2
	v_lshlrev_b32_e32 v44, 5, v0
	s_lshl_b32 s93, s70, 5
	s_lshl_b32 s16, s70, 3
	v_or_b32_e32 v45, 0xc00, v4
	s_mov_b32 s17, 62
	v_mov_b64_e32 v[6:7], 0
	s_mov_b64 s[74:75], 0
	v_mov_b32_e32 v47, s69
	v_mov_b64_e32 v[26:27], 0
	v_mov_b64_e32 v[28:29], 0
	v_mov_b32_e32 v49, s68
	v_mov_b32_e32 v3, 0x3ff00000
	v_mov_b32_e32 v46, 0xc00
	v_mov_b32_e32 v50, v19
	v_mov_b32_e32 v51, v19
	s_mov_b32 s3, 1
	s_mov_b32 s69, s2
                                        ; implicit-def: $sgpr78_sgpr79
                                        ; implicit-def: $sgpr62_sgpr63
                                        ; implicit-def: $sgpr60_sgpr61
                                        ; implicit-def: $sgpr66_sgpr67
                                        ; implicit-def: $sgpr82_sgpr83
                                        ; implicit-def: $sgpr64_sgpr65
	s_branch .LBB42_7
.LBB42_4:                               ;   in Loop: Header=BB42_7 Depth=1
	s_or_b64 exec, exec, s[30:31]
	s_and_b64 s[24:25], s[24:25], exec
	s_andn2_b64 s[28:29], s[28:29], exec
	s_andn2_b64 s[26:27], s[26:27], exec
	s_orn2_b64 s[22:23], s[22:23], exec
.LBB42_5:                               ;   in Loop: Header=BB42_7 Depth=1
	s_or_b64 exec, exec, s[2:3]
	s_andn2_b64 s[2:3], s[64:65], exec
	s_and_b64 s[24:25], s[24:25], exec
	s_or_b64 s[64:65], s[2:3], s[24:25]
	s_andn2_b64 s[2:3], s[82:83], exec
	s_and_b64 s[24:25], s[28:29], exec
	s_or_b64 s[82:83], s[2:3], s[24:25]
	;; [unrolled: 3-line block ×3, first 2 shown]
	s_orn2_b64 s[22:23], s[22:23], exec
.LBB42_6:                               ;   in Loop: Header=BB42_7 Depth=1
	s_or_b64 exec, exec, s[20:21]
	s_and_b64 s[2:3], exec, s[22:23]
	s_or_b64 s[74:75], s[2:3], s[74:75]
	s_andn2_b64 s[2:3], s[60:61], exec
	s_and_b64 s[20:21], s[64:65], exec
	s_or_b64 s[60:61], s[2:3], s[20:21]
	s_andn2_b64 s[2:3], s[62:63], exec
	s_and_b64 s[20:21], s[82:83], exec
	;; [unrolled: 3-line block ×3, first 2 shown]
	s_or_b64 s[78:79], s[2:3], s[20:21]
	s_mov_b32 s69, s37
	s_mov_b32 s17, s36
	v_mov_b32_e32 v47, v11
	s_andn2_b64 exec, exec, s[74:75]
	s_cbranch_execz .LBB42_242
.LBB42_7:                               ; =>This Loop Header: Depth=1
                                        ;     Child Loop BB42_13 Depth 2
                                        ;     Child Loop BB42_28 Depth 2
	;; [unrolled: 1-line block ×17, first 2 shown]
	s_waitcnt vmcnt(0)
	ds_read_b64 v[4:5], v19 offset:4096
	s_waitcnt lgkmcnt(0)
	v_readfirstlane_b32 s33, v4
	s_cmp_gt_i32 s33, 0
	s_cbranch_scc1 .LBB42_35
; %bb.8:                                ;   in Loop: Header=BB42_7 Depth=1
	s_and_b64 vcc, exec, s[86:87]
	s_cbranch_vccz .LBB42_21
; %bb.9:                                ;   in Loop: Header=BB42_7 Depth=1
	s_movk_i32 s2, 0x181
	v_cmp_gt_i32_e32 vcc, s2, v5
	s_mov_b64 s[20:21], 0
	s_mov_b64 s[2:3], 0
	s_cbranch_vccz .LBB42_22
; %bb.10:                               ;   in Loop: Header=BB42_7 Depth=1
	s_and_saveexec_b64 s[22:23], s[6:7]
	s_cbranch_execz .LBB42_67
; %bb.11:                               ;   in Loop: Header=BB42_7 Depth=1
	v_readlane_b32 s2, v60, 32
	v_readlane_b32 s3, v60, 33
	s_nop 4
	global_load_ushort v2, v19, s[2:3]
	global_load_dwordx2 v[4:5], v[20:21], off
	s_mov_b64 s[24:25], 0
	v_mov_b32_e32 v11, v0
	s_waitcnt vmcnt(1)
	v_add_u32_e32 v8, v0, v2
	v_mul_lo_u32 v10, s71, v2
	v_mul_lo_u32 v18, s71, v8
	s_branch .LBB42_13
.LBB42_12:                              ;   in Loop: Header=BB42_13 Depth=2
	s_or_b64 exec, exec, s[2:3]
	v_cmp_le_i32_e32 vcc, s68, v11
	v_add_u32_e32 v18, v18, v10
	s_or_b64 s[24:25], vcc, s[24:25]
	v_mov_b64_e32 v[4:5], v[8:9]
	s_andn2_b64 exec, exec, s[24:25]
	s_cbranch_execz .LBB42_67
.LBB42_13:                              ;   Parent Loop BB42_7 Depth=1
                                        ; =>  This Inner Loop Header: Depth=2
	v_add_u32_e32 v11, v11, v2
	v_cmp_gt_u32_e32 vcc, s68, v11
	v_mov_b64_e32 v[8:9], 0
	s_and_saveexec_b64 s[2:3], vcc
	s_cbranch_execz .LBB42_15
; %bb.14:                               ;   in Loop: Header=BB42_13 Depth=2
	v_lshl_add_u64 v[8:9], v[18:19], 3, s[80:81]
	global_load_dwordx2 v[8:9], v[8:9], off
.LBB42_15:                              ;   in Loop: Header=BB42_13 Depth=2
	s_or_b64 exec, exec, s[2:3]
	s_waitcnt vmcnt(0) lgkmcnt(0)
	v_ashrrev_i32_e32 v12, 31, v5
	v_or_b32_e32 v13, 0x80000000, v12
	v_xor_b32_e32 v13, v13, v5
	v_xor_b32_e32 v12, v12, v4
	v_cmp_o_f64_e32 vcc, v[4:5], v[4:5]
	s_nop 1
	v_cndmask_b32_e32 v13, -1, v13, vcc
	v_cndmask_b32_e32 v12, -1, v12, vcc
	v_and_b32_e32 v13, v13, v29
	v_and_b32_e32 v12, v12, v28
	v_cmp_eq_u64_e32 vcc, v[12:13], v[26:27]
	s_cmp_lg_u64 vcc, 0
	s_cselect_b64 s[2:3], -1, 0
	s_and_b64 s[2:3], s[18:19], s[2:3]
	v_mov_b32_e32 v12, 0
	s_and_saveexec_b64 s[26:27], s[2:3]
	s_cbranch_execz .LBB42_19
; %bb.16:                               ;   in Loop: Header=BB42_13 Depth=2
	s_mov_b64 s[30:31], exec
	v_mbcnt_lo_u32_b32 v12, s30, 0
	v_mbcnt_hi_u32_b32 v12, s31, v12
	s_bcnt1_i32_b64 s34, vcc
	v_cmp_eq_u32_e64 s[2:3], 0, v12
                                        ; implicit-def: $vgpr13
	s_and_saveexec_b64 s[28:29], s[2:3]
; %bb.17:                               ;   in Loop: Header=BB42_13 Depth=2
	s_bcnt1_i32_b64 s2, s[30:31]
	s_mul_i32 s2, s34, s2
	v_mov_b32_e32 v13, s2
	ds_add_rtn_u32 v13, v19, v13 offset:4104
; %bb.18:                               ;   in Loop: Header=BB42_13 Depth=2
	s_or_b64 exec, exec, s[28:29]
	s_waitcnt lgkmcnt(0)
	v_readfirstlane_b32 s2, v13
	s_nop 1
	v_mov_b32_e32 v13, s2
	v_mad_u32_u24 v12, s34, v12, v13
.LBB42_19:                              ;   in Loop: Header=BB42_13 Depth=2
	s_or_b64 exec, exec, s[26:27]
	ds_bpermute_b32 v12, v17, v12
	s_and_saveexec_b64 s[2:3], vcc
	s_cbranch_execz .LBB42_12
; %bb.20:                               ;   in Loop: Header=BB42_13 Depth=2
	v_and_b32_e32 v14, vcc_lo, v22
	v_and_b32_e32 v13, vcc_hi, v1
	v_bcnt_u32_b32 v14, v14, 0
	v_bcnt_u32_b32 v13, v13, v14
	v_lshlrev_b32_e32 v13, 3, v13
	s_waitcnt lgkmcnt(0)
	v_lshl_add_u32 v12, v12, 3, v13
	ds_write_b64 v12, v[4:5]
	s_branch .LBB42_12
.LBB42_21:                              ;   in Loop: Header=BB42_7 Depth=1
	s_mov_b64 s[20:21], -1
	s_mov_b64 s[2:3], 0
.LBB42_22:                              ;   in Loop: Header=BB42_7 Depth=1
	s_and_b64 vcc, exec, s[20:21]
	s_cbranch_vccz .LBB42_33
.LBB42_23:                              ;   in Loop: Header=BB42_7 Depth=1
	v_mov_b64_e32 v[4:5], 0
	s_and_saveexec_b64 s[2:3], s[6:7]
	s_cbranch_execz .LBB42_25
; %bb.24:                               ;   in Loop: Header=BB42_7 Depth=1
	global_load_dwordx2 v[4:5], v[20:21], off
.LBB42_25:                              ;   in Loop: Header=BB42_7 Depth=1
	s_or_b64 exec, exec, s[2:3]
	s_mov_b64 s[2:3], exec
	v_readlane_b32 s20, v60, 30
	v_readlane_b32 s21, v60, 31
	s_and_b64 s[20:21], s[2:3], s[20:21]
	s_mov_b64 exec, s[20:21]
	s_cbranch_execz .LBB42_30
; %bb.26:                               ;   in Loop: Header=BB42_7 Depth=1
	v_readlane_b32 s20, v60, 32
	v_readlane_b32 s21, v60, 33
	v_mov_b32_e32 v10, v35
	v_mov_b32_e32 v13, v0
	s_nop 2
	global_load_ushort v2, v19, s[20:21]
	s_mov_b64 s[20:21], 0
	s_waitcnt vmcnt(0)
	v_add_u32_e32 v8, v0, v2
	v_lshlrev_b32_e32 v11, 3, v2
	v_mul_lo_u32 v12, s71, v2
	v_mul_lo_u32 v18, s71, v8
	s_branch .LBB42_28
.LBB42_27:                              ;   in Loop: Header=BB42_28 Depth=2
	s_or_b64 exec, exec, s[22:23]
	v_cmp_le_i32_e32 vcc, s68, v13
	ds_write_b64 v10, v[4:5]
	v_add_u32_e32 v10, v10, v11
	v_add_u32_e32 v18, v18, v12
	s_or_b64 s[20:21], vcc, s[20:21]
	s_waitcnt vmcnt(0)
	v_mov_b64_e32 v[4:5], v[8:9]
	s_andn2_b64 exec, exec, s[20:21]
	s_cbranch_execz .LBB42_30
.LBB42_28:                              ;   Parent Loop BB42_7 Depth=1
                                        ; =>  This Inner Loop Header: Depth=2
	v_add_u32_e32 v13, v13, v2
	v_cmp_gt_u32_e32 vcc, s68, v13
	v_mov_b64_e32 v[8:9], 0
	s_and_saveexec_b64 s[22:23], vcc
	s_cbranch_execz .LBB42_27
; %bb.29:                               ;   in Loop: Header=BB42_28 Depth=2
	v_lshl_add_u64 v[8:9], v[18:19], 3, s[80:81]
	global_load_dwordx2 v[8:9], v[8:9], off
	s_branch .LBB42_27
.LBB42_30:                              ;   in Loop: Header=BB42_7 Depth=1
	s_or_b64 exec, exec, s[2:3]
	s_waitcnt lgkmcnt(0)
	s_barrier
	s_and_saveexec_b64 s[2:3], s[0:1]
; %bb.31:                               ;   in Loop: Header=BB42_7 Depth=1
	ds_write_b32 v19, v49 offset:4096
; %bb.32:                               ;   in Loop: Header=BB42_7 Depth=1
	s_or_b64 exec, exec, s[2:3]
	s_mov_b64 s[2:3], -1
	s_waitcnt lgkmcnt(0)
	s_barrier
.LBB42_33:                              ;   in Loop: Header=BB42_7 Depth=1
	s_and_b64 vcc, exec, s[2:3]
	s_cbranch_vccz .LBB42_35
; %bb.34:                               ;   in Loop: Header=BB42_7 Depth=1
	ds_read_b32 v2, v19 offset:4096
	s_waitcnt lgkmcnt(0)
	v_readfirstlane_b32 s33, v2
.LBB42_35:                              ;   in Loop: Header=BB42_7 Depth=1
	s_cmp_lt_i32 s33, 1
	s_mov_b64 s[2:3], -1
                                        ; implicit-def: $vgpr10_vgpr11
	s_cbranch_scc1 .LBB42_45
; %bb.36:                               ;   in Loop: Header=BB42_7 Depth=1
	s_and_b64 vcc, exec, s[2:3]
	s_cbranch_vccnz .LBB42_58
.LBB42_37:                              ;   in Loop: Header=BB42_7 Depth=1
	s_lshl_b32 s22, s69, 6
	s_and_saveexec_b64 s[2:3], s[18:19]
.LBB42_38:                              ;   in Loop: Header=BB42_7 Depth=1
	v_lshl_add_u32 v2, s22, 2, v37
	ds_write_b128 v2, v[8:11]
.LBB42_39:                              ;   in Loop: Header=BB42_7 Depth=1
	s_or_b64 exec, exec, s[2:3]
	s_waitcnt lgkmcnt(0)
	s_barrier
	s_and_saveexec_b64 s[2:3], s[84:85]
	s_cbranch_execz .LBB42_78
; %bb.40:                               ;   in Loop: Header=BB42_7 Depth=1
	v_add_u32_e32 v2, s22, v34
	s_andn2_b64 vcc, exec, s[88:89]
	s_waitcnt vmcnt(0)
	v_mov_b32_e32 v4, 0
	s_cbranch_vccnz .LBB42_77
; %bb.41:                               ;   in Loop: Header=BB42_7 Depth=1
	v_readlane_b32 s20, v60, 34
	v_readlane_b32 s21, v60, 35
	s_andn2_b64 vcc, exec, s[20:21]
	s_cbranch_vccnz .LBB42_70
; %bb.42:                               ;   in Loop: Header=BB42_7 Depth=1
	v_readlane_b32 s20, v60, 36
	v_readlane_b32 s21, v60, 37
	s_andn2_b64 vcc, exec, s[20:21]
	v_lshl_add_u32 v8, v2, 2, v46
	s_cbranch_vccnz .LBB42_71
; %bb.43:                               ;   in Loop: Header=BB42_7 Depth=1
	s_mov_b32 s21, 1
	s_mov_b32 s20, 0
	v_mov_b32_e32 v4, 0
	v_mov_b32_e32 v5, 0
	v_readlane_b32 s23, v60, 38
.LBB42_44:                              ;   Parent Loop BB42_7 Depth=1
                                        ; =>  This Inner Loop Header: Depth=2
	v_lshl_add_u32 v9, s20, 4, v8
	v_lshl_add_u32 v18, s21, 4, v8
	ds_read2_b32 v[10:11], v9 offset1:8
	ds_read2_b32 v[12:13], v18 offset1:8
	ds_read2_b32 v[14:15], v9 offset0:16 offset1:24
	ds_read2_b32 v[30:31], v18 offset0:16 offset1:24
	;; [unrolled: 1-line block ×6, first 2 shown]
	s_waitcnt lgkmcnt(7)
	v_add3_u32 v4, v10, v4, v11
	s_waitcnt lgkmcnt(6)
	v_add3_u32 v5, v12, v5, v13
	;; [unrolled: 2-line block ×3, first 2 shown]
	v_add3_u32 v4, v14, v4, v15
	s_add_i32 s21, s21, 16
	s_add_i32 s20, s20, 16
	s_add_i32 s23, s23, -8
	s_waitcnt lgkmcnt(3)
	v_add3_u32 v4, v32, v4, v33
	s_waitcnt lgkmcnt(2)
	v_add3_u32 v5, v52, v5, v53
	s_cmp_lg_u32 s23, 0
	s_waitcnt lgkmcnt(0)
	v_add3_u32 v5, v56, v5, v57
	v_add3_u32 v4, v54, v4, v55
	s_cbranch_scc1 .LBB42_44
	s_branch .LBB42_72
.LBB42_45:                              ;   in Loop: Header=BB42_7 Depth=1
	v_mov_b32_e32 v18, v19
	v_mov_b64_e32 v[10:11], v[18:19]
	v_mov_b64_e32 v[8:9], v[18:19]
	s_and_saveexec_b64 s[72:73], s[10:11]
	s_cbranch_execnz .LBB42_48
; %bb.46:                               ;   in Loop: Header=BB42_7 Depth=1
	s_or_b64 exec, exec, s[72:73]
	v_mov_b64_e32 v[12:13], 0
	s_and_saveexec_b64 s[2:3], s[12:13]
	s_cbranch_execnz .LBB42_51
.LBB42_47:                              ;   in Loop: Header=BB42_7 Depth=1
	s_or_b64 exec, exec, s[2:3]
	s_and_saveexec_b64 s[20:21], s[14:15]
	s_cbranch_execnz .LBB42_52
	s_branch .LBB42_57
.LBB42_48:                              ;   in Loop: Header=BB42_7 Depth=1
	s_mov_b32 s90, 0
	s_mov_b64 s[76:77], 0
	v_mov_b32_e32 v2, v23
	s_mov_b32 s94, 0
	s_mov_b32 s95, s90
	;; [unrolled: 1-line block ×4, first 2 shown]
.LBB42_49:                              ;   Parent Loop BB42_7 Depth=1
                                        ; =>  This Inner Loop Header: Depth=2
	v_add_u32_e32 v12, s90, v42
	v_add_u32_e32 v14, s90, v39
	;; [unrolled: 1-line block ×4, first 2 shown]
	v_ashrrev_i32_e32 v13, 31, v12
	v_ashrrev_i32_e32 v15, 31, v14
	;; [unrolled: 1-line block ×4, first 2 shown]
	v_lshl_add_u64 v[12:13], v[12:13], 3, s[80:81]
	v_lshl_add_u64 v[14:15], v[14:15], 3, s[80:81]
	;; [unrolled: 1-line block ×4, first 2 shown]
	global_load_dwordx2 v[12:13], v[12:13], off
	s_nop 0
	global_load_dwordx2 v[14:15], v[14:15], off
	s_nop 0
	;; [unrolled: 2-line block ×3, first 2 shown]
	global_load_dwordx2 v[32:33], v[32:33], off
	s_waitcnt vmcnt(4)
	v_mov_b32_e32 v5, v19
	v_mov_b32_e32 v9, v19
	;; [unrolled: 1-line block ×3, first 2 shown]
	v_add_u32_e32 v2, s99, v2
	s_add_i32 s90, s90, s92
	v_cmp_le_i32_e32 vcc, s9, v2
	s_waitcnt vmcnt(3)
	v_ashrrev_i32_e32 v4, 31, v13
	s_waitcnt vmcnt(2)
	v_ashrrev_i32_e32 v8, 31, v15
	v_xor_b32_e32 v48, v8, v14
	s_waitcnt vmcnt(0)
	v_ashrrev_i32_e32 v18, 31, v33
	v_cmp_o_f64_e64 s[2:3], v[14:15], v[14:15]
	v_xor_b32_e32 v14, v4, v12
	v_or_b32_e32 v4, 0x80000000, v4
	v_ashrrev_i32_e32 v10, 31, v31
	v_cmp_o_f64_e64 s[24:25], v[12:13], v[12:13]
	v_or_b32_e32 v8, 0x80000000, v8
	v_or_b32_e32 v12, 0x80000000, v18
	v_xor_b32_e32 v4, v4, v13
	v_xor_b32_e32 v52, v10, v30
	v_cmp_o_f64_e64 s[20:21], v[30:31], v[30:31]
	v_xor_b32_e32 v53, v18, v32
	v_cmp_o_f64_e64 s[22:23], v[32:33], v[32:33]
	v_or_b32_e32 v10, 0x80000000, v10
	v_xor_b32_e32 v8, v8, v15
	v_xor_b32_e32 v18, v12, v33
	v_cndmask_b32_e64 v12, -1, v14, s[24:25]
	v_cndmask_b32_e64 v13, -1, v4, s[24:25]
	v_xor_b32_e32 v10, v10, v31
	v_cndmask_b32_e64 v14, -1, v48, s[2:3]
	v_cndmask_b32_e64 v30, -1, v52, s[20:21]
	;; [unrolled: 1-line block ×4, first 2 shown]
	v_and_b32_e32 v52, v12, v28
	v_and_b32_e32 v53, v13, v29
	v_lshrrev_b64 v[12:13], s17, v[12:13]
	v_cndmask_b32_e64 v31, -1, v10, s[20:21]
	v_cndmask_b32_e64 v33, -1, v18, s[22:23]
	v_and_b32_e32 v54, v14, v28
	v_and_b32_e32 v55, v15, v29
	v_lshrrev_b64 v[14:15], s17, v[14:15]
	v_and_b32_e32 v18, 3, v12
	v_and_b32_e32 v56, v30, v28
	;; [unrolled: 1-line block ×3, first 2 shown]
	v_lshrrev_b64 v[30:31], s17, v[30:31]
	v_cmp_eq_u64_e64 s[2:3], v[52:53], v[26:27]
	v_and_b32_e32 v4, 3, v14
	v_cmp_eq_u64_e64 s[26:27], 0, v[18:19]
	v_and_b32_e32 v58, v32, v28
	v_and_b32_e32 v59, v33, v29
	v_lshrrev_b64 v[32:33], s17, v[32:33]
	v_cmp_eq_u64_e64 s[20:21], v[54:55], v[26:27]
	v_and_b32_e32 v8, 3, v30
	v_cmp_eq_u64_e64 s[28:29], 0, v[4:5]
	s_and_b64 s[26:27], s[2:3], s[26:27]
	v_cmp_eq_u64_e64 s[22:23], v[56:57], v[26:27]
	v_and_b32_e32 v10, 3, v32
	v_cmp_eq_u64_e64 s[30:31], 0, v[8:9]
	v_cmp_eq_u64_e64 s[38:39], 1, v[4:5]
	;; [unrolled: 1-line block ×4, first 2 shown]
	v_cndmask_b32_e64 v4, 0, 1, s[26:27]
	s_and_b64 s[26:27], s[20:21], s[28:29]
	v_cmp_eq_u64_e64 s[24:25], v[58:59], v[26:27]
	v_cmp_eq_u64_e64 s[34:35], 0, v[10:11]
	v_cndmask_b32_e64 v5, 0, 1, s[26:27]
	s_and_b64 s[26:27], s[22:23], s[30:31]
	v_cmp_eq_u64_e64 s[36:37], 1, v[18:19]
	v_cmp_eq_u64_e64 s[40:41], 1, v[8:9]
	;; [unrolled: 1-line block ×4, first 2 shown]
	v_cndmask_b32_e64 v8, 0, 1, s[26:27]
	s_and_b64 s[26:27], s[24:25], s[34:35]
	v_cndmask_b32_e64 v9, 0, 1, s[26:27]
	s_and_b64 s[26:27], s[2:3], s[36:37]
	v_cmp_eq_u64_e64 s[42:43], 1, v[10:11]
	v_cmp_eq_u64_e64 s[50:51], 2, v[10:11]
	;; [unrolled: 1-line block ×3, first 2 shown]
	v_cndmask_b32_e64 v10, 0, 1, s[26:27]
	s_and_b64 s[26:27], s[20:21], s[38:39]
	v_cndmask_b32_e64 v11, 0, 1, s[26:27]
	s_and_b64 s[26:27], s[22:23], s[40:41]
	v_cmp_eq_u64_e64 s[44:45], 2, v[18:19]
	v_cmp_eq_u64_e64 s[52:53], 3, v[18:19]
	v_cndmask_b32_e64 v12, 0, 1, s[26:27]
	s_and_b64 s[26:27], s[24:25], s[42:43]
	v_cndmask_b32_e64 v13, 0, 1, s[26:27]
	s_and_b64 s[26:27], s[2:3], s[44:45]
	s_and_b64 s[2:3], s[2:3], s[52:53]
	v_cndmask_b32_e64 v14, 0, 1, s[26:27]
	s_and_b64 s[26:27], s[20:21], s[46:47]
	v_cndmask_b32_e64 v31, 0, 1, s[2:3]
	;; [unrolled: 2-line block ×7, first 2 shown]
	v_cndmask_b32_e64 v48, 0, 1, s[2:3]
	v_cmp_ne_u32_e64 s[2:3], 0, v4
	v_cmp_ne_u32_e64 s[20:21], 0, v5
	;; [unrolled: 1-line block ×11, first 2 shown]
	s_bcnt1_i32_b64 s2, s[2:3]
	s_bcnt1_i32_b64 s3, s[20:21]
	;; [unrolled: 1-line block ×8, first 2 shown]
	v_cmp_ne_u32_e64 s[34:35], 0, v13
	v_cmp_ne_u32_e64 s[40:41], 0, v18
	;; [unrolled: 1-line block ×3, first 2 shown]
	s_bcnt1_i32_b64 s23, s[28:29]
	s_bcnt1_i32_b64 s27, s[38:39]
	;; [unrolled: 1-line block ×3, first 2 shown]
	s_add_i32 s2, s94, s2
	s_add_i32 s22, s95, s22
	s_add_i32 s26, s96, s26
	s_add_i32 s30, s97, s30
	v_cmp_ne_u32_e64 s[42:43], 0, v30
	v_cmp_ne_u32_e64 s[50:51], 0, v48
	s_bcnt1_i32_b64 s25, s[34:35]
	s_bcnt1_i32_b64 s28, s[40:41]
	;; [unrolled: 1-line block ×3, first 2 shown]
	s_add_i32 s22, s22, s23
	s_add_i32 s2, s2, s3
	;; [unrolled: 1-line block ×4, first 2 shown]
	s_bcnt1_i32_b64 s29, s[42:43]
	s_bcnt1_i32_b64 s35, s[50:51]
	s_add_i32 s2, s2, s20
	s_add_i32 s20, s22, s24
	;; [unrolled: 1-line block ×8, first 2 shown]
	s_or_b64 s[76:77], vcc, s[76:77]
	v_mov_b64_e32 v[8:9], s[94:95]
	v_mov_b64_e32 v[10:11], s[96:97]
	s_andn2_b64 exec, exec, s[76:77]
	s_cbranch_execnz .LBB42_49
; %bb.50:                               ;   in Loop: Header=BB42_7 Depth=1
	s_or_b64 exec, exec, s[76:77]
	s_or_b64 exec, exec, s[72:73]
	v_mov_b64_e32 v[12:13], 0
	s_and_saveexec_b64 s[2:3], s[12:13]
	s_cbranch_execz .LBB42_47
.LBB42_51:                              ;   in Loop: Header=BB42_7 Depth=1
	global_load_dwordx2 v[12:13], v[24:25], off
	s_or_b64 exec, exec, s[2:3]
	s_and_saveexec_b64 s[20:21], s[14:15]
	s_cbranch_execz .LBB42_57
.LBB42_52:                              ;   in Loop: Header=BB42_7 Depth=1
	s_mov_b64 s[22:23], 0
	s_waitcnt vmcnt(0)
	v_mov_b32_e32 v4, v43
	v_mov_b32_e32 v2, v38
	s_branch .LBB42_54
.LBB42_53:                              ;   in Loop: Header=BB42_54 Depth=2
	s_or_b64 exec, exec, s[2:3]
	v_ashrrev_i32_e32 v5, 31, v13
	v_or_b32_e32 v18, 0x80000000, v5
	v_xor_b32_e32 v18, v18, v13
	v_xor_b32_e32 v5, v5, v12
	v_cmp_o_f64_e32 vcc, v[12:13], v[12:13]
	v_add_u32_e32 v4, s98, v4
	s_nop 0
	v_cndmask_b32_e32 v13, -1, v18, vcc
	v_cndmask_b32_e32 v12, -1, v5, vcc
	v_and_b32_e32 v31, v13, v29
	v_and_b32_e32 v30, v12, v28
	v_lshrrev_b64 v[12:13], s17, v[12:13]
	v_and_b32_e32 v18, 3, v12
	v_cmp_eq_u64_e32 vcc, v[30:31], v[26:27]
	v_cmp_eq_u64_e64 s[2:3], 0, v[18:19]
	s_and_b64 s[2:3], vcc, s[2:3]
	s_waitcnt vmcnt(0)
	v_mov_b64_e32 v[12:13], v[14:15]
	v_cndmask_b32_e64 v5, 0, 1, s[2:3]
	v_cmp_ne_u32_e64 s[2:3], 0, v5
	s_bcnt1_i32_b64 s24, s[2:3]
	v_cmp_eq_u64_e64 s[2:3], 1, v[18:19]
	s_and_b64 s[2:3], vcc, s[2:3]
	v_add_u32_e32 v8, s24, v8
	v_cndmask_b32_e64 v5, 0, 1, s[2:3]
	v_cmp_ne_u32_e64 s[2:3], 0, v5
	s_bcnt1_i32_b64 s2, s[2:3]
	s_nop 0
	v_add_u32_e32 v9, s2, v9
	v_cmp_eq_u64_e64 s[2:3], 2, v[18:19]
	s_and_b64 s[2:3], vcc, s[2:3]
	s_nop 0
	v_cndmask_b32_e64 v5, 0, 1, s[2:3]
	v_cmp_ne_u32_e64 s[2:3], 0, v5
	s_bcnt1_i32_b64 s24, s[2:3]
	v_cmp_eq_u64_e64 s[2:3], 3, v[18:19]
	s_and_b64 s[2:3], vcc, s[2:3]
	v_add_u32_e32 v10, s24, v10
	v_cndmask_b32_e64 v5, 0, 1, s[2:3]
	v_cmp_ne_u32_e32 vcc, 0, v5
	s_bcnt1_i32_b64 s2, vcc
	v_cmp_le_i32_e32 vcc, s68, v2
	v_add_u32_e32 v11, s2, v11
	s_or_b64 s[22:23], vcc, s[22:23]
	s_andn2_b64 exec, exec, s[22:23]
	s_cbranch_execz .LBB42_56
.LBB42_54:                              ;   Parent Loop BB42_7 Depth=1
                                        ; =>  This Inner Loop Header: Depth=2
	v_add_u32_e32 v2, s70, v2
	v_cmp_gt_u32_e32 vcc, s68, v2
	v_mov_b64_e32 v[14:15], 0
	s_and_saveexec_b64 s[2:3], vcc
	s_cbranch_execz .LBB42_53
; %bb.55:                               ;   in Loop: Header=BB42_54 Depth=2
	v_ashrrev_i32_e32 v5, 31, v4
	v_lshl_add_u64 v[14:15], v[4:5], 3, s[80:81]
	global_load_dwordx2 v[14:15], v[14:15], off
	s_branch .LBB42_53
.LBB42_56:                              ;   in Loop: Header=BB42_7 Depth=1
	s_or_b64 exec, exec, s[22:23]
.LBB42_57:                              ;   in Loop: Header=BB42_7 Depth=1
	s_or_b64 exec, exec, s[20:21]
	s_branch .LBB42_37
.LBB42_58:                              ;   in Loop: Header=BB42_7 Depth=1
	s_mul_hi_u32 s2, s33, s8
	s_mul_i32 s2, s2, s99
	s_sub_i32 s2, s33, s2
	s_sub_i32 s3, s2, s99
	s_cmp_ge_u32 s2, s99
	s_cselect_b32 s2, s3, s2
	s_sub_i32 s3, s2, s99
	s_cmp_ge_u32 s2, s99
	s_cselect_b32 s2, s3, s2
	s_sub_i32 s90, s33, s2
	v_mov_b32_e32 v18, v19
	v_cmp_gt_u32_e32 vcc, s90, v23
	v_mov_b64_e32 v[10:11], v[18:19]
	v_mov_b64_e32 v[8:9], v[18:19]
	s_and_saveexec_b64 s[72:73], vcc
	s_cbranch_execz .LBB42_62
; %bb.59:                               ;   in Loop: Header=BB42_7 Depth=1
	s_mov_b32 s94, 0
	s_mov_b64 s[76:77], 0
	v_mov_b32_e32 v2, v44
	v_mov_b32_e32 v48, v23
	s_mov_b32 s95, s94
	s_mov_b32 s96, s94
	;; [unrolled: 1-line block ×3, first 2 shown]
.LBB42_60:                              ;   Parent Loop BB42_7 Depth=1
                                        ; =>  This Inner Loop Header: Depth=2
	s_waitcnt vmcnt(0)
	ds_read_b128 v[12:15], v2
	ds_read_b128 v[8:11], v2 offset:16
	v_mov_b32_e32 v5, v19
	v_mov_b32_e32 v31, v19
	;; [unrolled: 1-line block ×3, first 2 shown]
	s_waitcnt lgkmcnt(1)
	v_ashrrev_i32_e32 v4, 31, v13
	v_ashrrev_i32_e32 v18, 31, v15
	s_waitcnt lgkmcnt(0)
	v_ashrrev_i32_e32 v30, 31, v9
	v_ashrrev_i32_e32 v32, 31, v11
	v_xor_b32_e32 v52, v18, v14
	v_cmp_o_f64_e64 s[2:3], v[14:15], v[14:15]
	v_xor_b32_e32 v14, v30, v8
	v_cmp_o_f64_e64 s[20:21], v[8:9], v[8:9]
	v_xor_b32_e32 v8, v4, v12
	v_or_b32_e32 v4, 0x80000000, v4
	v_xor_b32_e32 v53, v32, v10
	v_cmp_o_f64_e64 s[22:23], v[10:11], v[10:11]
	v_cmp_o_f64_e64 s[24:25], v[12:13], v[12:13]
	v_or_b32_e32 v10, 0x80000000, v18
	v_or_b32_e32 v12, 0x80000000, v30
	v_xor_b32_e32 v4, v4, v13
	v_or_b32_e32 v18, 0x80000000, v32
	v_xor_b32_e32 v13, v10, v15
	v_xor_b32_e32 v15, v12, v9
	v_cndmask_b32_e64 v8, -1, v8, s[24:25]
	v_cndmask_b32_e64 v9, -1, v4, s[24:25]
	v_xor_b32_e32 v18, v18, v11
	v_cndmask_b32_e64 v10, -1, v52, s[2:3]
	v_cndmask_b32_e64 v12, -1, v14, s[20:21]
	;; [unrolled: 1-line block ×4, first 2 shown]
	v_and_b32_e32 v52, v8, v28
	v_and_b32_e32 v53, v9, v29
	v_lshrrev_b64 v[8:9], s17, v[8:9]
	v_cndmask_b32_e64 v13, -1, v15, s[20:21]
	v_cndmask_b32_e64 v15, -1, v18, s[22:23]
	v_and_b32_e32 v54, v10, v28
	v_and_b32_e32 v55, v11, v29
	v_lshrrev_b64 v[10:11], s17, v[10:11]
	v_and_b32_e32 v18, 3, v8
	v_and_b32_e32 v56, v12, v28
	;; [unrolled: 1-line block ×3, first 2 shown]
	v_lshrrev_b64 v[12:13], s17, v[12:13]
	v_cmp_eq_u64_e64 s[2:3], v[52:53], v[26:27]
	v_and_b32_e32 v4, 3, v10
	v_cmp_eq_u64_e64 s[26:27], 0, v[18:19]
	v_and_b32_e32 v58, v14, v28
	v_and_b32_e32 v59, v15, v29
	v_lshrrev_b64 v[14:15], s17, v[14:15]
	v_cmp_eq_u64_e64 s[20:21], v[54:55], v[26:27]
	v_and_b32_e32 v30, 3, v12
	v_cmp_eq_u64_e64 s[28:29], 0, v[4:5]
	s_and_b64 s[26:27], s[2:3], s[26:27]
	v_cmp_eq_u64_e64 s[22:23], v[56:57], v[26:27]
	v_and_b32_e32 v32, 3, v14
	v_cmp_eq_u64_e64 s[30:31], 0, v[30:31]
	v_cmp_eq_u64_e64 s[38:39], 1, v[4:5]
	;; [unrolled: 1-line block ×4, first 2 shown]
	v_cndmask_b32_e64 v4, 0, 1, s[26:27]
	s_and_b64 s[26:27], s[20:21], s[28:29]
	v_cmp_eq_u64_e64 s[24:25], v[58:59], v[26:27]
	v_cmp_eq_u64_e64 s[34:35], 0, v[32:33]
	v_cndmask_b32_e64 v5, 0, 1, s[26:27]
	s_and_b64 s[26:27], s[22:23], s[30:31]
	v_cmp_eq_u64_e64 s[36:37], 1, v[18:19]
	v_cndmask_b32_e64 v8, 0, 1, s[26:27]
	s_and_b64 s[26:27], s[24:25], s[34:35]
	v_cndmask_b32_e64 v9, 0, 1, s[26:27]
	s_and_b64 s[26:27], s[2:3], s[36:37]
	v_cmp_eq_u64_e64 s[40:41], 1, v[30:31]
	v_cndmask_b32_e64 v10, 0, 1, s[26:27]
	s_and_b64 s[26:27], s[20:21], s[38:39]
	v_cmp_eq_u64_e64 s[42:43], 1, v[32:33]
	;; [unrolled: 3-line block ×3, first 2 shown]
	v_cmp_eq_u64_e64 s[52:53], 3, v[18:19]
	v_cndmask_b32_e64 v12, 0, 1, s[26:27]
	s_and_b64 s[26:27], s[24:25], s[42:43]
	v_cndmask_b32_e64 v13, 0, 1, s[26:27]
	s_and_b64 s[26:27], s[2:3], s[44:45]
	s_and_b64 s[2:3], s[2:3], s[52:53]
	v_cmp_eq_u64_e64 s[48:49], 2, v[30:31]
	v_cmp_eq_u64_e64 s[56:57], 3, v[30:31]
	v_cndmask_b32_e64 v14, 0, 1, s[26:27]
	s_and_b64 s[26:27], s[20:21], s[46:47]
	v_cndmask_b32_e64 v31, 0, 1, s[2:3]
	s_and_b64 s[2:3], s[20:21], s[54:55]
	v_cmp_eq_u64_e64 s[50:51], 2, v[32:33]
	v_cmp_eq_u64_e64 s[58:59], 3, v[32:33]
	v_cndmask_b32_e64 v15, 0, 1, s[26:27]
	s_and_b64 s[26:27], s[22:23], s[48:49]
	v_cndmask_b32_e64 v32, 0, 1, s[2:3]
	s_and_b64 s[2:3], s[22:23], s[56:57]
	;; [unrolled: 2-line block ×4, first 2 shown]
	v_cndmask_b32_e64 v30, 0, 1, s[26:27]
	v_cndmask_b32_e64 v52, 0, 1, s[2:3]
	v_cmp_ne_u32_e64 s[2:3], 0, v4
	v_cmp_ne_u32_e64 s[20:21], 0, v5
	;; [unrolled: 1-line block ×11, first 2 shown]
	s_bcnt1_i32_b64 s2, s[2:3]
	s_bcnt1_i32_b64 s3, s[20:21]
	;; [unrolled: 1-line block ×8, first 2 shown]
	v_cmp_ne_u32_e64 s[34:35], 0, v13
	v_cmp_ne_u32_e64 s[40:41], 0, v18
	;; [unrolled: 1-line block ×3, first 2 shown]
	s_bcnt1_i32_b64 s23, s[28:29]
	s_bcnt1_i32_b64 s27, s[38:39]
	;; [unrolled: 1-line block ×3, first 2 shown]
	s_add_i32 s2, s94, s2
	s_add_i32 s22, s95, s22
	;; [unrolled: 1-line block ×4, first 2 shown]
	v_cmp_ne_u32_e64 s[42:43], 0, v30
	v_cmp_ne_u32_e64 s[50:51], 0, v52
	s_bcnt1_i32_b64 s25, s[34:35]
	s_bcnt1_i32_b64 s28, s[40:41]
	;; [unrolled: 1-line block ×3, first 2 shown]
	s_add_i32 s22, s22, s23
	s_add_i32 s2, s2, s3
	;; [unrolled: 1-line block ×4, first 2 shown]
	v_add_u32_e32 v48, s99, v48
	s_bcnt1_i32_b64 s29, s[42:43]
	s_bcnt1_i32_b64 s35, s[50:51]
	s_add_i32 s2, s2, s20
	s_add_i32 s20, s22, s24
	;; [unrolled: 1-line block ×4, first 2 shown]
	v_cmp_le_i32_e32 vcc, s90, v48
	s_add_i32 s95, s20, s25
	s_add_i32 s94, s2, s21
	;; [unrolled: 1-line block ×4, first 2 shown]
	v_add_u32_e32 v2, s93, v2
	s_or_b64 s[76:77], vcc, s[76:77]
	v_mov_b64_e32 v[8:9], s[94:95]
	v_mov_b64_e32 v[10:11], s[96:97]
	s_andn2_b64 exec, exec, s[76:77]
	s_cbranch_execnz .LBB42_60
; %bb.61:                               ;   in Loop: Header=BB42_7 Depth=1
	s_or_b64 exec, exec, s[76:77]
.LBB42_62:                              ;   in Loop: Header=BB42_7 Depth=1
	s_or_b64 exec, exec, s[72:73]
	v_add_u32_e32 v2, s90, v0
	v_cmp_gt_i32_e32 vcc, s33, v2
	s_and_saveexec_b64 s[28:29], vcc
	s_cbranch_execz .LBB42_66
; %bb.63:                               ;   in Loop: Header=BB42_7 Depth=1
	s_waitcnt vmcnt(0)
	v_lshlrev_b32_e32 v4, 3, v2
	s_mov_b64 s[30:31], 0
.LBB42_64:                              ;   Parent Loop BB42_7 Depth=1
                                        ; =>  This Inner Loop Header: Depth=2
	ds_read_b64 v[12:13], v4
	v_add_u32_e32 v2, s70, v2
	v_cmp_le_i32_e32 vcc, s33, v2
	v_add_u32_e32 v4, s16, v4
	s_waitcnt lgkmcnt(0)
	v_ashrrev_i32_e32 v5, 31, v13
	v_xor_b32_e32 v14, v5, v12
	v_or_b32_e32 v5, 0x80000000, v5
	v_cmp_o_f64_e64 s[2:3], v[12:13], v[12:13]
	v_xor_b32_e32 v5, v5, v13
	s_nop 0
	v_cndmask_b32_e64 v12, -1, v14, s[2:3]
	v_cndmask_b32_e64 v13, -1, v5, s[2:3]
	v_and_b32_e32 v14, v12, v28
	v_and_b32_e32 v15, v13, v29
	v_lshrrev_b64 v[12:13], s17, v[12:13]
	v_and_b32_e32 v18, 3, v12
	v_cmp_eq_u64_e64 s[2:3], v[14:15], v[26:27]
	v_cmp_eq_u64_e64 s[20:21], 0, v[18:19]
	;; [unrolled: 1-line block ×3, first 2 shown]
	s_and_b64 s[20:21], s[2:3], s[20:21]
	v_cmp_eq_u64_e64 s[24:25], 2, v[18:19]
	v_cmp_eq_u64_e64 s[26:27], 3, v[18:19]
	v_cndmask_b32_e64 v5, 0, 1, s[20:21]
	s_and_b64 s[20:21], s[2:3], s[22:23]
	v_cndmask_b32_e64 v12, 0, 1, s[20:21]
	s_and_b64 s[20:21], s[2:3], s[24:25]
	s_and_b64 s[2:3], s[2:3], s[26:27]
	v_cndmask_b32_e64 v13, 0, 1, s[20:21]
	v_cndmask_b32_e64 v14, 0, 1, s[2:3]
	v_cmp_ne_u32_e64 s[2:3], 0, v5
	v_cmp_ne_u32_e64 s[20:21], 0, v12
	;; [unrolled: 1-line block ×4, first 2 shown]
	s_bcnt1_i32_b64 s2, s[2:3]
	s_bcnt1_i32_b64 s3, s[20:21]
	;; [unrolled: 1-line block ×4, first 2 shown]
	v_add_u32_e32 v9, s3, v9
	v_add_u32_e32 v8, s2, v8
	;; [unrolled: 1-line block ×3, first 2 shown]
	s_or_b64 s[30:31], vcc, s[30:31]
	v_add_u32_e32 v10, s20, v10
	s_andn2_b64 exec, exec, s[30:31]
	s_cbranch_execnz .LBB42_64
; %bb.65:                               ;   in Loop: Header=BB42_7 Depth=1
	s_or_b64 exec, exec, s[30:31]
.LBB42_66:                              ;   in Loop: Header=BB42_7 Depth=1
	s_or_b64 exec, exec, s[28:29]
	s_lshl_b32 s22, s69, 6
	s_and_saveexec_b64 s[2:3], s[18:19]
	s_cbranch_execnz .LBB42_38
	s_branch .LBB42_39
.LBB42_67:                              ;   in Loop: Header=BB42_7 Depth=1
	s_or_b64 exec, exec, s[22:23]
	s_waitcnt lgkmcnt(0)
	s_barrier
	s_and_saveexec_b64 s[2:3], s[0:1]
	s_cbranch_execz .LBB42_69
; %bb.68:                               ;   in Loop: Header=BB42_7 Depth=1
	ds_read_b32 v2, v19 offset:4104
	s_waitcnt lgkmcnt(0)
	ds_write_b32 v19, v2 offset:4096
.LBB42_69:                              ;   in Loop: Header=BB42_7 Depth=1
	s_or_b64 exec, exec, s[2:3]
	s_waitcnt lgkmcnt(0)
	s_barrier
	s_mov_b64 s[2:3], -1
	s_and_b64 vcc, exec, s[20:21]
	s_cbranch_vccnz .LBB42_23
	s_branch .LBB42_33
.LBB42_70:                              ;   in Loop: Header=BB42_7 Depth=1
	v_mov_b32_e32 v4, 0
	s_mov_b32 s23, 0
	s_cbranch_execnz .LBB42_75
	s_branch .LBB42_77
.LBB42_71:                              ;   in Loop: Header=BB42_7 Depth=1
	v_mov_b32_e32 v18, v19
	s_mov_b32 s20, 0
	v_mov_b64_e32 v[4:5], v[18:19]
	s_mov_b32 s21, 1
.LBB42_72:                              ;   in Loop: Header=BB42_7 Depth=1
	v_readlane_b32 s24, v60, 40
	v_readlane_b32 s25, v60, 41
	s_andn2_b64 vcc, exec, s[24:25]
	v_readlane_b32 s23, v60, 39
	s_cbranch_vccnz .LBB42_74
.LBB42_73:                              ;   Parent Loop BB42_7 Depth=1
                                        ; =>  This Inner Loop Header: Depth=2
	v_lshl_add_u32 v9, s20, 4, v8
	v_lshl_add_u32 v10, s21, 4, v8
	ds_read_b32 v10, v10
	ds_read_b32 v9, v9
	s_add_i32 s21, s21, 2
	s_add_i32 s20, s20, 2
	s_add_i32 s23, s23, -1
	s_cmp_lg_u32 s23, 0
	s_waitcnt lgkmcnt(1)
	v_add_u32_e32 v5, v10, v5
	s_waitcnt lgkmcnt(0)
	v_add_u32_e32 v4, v9, v4
	s_cbranch_scc1 .LBB42_73
.LBB42_74:                              ;   in Loop: Header=BB42_7 Depth=1
	v_readlane_b32 s20, v60, 44
	v_add_u32_e32 v4, v4, v5
	v_readlane_b32 s23, v60, 43
	v_readlane_b32 s21, v60, 45
	s_and_b64 vcc, exec, s[20:21]
	s_cbranch_vccz .LBB42_77
.LBB42_75:                              ;   in Loop: Header=BB42_7 Depth=1
	s_lshl_b32 s20, s69, 8
	s_lshl_b32 s21, s23, 4
	s_add_i32 s20, s20, s21
	v_add_u32_e32 v5, s20, v45
	v_readlane_b32 s20, v60, 42
	s_sub_i32 s20, s20, s23
.LBB42_76:                              ;   Parent Loop BB42_7 Depth=1
                                        ; =>  This Inner Loop Header: Depth=2
	ds_read_b32 v8, v5
	s_add_i32 s20, s20, -1
	v_add_u32_e32 v5, 16, v5
	s_cmp_eq_u32 s20, 0
	s_waitcnt lgkmcnt(0)
	v_add_u32_e32 v4, v8, v4
	s_cbranch_scc0 .LBB42_76
.LBB42_77:                              ;   in Loop: Header=BB42_7 Depth=1
	v_lshlrev_b32_e32 v2, 2, v2
	ds_write_b32 v2, v4 offset:3072
.LBB42_78:                              ;   in Loop: Header=BB42_7 Depth=1
	s_or_b64 exec, exec, s[2:3]
	s_lshl_b32 s2, s22, 2
	v_mov_b32_e32 v2, s2
	s_waitcnt lgkmcnt(0)
	s_barrier
	ds_read_b128 v[8:11], v2 offset:3072
	s_lshl_b64 s[2:3], 3, s17
	s_not_b64 s[30:31], s[2:3]
	v_cmp_eq_u32_e32 vcc, 1, v47
	s_mov_b64 s[22:23], -1
	s_waitcnt lgkmcnt(0)
	v_readfirstlane_b32 s46, v8
	s_cmp_eq_u32 s46, 1
	s_cselect_b64 s[20:21], -1, 0
	v_readfirstlane_b32 s33, v9
	v_readfirstlane_b32 s58, v10
	;; [unrolled: 1-line block ×3, first 2 shown]
	s_and_b64 s[24:25], s[20:21], vcc
	s_mov_b64 s[34:35], -1
                                        ; implicit-def: $sgpr28_sgpr29
                                        ; implicit-def: $sgpr26_sgpr27
	s_and_saveexec_b64 s[20:21], s[24:25]
	s_cbranch_execz .LBB42_106
; %bb.79:                               ;   in Loop: Header=BB42_7 Depth=1
	ds_read_b32 v2, v19 offset:4096
	s_waitcnt lgkmcnt(0)
	s_barrier
	v_readfirstlane_b32 s47, v2
	s_and_saveexec_b64 s[26:27], s[4:5]
; %bb.80:                               ;   in Loop: Header=BB42_7 Depth=1
	ds_write_b64 v36, v[50:51]
; %bb.81:                               ;   in Loop: Header=BB42_7 Depth=1
	s_or_b64 exec, exec, s[26:27]
	v_and_b32_e32 v27, s31, v27
	v_and_b32_e32 v26, s30, v26
	v_or_b32_e32 v29, s3, v29
	v_or_b32_e32 v28, s2, v28
	s_mov_b64 s[26:27], -1
	s_mov_b64 s[28:29], 0
	s_cmp_lt_i32 s47, 1
	s_mov_b64 s[34:35], 0
	s_mov_b64 s[36:37], -1
	s_waitcnt lgkmcnt(0)
	s_barrier
                                        ; implicit-def: $vgpr6_vgpr7
	s_cbranch_scc0 .LBB42_93
; %bb.82:                               ;   in Loop: Header=BB42_7 Depth=1
	s_mov_b64 s[36:37], 0
                                        ; implicit-def: $vgpr6_vgpr7
	s_mov_b64 s[38:39], exec
	v_readlane_b32 s40, v60, 47
	v_readlane_b32 s41, v60, 48
	s_and_b64 s[40:41], s[38:39], s[40:41]
	s_mov_b64 exec, s[40:41]
	s_cbranch_execz .LBB42_92
; %bb.83:                               ;   in Loop: Header=BB42_7 Depth=1
	v_mov_b32_e32 v8, v16
	v_mov_b32_e32 v10, v0
                                        ; implicit-def: $sgpr40_sgpr41
	s_branch .LBB42_87
.LBB42_84:                              ;   in Loop: Header=BB42_87 Depth=2
	s_or_b64 exec, exec, s[42:43]
	s_waitcnt lgkmcnt(0)
	s_barrier
	s_waitcnt vmcnt(0)
	ds_read_b128 v[4:7], v19 offset:3072
	s_waitcnt lgkmcnt(0)
	s_barrier
	v_cmp_neq_f64_e32 vcc, 0, v[4:5]
	s_cbranch_vccnz .LBB42_90
; %bb.85:                               ;   in Loop: Header=BB42_87 Depth=2
	v_add_u32_e32 v10, s70, v10
	v_cmp_le_i32_e32 vcc, s91, v10
	v_add_u32_e32 v8, s98, v8
	s_mov_b64 s[42:43], 0
	s_orn2_b64 s[44:45], vcc, exec
.LBB42_86:                              ;   in Loop: Header=BB42_87 Depth=2
	s_and_b64 s[44:45], exec, s[44:45]
	s_or_b64 s[34:35], s[44:45], s[34:35]
	s_andn2_b64 s[40:41], s[40:41], exec
	s_and_b64 s[42:43], s[42:43], exec
	s_or_b64 s[40:41], s[40:41], s[42:43]
	s_andn2_b64 exec, exec, s[34:35]
	s_cbranch_execz .LBB42_91
.LBB42_87:                              ;   Parent Loop BB42_7 Depth=1
                                        ; =>  This Inner Loop Header: Depth=2
	v_cmp_gt_i32_e32 vcc, s68, v10
	s_and_saveexec_b64 s[42:43], vcc
	s_cbranch_execz .LBB42_84
; %bb.88:                               ;   in Loop: Header=BB42_87 Depth=2
	v_ashrrev_i32_e32 v9, 31, v8
	s_waitcnt vmcnt(0)
	v_lshl_add_u64 v[4:5], v[8:9], 3, s[80:81]
	global_load_dwordx2 v[4:5], v[4:5], off
	s_waitcnt vmcnt(0)
	v_ashrrev_i32_e32 v2, 31, v5
	v_or_b32_e32 v6, 0x80000000, v2
	v_xor_b32_e32 v2, v2, v4
	v_xor_b32_e32 v6, v6, v5
	v_cmp_o_f64_e32 vcc, v[4:5], v[4:5]
	s_nop 1
	v_cndmask_b32_e32 v2, -1, v2, vcc
	v_cndmask_b32_e32 v6, -1, v6, vcc
	v_and_b32_e32 v7, v6, v29
	v_and_b32_e32 v6, v2, v28
	v_cmp_eq_u64_e32 vcc, v[6:7], v[26:27]
	s_and_b64 exec, exec, vcc
	s_cbranch_execz .LBB42_84
; %bb.89:                               ;   in Loop: Header=BB42_87 Depth=2
	v_mov_b32_e32 v2, v19
	ds_write_b128 v19, v[2:5] offset:3072
	s_branch .LBB42_84
.LBB42_90:                              ;   in Loop: Header=BB42_87 Depth=2
	s_mov_b64 s[44:45], -1
                                        ; implicit-def: $vgpr10
                                        ; implicit-def: $vgpr8
	s_mov_b64 s[42:43], -1
	s_branch .LBB42_86
.LBB42_91:                              ;   in Loop: Header=BB42_7 Depth=1
	s_or_b64 exec, exec, s[34:35]
	s_and_b64 s[34:35], s[40:41], exec
.LBB42_92:                              ;   in Loop: Header=BB42_7 Depth=1
	s_or_b64 exec, exec, s[38:39]
.LBB42_93:                              ;   in Loop: Header=BB42_7 Depth=1
	s_and_b64 vcc, exec, s[36:37]
	s_cbranch_vccz .LBB42_105
; %bb.94:                               ;   in Loop: Header=BB42_7 Depth=1
	v_readlane_b32 s26, v60, 29
	s_add_i32 s42, s47, s26
	s_abs_i32 s27, s42
	v_readlane_b32 s28, v60, 46
	s_mul_hi_u32 s28, s27, s28
	s_mul_i32 s28, s28, s70
	s_sub_i32 s27, s27, s28
	s_ashr_i32 s26, s42, 31
	s_sub_i32 s28, s27, s70
	s_cmp_ge_u32 s27, s70
	s_cselect_b32 s27, s28, s27
	s_sub_i32 s28, s27, s70
	s_cmp_ge_u32 s27, s70
	s_cselect_b32 s27, s28, s27
	s_xor_b32 s27, s27, s26
	s_sub_i32 s26, s26, s27
	s_add_i32 s42, s42, s26
	v_cmp_gt_i32_e32 vcc, s42, v0
                                        ; implicit-def: $vgpr6_vgpr7
	s_and_saveexec_b64 s[26:27], vcc
	s_cbranch_execz .LBB42_104
; %bb.95:                               ;   in Loop: Header=BB42_7 Depth=1
	s_mov_b64 s[36:37], 0
	v_mov_b32_e32 v8, v35
	v_mov_b32_e32 v9, v0
                                        ; implicit-def: $sgpr28_sgpr29
	s_branch .LBB42_99
.LBB42_96:                              ;   in Loop: Header=BB42_99 Depth=2
	s_or_b64 exec, exec, s[38:39]
	s_waitcnt lgkmcnt(0)
	s_barrier
	s_waitcnt vmcnt(0)
	ds_read_b128 v[4:7], v19 offset:3072
	s_waitcnt lgkmcnt(0)
	s_barrier
	v_cmp_neq_f64_e32 vcc, 0, v[4:5]
	s_cbranch_vccnz .LBB42_102
; %bb.97:                               ;   in Loop: Header=BB42_99 Depth=2
	v_add_u32_e32 v9, s70, v9
	v_cmp_le_i32_e32 vcc, s42, v9
	v_add_u32_e32 v8, s16, v8
	s_mov_b64 s[38:39], 0
	s_orn2_b64 s[40:41], vcc, exec
.LBB42_98:                              ;   in Loop: Header=BB42_99 Depth=2
	s_and_b64 s[40:41], exec, s[40:41]
	s_or_b64 s[36:37], s[40:41], s[36:37]
	s_andn2_b64 s[28:29], s[28:29], exec
	s_and_b64 s[38:39], s[38:39], exec
	s_or_b64 s[28:29], s[28:29], s[38:39]
	s_andn2_b64 exec, exec, s[36:37]
	s_cbranch_execz .LBB42_103
.LBB42_99:                              ;   Parent Loop BB42_7 Depth=1
                                        ; =>  This Inner Loop Header: Depth=2
	v_cmp_gt_i32_e32 vcc, s47, v9
	s_and_saveexec_b64 s[38:39], vcc
	s_cbranch_execz .LBB42_96
; %bb.100:                              ;   in Loop: Header=BB42_99 Depth=2
	s_waitcnt vmcnt(0)
	ds_read_b64 v[4:5], v8
	s_waitcnt lgkmcnt(0)
	v_ashrrev_i32_e32 v2, 31, v5
	v_or_b32_e32 v6, 0x80000000, v2
	v_xor_b32_e32 v2, v2, v4
	v_xor_b32_e32 v6, v6, v5
	v_cmp_o_f64_e32 vcc, v[4:5], v[4:5]
	s_nop 1
	v_cndmask_b32_e32 v2, -1, v2, vcc
	v_cndmask_b32_e32 v6, -1, v6, vcc
	v_and_b32_e32 v7, v6, v29
	v_and_b32_e32 v6, v2, v28
	v_cmp_eq_u64_e32 vcc, v[6:7], v[26:27]
	s_and_b64 exec, exec, vcc
	s_cbranch_execz .LBB42_96
; %bb.101:                              ;   in Loop: Header=BB42_99 Depth=2
	v_mov_b32_e32 v2, v19
	ds_write_b128 v19, v[2:5] offset:3072
	s_branch .LBB42_96
.LBB42_102:                             ;   in Loop: Header=BB42_99 Depth=2
	s_mov_b64 s[40:41], -1
                                        ; implicit-def: $vgpr9
                                        ; implicit-def: $vgpr8
	s_mov_b64 s[38:39], -1
	s_branch .LBB42_98
.LBB42_103:                             ;   in Loop: Header=BB42_7 Depth=1
	s_or_b64 exec, exec, s[36:37]
	s_andn2_b64 s[34:35], s[34:35], exec
	s_and_b64 s[28:29], s[28:29], exec
	s_or_b64 s[34:35], s[34:35], s[28:29]
.LBB42_104:                             ;   in Loop: Header=BB42_7 Depth=1
	s_or_b64 exec, exec, s[26:27]
	s_mov_b64 s[26:27], 0
	s_mov_b64 s[28:29], -1
.LBB42_105:                             ;   in Loop: Header=BB42_7 Depth=1
	s_orn2_b64 s[34:35], s[34:35], exec
.LBB42_106:                             ;   in Loop: Header=BB42_7 Depth=1
	s_or_b64 exec, exec, s[20:21]
	s_andn2_b64 s[20:21], s[82:83], exec
	s_and_b64 s[28:29], s[28:29], exec
	s_or_b64 s[82:83], s[20:21], s[28:29]
	s_andn2_b64 s[20:21], s[66:67], exec
	s_and_b64 s[26:27], s[26:27], exec
	v_readfirstlane_b32 s36, v0
	v_readfirstlane_b32 s37, v0
	s_andn2_b64 s[64:65], s[64:65], exec
	s_or_b64 s[66:67], s[20:21], s[26:27]
                                        ; implicit-def: $vgpr11
	s_and_saveexec_b64 s[20:21], s[34:35]
	s_cbranch_execz .LBB42_6
; %bb.107:                              ;   in Loop: Header=BB42_7 Depth=1
	s_xor_b64 s[26:27], s[24:25], -1
	s_mov_b64 s[24:25], 0
	v_mov_b32_e32 v11, 1
	v_mov_b32_e32 v10, 1
	s_and_saveexec_b64 s[22:23], s[26:27]
	s_cbranch_execz .LBB42_116
; %bb.108:                              ;   in Loop: Header=BB42_7 Depth=1
	v_cmp_ge_i32_e32 vcc, s46, v47
	s_and_saveexec_b64 s[24:25], vcc
	s_xor_b64 s[24:25], exec, s[24:25]
	s_cbranch_execz .LBB42_113
; %bb.109:                              ;   in Loop: Header=BB42_7 Depth=1
	ds_read_b32 v2, v19 offset:4096
	v_and_b32_e32 v27, s31, v27
	v_and_b32_e32 v26, s30, v26
	v_or_b32_e32 v29, s3, v29
	v_or_b32_e32 v28, s2, v28
	s_waitcnt lgkmcnt(0)
	v_cmp_ne_u32_e32 vcc, 0, v2
	s_cbranch_vccnz .LBB42_113
; %bb.110:                              ;   in Loop: Header=BB42_7 Depth=1
	s_and_saveexec_b64 s[26:27], s[0:1]
; %bb.111:                              ;   in Loop: Header=BB42_7 Depth=1
	v_mov_b32_e32 v2, s46
	ds_write_b32 v19, v2 offset:4100
; %bb.112:                              ;   in Loop: Header=BB42_7 Depth=1
	s_or_b64 exec, exec, s[26:27]
	s_waitcnt lgkmcnt(0)
	s_barrier
.LBB42_113:                             ;   in Loop: Header=BB42_7 Depth=1
	s_or_saveexec_b64 s[24:25], s[24:25]
	s_mov_b64 s[26:27], 0
	v_mov_b32_e32 v10, 8
	s_xor_b64 exec, exec, s[24:25]
; %bb.114:                              ;   in Loop: Header=BB42_7 Depth=1
	s_mov_b64 s[26:27], exec
	v_subrev_u32_e32 v47, s46, v47
	v_mov_b32_e32 v10, 0
; %bb.115:                              ;   in Loop: Header=BB42_7 Depth=1
	s_or_b64 exec, exec, s[24:25]
	s_and_b64 s[24:25], s[26:27], exec
	v_mov_b32_e32 v11, v47
.LBB42_116:                             ;   in Loop: Header=BB42_7 Depth=1
	s_or_b64 exec, exec, s[22:23]
	s_mov_b64 s[22:23], -1
	s_mov_b64 s[34:35], -1
                                        ; implicit-def: $sgpr26_sgpr27
                                        ; implicit-def: $sgpr28_sgpr29
	s_and_saveexec_b64 s[36:37], s[24:25]
	s_xor_b64 s[24:25], exec, s[36:37]
	s_cbranch_execz .LBB42_239
; %bb.117:                              ;   in Loop: Header=BB42_7 Depth=1
	s_cmp_eq_u32 s33, 1
	s_cselect_b64 s[26:27], -1, 0
	v_cmp_eq_u32_e32 vcc, 1, v11
	s_and_b64 s[36:37], s[26:27], vcc
	s_mov_b64 s[38:39], -1
                                        ; implicit-def: $sgpr28_sgpr29
                                        ; implicit-def: $sgpr26_sgpr27
	s_and_saveexec_b64 s[34:35], s[36:37]
	s_cbranch_execz .LBB42_145
; %bb.118:                              ;   in Loop: Header=BB42_7 Depth=1
	ds_read_b32 v2, v19 offset:4096
	s_waitcnt lgkmcnt(0)
	s_barrier
	v_readfirstlane_b32 s50, v2
	s_and_saveexec_b64 s[26:27], s[4:5]
; %bb.119:                              ;   in Loop: Header=BB42_7 Depth=1
	ds_write_b64 v36, v[50:51]
; %bb.120:                              ;   in Loop: Header=BB42_7 Depth=1
	s_or_b64 exec, exec, s[26:27]
	s_lshl_b64 s[26:27], 1, s17
	v_and_b32_e32 v2, s31, v27
	s_waitcnt vmcnt(0)
	v_and_b32_e32 v4, s30, v26
	v_or_b32_e32 v27, s27, v2
	v_or_b32_e32 v26, s26, v4
	;; [unrolled: 1-line block ×4, first 2 shown]
	s_mov_b64 s[26:27], -1
	s_mov_b64 s[28:29], 0
	s_cmp_gt_i32 s50, 0
	s_mov_b64 s[38:39], 0
	s_mov_b64 s[40:41], -1
	s_waitcnt lgkmcnt(0)
	s_barrier
                                        ; implicit-def: $vgpr6_vgpr7
	s_cbranch_scc1 .LBB42_132
; %bb.121:                              ;   in Loop: Header=BB42_7 Depth=1
	s_mov_b64 s[40:41], 0
                                        ; implicit-def: $vgpr6_vgpr7
	s_mov_b64 s[42:43], exec
	v_readlane_b32 s44, v60, 47
	v_readlane_b32 s45, v60, 48
	s_and_b64 s[44:45], s[42:43], s[44:45]
	s_mov_b64 exec, s[44:45]
	s_cbranch_execz .LBB42_131
; %bb.122:                              ;   in Loop: Header=BB42_7 Depth=1
	v_mov_b32_e32 v8, v16
	v_mov_b32_e32 v12, v0
                                        ; implicit-def: $sgpr44_sgpr45
	s_branch .LBB42_126
.LBB42_123:                             ;   in Loop: Header=BB42_126 Depth=2
	s_or_b64 exec, exec, s[46:47]
	s_waitcnt lgkmcnt(0)
	s_barrier
	ds_read_b128 v[4:7], v19 offset:3072
	s_waitcnt lgkmcnt(0)
	s_barrier
	v_cmp_neq_f64_e32 vcc, 0, v[4:5]
	s_cbranch_vccnz .LBB42_129
; %bb.124:                              ;   in Loop: Header=BB42_126 Depth=2
	v_add_u32_e32 v12, s70, v12
	v_cmp_le_i32_e32 vcc, s91, v12
	v_add_u32_e32 v8, s98, v8
	s_mov_b64 s[46:47], 0
	s_orn2_b64 s[48:49], vcc, exec
.LBB42_125:                             ;   in Loop: Header=BB42_126 Depth=2
	s_and_b64 s[48:49], exec, s[48:49]
	s_or_b64 s[38:39], s[48:49], s[38:39]
	s_andn2_b64 s[44:45], s[44:45], exec
	s_and_b64 s[46:47], s[46:47], exec
	s_or_b64 s[44:45], s[44:45], s[46:47]
	s_andn2_b64 exec, exec, s[38:39]
	s_cbranch_execz .LBB42_130
.LBB42_126:                             ;   Parent Loop BB42_7 Depth=1
                                        ; =>  This Inner Loop Header: Depth=2
	v_cmp_gt_i32_e32 vcc, s68, v12
	s_and_saveexec_b64 s[46:47], vcc
	s_cbranch_execz .LBB42_123
; %bb.127:                              ;   in Loop: Header=BB42_126 Depth=2
	v_ashrrev_i32_e32 v9, 31, v8
	v_lshl_add_u64 v[4:5], v[8:9], 3, s[80:81]
	global_load_dwordx2 v[4:5], v[4:5], off
	s_waitcnt vmcnt(0)
	v_ashrrev_i32_e32 v2, 31, v5
	v_or_b32_e32 v6, 0x80000000, v2
	v_xor_b32_e32 v2, v2, v4
	v_xor_b32_e32 v6, v6, v5
	v_cmp_o_f64_e32 vcc, v[4:5], v[4:5]
	s_nop 1
	v_cndmask_b32_e32 v2, -1, v2, vcc
	v_cndmask_b32_e32 v6, -1, v6, vcc
	v_and_b32_e32 v7, v6, v29
	v_and_b32_e32 v6, v2, v28
	v_cmp_eq_u64_e32 vcc, v[6:7], v[26:27]
	s_and_b64 exec, exec, vcc
	s_cbranch_execz .LBB42_123
; %bb.128:                              ;   in Loop: Header=BB42_126 Depth=2
	v_mov_b32_e32 v2, v19
	ds_write_b128 v19, v[2:5] offset:3072
	s_branch .LBB42_123
.LBB42_129:                             ;   in Loop: Header=BB42_126 Depth=2
	s_mov_b64 s[48:49], -1
                                        ; implicit-def: $vgpr12
                                        ; implicit-def: $vgpr8
	s_mov_b64 s[46:47], -1
	s_branch .LBB42_125
.LBB42_130:                             ;   in Loop: Header=BB42_7 Depth=1
	s_or_b64 exec, exec, s[38:39]
	s_and_b64 s[38:39], s[44:45], exec
.LBB42_131:                             ;   in Loop: Header=BB42_7 Depth=1
	s_or_b64 exec, exec, s[42:43]
.LBB42_132:                             ;   in Loop: Header=BB42_7 Depth=1
	s_and_b64 vcc, exec, s[40:41]
	s_cbranch_vccz .LBB42_144
; %bb.133:                              ;   in Loop: Header=BB42_7 Depth=1
	v_readlane_b32 s26, v60, 29
	s_add_i32 s46, s50, s26
	s_abs_i32 s27, s46
	v_readlane_b32 s28, v60, 46
	s_mul_hi_u32 s28, s27, s28
	s_mul_i32 s28, s28, s70
	s_sub_i32 s27, s27, s28
	s_ashr_i32 s26, s46, 31
	s_sub_i32 s28, s27, s70
	s_cmp_ge_u32 s27, s70
	s_cselect_b32 s27, s28, s27
	s_sub_i32 s28, s27, s70
	s_cmp_ge_u32 s27, s70
	s_cselect_b32 s27, s28, s27
	s_xor_b32 s27, s27, s26
	s_sub_i32 s26, s26, s27
	s_add_i32 s46, s46, s26
	v_cmp_gt_i32_e32 vcc, s46, v0
                                        ; implicit-def: $vgpr6_vgpr7
	s_and_saveexec_b64 s[26:27], vcc
	s_cbranch_execz .LBB42_143
; %bb.134:                              ;   in Loop: Header=BB42_7 Depth=1
	s_mov_b64 s[28:29], 0
	v_mov_b32_e32 v8, v35
	v_mov_b32_e32 v9, v0
                                        ; implicit-def: $sgpr40_sgpr41
	s_branch .LBB42_138
.LBB42_135:                             ;   in Loop: Header=BB42_138 Depth=2
	s_or_b64 exec, exec, s[42:43]
	s_waitcnt lgkmcnt(0)
	s_barrier
	ds_read_b128 v[4:7], v19 offset:3072
	s_waitcnt lgkmcnt(0)
	s_barrier
	v_cmp_eq_f64_e32 vcc, 0, v[4:5]
	s_cbranch_vccz .LBB42_141
; %bb.136:                              ;   in Loop: Header=BB42_138 Depth=2
	v_add_u32_e32 v9, s70, v9
	v_cmp_le_i32_e32 vcc, s46, v9
	v_add_u32_e32 v8, s16, v8
	s_mov_b64 s[42:43], 0
	s_orn2_b64 s[44:45], vcc, exec
.LBB42_137:                             ;   in Loop: Header=BB42_138 Depth=2
	s_and_b64 s[44:45], exec, s[44:45]
	s_or_b64 s[28:29], s[44:45], s[28:29]
	s_andn2_b64 s[40:41], s[40:41], exec
	s_and_b64 s[42:43], s[42:43], exec
	s_or_b64 s[40:41], s[40:41], s[42:43]
	s_andn2_b64 exec, exec, s[28:29]
	s_cbranch_execz .LBB42_142
.LBB42_138:                             ;   Parent Loop BB42_7 Depth=1
                                        ; =>  This Inner Loop Header: Depth=2
	v_cmp_gt_i32_e32 vcc, s50, v9
	s_and_saveexec_b64 s[42:43], vcc
	s_cbranch_execz .LBB42_135
; %bb.139:                              ;   in Loop: Header=BB42_138 Depth=2
	ds_read_b64 v[4:5], v8
	s_waitcnt lgkmcnt(0)
	v_ashrrev_i32_e32 v2, 31, v5
	v_or_b32_e32 v6, 0x80000000, v2
	v_xor_b32_e32 v2, v2, v4
	v_xor_b32_e32 v6, v6, v5
	v_cmp_o_f64_e32 vcc, v[4:5], v[4:5]
	s_nop 1
	v_cndmask_b32_e32 v2, -1, v2, vcc
	v_cndmask_b32_e32 v6, -1, v6, vcc
	v_and_b32_e32 v7, v6, v29
	v_and_b32_e32 v6, v2, v28
	v_cmp_eq_u64_e32 vcc, v[6:7], v[26:27]
	s_and_b64 exec, exec, vcc
	s_cbranch_execz .LBB42_135
; %bb.140:                              ;   in Loop: Header=BB42_138 Depth=2
	v_mov_b32_e32 v2, v19
	ds_write_b128 v19, v[2:5] offset:3072
	s_branch .LBB42_135
.LBB42_141:                             ;   in Loop: Header=BB42_138 Depth=2
	s_mov_b64 s[44:45], -1
                                        ; implicit-def: $vgpr9
                                        ; implicit-def: $vgpr8
	s_mov_b64 s[42:43], -1
	s_branch .LBB42_137
.LBB42_142:                             ;   in Loop: Header=BB42_7 Depth=1
	s_or_b64 exec, exec, s[28:29]
	s_andn2_b64 s[28:29], s[38:39], exec
	s_and_b64 s[38:39], s[40:41], exec
	s_or_b64 s[38:39], s[28:29], s[38:39]
.LBB42_143:                             ;   in Loop: Header=BB42_7 Depth=1
	s_or_b64 exec, exec, s[26:27]
	s_mov_b64 s[26:27], 0
	s_mov_b64 s[28:29], -1
.LBB42_144:                             ;   in Loop: Header=BB42_7 Depth=1
	s_orn2_b64 s[38:39], s[38:39], exec
.LBB42_145:                             ;   in Loop: Header=BB42_7 Depth=1
	s_or_b64 exec, exec, s[34:35]
	s_mov_b64 s[40:41], 0
	s_and_saveexec_b64 s[34:35], s[38:39]
	s_cbranch_execz .LBB42_238
; %bb.146:                              ;   in Loop: Header=BB42_7 Depth=1
	s_xor_b64 s[38:39], s[36:37], -1
	s_mov_b64 s[44:45], 0
	s_waitcnt vmcnt(0)
	v_mov_b32_e32 v12, 1
	v_mov_b32_e32 v10, 1
	s_and_saveexec_b64 s[36:37], s[38:39]
	s_cbranch_execz .LBB42_155
; %bb.147:                              ;   in Loop: Header=BB42_7 Depth=1
	v_cmp_ge_i32_e32 vcc, s33, v11
	s_and_saveexec_b64 s[38:39], vcc
	s_xor_b64 s[38:39], exec, s[38:39]
	s_cbranch_execz .LBB42_152
; %bb.148:                              ;   in Loop: Header=BB42_7 Depth=1
	ds_read_b32 v4, v19 offset:4096
	s_lshl_b64 s[40:41], 1, s17
	v_and_b32_e32 v2, s31, v27
	v_and_b32_e32 v5, s30, v26
	v_or_b32_e32 v27, s41, v2
	s_waitcnt lgkmcnt(0)
	v_cmp_ne_u32_e32 vcc, 0, v4
	v_or_b32_e32 v26, s40, v5
	v_or_b32_e32 v29, s3, v29
	;; [unrolled: 1-line block ×3, first 2 shown]
	s_cbranch_vccnz .LBB42_152
; %bb.149:                              ;   in Loop: Header=BB42_7 Depth=1
	s_and_saveexec_b64 s[40:41], s[0:1]
; %bb.150:                              ;   in Loop: Header=BB42_7 Depth=1
	v_mov_b32_e32 v2, s33
	ds_write_b32 v19, v2 offset:4100
; %bb.151:                              ;   in Loop: Header=BB42_7 Depth=1
	s_or_b64 exec, exec, s[40:41]
	s_waitcnt lgkmcnt(0)
	s_barrier
.LBB42_152:                             ;   in Loop: Header=BB42_7 Depth=1
	s_or_saveexec_b64 s[38:39], s[38:39]
	s_mov_b64 s[40:41], 0
	v_mov_b32_e32 v10, 8
	s_xor_b64 exec, exec, s[38:39]
; %bb.153:                              ;   in Loop: Header=BB42_7 Depth=1
	s_mov_b64 s[40:41], exec
	v_subrev_u32_e32 v11, s33, v11
	v_mov_b32_e32 v10, 0
; %bb.154:                              ;   in Loop: Header=BB42_7 Depth=1
	s_or_b64 exec, exec, s[38:39]
	s_and_b64 s[44:45], s[40:41], exec
	v_mov_b32_e32 v12, v11
.LBB42_155:                             ;   in Loop: Header=BB42_7 Depth=1
	s_or_b64 exec, exec, s[36:37]
	s_mov_b64 s[42:43], -1
                                        ; implicit-def: $sgpr38_sgpr39
                                        ; implicit-def: $sgpr40_sgpr41
	s_and_saveexec_b64 s[36:37], s[44:45]
	s_cbranch_execz .LBB42_237
; %bb.156:                              ;   in Loop: Header=BB42_7 Depth=1
	s_cmp_eq_u32 s58, 1
	s_cselect_b64 s[38:39], -1, 0
	v_cmp_eq_u32_e32 vcc, 1, v12
	s_and_b64 s[44:45], s[38:39], vcc
	s_mov_b64 s[46:47], -1
                                        ; implicit-def: $sgpr40_sgpr41
                                        ; implicit-def: $sgpr38_sgpr39
	s_and_saveexec_b64 s[42:43], s[44:45]
	s_cbranch_execz .LBB42_184
; %bb.157:                              ;   in Loop: Header=BB42_7 Depth=1
	ds_read_b32 v2, v19 offset:4096
	s_waitcnt lgkmcnt(0)
	s_barrier
	v_readfirstlane_b32 s33, v2
	s_and_saveexec_b64 s[38:39], s[4:5]
; %bb.158:                              ;   in Loop: Header=BB42_7 Depth=1
	ds_write_b64 v36, v[50:51]
; %bb.159:                              ;   in Loop: Header=BB42_7 Depth=1
	s_or_b64 exec, exec, s[38:39]
	s_lshl_b64 s[38:39], 2, s17
	v_and_b32_e32 v2, s31, v27
	v_and_b32_e32 v4, s30, v26
	v_or_b32_e32 v27, s39, v2
	v_or_b32_e32 v26, s38, v4
	;; [unrolled: 1-line block ×4, first 2 shown]
	s_mov_b64 s[38:39], -1
	s_mov_b64 s[40:41], 0
	s_cmp_gt_i32 s33, 0
	s_mov_b64 s[46:47], 0
	s_mov_b64 s[48:49], -1
	s_waitcnt lgkmcnt(0)
	s_barrier
                                        ; implicit-def: $vgpr6_vgpr7
	s_cbranch_scc1 .LBB42_171
; %bb.160:                              ;   in Loop: Header=BB42_7 Depth=1
	s_mov_b64 s[48:49], 0
                                        ; implicit-def: $vgpr6_vgpr7
	s_mov_b64 s[50:51], exec
	v_readlane_b32 s52, v60, 47
	v_readlane_b32 s53, v60, 48
	s_and_b64 s[52:53], s[50:51], s[52:53]
	s_mov_b64 exec, s[52:53]
	s_cbranch_execz .LBB42_170
; %bb.161:                              ;   in Loop: Header=BB42_7 Depth=1
	v_mov_b32_e32 v8, v16
	v_mov_b32_e32 v11, v0
                                        ; implicit-def: $sgpr52_sgpr53
	s_branch .LBB42_165
.LBB42_162:                             ;   in Loop: Header=BB42_165 Depth=2
	s_or_b64 exec, exec, s[54:55]
	s_waitcnt lgkmcnt(0)
	s_barrier
	ds_read_b128 v[4:7], v19 offset:3072
	s_waitcnt lgkmcnt(0)
	s_barrier
	v_cmp_neq_f64_e32 vcc, 0, v[4:5]
	s_cbranch_vccnz .LBB42_168
; %bb.163:                              ;   in Loop: Header=BB42_165 Depth=2
	v_add_u32_e32 v11, s70, v11
	v_cmp_le_i32_e32 vcc, s91, v11
	v_add_u32_e32 v8, s98, v8
	s_mov_b64 s[54:55], 0
	s_orn2_b64 s[56:57], vcc, exec
.LBB42_164:                             ;   in Loop: Header=BB42_165 Depth=2
	s_and_b64 s[56:57], exec, s[56:57]
	s_or_b64 s[46:47], s[56:57], s[46:47]
	s_andn2_b64 s[52:53], s[52:53], exec
	s_and_b64 s[54:55], s[54:55], exec
	s_or_b64 s[52:53], s[52:53], s[54:55]
	s_andn2_b64 exec, exec, s[46:47]
	s_cbranch_execz .LBB42_169
.LBB42_165:                             ;   Parent Loop BB42_7 Depth=1
                                        ; =>  This Inner Loop Header: Depth=2
	v_cmp_gt_i32_e32 vcc, s68, v11
	s_and_saveexec_b64 s[54:55], vcc
	s_cbranch_execz .LBB42_162
; %bb.166:                              ;   in Loop: Header=BB42_165 Depth=2
	v_ashrrev_i32_e32 v9, 31, v8
	v_lshl_add_u64 v[4:5], v[8:9], 3, s[80:81]
	global_load_dwordx2 v[4:5], v[4:5], off
	s_waitcnt vmcnt(0)
	v_ashrrev_i32_e32 v2, 31, v5
	v_or_b32_e32 v6, 0x80000000, v2
	v_xor_b32_e32 v2, v2, v4
	v_xor_b32_e32 v6, v6, v5
	v_cmp_o_f64_e32 vcc, v[4:5], v[4:5]
	s_nop 1
	v_cndmask_b32_e32 v2, -1, v2, vcc
	v_cndmask_b32_e32 v6, -1, v6, vcc
	v_and_b32_e32 v7, v6, v29
	v_and_b32_e32 v6, v2, v28
	v_cmp_eq_u64_e32 vcc, v[6:7], v[26:27]
	s_and_b64 exec, exec, vcc
	s_cbranch_execz .LBB42_162
; %bb.167:                              ;   in Loop: Header=BB42_165 Depth=2
	v_mov_b32_e32 v2, v19
	ds_write_b128 v19, v[2:5] offset:3072
	s_branch .LBB42_162
.LBB42_168:                             ;   in Loop: Header=BB42_165 Depth=2
	s_mov_b64 s[56:57], -1
                                        ; implicit-def: $vgpr11
                                        ; implicit-def: $vgpr8
	s_mov_b64 s[54:55], -1
	s_branch .LBB42_164
.LBB42_169:                             ;   in Loop: Header=BB42_7 Depth=1
	s_or_b64 exec, exec, s[46:47]
	s_and_b64 s[46:47], s[52:53], exec
.LBB42_170:                             ;   in Loop: Header=BB42_7 Depth=1
	s_or_b64 exec, exec, s[50:51]
.LBB42_171:                             ;   in Loop: Header=BB42_7 Depth=1
	s_and_b64 vcc, exec, s[48:49]
	s_cbranch_vccz .LBB42_183
; %bb.172:                              ;   in Loop: Header=BB42_7 Depth=1
	v_readlane_b32 s38, v60, 29
	s_add_i32 s54, s33, s38
	s_abs_i32 s39, s54
	v_readlane_b32 s40, v60, 46
	s_mul_hi_u32 s40, s39, s40
	s_mul_i32 s40, s40, s70
	s_sub_i32 s39, s39, s40
	s_ashr_i32 s38, s54, 31
	s_sub_i32 s40, s39, s70
	s_cmp_ge_u32 s39, s70
	s_cselect_b32 s39, s40, s39
	s_sub_i32 s40, s39, s70
	s_cmp_ge_u32 s39, s70
	s_cselect_b32 s39, s40, s39
	s_xor_b32 s39, s39, s38
	s_sub_i32 s38, s38, s39
	s_add_i32 s54, s54, s38
	v_cmp_gt_i32_e32 vcc, s54, v0
                                        ; implicit-def: $vgpr6_vgpr7
	s_and_saveexec_b64 s[38:39], vcc
	s_cbranch_execz .LBB42_182
; %bb.173:                              ;   in Loop: Header=BB42_7 Depth=1
	s_mov_b64 s[40:41], 0
	v_mov_b32_e32 v8, v35
	v_mov_b32_e32 v9, v0
                                        ; implicit-def: $sgpr48_sgpr49
	s_branch .LBB42_177
.LBB42_174:                             ;   in Loop: Header=BB42_177 Depth=2
	s_or_b64 exec, exec, s[50:51]
	s_waitcnt lgkmcnt(0)
	s_barrier
	ds_read_b128 v[4:7], v19 offset:3072
	s_waitcnt lgkmcnt(0)
	s_barrier
	v_cmp_eq_f64_e32 vcc, 0, v[4:5]
	s_cbranch_vccz .LBB42_180
; %bb.175:                              ;   in Loop: Header=BB42_177 Depth=2
	v_add_u32_e32 v9, s70, v9
	v_cmp_le_i32_e32 vcc, s54, v9
	v_add_u32_e32 v8, s16, v8
	s_mov_b64 s[50:51], 0
	s_orn2_b64 s[52:53], vcc, exec
.LBB42_176:                             ;   in Loop: Header=BB42_177 Depth=2
	s_and_b64 s[52:53], exec, s[52:53]
	s_or_b64 s[40:41], s[52:53], s[40:41]
	s_andn2_b64 s[48:49], s[48:49], exec
	s_and_b64 s[50:51], s[50:51], exec
	s_or_b64 s[48:49], s[48:49], s[50:51]
	s_andn2_b64 exec, exec, s[40:41]
	s_cbranch_execz .LBB42_181
.LBB42_177:                             ;   Parent Loop BB42_7 Depth=1
                                        ; =>  This Inner Loop Header: Depth=2
	v_cmp_gt_i32_e32 vcc, s33, v9
	s_and_saveexec_b64 s[50:51], vcc
	s_cbranch_execz .LBB42_174
; %bb.178:                              ;   in Loop: Header=BB42_177 Depth=2
	ds_read_b64 v[4:5], v8
	s_waitcnt lgkmcnt(0)
	v_ashrrev_i32_e32 v2, 31, v5
	v_or_b32_e32 v6, 0x80000000, v2
	v_xor_b32_e32 v2, v2, v4
	v_xor_b32_e32 v6, v6, v5
	v_cmp_o_f64_e32 vcc, v[4:5], v[4:5]
	s_nop 1
	v_cndmask_b32_e32 v2, -1, v2, vcc
	v_cndmask_b32_e32 v6, -1, v6, vcc
	v_and_b32_e32 v7, v6, v29
	v_and_b32_e32 v6, v2, v28
	v_cmp_eq_u64_e32 vcc, v[6:7], v[26:27]
	s_and_b64 exec, exec, vcc
	s_cbranch_execz .LBB42_174
; %bb.179:                              ;   in Loop: Header=BB42_177 Depth=2
	v_mov_b32_e32 v2, v19
	ds_write_b128 v19, v[2:5] offset:3072
	s_branch .LBB42_174
.LBB42_180:                             ;   in Loop: Header=BB42_177 Depth=2
	s_mov_b64 s[52:53], -1
                                        ; implicit-def: $vgpr9
                                        ; implicit-def: $vgpr8
	s_mov_b64 s[50:51], -1
	s_branch .LBB42_176
.LBB42_181:                             ;   in Loop: Header=BB42_7 Depth=1
	s_or_b64 exec, exec, s[40:41]
	s_andn2_b64 s[40:41], s[46:47], exec
	s_and_b64 s[46:47], s[48:49], exec
	s_or_b64 s[46:47], s[40:41], s[46:47]
.LBB42_182:                             ;   in Loop: Header=BB42_7 Depth=1
	s_or_b64 exec, exec, s[38:39]
	s_mov_b64 s[38:39], 0
	s_mov_b64 s[40:41], -1
.LBB42_183:                             ;   in Loop: Header=BB42_7 Depth=1
	s_orn2_b64 s[46:47], s[46:47], exec
.LBB42_184:                             ;   in Loop: Header=BB42_7 Depth=1
	s_or_b64 exec, exec, s[42:43]
	s_mov_b64 s[48:49], 0
	s_and_saveexec_b64 s[42:43], s[46:47]
	s_cbranch_execz .LBB42_236
; %bb.185:                              ;   in Loop: Header=BB42_7 Depth=1
	s_xor_b64 s[46:47], s[44:45], -1
	s_mov_b64 s[50:51], 0
	v_mov_b32_e32 v11, 1
	v_mov_b32_e32 v10, 1
	s_and_saveexec_b64 s[44:45], s[46:47]
	s_cbranch_execz .LBB42_194
; %bb.186:                              ;   in Loop: Header=BB42_7 Depth=1
	v_cmp_ge_i32_e32 vcc, s58, v12
	s_and_saveexec_b64 s[46:47], vcc
	s_xor_b64 s[46:47], exec, s[46:47]
	s_cbranch_execz .LBB42_191
; %bb.187:                              ;   in Loop: Header=BB42_7 Depth=1
	ds_read_b32 v4, v19 offset:4096
	s_lshl_b64 s[48:49], 2, s17
	v_and_b32_e32 v2, s31, v27
	v_and_b32_e32 v5, s30, v26
	v_or_b32_e32 v27, s49, v2
	s_waitcnt lgkmcnt(0)
	v_cmp_ne_u32_e32 vcc, 0, v4
	v_or_b32_e32 v26, s48, v5
	v_or_b32_e32 v29, s3, v29
	;; [unrolled: 1-line block ×3, first 2 shown]
	s_cbranch_vccnz .LBB42_191
; %bb.188:                              ;   in Loop: Header=BB42_7 Depth=1
	s_and_saveexec_b64 s[30:31], s[0:1]
; %bb.189:                              ;   in Loop: Header=BB42_7 Depth=1
	v_mov_b32_e32 v2, s58
	ds_write_b32 v19, v2 offset:4100
; %bb.190:                              ;   in Loop: Header=BB42_7 Depth=1
	s_or_b64 exec, exec, s[30:31]
	s_waitcnt lgkmcnt(0)
	s_barrier
.LBB42_191:                             ;   in Loop: Header=BB42_7 Depth=1
	s_or_saveexec_b64 s[30:31], s[46:47]
	s_mov_b64 s[46:47], 0
	v_mov_b32_e32 v10, 8
	s_xor_b64 exec, exec, s[30:31]
; %bb.192:                              ;   in Loop: Header=BB42_7 Depth=1
	s_mov_b64 s[46:47], exec
	v_subrev_u32_e32 v12, s58, v12
	v_mov_b32_e32 v10, 0
; %bb.193:                              ;   in Loop: Header=BB42_7 Depth=1
	s_or_b64 exec, exec, s[30:31]
	s_and_b64 s[50:51], s[46:47], exec
	v_mov_b32_e32 v11, v12
.LBB42_194:                             ;   in Loop: Header=BB42_7 Depth=1
	s_or_b64 exec, exec, s[44:45]
	s_mov_b64 s[44:45], -1
                                        ; implicit-def: $sgpr48_sgpr49
                                        ; implicit-def: $sgpr46_sgpr47
	s_and_saveexec_b64 s[30:31], s[50:51]
	s_cbranch_execz .LBB42_235
; %bb.195:                              ;   in Loop: Header=BB42_7 Depth=1
	s_cmp_eq_u32 s94, 1
	s_cselect_b64 s[44:45], -1, 0
	v_cmp_eq_u32_e32 vcc, 1, v11
	s_and_b64 s[44:45], s[44:45], vcc
	s_mov_b64 s[52:53], -1
                                        ; implicit-def: $sgpr48_sgpr49
                                        ; implicit-def: $sgpr46_sgpr47
	s_and_saveexec_b64 s[50:51], s[44:45]
	s_cbranch_execz .LBB42_223
; %bb.196:                              ;   in Loop: Header=BB42_7 Depth=1
	ds_read_b32 v2, v19 offset:4096
	s_waitcnt lgkmcnt(0)
	s_barrier
	v_readfirstlane_b32 s33, v2
	s_and_saveexec_b64 s[46:47], s[4:5]
; %bb.197:                              ;   in Loop: Header=BB42_7 Depth=1
	ds_write_b64 v36, v[50:51]
; %bb.198:                              ;   in Loop: Header=BB42_7 Depth=1
	s_or_b64 exec, exec, s[46:47]
	v_or_b32_e32 v27, s3, v27
	v_or_b32_e32 v26, s2, v26
	;; [unrolled: 1-line block ×4, first 2 shown]
	s_mov_b64 s[46:47], -1
	s_mov_b64 s[48:49], 0
	s_cmp_gt_i32 s33, 0
	s_mov_b64 s[52:53], 0
	s_mov_b64 s[54:55], -1
	s_waitcnt lgkmcnt(0)
	s_barrier
                                        ; implicit-def: $vgpr6_vgpr7
	s_cbranch_scc1 .LBB42_210
; %bb.199:                              ;   in Loop: Header=BB42_7 Depth=1
	s_mov_b64 s[54:55], 0
                                        ; implicit-def: $vgpr6_vgpr7
	s_mov_b64 s[56:57], exec
	v_readlane_b32 s58, v60, 47
	v_readlane_b32 s59, v60, 48
	s_and_b64 s[58:59], s[56:57], s[58:59]
	s_mov_b64 exec, s[58:59]
	s_cbranch_execz .LBB42_209
; %bb.200:                              ;   in Loop: Header=BB42_7 Depth=1
	v_mov_b32_e32 v8, v16
	v_mov_b32_e32 v12, v0
                                        ; implicit-def: $sgpr58_sgpr59
	s_branch .LBB42_204
.LBB42_201:                             ;   in Loop: Header=BB42_204 Depth=2
	s_or_b64 exec, exec, s[72:73]
	s_waitcnt lgkmcnt(0)
	s_barrier
	ds_read_b128 v[4:7], v19 offset:3072
	s_waitcnt lgkmcnt(0)
	s_barrier
	v_cmp_neq_f64_e32 vcc, 0, v[4:5]
	s_cbranch_vccnz .LBB42_207
; %bb.202:                              ;   in Loop: Header=BB42_204 Depth=2
	v_add_u32_e32 v12, s70, v12
	v_cmp_le_i32_e32 vcc, s91, v12
	v_add_u32_e32 v8, s98, v8
	s_mov_b64 s[72:73], 0
	s_orn2_b64 s[76:77], vcc, exec
.LBB42_203:                             ;   in Loop: Header=BB42_204 Depth=2
	s_and_b64 s[76:77], exec, s[76:77]
	s_or_b64 s[52:53], s[76:77], s[52:53]
	s_andn2_b64 s[58:59], s[58:59], exec
	s_and_b64 s[72:73], s[72:73], exec
	s_or_b64 s[58:59], s[58:59], s[72:73]
	s_andn2_b64 exec, exec, s[52:53]
	s_cbranch_execz .LBB42_208
.LBB42_204:                             ;   Parent Loop BB42_7 Depth=1
                                        ; =>  This Inner Loop Header: Depth=2
	v_cmp_gt_i32_e32 vcc, s68, v12
	s_and_saveexec_b64 s[72:73], vcc
	s_cbranch_execz .LBB42_201
; %bb.205:                              ;   in Loop: Header=BB42_204 Depth=2
	v_ashrrev_i32_e32 v9, 31, v8
	v_lshl_add_u64 v[4:5], v[8:9], 3, s[80:81]
	global_load_dwordx2 v[4:5], v[4:5], off
	s_waitcnt vmcnt(0)
	v_ashrrev_i32_e32 v2, 31, v5
	v_or_b32_e32 v6, 0x80000000, v2
	v_xor_b32_e32 v2, v2, v4
	v_xor_b32_e32 v6, v6, v5
	v_cmp_o_f64_e32 vcc, v[4:5], v[4:5]
	s_nop 1
	v_cndmask_b32_e32 v2, -1, v2, vcc
	v_cndmask_b32_e32 v6, -1, v6, vcc
	v_and_b32_e32 v7, v6, v29
	v_and_b32_e32 v6, v2, v28
	v_cmp_eq_u64_e32 vcc, v[6:7], v[26:27]
	s_and_b64 exec, exec, vcc
	s_cbranch_execz .LBB42_201
; %bb.206:                              ;   in Loop: Header=BB42_204 Depth=2
	v_mov_b32_e32 v2, v19
	ds_write_b128 v19, v[2:5] offset:3072
	s_branch .LBB42_201
.LBB42_207:                             ;   in Loop: Header=BB42_204 Depth=2
	s_mov_b64 s[76:77], -1
                                        ; implicit-def: $vgpr12
                                        ; implicit-def: $vgpr8
	s_mov_b64 s[72:73], -1
	s_branch .LBB42_203
.LBB42_208:                             ;   in Loop: Header=BB42_7 Depth=1
	s_or_b64 exec, exec, s[52:53]
	s_and_b64 s[52:53], s[58:59], exec
.LBB42_209:                             ;   in Loop: Header=BB42_7 Depth=1
	s_or_b64 exec, exec, s[56:57]
.LBB42_210:                             ;   in Loop: Header=BB42_7 Depth=1
	s_and_b64 vcc, exec, s[54:55]
	s_cbranch_vccz .LBB42_222
; %bb.211:                              ;   in Loop: Header=BB42_7 Depth=1
	v_readlane_b32 s46, v60, 29
	s_add_i32 s72, s33, s46
	s_abs_i32 s47, s72
	v_readlane_b32 s48, v60, 46
	s_mul_hi_u32 s48, s47, s48
	s_mul_i32 s48, s48, s70
	s_sub_i32 s47, s47, s48
	s_ashr_i32 s46, s72, 31
	s_sub_i32 s48, s47, s70
	s_cmp_ge_u32 s47, s70
	s_cselect_b32 s47, s48, s47
	s_sub_i32 s48, s47, s70
	s_cmp_ge_u32 s47, s70
	s_cselect_b32 s47, s48, s47
	s_xor_b32 s47, s47, s46
	s_sub_i32 s46, s46, s47
	s_add_i32 s72, s72, s46
	v_cmp_gt_i32_e32 vcc, s72, v0
                                        ; implicit-def: $vgpr6_vgpr7
	s_and_saveexec_b64 s[46:47], vcc
	s_cbranch_execz .LBB42_221
; %bb.212:                              ;   in Loop: Header=BB42_7 Depth=1
	s_mov_b64 s[48:49], 0
	v_mov_b32_e32 v8, v35
	v_mov_b32_e32 v9, v0
                                        ; implicit-def: $sgpr54_sgpr55
	s_branch .LBB42_216
.LBB42_213:                             ;   in Loop: Header=BB42_216 Depth=2
	s_or_b64 exec, exec, s[56:57]
	s_waitcnt lgkmcnt(0)
	s_barrier
	ds_read_b128 v[4:7], v19 offset:3072
	s_waitcnt lgkmcnt(0)
	s_barrier
	v_cmp_eq_f64_e32 vcc, 0, v[4:5]
	s_cbranch_vccz .LBB42_219
; %bb.214:                              ;   in Loop: Header=BB42_216 Depth=2
	v_add_u32_e32 v9, s70, v9
	v_cmp_le_i32_e32 vcc, s72, v9
	v_add_u32_e32 v8, s16, v8
	s_mov_b64 s[56:57], 0
	s_orn2_b64 s[58:59], vcc, exec
.LBB42_215:                             ;   in Loop: Header=BB42_216 Depth=2
	s_and_b64 s[58:59], exec, s[58:59]
	s_or_b64 s[48:49], s[58:59], s[48:49]
	s_andn2_b64 s[54:55], s[54:55], exec
	s_and_b64 s[56:57], s[56:57], exec
	s_or_b64 s[54:55], s[54:55], s[56:57]
	s_andn2_b64 exec, exec, s[48:49]
	s_cbranch_execz .LBB42_220
.LBB42_216:                             ;   Parent Loop BB42_7 Depth=1
                                        ; =>  This Inner Loop Header: Depth=2
	v_cmp_gt_i32_e32 vcc, s33, v9
	s_and_saveexec_b64 s[56:57], vcc
	s_cbranch_execz .LBB42_213
; %bb.217:                              ;   in Loop: Header=BB42_216 Depth=2
	ds_read_b64 v[4:5], v8
	s_waitcnt lgkmcnt(0)
	v_ashrrev_i32_e32 v2, 31, v5
	v_or_b32_e32 v6, 0x80000000, v2
	v_xor_b32_e32 v2, v2, v4
	v_xor_b32_e32 v6, v6, v5
	v_cmp_o_f64_e32 vcc, v[4:5], v[4:5]
	s_nop 1
	v_cndmask_b32_e32 v2, -1, v2, vcc
	v_cndmask_b32_e32 v6, -1, v6, vcc
	v_and_b32_e32 v7, v6, v29
	v_and_b32_e32 v6, v2, v28
	v_cmp_eq_u64_e32 vcc, v[6:7], v[26:27]
	s_and_b64 exec, exec, vcc
	s_cbranch_execz .LBB42_213
; %bb.218:                              ;   in Loop: Header=BB42_216 Depth=2
	v_mov_b32_e32 v2, v19
	ds_write_b128 v19, v[2:5] offset:3072
	s_branch .LBB42_213
.LBB42_219:                             ;   in Loop: Header=BB42_216 Depth=2
	s_mov_b64 s[58:59], -1
                                        ; implicit-def: $vgpr9
                                        ; implicit-def: $vgpr8
	s_mov_b64 s[56:57], -1
	s_branch .LBB42_215
.LBB42_220:                             ;   in Loop: Header=BB42_7 Depth=1
	s_or_b64 exec, exec, s[48:49]
	s_andn2_b64 s[48:49], s[52:53], exec
	s_and_b64 s[52:53], s[54:55], exec
	s_or_b64 s[52:53], s[48:49], s[52:53]
.LBB42_221:                             ;   in Loop: Header=BB42_7 Depth=1
	s_or_b64 exec, exec, s[46:47]
	s_mov_b64 s[46:47], 0
	s_mov_b64 s[48:49], -1
.LBB42_222:                             ;   in Loop: Header=BB42_7 Depth=1
	s_orn2_b64 s[52:53], s[52:53], exec
.LBB42_223:                             ;   in Loop: Header=BB42_7 Depth=1
	s_or_b64 exec, exec, s[50:51]
	s_mov_b64 s[54:55], 0
	s_and_saveexec_b64 s[50:51], s[52:53]
	s_cbranch_execz .LBB42_234
; %bb.224:                              ;   in Loop: Header=BB42_7 Depth=1
	s_xor_b64 s[52:53], s[44:45], -1
	v_mov_b32_e32 v10, 1
	v_mov_b32_e32 v2, 1
	s_and_saveexec_b64 s[44:45], s[52:53]
	s_cbranch_execz .LBB42_233
; %bb.225:                              ;   in Loop: Header=BB42_7 Depth=1
	v_cmp_ge_i32_e32 vcc, s94, v11
	s_and_saveexec_b64 s[52:53], vcc
	s_xor_b64 s[52:53], exec, s[52:53]
	s_cbranch_execz .LBB42_230
; %bb.226:                              ;   in Loop: Header=BB42_7 Depth=1
	ds_read_b32 v2, v19 offset:4096
	v_or_b32_e32 v27, s3, v27
	v_or_b32_e32 v26, s2, v26
	;; [unrolled: 1-line block ×4, first 2 shown]
	s_waitcnt lgkmcnt(0)
	v_cmp_ne_u32_e32 vcc, 0, v2
	s_cbranch_vccnz .LBB42_230
; %bb.227:                              ;   in Loop: Header=BB42_7 Depth=1
	s_and_saveexec_b64 s[2:3], s[0:1]
; %bb.228:                              ;   in Loop: Header=BB42_7 Depth=1
	v_mov_b32_e32 v2, s94
	ds_write_b32 v19, v2 offset:4100
; %bb.229:                              ;   in Loop: Header=BB42_7 Depth=1
	s_or_b64 exec, exec, s[2:3]
	s_waitcnt lgkmcnt(0)
	s_barrier
.LBB42_230:                             ;   in Loop: Header=BB42_7 Depth=1
	s_andn2_saveexec_b64 s[2:3], s[52:53]
; %bb.231:                              ;   in Loop: Header=BB42_7 Depth=1
	v_subrev_u32_e32 v11, s94, v11
; %bb.232:                              ;   in Loop: Header=BB42_7 Depth=1
	s_or_b64 exec, exec, s[2:3]
	v_mov_b32_e32 v10, 8
	v_mov_b32_e32 v2, v11
.LBB42_233:                             ;   in Loop: Header=BB42_7 Depth=1
	s_or_b64 exec, exec, s[44:45]
	s_mov_b64 s[54:55], exec
	v_mov_b32_e32 v11, v2
.LBB42_234:                             ;   in Loop: Header=BB42_7 Depth=1
	s_or_b64 exec, exec, s[50:51]
	s_orn2_b64 s[44:45], s[54:55], exec
.LBB42_235:                             ;   in Loop: Header=BB42_7 Depth=1
	s_or_b64 exec, exec, s[30:31]
	s_andn2_b64 s[2:3], s[40:41], exec
	s_and_b64 s[30:31], s[48:49], exec
	s_or_b64 s[40:41], s[2:3], s[30:31]
	s_andn2_b64 s[2:3], s[38:39], exec
	s_and_b64 s[30:31], s[46:47], exec
	s_or_b64 s[38:39], s[2:3], s[30:31]
	s_and_b64 s[48:49], s[44:45], exec
	v_mov_b32_e32 v12, v11
.LBB42_236:                             ;   in Loop: Header=BB42_7 Depth=1
	s_or_b64 exec, exec, s[42:43]
	s_orn2_b64 s[42:43], s[48:49], exec
.LBB42_237:                             ;   in Loop: Header=BB42_7 Depth=1
	s_or_b64 exec, exec, s[36:37]
	s_andn2_b64 s[2:3], s[28:29], exec
	s_and_b64 s[28:29], s[40:41], exec
	s_or_b64 s[28:29], s[2:3], s[28:29]
	s_andn2_b64 s[2:3], s[26:27], exec
	s_and_b64 s[26:27], s[38:39], exec
	s_or_b64 s[26:27], s[2:3], s[26:27]
	s_and_b64 s[40:41], s[42:43], exec
	v_mov_b32_e32 v11, v12
.LBB42_238:                             ;   in Loop: Header=BB42_7 Depth=1
	s_or_b64 exec, exec, s[34:35]
	s_orn2_b64 s[34:35], s[40:41], exec
.LBB42_239:                             ;   in Loop: Header=BB42_7 Depth=1
	s_or_b64 exec, exec, s[24:25]
	s_mov_b64 s[24:25], 0
                                        ; implicit-def: $sgpr36
                                        ; implicit-def: $sgpr37
	s_and_saveexec_b64 s[2:3], s[34:35]
	s_xor_b64 s[2:3], exec, s[2:3]
	s_cbranch_execz .LBB42_5
; %bb.240:                              ;   in Loop: Header=BB42_7 Depth=1
	v_and_b32_e32 v2, 7, v10
	v_cmp_eq_u32_e32 vcc, 0, v2
	s_mov_b64 s[22:23], -1
	s_mov_b64 s[24:25], -1
                                        ; implicit-def: $sgpr36
                                        ; implicit-def: $sgpr37
	s_and_saveexec_b64 s[30:31], vcc
	s_cbranch_execz .LBB42_4
; %bb.241:                              ;   in Loop: Header=BB42_7 Depth=1
	s_xor_b32 s37, s69, 1
	s_add_i32 s36, s17, -2
	s_cmp_eq_u32 s17, 0
	s_cselect_b64 s[22:23], -1, 0
	s_xor_b64 s[24:25], exec, -1
	s_orn2_b64 s[22:23], s[22:23], exec
	s_branch .LBB42_4
.LBB42_242:
	s_or_b64 exec, exec, s[74:75]
	s_xor_b64 s[6:7], s[62:63], -1
	s_xor_b64 s[4:5], s[78:79], -1
	;; [unrolled: 1-line block ×3, first 2 shown]
	s_mov_b64 s[2:3], 0
	s_and_saveexec_b64 s[10:11], s[4:5]
	s_xor_b64 s[4:5], exec, s[10:11]
	s_cbranch_execnz .LBB42_247
; %bb.243:
	s_andn2_saveexec_b64 s[0:1], s[4:5]
	s_cbranch_execnz .LBB42_267
.LBB42_244:
	s_or_b64 exec, exec, s[0:1]
	s_and_saveexec_b64 s[0:1], s[2:3]
.LBB42_245:
	; divergent unreachable
.LBB42_246:
	s_endpgm
.LBB42_247:
	s_and_saveexec_b64 s[2:3], s[6:7]
	s_xor_b64 s[6:7], exec, s[2:3]
	s_cbranch_execz .LBB42_265
; %bb.248:
	s_and_saveexec_b64 s[2:3], s[8:9]
	s_xor_b64 s[2:3], exec, s[2:3]
; %bb.249:
	v_lshrrev_b32_e32 v2, 31, v27
	v_mov_b32_e32 v3, 0
	v_lshl_add_u64 v[2:3], v[2:3], 0, -1
	v_or_b32_e32 v1, 0x80000000, v3
	v_xor_b32_e32 v7, v1, v27
	v_xor_b32_e32 v6, v2, v26
; %bb.250:
	s_or_b64 exec, exec, s[2:3]
	s_and_saveexec_b64 s[2:3], s[0:1]
	v_readlane_b32 s24, v60, 20
	v_readlane_b32 s26, v60, 25
	v_readlane_b32 s22, v60, 28
	v_readlane_b32 s25, v60, 21
	v_readlane_b32 s27, v60, 26
	v_readlane_b32 s23, v60, 18
	v_readlane_b32 s28, v60, 23
; %bb.251:
	v_mov_b32_e32 v1, 0
	v_mov_b32_e32 v2, s68
	ds_write_b32 v1, v2 offset:4108
; %bb.252:
	s_or_b64 exec, exec, s[2:3]
	v_mov_b32_e32 v1, 0
	s_waitcnt lgkmcnt(0)
	s_barrier
	ds_read_b32 v1, v1 offset:4108
	s_waitcnt lgkmcnt(0)
	v_min_i32_e32 v2, s68, v1
	v_cmp_lt_i32_e32 vcc, v0, v2
	s_and_saveexec_b64 s[8:9], vcc
	s_cbranch_execz .LBB42_262
; %bb.253:
	v_cmp_u_f64_e32 vcc, v[6:7], v[6:7]
	s_mov_b64 s[10:11], 0
	s_xor_b64 s[14:15], vcc, -1
                                        ; implicit-def: $sgpr12_sgpr13
                                        ; implicit-def: $sgpr18_sgpr19
                                        ; implicit-def: $sgpr16_sgpr17
	s_branch .LBB42_255
.LBB42_254:                             ;   in Loop: Header=BB42_255 Depth=1
	s_or_b64 exec, exec, s[2:3]
	s_and_b64 s[2:3], exec, s[18:19]
	s_or_b64 s[10:11], s[2:3], s[10:11]
	s_andn2_b64 s[2:3], s[12:13], exec
	s_and_b64 s[12:13], s[16:17], exec
	s_or_b64 s[12:13], s[2:3], s[12:13]
	s_andn2_b64 exec, exec, s[10:11]
	s_cbranch_execz .LBB42_257
.LBB42_255:                             ; =>This Inner Loop Header: Depth=1
	v_ashrrev_i32_e32 v17, 31, v16
	s_waitcnt vmcnt(0)
	v_lshl_add_u64 v[4:5], v[16:17], 3, s[80:81]
	global_load_dwordx2 v[4:5], v[4:5], off
	v_mov_b32_e32 v1, v0
	s_or_b64 s[16:17], s[16:17], exec
	s_or_b64 s[18:19], s[18:19], exec
                                        ; implicit-def: $vgpr0
	s_waitcnt vmcnt(0)
	v_cmp_o_f64_e64 s[2:3], v[4:5], v[4:5]
	v_cmp_neq_f64_e32 vcc, v[4:5], v[6:7]
	s_or_b64 s[2:3], s[2:3], s[14:15]
	s_and_b64 s[20:21], vcc, s[2:3]
	s_and_saveexec_b64 s[2:3], s[20:21]
	s_cbranch_execz .LBB42_254
; %bb.256:                              ;   in Loop: Header=BB42_255 Depth=1
	v_add_u32_e32 v0, s70, v1
	v_cmp_ge_i32_e32 vcc, v0, v2
	s_andn2_b64 s[18:19], s[18:19], exec
	s_and_b64 s[20:21], vcc, exec
	v_add_u32_e32 v16, s98, v16
	s_andn2_b64 s[16:17], s[16:17], exec
	s_or_b64 s[18:19], s[18:19], s[20:21]
	s_branch .LBB42_254
.LBB42_257:
	s_or_b64 exec, exec, s[10:11]
	s_and_saveexec_b64 s[2:3], s[12:13]
	s_xor_b64 s[2:3], exec, s[2:3]
	s_cbranch_execz .LBB42_262
; %bb.258:
	s_mov_b64 s[2:3], exec
	s_brev_b32 s10, -2
.LBB42_259:                             ; =>This Inner Loop Header: Depth=1
	s_ff1_i32_b64 s11, s[2:3]
	v_readlane_b32 s14, v1, s11
	s_lshl_b64 s[12:13], 1, s11
	s_min_i32 s10, s10, s14
	s_andn2_b64 s[2:3], s[2:3], s[12:13]
	s_cmp_lg_u64 s[2:3], 0
	s_cbranch_scc1 .LBB42_259
; %bb.260:
	v_mbcnt_lo_u32_b32 v0, exec_lo, 0
	v_mbcnt_hi_u32_b32 v0, exec_hi, v0
	v_cmp_eq_u32_e32 vcc, 0, v0
	s_and_saveexec_b64 s[2:3], vcc
	s_xor_b64 s[2:3], exec, s[2:3]
; %bb.261:
	v_mov_b32_e32 v0, 0
	v_mov_b32_e32 v1, s10
	ds_min_i32 v0, v1 offset:4108
.LBB42_262:
	s_or_b64 exec, exec, s[8:9]
	s_waitcnt lgkmcnt(0)
	s_barrier
	s_and_saveexec_b64 s[2:3], s[0:1]
	s_cbranch_execz .LBB42_264
; %bb.263:
	v_readlane_b32 s8, v60, 0
	s_mul_i32 s0, s23, s25
	v_readlane_b32 s10, v60, 2
	s_sub_i32 s0, s22, s0
	v_readlane_b32 s9, v60, 1
	v_readlane_b32 s11, v60, 3
	s_mov_b32 s14, s10
	s_mov_b64 s[12:13], s[8:9]
	s_mul_i32 s0, s0, s14
	v_readlane_b32 s1, v60, 19
	v_readlane_b32 s8, v60, 22
	v_readlane_b32 s11, v60, 10
	v_readlane_b32 s14, v60, 14
	s_xor_b32 s1, s1, s8
	s_mul_i32 s8, s14, s11
	v_readlane_b32 s9, v60, 13
	s_sub_i32 s8, s9, s8
	s_add_i32 s9, s14, 1
	s_sub_i32 s10, s8, s11
	s_cmp_ge_u32 s8, s11
	s_cselect_b32 s9, s9, s14
	s_cselect_b32 s8, s10, s8
	s_add_i32 s10, s9, 1
	s_cmp_ge_u32 s8, s11
	s_cselect_b32 s8, s10, s9
	s_xor_b32 s8, s8, s1
	s_sub_i32 s1, s8, s1
	s_mul_i32 s8, s1, s24
	s_sub_i32 s8, s23, s8
	s_mul_i32 s8, s8, s13
	s_add_i32 s0, s8, s0
	s_mul_i32 s1, s1, s12
	v_readlane_b32 s8, v60, 4
	s_add_i32 s0, s0, s1
	s_mul_i32 s1, s28, s27
	v_readlane_b32 s10, v60, 6
	s_sub_i32 s1, s22, s1
	v_readlane_b32 s9, v60, 5
	s_mov_b32 s14, s10
	s_mov_b64 s[12:13], s[8:9]
	s_mul_i32 s1, s1, s14
	v_readlane_b32 s8, v60, 24
	v_readlane_b32 s9, v60, 27
	;; [unrolled: 1-line block ×4, first 2 shown]
	s_xor_b32 s8, s8, s9
	s_mul_i32 s9, s15, s14
	v_readlane_b32 s10, v60, 16
	v_readlane_b32 s11, v60, 7
	s_sub_i32 s9, s10, s9
	s_add_i32 s10, s15, 1
	s_sub_i32 s11, s9, s14
	s_cmp_ge_u32 s9, s14
	s_cselect_b32 s10, s10, s15
	s_cselect_b32 s9, s11, s9
	s_add_i32 s11, s10, 1
	s_cmp_ge_u32 s9, s14
	s_cselect_b32 s9, s11, s10
	s_xor_b32 s9, s9, s8
	s_sub_i32 s8, s9, s8
	s_mul_i32 s9, s8, s26
	s_sub_i32 s9, s28, s9
	s_mul_i32 s9, s9, s13
	s_add_i32 s1, s9, s1
	s_mul_i32 s8, s8, s12
	s_add_i32 s8, s1, s8
	s_ashr_i32 s1, s0, 31
	v_mov_b32_e32 v2, 0
	s_lshl_b64 s[0:1], s[0:1], 3
	v_readlane_b32 s10, v60, 11
	ds_read_b32 v0, v2 offset:4108
	v_readlane_b32 s11, v60, 12
	s_add_u32 s0, s10, s0
	s_addc_u32 s1, s11, s1
	s_ashr_i32 s9, s8, 31
	s_lshl_b64 s[8:9], s[8:9], 3
	v_readlane_b32 s10, v60, 8
	v_readlane_b32 s11, v60, 9
	s_add_u32 s8, s10, s8
	s_addc_u32 s9, s11, s9
	s_waitcnt lgkmcnt(0)
	v_ashrrev_i32_e32 v1, 31, v0
	global_store_dwordx2 v2, v[0:1], s[8:9]
	global_store_dwordx2 v2, v[6:7], s[0:1]
.LBB42_264:
	s_or_b64 exec, exec, s[2:3]
.LBB42_265:
	s_or_saveexec_b64 s[0:1], s[6:7]
	s_mov_b64 s[2:3], 0
	s_xor_b64 exec, exec, s[0:1]
	s_cbranch_execnz .LBB42_268
.LBB42_266:
	s_or_b64 exec, exec, s[0:1]
	s_and_b64 s[2:3], s[2:3], exec
	s_andn2_saveexec_b64 s[0:1], s[4:5]
	s_cbranch_execz .LBB42_244
.LBB42_267:
	s_or_b64 s[2:3], s[2:3], exec
	s_trap 2
	s_or_b64 exec, exec, s[0:1]
	s_and_saveexec_b64 s[0:1], s[2:3]
	s_cbranch_execnz .LBB42_245
	s_branch .LBB42_246
.LBB42_268:
	s_mov_b64 s[2:3], exec
	s_trap 2
	s_branch .LBB42_266
	.section	.rodata,"a",@progbits
	.p2align	6, 0x0
	.amdhsa_kernel _ZN2at6native12_GLOBAL__N_114gatherKthValueIdiLi3EEEvNS_4cuda6detail10TensorInfoIKT_T0_EES8_S8_S8_S8_NS5_IS6_S8_EENS5_IlS8_EE
		.amdhsa_group_segment_fixed_size 4112
		.amdhsa_private_segment_fixed_size 0
		.amdhsa_kernarg_size 920
		.amdhsa_user_sgpr_count 2
		.amdhsa_user_sgpr_dispatch_ptr 0
		.amdhsa_user_sgpr_queue_ptr 0
		.amdhsa_user_sgpr_kernarg_segment_ptr 1
		.amdhsa_user_sgpr_dispatch_id 0
		.amdhsa_user_sgpr_kernarg_preload_length 0
		.amdhsa_user_sgpr_kernarg_preload_offset 0
		.amdhsa_user_sgpr_private_segment_size 0
		.amdhsa_uses_dynamic_stack 0
		.amdhsa_enable_private_segment 0
		.amdhsa_system_sgpr_workgroup_id_x 1
		.amdhsa_system_sgpr_workgroup_id_y 1
		.amdhsa_system_sgpr_workgroup_id_z 1
		.amdhsa_system_sgpr_workgroup_info 0
		.amdhsa_system_vgpr_workitem_id 0
		.amdhsa_next_free_vgpr 61
		.amdhsa_next_free_sgpr 100
		.amdhsa_accum_offset 64
		.amdhsa_reserve_vcc 1
		.amdhsa_float_round_mode_32 0
		.amdhsa_float_round_mode_16_64 0
		.amdhsa_float_denorm_mode_32 3
		.amdhsa_float_denorm_mode_16_64 3
		.amdhsa_dx10_clamp 1
		.amdhsa_ieee_mode 1
		.amdhsa_fp16_overflow 0
		.amdhsa_tg_split 0
		.amdhsa_exception_fp_ieee_invalid_op 0
		.amdhsa_exception_fp_denorm_src 0
		.amdhsa_exception_fp_ieee_div_zero 0
		.amdhsa_exception_fp_ieee_overflow 0
		.amdhsa_exception_fp_ieee_underflow 0
		.amdhsa_exception_fp_ieee_inexact 0
		.amdhsa_exception_int_div_zero 0
	.end_amdhsa_kernel
	.section	.text._ZN2at6native12_GLOBAL__N_114gatherKthValueIdiLi3EEEvNS_4cuda6detail10TensorInfoIKT_T0_EES8_S8_S8_S8_NS5_IS6_S8_EENS5_IlS8_EE,"axG",@progbits,_ZN2at6native12_GLOBAL__N_114gatherKthValueIdiLi3EEEvNS_4cuda6detail10TensorInfoIKT_T0_EES8_S8_S8_S8_NS5_IS6_S8_EENS5_IlS8_EE,comdat
.Lfunc_end42:
	.size	_ZN2at6native12_GLOBAL__N_114gatherKthValueIdiLi3EEEvNS_4cuda6detail10TensorInfoIKT_T0_EES8_S8_S8_S8_NS5_IS6_S8_EENS5_IlS8_EE, .Lfunc_end42-_ZN2at6native12_GLOBAL__N_114gatherKthValueIdiLi3EEEvNS_4cuda6detail10TensorInfoIKT_T0_EES8_S8_S8_S8_NS5_IS6_S8_EENS5_IlS8_EE
                                        ; -- End function
	.set _ZN2at6native12_GLOBAL__N_114gatherKthValueIdiLi3EEEvNS_4cuda6detail10TensorInfoIKT_T0_EES8_S8_S8_S8_NS5_IS6_S8_EENS5_IlS8_EE.num_vgpr, 61
	.set _ZN2at6native12_GLOBAL__N_114gatherKthValueIdiLi3EEEvNS_4cuda6detail10TensorInfoIKT_T0_EES8_S8_S8_S8_NS5_IS6_S8_EENS5_IlS8_EE.num_agpr, 0
	.set _ZN2at6native12_GLOBAL__N_114gatherKthValueIdiLi3EEEvNS_4cuda6detail10TensorInfoIKT_T0_EES8_S8_S8_S8_NS5_IS6_S8_EENS5_IlS8_EE.numbered_sgpr, 100
	.set _ZN2at6native12_GLOBAL__N_114gatherKthValueIdiLi3EEEvNS_4cuda6detail10TensorInfoIKT_T0_EES8_S8_S8_S8_NS5_IS6_S8_EENS5_IlS8_EE.num_named_barrier, 0
	.set _ZN2at6native12_GLOBAL__N_114gatherKthValueIdiLi3EEEvNS_4cuda6detail10TensorInfoIKT_T0_EES8_S8_S8_S8_NS5_IS6_S8_EENS5_IlS8_EE.private_seg_size, 0
	.set _ZN2at6native12_GLOBAL__N_114gatherKthValueIdiLi3EEEvNS_4cuda6detail10TensorInfoIKT_T0_EES8_S8_S8_S8_NS5_IS6_S8_EENS5_IlS8_EE.uses_vcc, 1
	.set _ZN2at6native12_GLOBAL__N_114gatherKthValueIdiLi3EEEvNS_4cuda6detail10TensorInfoIKT_T0_EES8_S8_S8_S8_NS5_IS6_S8_EENS5_IlS8_EE.uses_flat_scratch, 0
	.set _ZN2at6native12_GLOBAL__N_114gatherKthValueIdiLi3EEEvNS_4cuda6detail10TensorInfoIKT_T0_EES8_S8_S8_S8_NS5_IS6_S8_EENS5_IlS8_EE.has_dyn_sized_stack, 0
	.set _ZN2at6native12_GLOBAL__N_114gatherKthValueIdiLi3EEEvNS_4cuda6detail10TensorInfoIKT_T0_EES8_S8_S8_S8_NS5_IS6_S8_EENS5_IlS8_EE.has_recursion, 0
	.set _ZN2at6native12_GLOBAL__N_114gatherKthValueIdiLi3EEEvNS_4cuda6detail10TensorInfoIKT_T0_EES8_S8_S8_S8_NS5_IS6_S8_EENS5_IlS8_EE.has_indirect_call, 0
	.section	.AMDGPU.csdata,"",@progbits
; Kernel info:
; codeLenInByte = 11072
; TotalNumSgprs: 106
; NumVgprs: 61
; NumAgprs: 0
; TotalNumVgprs: 61
; ScratchSize: 0
; MemoryBound: 0
; FloatMode: 240
; IeeeMode: 1
; LDSByteSize: 4112 bytes/workgroup (compile time only)
; SGPRBlocks: 13
; VGPRBlocks: 7
; NumSGPRsForWavesPerEU: 106
; NumVGPRsForWavesPerEU: 61
; AccumOffset: 64
; Occupancy: 7
; WaveLimiterHint : 1
; COMPUTE_PGM_RSRC2:SCRATCH_EN: 0
; COMPUTE_PGM_RSRC2:USER_SGPR: 2
; COMPUTE_PGM_RSRC2:TRAP_HANDLER: 0
; COMPUTE_PGM_RSRC2:TGID_X_EN: 1
; COMPUTE_PGM_RSRC2:TGID_Y_EN: 1
; COMPUTE_PGM_RSRC2:TGID_Z_EN: 1
; COMPUTE_PGM_RSRC2:TIDIG_COMP_CNT: 0
; COMPUTE_PGM_RSRC3_GFX90A:ACCUM_OFFSET: 15
; COMPUTE_PGM_RSRC3_GFX90A:TG_SPLIT: 0
	.section	.text._ZN2at6native12_GLOBAL__N_114gatherKthValueIdiLin1EEEvNS_4cuda6detail10TensorInfoIKT_T0_EES8_S8_S8_S8_NS5_IS6_S8_EENS5_IlS8_EE,"axG",@progbits,_ZN2at6native12_GLOBAL__N_114gatherKthValueIdiLin1EEEvNS_4cuda6detail10TensorInfoIKT_T0_EES8_S8_S8_S8_NS5_IS6_S8_EENS5_IlS8_EE,comdat
	.globl	_ZN2at6native12_GLOBAL__N_114gatherKthValueIdiLin1EEEvNS_4cuda6detail10TensorInfoIKT_T0_EES8_S8_S8_S8_NS5_IS6_S8_EENS5_IlS8_EE ; -- Begin function _ZN2at6native12_GLOBAL__N_114gatherKthValueIdiLin1EEEvNS_4cuda6detail10TensorInfoIKT_T0_EES8_S8_S8_S8_NS5_IS6_S8_EENS5_IlS8_EE
	.p2align	8
	.type	_ZN2at6native12_GLOBAL__N_114gatherKthValueIdiLin1EEEvNS_4cuda6detail10TensorInfoIKT_T0_EES8_S8_S8_S8_NS5_IS6_S8_EENS5_IlS8_EE,@function
_ZN2at6native12_GLOBAL__N_114gatherKthValueIdiLin1EEEvNS_4cuda6detail10TensorInfoIKT_T0_EES8_S8_S8_S8_NS5_IS6_S8_EENS5_IlS8_EE: ; @_ZN2at6native12_GLOBAL__N_114gatherKthValueIdiLin1EEEvNS_4cuda6detail10TensorInfoIKT_T0_EES8_S8_S8_S8_NS5_IS6_S8_EENS5_IlS8_EE
; %bb.0:
	s_load_dwordx2 s[12:13], s[0:1], 0x298
	s_load_dwordx4 s[60:63], s[0:1], 0xd8
	s_add_u32 s10, s0, 0x298
	s_addc_u32 s11, s1, 0
	s_waitcnt lgkmcnt(0)
	s_mul_i32 s4, s13, s4
	s_add_i32 s3, s4, s3
	s_mul_i32 s3, s3, s12
	s_add_i32 s33, s3, s2
	s_cmp_ge_i32 s33, s62
	s_cbranch_scc1 .LBB43_255
; %bb.1:
	s_load_dword s4, s[0:1], 0xd0
	s_mov_b32 s5, 0
	s_mov_b32 s3, s33
	s_waitcnt lgkmcnt(0)
	s_cmp_lt_i32 s4, 2
	s_cbranch_scc1 .LBB43_4
; %bb.2:
	s_add_i32 s8, s4, 1
	s_add_i32 s4, s4, -1
	s_lshl_b64 s[6:7], s[4:5], 2
	s_add_u32 s3, s0, s6
	s_addc_u32 s4, s1, s7
	s_add_u32 s6, s3, 8
	s_addc_u32 s7, s4, 0
	s_mov_b32 s3, s33
.LBB43_3:                               ; =>This Inner Loop Header: Depth=1
	s_load_dword s4, s[6:7], 0x0
	s_load_dword s13, s[6:7], 0x64
	s_mov_b32 s9, s3
	s_abs_i32 s3, s3
	s_waitcnt lgkmcnt(0)
	s_abs_i32 s15, s4
	v_cvt_f32_u32_e32 v1, s15
	s_sub_i32 s16, 0, s15
	s_xor_b32 s14, s9, s4
	s_ashr_i32 s14, s14, 31
	v_rcp_iflag_f32_e32 v1, v1
	s_nop 0
	v_mul_f32_e32 v1, 0x4f7ffffe, v1
	v_cvt_u32_f32_e32 v1, v1
	s_nop 0
	v_readfirstlane_b32 s17, v1
	s_mul_i32 s16, s16, s17
	s_mul_hi_u32 s16, s17, s16
	s_add_i32 s17, s17, s16
	s_mul_hi_u32 s16, s3, s17
	s_mul_i32 s17, s16, s15
	s_sub_i32 s3, s3, s17
	s_add_i32 s18, s16, 1
	s_sub_i32 s17, s3, s15
	s_cmp_ge_u32 s3, s15
	s_cselect_b32 s16, s18, s16
	s_cselect_b32 s3, s17, s3
	s_add_i32 s17, s16, 1
	s_cmp_ge_u32 s3, s15
	s_cselect_b32 s3, s17, s16
	s_xor_b32 s3, s3, s14
	s_sub_i32 s3, s3, s14
	s_mul_i32 s4, s3, s4
	s_sub_i32 s4, s9, s4
	s_mul_i32 s4, s13, s4
	s_add_i32 s8, s8, -1
	s_add_i32 s5, s4, s5
	s_add_u32 s6, s6, -4
	s_addc_u32 s7, s7, -1
	s_cmp_gt_u32 s8, 2
	s_cbranch_scc1 .LBB43_3
.LBB43_4:
	s_load_dword s8, s[0:1], 0x1b8
	s_add_u32 s6, s0, 0xe8
	s_addc_u32 s7, s1, 0
	s_mov_b32 s65, 0
	s_mov_b32 s62, s33
	s_waitcnt lgkmcnt(0)
	s_cmp_lt_i32 s8, 2
	s_cbranch_scc1 .LBB43_7
; %bb.5:
	s_add_i32 s64, s8, -1
	s_add_i32 s4, s8, 1
	s_lshl_b64 s[8:9], s[64:65], 2
	s_add_u32 s8, s6, s8
	s_addc_u32 s9, s7, s9
	s_add_u32 s8, s8, 8
	s_addc_u32 s9, s9, 0
	s_mov_b32 s62, s33
.LBB43_6:                               ; =>This Inner Loop Header: Depth=1
	s_load_dword s13, s[8:9], 0x0
	s_load_dword s15, s[8:9], 0x64
	s_abs_i32 s16, s62
	s_mov_b32 s14, s62
	s_waitcnt lgkmcnt(0)
	s_abs_i32 s18, s13
	v_cvt_f32_u32_e32 v1, s18
	s_sub_i32 s19, 0, s18
	s_xor_b32 s17, s62, s13
	s_ashr_i32 s17, s17, 31
	v_rcp_iflag_f32_e32 v1, v1
	s_nop 0
	v_mul_f32_e32 v1, 0x4f7ffffe, v1
	v_cvt_u32_f32_e32 v1, v1
	s_nop 0
	v_readfirstlane_b32 s20, v1
	s_mul_i32 s19, s19, s20
	s_mul_hi_u32 s19, s20, s19
	s_add_i32 s20, s20, s19
	s_mul_hi_u32 s19, s16, s20
	s_mul_i32 s20, s19, s18
	s_sub_i32 s16, s16, s20
	s_add_i32 s21, s19, 1
	s_sub_i32 s20, s16, s18
	s_cmp_ge_u32 s16, s18
	s_cselect_b32 s19, s21, s19
	s_cselect_b32 s16, s20, s16
	s_add_i32 s20, s19, 1
	s_cmp_ge_u32 s16, s18
	s_cselect_b32 s16, s20, s19
	s_xor_b32 s16, s16, s17
	s_sub_i32 s62, s16, s17
	s_mul_i32 s13, s62, s13
	s_sub_i32 s13, s14, s13
	s_mul_i32 s13, s15, s13
	s_add_i32 s4, s4, -1
	s_add_i32 s65, s13, s65
	s_add_u32 s8, s8, -4
	s_addc_u32 s9, s9, -1
	s_cmp_gt_u32 s4, 2
	s_cbranch_scc1 .LBB43_6
.LBB43_7:
	s_load_dword s4, s[0:1], 0x6c
	s_load_dword s14, s[0:1], 0x290
	s_add_u32 s8, s0, 0x1c0
	s_addc_u32 s9, s1, 0
	s_mov_b32 s67, 0
	s_waitcnt lgkmcnt(0)
	s_cmp_lt_i32 s14, 2
	s_cbranch_scc1 .LBB43_10
; %bb.8:
	s_add_i32 s66, s14, -1
	s_add_i32 s13, s14, 1
	s_lshl_b64 s[14:15], s[66:67], 2
	s_add_u32 s8, s8, s14
	s_addc_u32 s9, s9, s15
	s_add_u32 s8, s8, 8
	s_addc_u32 s9, s9, 0
.LBB43_9:                               ; =>This Inner Loop Header: Depth=1
	s_load_dword s14, s[8:9], 0x0
	s_load_dword s16, s[8:9], 0x64
	s_abs_i32 s17, s33
	s_mov_b32 s15, s33
	s_waitcnt lgkmcnt(0)
	s_abs_i32 s19, s14
	v_cvt_f32_u32_e32 v1, s19
	s_sub_i32 s20, 0, s19
	s_xor_b32 s18, s33, s14
	s_ashr_i32 s18, s18, 31
	v_rcp_iflag_f32_e32 v1, v1
	s_nop 0
	v_mul_f32_e32 v1, 0x4f7ffffe, v1
	v_cvt_u32_f32_e32 v1, v1
	s_nop 0
	v_readfirstlane_b32 s21, v1
	s_mul_i32 s20, s20, s21
	s_mul_hi_u32 s20, s21, s20
	s_add_i32 s21, s21, s20
	s_mul_hi_u32 s20, s17, s21
	s_mul_i32 s21, s20, s19
	s_sub_i32 s17, s17, s21
	s_add_i32 s22, s20, 1
	s_sub_i32 s21, s17, s19
	s_cmp_ge_u32 s17, s19
	s_cselect_b32 s20, s22, s20
	s_cselect_b32 s17, s21, s17
	s_add_i32 s21, s20, 1
	s_cmp_ge_u32 s17, s19
	s_cselect_b32 s17, s21, s20
	s_xor_b32 s17, s17, s18
	s_sub_i32 s33, s17, s18
	s_mul_i32 s14, s33, s14
	s_sub_i32 s14, s15, s14
	s_mul_i32 s14, s16, s14
	s_add_i32 s13, s13, -1
	s_add_i32 s67, s14, s67
	s_add_u32 s8, s8, -4
	s_addc_u32 s9, s9, -1
	s_cmp_gt_u32 s13, 2
	s_cbranch_scc1 .LBB43_9
.LBB43_10:
	s_load_dword s6, s[6:7], 0x6c
                                        ; implicit-def: $vgpr60 : SGPR spill to VGPR lane
	v_cmp_eq_u32_e64 s[14:15], 0, v0
	s_waitcnt lgkmcnt(0)
	v_writelane_b32 v60, s6, 0
	s_load_dwordx2 s[6:7], s[0:1], 0x0
	s_load_dwordx2 s[8:9], s[0:1], 0xe8
	s_waitcnt lgkmcnt(0)
	v_writelane_b32 v60, s8, 1
	s_nop 1
	v_writelane_b32 v60, s9, 2
	s_load_dwordx2 s[8:9], s[0:1], 0x1c0
	s_waitcnt lgkmcnt(0)
	v_writelane_b32 v60, s8, 3
	s_nop 1
	v_writelane_b32 v60, s9, 4
	s_mov_b64 s[8:9], exec
	v_writelane_b32 v60, s14, 5
	s_nop 1
	v_writelane_b32 v60, s15, 6
	s_and_b64 s[14:15], s[8:9], s[14:15]
	s_mov_b64 exec, s[14:15]
; %bb.11:
	v_mov_b32_e32 v2, 0
	v_mov_b32_e32 v3, s60
	;; [unrolled: 1-line block ×3, first 2 shown]
	ds_write_b96 v2, v[2:4] offset:4096
; %bb.12:
	s_or_b64 exec, exec, s[8:9]
	s_load_dword s0, s[0:1], 0x22c
	s_waitcnt lgkmcnt(0)
	s_barrier
	v_mbcnt_lo_u32_b32 v1, -1, 0
	v_writelane_b32 v60, s0, 7
	s_mul_i32 s0, s4, s3
	s_load_dword s3, s[10:11], 0xc
	s_add_i32 s0, s0, s5
	s_ashr_i32 s1, s0, 31
	s_lshl_b64 s[0:1], s[0:1], 3
	s_add_u32 s72, s6, s0
	s_addc_u32 s73, s7, s1
	s_waitcnt lgkmcnt(0)
	s_and_b32 s64, s3, 0xffff
	v_mbcnt_hi_u32_b32 v34, -1, v1
	v_cmp_gt_u32_e32 vcc, 64, v0
	v_cmp_gt_i32_e64 s[4:5], 4, v34
	s_add_i32 s6, s64, -1
	s_lshl_b32 s82, s64, 2
	s_and_b64 s[76:77], vcc, s[4:5]
	s_add_i32 s17, s6, s60
	v_writelane_b32 v60, s6, 8
	s_cmpk_gt_i32 s60, 0x180
	v_cmp_gt_u32_e64 s[6:7], s60, v0
	s_cselect_b64 s[78:79], -1, 0
	s_cmp_gt_u32 s64, 63
	v_writelane_b32 v60, s6, 9
	s_cselect_b64 s[80:81], -1, 0
	s_cmp_lt_u32 s2, s12
	v_writelane_b32 v60, s7, 10
	v_cmp_gt_i32_e64 s[6:7], s60, v0
	s_cselect_b32 s2, 12, 18
	v_lshlrev_b64 v[2:3], v34, -1
	v_writelane_b32 v60, s6, 11
	v_not_b32_e32 v22, v2
	v_lshrrev_b32_e32 v2, 2, v0
	v_writelane_b32 v60, s7, 12
	s_add_u32 s6, s10, s2
	s_addc_u32 s7, s11, 0
	v_writelane_b32 v60, s6, 13
	v_and_b32_e32 v2, 0xf0, v2
	v_or_b32_e32 v37, 0xc00, v2
	v_writelane_b32 v60, s7, 14
	s_bfe_u32 s6, s3, 0xa0006
	s_add_i32 s2, s6, -2
	s_lshr_b32 s3, s2, 1
	s_add_i32 s3, s3, 1
	s_cmpk_gt_u32 s64, 0x7f
	s_cselect_b64 s[8:9], -1, 0
	v_writelane_b32 v60, s8, 15
	v_cvt_f32_u32_e32 v2, s82
	s_and_b32 s7, s6, 0x3fe
	v_writelane_b32 v60, s9, 16
	s_and_b32 s8, s3, 7
	s_cmp_gt_u32 s2, 13
	s_cselect_b64 s[10:11], -1, 0
	v_writelane_b32 v60, s10, 17
	v_rcp_iflag_f32_e32 v2, v2
	s_and_b32 s2, s3, -8
	v_writelane_b32 v60, s11, 18
	v_writelane_b32 v60, s2, 19
	s_cmp_lg_u32 s8, 0
	v_writelane_b32 v60, s8, 20
	s_cselect_b64 s[2:3], -1, 0
	v_writelane_b32 v60, s2, 21
	v_mul_f32_e32 v2, 0x4f7ffffe, v2
	v_cvt_u32_f32_e32 v2, v2
	v_writelane_b32 v60, s3, 22
	v_writelane_b32 v60, s6, 23
	s_cmp_lg_u32 s7, s6
	v_writelane_b32 v60, s7, 24
	s_cselect_b64 s[2:3], -1, 0
	v_writelane_b32 v60, s2, 25
	v_not_b32_e32 v1, v3
	v_cvt_f32_u32_e32 v3, s64
	v_writelane_b32 v60, s3, 26
	s_sub_i32 s2, 0, s82
	v_readfirstlane_b32 s3, v2
	s_mul_i32 s2, s2, s3
	s_mul_hi_u32 s2, s3, s2
	s_add_i32 s84, s3, s2
	s_mul_hi_u32 s2, s60, s84
	s_mul_i32 s2, s2, s82
	s_sub_i32 s2, s60, s2
	s_sub_i32 s3, s2, s82
	s_cmp_ge_u32 s2, s82
	s_cselect_b32 s2, s3, s2
	s_sub_i32 s3, s2, s82
	s_cmp_ge_u32 s2, s82
	s_cselect_b32 s2, s3, s2
	s_sub_i32 s85, s60, s2
	v_rcp_iflag_f32_e32 v5, v3
	v_add_u32_e32 v38, s85, v0
	v_mul_lo_u32 v2, v38, s63
	v_ashrrev_i32_e32 v3, 31, v2
	v_lshl_add_u64 v[24:25], v[2:3], 3, s[72:73]
	v_mul_f32_e32 v2, 0x4f7ffffe, v5
	v_cvt_u32_f32_e32 v2, v2
	s_sub_i32 s7, 0, s64
	s_abs_i32 s6, s17
	s_ashr_i32 s3, s17, 31
	v_readfirstlane_b32 s8, v2
	s_mul_i32 s7, s7, s8
	s_mul_hi_u32 s7, s8, s7
	s_add_i32 s7, s8, s7
	v_writelane_b32 v60, s7, 27
	s_mul_hi_u32 s7, s6, s7
	s_mul_i32 s7, s7, s64
	s_sub_i32 s6, s6, s7
	s_sub_i32 s7, s6, s64
	s_cmp_ge_u32 s6, s64
	s_cselect_b32 s6, s7, s6
	s_sub_i32 s7, s6, s64
	s_cmp_ge_u32 s6, s64
	s_cselect_b32 s6, s7, s6
	v_lshlrev_b32_e32 v23, 2, v0
	s_xor_b32 s6, s6, s3
	s_sub_i32 s3, s3, s6
	v_mul_lo_u32 v2, s63, v23
	s_add_i32 s17, s17, s3
	v_add_u32_e32 v39, s63, v2
	v_or_b32_e32 v2, 2, v23
	v_cmp_gt_i32_e64 s[6:7], s17, v0
	v_mul_lo_u32 v40, s63, v2
	v_or_b32_e32 v2, 3, v23
	s_add_i32 s3, s64, s60
	v_mov_b32_e32 v19, 0
	v_writelane_b32 v60, s6, 28
	v_mul_lo_u32 v41, s63, v2
	v_add_u32_e32 v2, s3, v0
	v_lshlrev_b32_e32 v35, 3, v0
	v_mul_lo_u32 v16, s63, v0
	v_mov_b32_e32 v17, v19
	v_lshlrev_b32_e32 v4, 2, v34
	s_mov_b32 s18, 0
	s_mov_b32 s19, 1
	v_writelane_b32 v60, s7, 29
	s_mul_i32 s66, s63, s64
	v_subrev_u32_e32 v2, s2, v2
	v_cmp_eq_u32_e64 s[0:1], 0, v34
	v_cmp_gt_u32_e64 s[4:5], 2, v0
	v_add_u32_e32 v36, 0xc00, v35
	v_lshl_add_u64 v[20:21], v[16:17], 3, s[72:73]
	v_and_b32_e32 v17, 0x100, v4
	v_cmp_gt_i32_e64 s[10:11], s85, v23
	v_cmp_gt_u32_e64 s[12:13], s60, v38
	v_cmp_gt_i32_e64 s[14:15], s60, v38
	s_lshl_b32 s83, s66, 2
	v_lshlrev_b32_e32 v42, 2, v16
	v_mul_lo_u32 v43, s63, v2
	v_lshlrev_b32_e32 v44, 5, v0
	s_lshl_b32 s16, s64, 5
	s_lshl_b32 s6, s64, 3
	v_or_b32_e32 v45, 0xc00, v4
	s_mov_b32 s7, 62
	v_mov_b64_e32 v[6:7], 0
	s_mov_b64 s[92:93], 0
	v_mov_b32_e32 v47, s61
	v_mov_b64_e32 v[26:27], 0
	v_mov_b64_e32 v[28:29], 0
	v_mov_b32_e32 v49, s60
	v_mov_b32_e32 v3, 0x3ff00000
	v_mov_b32_e32 v46, 0xc00
	v_mov_b32_e32 v50, v19
	v_mov_b32_e32 v51, v19
	v_writelane_b32 v60, s18, 30
	s_mov_b32 s61, s18
                                        ; implicit-def: $sgpr94_sgpr95
                                        ; implicit-def: $sgpr98_sgpr99
                                        ; implicit-def: $sgpr96_sgpr97
                                        ; implicit-def: $sgpr70_sgpr71
                                        ; implicit-def: $sgpr86_sgpr87
                                        ; implicit-def: $sgpr68_sgpr69
	s_nop 0
	v_writelane_b32 v60, s19, 31
	s_branch .LBB43_16
.LBB43_13:                              ;   in Loop: Header=BB43_16 Depth=1
	s_or_b64 exec, exec, s[24:25]
	s_and_b64 s[24:25], s[22:23], exec
	s_andn2_b64 s[28:29], s[28:29], exec
	s_andn2_b64 s[26:27], s[26:27], exec
	s_orn2_b64 s[22:23], s[8:9], exec
.LBB43_14:                              ;   in Loop: Header=BB43_16 Depth=1
	s_or_b64 exec, exec, s[2:3]
	s_andn2_b64 s[2:3], s[68:69], exec
	s_and_b64 s[8:9], s[24:25], exec
	s_or_b64 s[68:69], s[2:3], s[8:9]
	s_andn2_b64 s[2:3], s[86:87], exec
	s_and_b64 s[8:9], s[28:29], exec
	s_or_b64 s[86:87], s[2:3], s[8:9]
	;; [unrolled: 3-line block ×3, first 2 shown]
	s_orn2_b64 s[8:9], s[22:23], exec
.LBB43_15:                              ;   in Loop: Header=BB43_16 Depth=1
	s_or_b64 exec, exec, s[20:21]
	s_and_b64 s[2:3], exec, s[8:9]
	s_or_b64 s[92:93], s[2:3], s[92:93]
	s_andn2_b64 s[2:3], s[96:97], exec
	s_and_b64 s[8:9], s[68:69], exec
	s_or_b64 s[96:97], s[2:3], s[8:9]
	s_andn2_b64 s[2:3], s[98:99], exec
	s_and_b64 s[8:9], s[86:87], exec
	;; [unrolled: 3-line block ×3, first 2 shown]
	s_or_b64 s[94:95], s[2:3], s[8:9]
	s_mov_b32 s61, s35
	s_mov_b32 s7, s34
	v_mov_b32_e32 v47, v11
	s_andn2_b64 exec, exec, s[92:93]
	s_cbranch_execz .LBB43_251
.LBB43_16:                              ; =>This Loop Header: Depth=1
                                        ;     Child Loop BB43_22 Depth 2
                                        ;     Child Loop BB43_37 Depth 2
	;; [unrolled: 1-line block ×17, first 2 shown]
	s_waitcnt vmcnt(0)
	ds_read_b64 v[4:5], v19 offset:4096
	s_waitcnt lgkmcnt(0)
	v_readfirstlane_b32 s18, v4
	s_cmp_gt_i32 s18, 0
	s_cbranch_scc1 .LBB43_44
; %bb.17:                               ;   in Loop: Header=BB43_16 Depth=1
	s_and_b64 vcc, exec, s[78:79]
	s_cbranch_vccz .LBB43_30
; %bb.18:                               ;   in Loop: Header=BB43_16 Depth=1
	s_movk_i32 s2, 0x181
	v_cmp_gt_i32_e32 vcc, s2, v5
	s_mov_b64 s[8:9], 0
	s_mov_b64 s[2:3], 0
	s_cbranch_vccz .LBB43_31
; %bb.19:                               ;   in Loop: Header=BB43_16 Depth=1
	s_mov_b64 s[20:21], exec
	v_readlane_b32 s2, v60, 9
	v_readlane_b32 s3, v60, 10
	s_and_b64 s[2:3], s[20:21], s[2:3]
	s_mov_b64 exec, s[2:3]
	s_cbranch_execz .LBB43_76
; %bb.20:                               ;   in Loop: Header=BB43_16 Depth=1
	v_readlane_b32 s2, v60, 13
	v_readlane_b32 s3, v60, 14
	s_nop 4
	global_load_ushort v2, v19, s[2:3]
	global_load_dwordx2 v[4:5], v[20:21], off
	s_mov_b64 s[22:23], 0
	v_mov_b32_e32 v11, v0
	s_waitcnt vmcnt(1)
	v_add_u32_e32 v8, v0, v2
	v_mul_lo_u32 v10, s63, v2
	v_mul_lo_u32 v18, s63, v8
	s_branch .LBB43_22
.LBB43_21:                              ;   in Loop: Header=BB43_22 Depth=2
	s_or_b64 exec, exec, s[2:3]
	v_cmp_le_i32_e32 vcc, s60, v11
	v_add_u32_e32 v18, v18, v10
	s_or_b64 s[22:23], vcc, s[22:23]
	v_mov_b64_e32 v[4:5], v[8:9]
	s_andn2_b64 exec, exec, s[22:23]
	s_cbranch_execz .LBB43_76
.LBB43_22:                              ;   Parent Loop BB43_16 Depth=1
                                        ; =>  This Inner Loop Header: Depth=2
	v_add_u32_e32 v11, v11, v2
	v_cmp_gt_u32_e32 vcc, s60, v11
	v_mov_b64_e32 v[8:9], 0
	s_and_saveexec_b64 s[2:3], vcc
	s_cbranch_execz .LBB43_24
; %bb.23:                               ;   in Loop: Header=BB43_22 Depth=2
	v_lshl_add_u64 v[8:9], v[18:19], 3, s[72:73]
	global_load_dwordx2 v[8:9], v[8:9], off
.LBB43_24:                              ;   in Loop: Header=BB43_22 Depth=2
	s_or_b64 exec, exec, s[2:3]
	s_waitcnt vmcnt(0) lgkmcnt(0)
	v_ashrrev_i32_e32 v12, 31, v5
	v_or_b32_e32 v13, 0x80000000, v12
	v_xor_b32_e32 v13, v13, v5
	v_xor_b32_e32 v12, v12, v4
	v_cmp_o_f64_e32 vcc, v[4:5], v[4:5]
	s_nop 1
	v_cndmask_b32_e32 v13, -1, v13, vcc
	v_cndmask_b32_e32 v12, -1, v12, vcc
	v_and_b32_e32 v13, v13, v29
	v_and_b32_e32 v12, v12, v28
	v_cmp_eq_u64_e32 vcc, v[12:13], v[26:27]
	s_cmp_lg_u64 vcc, 0
	s_cselect_b64 s[2:3], -1, 0
	s_and_b64 s[2:3], s[0:1], s[2:3]
	v_mov_b32_e32 v12, 0
	s_and_saveexec_b64 s[24:25], s[2:3]
	s_cbranch_execz .LBB43_28
; %bb.25:                               ;   in Loop: Header=BB43_22 Depth=2
	s_mov_b64 s[28:29], exec
	v_mbcnt_lo_u32_b32 v12, s28, 0
	v_mbcnt_hi_u32_b32 v12, s29, v12
	s_bcnt1_i32_b64 s19, vcc
	v_cmp_eq_u32_e64 s[2:3], 0, v12
                                        ; implicit-def: $vgpr13
	s_and_saveexec_b64 s[26:27], s[2:3]
; %bb.26:                               ;   in Loop: Header=BB43_22 Depth=2
	s_bcnt1_i32_b64 s2, s[28:29]
	s_mul_i32 s2, s19, s2
	v_mov_b32_e32 v13, s2
	ds_add_rtn_u32 v13, v19, v13 offset:4104
; %bb.27:                               ;   in Loop: Header=BB43_22 Depth=2
	s_or_b64 exec, exec, s[26:27]
	s_waitcnt lgkmcnt(0)
	v_readfirstlane_b32 s2, v13
	s_nop 1
	v_mov_b32_e32 v13, s2
	v_mad_u32_u24 v12, s19, v12, v13
.LBB43_28:                              ;   in Loop: Header=BB43_22 Depth=2
	s_or_b64 exec, exec, s[24:25]
	ds_bpermute_b32 v12, v17, v12
	s_and_saveexec_b64 s[2:3], vcc
	s_cbranch_execz .LBB43_21
; %bb.29:                               ;   in Loop: Header=BB43_22 Depth=2
	v_and_b32_e32 v14, vcc_lo, v22
	v_and_b32_e32 v13, vcc_hi, v1
	v_bcnt_u32_b32 v14, v14, 0
	v_bcnt_u32_b32 v13, v13, v14
	v_lshlrev_b32_e32 v13, 3, v13
	s_waitcnt lgkmcnt(0)
	v_lshl_add_u32 v12, v12, 3, v13
	ds_write_b64 v12, v[4:5]
	s_branch .LBB43_21
.LBB43_30:                              ;   in Loop: Header=BB43_16 Depth=1
	s_mov_b64 s[8:9], -1
	s_mov_b64 s[2:3], 0
.LBB43_31:                              ;   in Loop: Header=BB43_16 Depth=1
	s_and_b64 vcc, exec, s[8:9]
	s_cbranch_vccz .LBB43_42
.LBB43_32:                              ;   in Loop: Header=BB43_16 Depth=1
	v_mov_b64_e32 v[4:5], 0
	s_mov_b64 s[2:3], exec
	v_readlane_b32 s8, v60, 9
	v_readlane_b32 s9, v60, 10
	s_and_b64 s[8:9], s[2:3], s[8:9]
	s_mov_b64 exec, s[8:9]
	s_cbranch_execz .LBB43_34
; %bb.33:                               ;   in Loop: Header=BB43_16 Depth=1
	global_load_dwordx2 v[4:5], v[20:21], off
.LBB43_34:                              ;   in Loop: Header=BB43_16 Depth=1
	s_or_b64 exec, exec, s[2:3]
	s_mov_b64 s[2:3], exec
	v_readlane_b32 s8, v60, 11
	v_readlane_b32 s9, v60, 12
	s_and_b64 s[8:9], s[2:3], s[8:9]
	s_mov_b64 exec, s[8:9]
	s_cbranch_execz .LBB43_39
; %bb.35:                               ;   in Loop: Header=BB43_16 Depth=1
	v_readlane_b32 s8, v60, 13
	v_readlane_b32 s9, v60, 14
	v_mov_b32_e32 v10, v35
	v_mov_b32_e32 v13, v0
	s_nop 2
	global_load_ushort v2, v19, s[8:9]
	s_mov_b64 s[8:9], 0
	s_waitcnt vmcnt(0)
	v_add_u32_e32 v8, v0, v2
	v_lshlrev_b32_e32 v11, 3, v2
	v_mul_lo_u32 v12, s63, v2
	v_mul_lo_u32 v18, s63, v8
	s_branch .LBB43_37
.LBB43_36:                              ;   in Loop: Header=BB43_37 Depth=2
	s_or_b64 exec, exec, s[20:21]
	v_cmp_le_i32_e32 vcc, s60, v13
	ds_write_b64 v10, v[4:5]
	v_add_u32_e32 v10, v10, v11
	v_add_u32_e32 v18, v18, v12
	s_or_b64 s[8:9], vcc, s[8:9]
	s_waitcnt vmcnt(0)
	v_mov_b64_e32 v[4:5], v[8:9]
	s_andn2_b64 exec, exec, s[8:9]
	s_cbranch_execz .LBB43_39
.LBB43_37:                              ;   Parent Loop BB43_16 Depth=1
                                        ; =>  This Inner Loop Header: Depth=2
	v_add_u32_e32 v13, v13, v2
	v_cmp_gt_u32_e32 vcc, s60, v13
	v_mov_b64_e32 v[8:9], 0
	s_and_saveexec_b64 s[20:21], vcc
	s_cbranch_execz .LBB43_36
; %bb.38:                               ;   in Loop: Header=BB43_37 Depth=2
	v_lshl_add_u64 v[8:9], v[18:19], 3, s[72:73]
	global_load_dwordx2 v[8:9], v[8:9], off
	s_branch .LBB43_36
.LBB43_39:                              ;   in Loop: Header=BB43_16 Depth=1
	s_or_b64 exec, exec, s[2:3]
	s_waitcnt lgkmcnt(0)
	s_barrier
	s_mov_b64 s[2:3], exec
	v_readlane_b32 s8, v60, 5
	v_readlane_b32 s9, v60, 6
	s_and_b64 s[8:9], s[2:3], s[8:9]
	s_mov_b64 exec, s[8:9]
; %bb.40:                               ;   in Loop: Header=BB43_16 Depth=1
	ds_write_b32 v19, v49 offset:4096
; %bb.41:                               ;   in Loop: Header=BB43_16 Depth=1
	s_or_b64 exec, exec, s[2:3]
	s_mov_b64 s[2:3], -1
	s_waitcnt lgkmcnt(0)
	s_barrier
.LBB43_42:                              ;   in Loop: Header=BB43_16 Depth=1
	s_and_b64 vcc, exec, s[2:3]
	s_cbranch_vccz .LBB43_44
; %bb.43:                               ;   in Loop: Header=BB43_16 Depth=1
	ds_read_b32 v2, v19 offset:4096
	s_waitcnt lgkmcnt(0)
	v_readfirstlane_b32 s18, v2
.LBB43_44:                              ;   in Loop: Header=BB43_16 Depth=1
	s_cmp_lt_i32 s18, 1
	s_mov_b64 s[2:3], -1
                                        ; implicit-def: $vgpr10_vgpr11
	s_cbranch_scc1 .LBB43_54
; %bb.45:                               ;   in Loop: Header=BB43_16 Depth=1
	s_and_b64 vcc, exec, s[2:3]
	s_cbranch_vccnz .LBB43_67
.LBB43_46:                              ;   in Loop: Header=BB43_16 Depth=1
	s_lshl_b32 s18, s61, 6
	s_and_saveexec_b64 s[2:3], s[0:1]
.LBB43_47:                              ;   in Loop: Header=BB43_16 Depth=1
	v_lshl_add_u32 v2, s18, 2, v37
	ds_write_b128 v2, v[8:11]
.LBB43_48:                              ;   in Loop: Header=BB43_16 Depth=1
	s_or_b64 exec, exec, s[2:3]
	s_waitcnt lgkmcnt(0)
	s_barrier
	s_and_saveexec_b64 s[2:3], s[76:77]
	s_cbranch_execz .LBB43_87
; %bb.49:                               ;   in Loop: Header=BB43_16 Depth=1
	v_add_u32_e32 v2, s18, v34
	s_andn2_b64 vcc, exec, s[80:81]
	s_waitcnt vmcnt(0)
	v_mov_b32_e32 v4, 0
	s_cbranch_vccnz .LBB43_86
; %bb.50:                               ;   in Loop: Header=BB43_16 Depth=1
	v_readlane_b32 s8, v60, 15
	v_readlane_b32 s9, v60, 16
	s_andn2_b64 vcc, exec, s[8:9]
	s_cbranch_vccnz .LBB43_79
; %bb.51:                               ;   in Loop: Header=BB43_16 Depth=1
	v_readlane_b32 s8, v60, 17
	v_readlane_b32 s9, v60, 18
	s_andn2_b64 vcc, exec, s[8:9]
	v_lshl_add_u32 v8, v2, 2, v46
	s_cbranch_vccnz .LBB43_80
; %bb.52:                               ;   in Loop: Header=BB43_16 Depth=1
	s_mov_b32 s9, 1
	s_mov_b32 s8, 0
	v_mov_b32_e32 v4, 0
	v_mov_b32_e32 v5, 0
	v_readlane_b32 s19, v60, 19
.LBB43_53:                              ;   Parent Loop BB43_16 Depth=1
                                        ; =>  This Inner Loop Header: Depth=2
	v_lshl_add_u32 v9, s8, 4, v8
	v_lshl_add_u32 v18, s9, 4, v8
	ds_read2_b32 v[10:11], v9 offset1:8
	ds_read2_b32 v[12:13], v18 offset1:8
	ds_read2_b32 v[14:15], v9 offset0:16 offset1:24
	ds_read2_b32 v[30:31], v18 offset0:16 offset1:24
	;; [unrolled: 1-line block ×6, first 2 shown]
	s_waitcnt lgkmcnt(7)
	v_add3_u32 v4, v10, v4, v11
	s_waitcnt lgkmcnt(6)
	v_add3_u32 v5, v12, v5, v13
	;; [unrolled: 2-line block ×3, first 2 shown]
	v_add3_u32 v4, v14, v4, v15
	s_add_i32 s9, s9, 16
	s_add_i32 s8, s8, 16
	s_add_i32 s19, s19, -8
	s_waitcnt lgkmcnt(3)
	v_add3_u32 v4, v32, v4, v33
	s_waitcnt lgkmcnt(2)
	v_add3_u32 v5, v52, v5, v53
	s_cmp_lg_u32 s19, 0
	s_waitcnt lgkmcnt(0)
	v_add3_u32 v5, v56, v5, v57
	v_add3_u32 v4, v54, v4, v55
	s_cbranch_scc1 .LBB43_53
	s_branch .LBB43_81
.LBB43_54:                              ;   in Loop: Header=BB43_16 Depth=1
	v_mov_b32_e32 v18, v19
	v_mov_b64_e32 v[10:11], v[18:19]
	v_mov_b64_e32 v[8:9], v[18:19]
	s_and_saveexec_b64 s[88:89], s[10:11]
	s_cbranch_execnz .LBB43_57
; %bb.55:                               ;   in Loop: Header=BB43_16 Depth=1
	s_or_b64 exec, exec, s[88:89]
	v_mov_b64_e32 v[12:13], 0
	s_and_saveexec_b64 s[2:3], s[12:13]
	s_cbranch_execnz .LBB43_60
.LBB43_56:                              ;   in Loop: Header=BB43_16 Depth=1
	s_or_b64 exec, exec, s[2:3]
	s_and_saveexec_b64 s[8:9], s[14:15]
	s_cbranch_execnz .LBB43_61
	s_branch .LBB43_66
.LBB43_57:                              ;   in Loop: Header=BB43_16 Depth=1
	s_mov_b32 s19, 0
	s_mov_b64 s[90:91], 0
	v_mov_b32_e32 v2, v23
	s_mov_b32 s74, 0
	s_mov_b32 s75, s19
	;; [unrolled: 1-line block ×4, first 2 shown]
.LBB43_58:                              ;   Parent Loop BB43_16 Depth=1
                                        ; =>  This Inner Loop Header: Depth=2
	v_add_u32_e32 v12, s19, v42
	v_add_u32_e32 v14, s19, v39
	;; [unrolled: 1-line block ×4, first 2 shown]
	v_ashrrev_i32_e32 v13, 31, v12
	v_ashrrev_i32_e32 v15, 31, v14
	;; [unrolled: 1-line block ×4, first 2 shown]
	v_lshl_add_u64 v[12:13], v[12:13], 3, s[72:73]
	v_lshl_add_u64 v[14:15], v[14:15], 3, s[72:73]
	;; [unrolled: 1-line block ×4, first 2 shown]
	global_load_dwordx2 v[12:13], v[12:13], off
	s_nop 0
	global_load_dwordx2 v[14:15], v[14:15], off
	s_nop 0
	;; [unrolled: 2-line block ×3, first 2 shown]
	global_load_dwordx2 v[32:33], v[32:33], off
	s_waitcnt vmcnt(4)
	v_mov_b32_e32 v5, v19
	v_mov_b32_e32 v9, v19
	;; [unrolled: 1-line block ×3, first 2 shown]
	v_add_u32_e32 v2, s82, v2
	s_add_i32 s19, s19, s83
	v_cmp_le_i32_e32 vcc, s85, v2
	s_waitcnt vmcnt(3)
	v_ashrrev_i32_e32 v4, 31, v13
	s_waitcnt vmcnt(2)
	v_ashrrev_i32_e32 v8, 31, v15
	v_xor_b32_e32 v48, v8, v14
	s_waitcnt vmcnt(0)
	v_ashrrev_i32_e32 v18, 31, v33
	v_cmp_o_f64_e64 s[2:3], v[14:15], v[14:15]
	v_xor_b32_e32 v14, v4, v12
	v_or_b32_e32 v4, 0x80000000, v4
	v_ashrrev_i32_e32 v10, 31, v31
	v_cmp_o_f64_e64 s[24:25], v[12:13], v[12:13]
	v_or_b32_e32 v8, 0x80000000, v8
	v_or_b32_e32 v12, 0x80000000, v18
	v_xor_b32_e32 v4, v4, v13
	v_xor_b32_e32 v52, v10, v30
	v_cmp_o_f64_e64 s[20:21], v[30:31], v[30:31]
	v_xor_b32_e32 v53, v18, v32
	v_cmp_o_f64_e64 s[22:23], v[32:33], v[32:33]
	v_or_b32_e32 v10, 0x80000000, v10
	v_xor_b32_e32 v8, v8, v15
	v_xor_b32_e32 v18, v12, v33
	v_cndmask_b32_e64 v12, -1, v14, s[24:25]
	v_cndmask_b32_e64 v13, -1, v4, s[24:25]
	v_xor_b32_e32 v10, v10, v31
	v_cndmask_b32_e64 v14, -1, v48, s[2:3]
	v_cndmask_b32_e64 v30, -1, v52, s[20:21]
	;; [unrolled: 1-line block ×4, first 2 shown]
	v_and_b32_e32 v52, v12, v28
	v_and_b32_e32 v53, v13, v29
	v_lshrrev_b64 v[12:13], s7, v[12:13]
	v_cndmask_b32_e64 v31, -1, v10, s[20:21]
	v_cndmask_b32_e64 v33, -1, v18, s[22:23]
	v_and_b32_e32 v54, v14, v28
	v_and_b32_e32 v55, v15, v29
	v_lshrrev_b64 v[14:15], s7, v[14:15]
	v_and_b32_e32 v18, 3, v12
	v_and_b32_e32 v56, v30, v28
	;; [unrolled: 1-line block ×3, first 2 shown]
	v_lshrrev_b64 v[30:31], s7, v[30:31]
	v_cmp_eq_u64_e64 s[2:3], v[52:53], v[26:27]
	v_and_b32_e32 v4, 3, v14
	v_cmp_eq_u64_e64 s[26:27], 0, v[18:19]
	v_and_b32_e32 v58, v32, v28
	v_and_b32_e32 v59, v33, v29
	v_lshrrev_b64 v[32:33], s7, v[32:33]
	v_cmp_eq_u64_e64 s[20:21], v[54:55], v[26:27]
	v_and_b32_e32 v8, 3, v30
	v_cmp_eq_u64_e64 s[28:29], 0, v[4:5]
	s_and_b64 s[26:27], s[2:3], s[26:27]
	v_cmp_eq_u64_e64 s[22:23], v[56:57], v[26:27]
	v_and_b32_e32 v10, 3, v32
	v_cmp_eq_u64_e64 s[30:31], 0, v[8:9]
	v_cmp_eq_u64_e64 s[38:39], 1, v[4:5]
	v_cmp_eq_u64_e64 s[46:47], 2, v[4:5]
	v_cmp_eq_u64_e64 s[54:55], 3, v[4:5]
	v_cndmask_b32_e64 v4, 0, 1, s[26:27]
	s_and_b64 s[26:27], s[20:21], s[28:29]
	v_cmp_eq_u64_e64 s[24:25], v[58:59], v[26:27]
	v_cmp_eq_u64_e64 s[34:35], 0, v[10:11]
	v_cndmask_b32_e64 v5, 0, 1, s[26:27]
	s_and_b64 s[26:27], s[22:23], s[30:31]
	v_cmp_eq_u64_e64 s[36:37], 1, v[18:19]
	v_cmp_eq_u64_e64 s[40:41], 1, v[8:9]
	;; [unrolled: 1-line block ×4, first 2 shown]
	v_cndmask_b32_e64 v8, 0, 1, s[26:27]
	s_and_b64 s[26:27], s[24:25], s[34:35]
	v_cndmask_b32_e64 v9, 0, 1, s[26:27]
	s_and_b64 s[26:27], s[2:3], s[36:37]
	v_cmp_eq_u64_e64 s[42:43], 1, v[10:11]
	v_cmp_eq_u64_e64 s[50:51], 2, v[10:11]
	;; [unrolled: 1-line block ×3, first 2 shown]
	v_cndmask_b32_e64 v10, 0, 1, s[26:27]
	s_and_b64 s[26:27], s[20:21], s[38:39]
	v_cndmask_b32_e64 v11, 0, 1, s[26:27]
	s_and_b64 s[26:27], s[22:23], s[40:41]
	v_cmp_eq_u64_e64 s[44:45], 2, v[18:19]
	v_cmp_eq_u64_e64 s[52:53], 3, v[18:19]
	v_cndmask_b32_e64 v12, 0, 1, s[26:27]
	s_and_b64 s[26:27], s[24:25], s[42:43]
	v_cndmask_b32_e64 v13, 0, 1, s[26:27]
	s_and_b64 s[26:27], s[2:3], s[44:45]
	s_and_b64 s[2:3], s[2:3], s[52:53]
	v_cndmask_b32_e64 v14, 0, 1, s[26:27]
	s_and_b64 s[26:27], s[20:21], s[46:47]
	v_cndmask_b32_e64 v31, 0, 1, s[2:3]
	;; [unrolled: 2-line block ×7, first 2 shown]
	v_cndmask_b32_e64 v48, 0, 1, s[2:3]
	v_cmp_ne_u32_e64 s[2:3], 0, v4
	v_cmp_ne_u32_e64 s[20:21], 0, v5
	;; [unrolled: 1-line block ×11, first 2 shown]
	s_bcnt1_i32_b64 s2, s[2:3]
	s_bcnt1_i32_b64 s3, s[20:21]
	;; [unrolled: 1-line block ×8, first 2 shown]
	v_cmp_ne_u32_e64 s[34:35], 0, v13
	v_cmp_ne_u32_e64 s[40:41], 0, v18
	;; [unrolled: 1-line block ×3, first 2 shown]
	s_bcnt1_i32_b64 s23, s[28:29]
	s_bcnt1_i32_b64 s27, s[38:39]
	;; [unrolled: 1-line block ×3, first 2 shown]
	s_add_i32 s2, s74, s2
	s_add_i32 s22, s75, s22
	;; [unrolled: 1-line block ×4, first 2 shown]
	v_cmp_ne_u32_e64 s[42:43], 0, v30
	v_cmp_ne_u32_e64 s[50:51], 0, v48
	s_bcnt1_i32_b64 s25, s[34:35]
	s_bcnt1_i32_b64 s28, s[40:41]
	;; [unrolled: 1-line block ×3, first 2 shown]
	s_add_i32 s22, s22, s23
	s_add_i32 s2, s2, s3
	;; [unrolled: 1-line block ×4, first 2 shown]
	s_bcnt1_i32_b64 s29, s[42:43]
	s_bcnt1_i32_b64 s35, s[50:51]
	s_add_i32 s2, s2, s20
	s_add_i32 s9, s22, s24
	;; [unrolled: 1-line block ×8, first 2 shown]
	s_or_b64 s[90:91], vcc, s[90:91]
	v_mov_b64_e32 v[8:9], s[74:75]
	v_mov_b64_e32 v[10:11], s[8:9]
	s_andn2_b64 exec, exec, s[90:91]
	s_cbranch_execnz .LBB43_58
; %bb.59:                               ;   in Loop: Header=BB43_16 Depth=1
	s_or_b64 exec, exec, s[90:91]
	s_or_b64 exec, exec, s[88:89]
	v_mov_b64_e32 v[12:13], 0
	s_and_saveexec_b64 s[2:3], s[12:13]
	s_cbranch_execz .LBB43_56
.LBB43_60:                              ;   in Loop: Header=BB43_16 Depth=1
	global_load_dwordx2 v[12:13], v[24:25], off
	s_or_b64 exec, exec, s[2:3]
	s_and_saveexec_b64 s[8:9], s[14:15]
	s_cbranch_execz .LBB43_66
.LBB43_61:                              ;   in Loop: Header=BB43_16 Depth=1
	s_mov_b64 s[20:21], 0
	s_waitcnt vmcnt(0)
	v_mov_b32_e32 v4, v43
	v_mov_b32_e32 v2, v38
	s_branch .LBB43_63
.LBB43_62:                              ;   in Loop: Header=BB43_63 Depth=2
	s_or_b64 exec, exec, s[2:3]
	v_ashrrev_i32_e32 v5, 31, v13
	v_or_b32_e32 v18, 0x80000000, v5
	v_xor_b32_e32 v18, v18, v13
	v_xor_b32_e32 v5, v5, v12
	v_cmp_o_f64_e32 vcc, v[12:13], v[12:13]
	v_add_u32_e32 v4, s66, v4
	s_nop 0
	v_cndmask_b32_e32 v13, -1, v18, vcc
	v_cndmask_b32_e32 v12, -1, v5, vcc
	v_and_b32_e32 v31, v13, v29
	v_and_b32_e32 v30, v12, v28
	v_lshrrev_b64 v[12:13], s7, v[12:13]
	v_and_b32_e32 v18, 3, v12
	v_cmp_eq_u64_e32 vcc, v[30:31], v[26:27]
	v_cmp_eq_u64_e64 s[2:3], 0, v[18:19]
	s_and_b64 s[2:3], vcc, s[2:3]
	s_waitcnt vmcnt(0)
	v_mov_b64_e32 v[12:13], v[14:15]
	v_cndmask_b32_e64 v5, 0, 1, s[2:3]
	v_cmp_ne_u32_e64 s[2:3], 0, v5
	s_bcnt1_i32_b64 s19, s[2:3]
	v_cmp_eq_u64_e64 s[2:3], 1, v[18:19]
	s_and_b64 s[2:3], vcc, s[2:3]
	v_add_u32_e32 v8, s19, v8
	v_cndmask_b32_e64 v5, 0, 1, s[2:3]
	v_cmp_ne_u32_e64 s[2:3], 0, v5
	s_bcnt1_i32_b64 s2, s[2:3]
	s_nop 0
	v_add_u32_e32 v9, s2, v9
	v_cmp_eq_u64_e64 s[2:3], 2, v[18:19]
	s_and_b64 s[2:3], vcc, s[2:3]
	s_nop 0
	v_cndmask_b32_e64 v5, 0, 1, s[2:3]
	v_cmp_ne_u32_e64 s[2:3], 0, v5
	s_bcnt1_i32_b64 s19, s[2:3]
	v_cmp_eq_u64_e64 s[2:3], 3, v[18:19]
	s_and_b64 s[2:3], vcc, s[2:3]
	v_add_u32_e32 v10, s19, v10
	v_cndmask_b32_e64 v5, 0, 1, s[2:3]
	v_cmp_ne_u32_e32 vcc, 0, v5
	s_bcnt1_i32_b64 s2, vcc
	v_cmp_le_i32_e32 vcc, s60, v2
	v_add_u32_e32 v11, s2, v11
	s_or_b64 s[20:21], vcc, s[20:21]
	s_andn2_b64 exec, exec, s[20:21]
	s_cbranch_execz .LBB43_65
.LBB43_63:                              ;   Parent Loop BB43_16 Depth=1
                                        ; =>  This Inner Loop Header: Depth=2
	v_add_u32_e32 v2, s64, v2
	v_cmp_gt_u32_e32 vcc, s60, v2
	v_mov_b64_e32 v[14:15], 0
	s_and_saveexec_b64 s[2:3], vcc
	s_cbranch_execz .LBB43_62
; %bb.64:                               ;   in Loop: Header=BB43_63 Depth=2
	v_ashrrev_i32_e32 v5, 31, v4
	v_lshl_add_u64 v[14:15], v[4:5], 3, s[72:73]
	global_load_dwordx2 v[14:15], v[14:15], off
	s_branch .LBB43_62
.LBB43_65:                              ;   in Loop: Header=BB43_16 Depth=1
	s_or_b64 exec, exec, s[20:21]
.LBB43_66:                              ;   in Loop: Header=BB43_16 Depth=1
	s_or_b64 exec, exec, s[8:9]
	s_branch .LBB43_46
.LBB43_67:                              ;   in Loop: Header=BB43_16 Depth=1
	s_mul_hi_u32 s2, s18, s84
	s_mul_i32 s2, s2, s82
	s_sub_i32 s2, s18, s2
	s_sub_i32 s3, s2, s82
	s_cmp_ge_u32 s2, s82
	s_cselect_b32 s2, s3, s2
	s_sub_i32 s3, s2, s82
	s_cmp_ge_u32 s2, s82
	s_cselect_b32 s2, s3, s2
	s_sub_i32 s19, s18, s2
	v_mov_b32_e32 v18, v19
	v_cmp_gt_u32_e32 vcc, s19, v23
	v_mov_b64_e32 v[10:11], v[18:19]
	v_mov_b64_e32 v[8:9], v[18:19]
	s_and_saveexec_b64 s[88:89], vcc
	s_cbranch_execz .LBB43_71
; %bb.68:                               ;   in Loop: Header=BB43_16 Depth=1
	s_mov_b32 s74, 0
	s_mov_b64 s[8:9], 0
	v_mov_b32_e32 v2, v44
	v_mov_b32_e32 v48, v23
	s_mov_b32 s75, s74
	s_mov_b32 s90, s74
	;; [unrolled: 1-line block ×3, first 2 shown]
.LBB43_69:                              ;   Parent Loop BB43_16 Depth=1
                                        ; =>  This Inner Loop Header: Depth=2
	s_waitcnt vmcnt(0)
	ds_read_b128 v[12:15], v2
	ds_read_b128 v[8:11], v2 offset:16
	v_mov_b32_e32 v5, v19
	v_mov_b32_e32 v31, v19
	;; [unrolled: 1-line block ×3, first 2 shown]
	s_waitcnt lgkmcnt(1)
	v_ashrrev_i32_e32 v4, 31, v13
	v_ashrrev_i32_e32 v18, 31, v15
	s_waitcnt lgkmcnt(0)
	v_ashrrev_i32_e32 v30, 31, v9
	v_ashrrev_i32_e32 v32, 31, v11
	v_xor_b32_e32 v52, v18, v14
	v_cmp_o_f64_e64 s[2:3], v[14:15], v[14:15]
	v_xor_b32_e32 v14, v30, v8
	v_cmp_o_f64_e64 s[20:21], v[8:9], v[8:9]
	v_xor_b32_e32 v8, v4, v12
	v_or_b32_e32 v4, 0x80000000, v4
	v_xor_b32_e32 v53, v32, v10
	v_cmp_o_f64_e64 s[22:23], v[10:11], v[10:11]
	v_cmp_o_f64_e64 s[24:25], v[12:13], v[12:13]
	v_or_b32_e32 v10, 0x80000000, v18
	v_or_b32_e32 v12, 0x80000000, v30
	v_xor_b32_e32 v4, v4, v13
	v_or_b32_e32 v18, 0x80000000, v32
	v_xor_b32_e32 v13, v10, v15
	v_xor_b32_e32 v15, v12, v9
	v_cndmask_b32_e64 v8, -1, v8, s[24:25]
	v_cndmask_b32_e64 v9, -1, v4, s[24:25]
	v_xor_b32_e32 v18, v18, v11
	v_cndmask_b32_e64 v10, -1, v52, s[2:3]
	v_cndmask_b32_e64 v12, -1, v14, s[20:21]
	;; [unrolled: 1-line block ×4, first 2 shown]
	v_and_b32_e32 v52, v8, v28
	v_and_b32_e32 v53, v9, v29
	v_lshrrev_b64 v[8:9], s7, v[8:9]
	v_cndmask_b32_e64 v13, -1, v15, s[20:21]
	v_cndmask_b32_e64 v15, -1, v18, s[22:23]
	v_and_b32_e32 v54, v10, v28
	v_and_b32_e32 v55, v11, v29
	v_lshrrev_b64 v[10:11], s7, v[10:11]
	v_and_b32_e32 v18, 3, v8
	v_and_b32_e32 v56, v12, v28
	;; [unrolled: 1-line block ×3, first 2 shown]
	v_lshrrev_b64 v[12:13], s7, v[12:13]
	v_cmp_eq_u64_e64 s[2:3], v[52:53], v[26:27]
	v_and_b32_e32 v4, 3, v10
	v_cmp_eq_u64_e64 s[26:27], 0, v[18:19]
	v_and_b32_e32 v58, v14, v28
	v_and_b32_e32 v59, v15, v29
	v_lshrrev_b64 v[14:15], s7, v[14:15]
	v_cmp_eq_u64_e64 s[20:21], v[54:55], v[26:27]
	v_and_b32_e32 v30, 3, v12
	v_cmp_eq_u64_e64 s[28:29], 0, v[4:5]
	s_and_b64 s[26:27], s[2:3], s[26:27]
	v_cmp_eq_u64_e64 s[22:23], v[56:57], v[26:27]
	v_and_b32_e32 v32, 3, v14
	v_cmp_eq_u64_e64 s[30:31], 0, v[30:31]
	v_cmp_eq_u64_e64 s[38:39], 1, v[4:5]
	;; [unrolled: 1-line block ×4, first 2 shown]
	v_cndmask_b32_e64 v4, 0, 1, s[26:27]
	s_and_b64 s[26:27], s[20:21], s[28:29]
	v_cmp_eq_u64_e64 s[24:25], v[58:59], v[26:27]
	v_cmp_eq_u64_e64 s[34:35], 0, v[32:33]
	v_cndmask_b32_e64 v5, 0, 1, s[26:27]
	s_and_b64 s[26:27], s[22:23], s[30:31]
	v_cmp_eq_u64_e64 s[36:37], 1, v[18:19]
	v_cndmask_b32_e64 v8, 0, 1, s[26:27]
	s_and_b64 s[26:27], s[24:25], s[34:35]
	v_cndmask_b32_e64 v9, 0, 1, s[26:27]
	s_and_b64 s[26:27], s[2:3], s[36:37]
	v_cmp_eq_u64_e64 s[40:41], 1, v[30:31]
	v_cndmask_b32_e64 v10, 0, 1, s[26:27]
	s_and_b64 s[26:27], s[20:21], s[38:39]
	v_cmp_eq_u64_e64 s[42:43], 1, v[32:33]
	;; [unrolled: 3-line block ×3, first 2 shown]
	v_cmp_eq_u64_e64 s[52:53], 3, v[18:19]
	v_cndmask_b32_e64 v12, 0, 1, s[26:27]
	s_and_b64 s[26:27], s[24:25], s[42:43]
	v_cndmask_b32_e64 v13, 0, 1, s[26:27]
	s_and_b64 s[26:27], s[2:3], s[44:45]
	s_and_b64 s[2:3], s[2:3], s[52:53]
	v_cmp_eq_u64_e64 s[48:49], 2, v[30:31]
	v_cmp_eq_u64_e64 s[56:57], 3, v[30:31]
	v_cndmask_b32_e64 v14, 0, 1, s[26:27]
	s_and_b64 s[26:27], s[20:21], s[46:47]
	v_cndmask_b32_e64 v31, 0, 1, s[2:3]
	s_and_b64 s[2:3], s[20:21], s[54:55]
	v_cmp_eq_u64_e64 s[50:51], 2, v[32:33]
	v_cmp_eq_u64_e64 s[58:59], 3, v[32:33]
	v_cndmask_b32_e64 v15, 0, 1, s[26:27]
	s_and_b64 s[26:27], s[22:23], s[48:49]
	v_cndmask_b32_e64 v32, 0, 1, s[2:3]
	s_and_b64 s[2:3], s[22:23], s[56:57]
	;; [unrolled: 2-line block ×4, first 2 shown]
	v_cndmask_b32_e64 v30, 0, 1, s[26:27]
	v_cndmask_b32_e64 v52, 0, 1, s[2:3]
	v_cmp_ne_u32_e64 s[2:3], 0, v4
	v_cmp_ne_u32_e64 s[20:21], 0, v5
	;; [unrolled: 1-line block ×11, first 2 shown]
	s_bcnt1_i32_b64 s2, s[2:3]
	s_bcnt1_i32_b64 s3, s[20:21]
	;; [unrolled: 1-line block ×8, first 2 shown]
	v_cmp_ne_u32_e64 s[34:35], 0, v13
	v_cmp_ne_u32_e64 s[40:41], 0, v18
	;; [unrolled: 1-line block ×3, first 2 shown]
	s_bcnt1_i32_b64 s23, s[28:29]
	s_bcnt1_i32_b64 s27, s[38:39]
	;; [unrolled: 1-line block ×3, first 2 shown]
	s_add_i32 s2, s74, s2
	s_add_i32 s22, s75, s22
	;; [unrolled: 1-line block ×4, first 2 shown]
	v_cmp_ne_u32_e64 s[42:43], 0, v30
	v_cmp_ne_u32_e64 s[50:51], 0, v52
	s_bcnt1_i32_b64 s25, s[34:35]
	s_bcnt1_i32_b64 s28, s[40:41]
	;; [unrolled: 1-line block ×3, first 2 shown]
	s_add_i32 s22, s22, s23
	s_add_i32 s2, s2, s3
	;; [unrolled: 1-line block ×4, first 2 shown]
	v_add_u32_e32 v48, s82, v48
	s_bcnt1_i32_b64 s29, s[42:43]
	s_bcnt1_i32_b64 s35, s[50:51]
	s_add_i32 s2, s2, s20
	s_add_i32 s20, s22, s24
	;; [unrolled: 1-line block ×4, first 2 shown]
	v_cmp_le_i32_e32 vcc, s19, v48
	s_add_i32 s75, s20, s25
	s_add_i32 s74, s2, s21
	;; [unrolled: 1-line block ×4, first 2 shown]
	v_add_u32_e32 v2, s16, v2
	s_or_b64 s[8:9], vcc, s[8:9]
	v_mov_b64_e32 v[8:9], s[74:75]
	v_mov_b64_e32 v[10:11], s[90:91]
	s_andn2_b64 exec, exec, s[8:9]
	s_cbranch_execnz .LBB43_69
; %bb.70:                               ;   in Loop: Header=BB43_16 Depth=1
	s_or_b64 exec, exec, s[8:9]
.LBB43_71:                              ;   in Loop: Header=BB43_16 Depth=1
	s_or_b64 exec, exec, s[88:89]
	v_add_u32_e32 v2, s19, v0
	v_cmp_gt_i32_e32 vcc, s18, v2
	s_and_saveexec_b64 s[8:9], vcc
	s_cbranch_execz .LBB43_75
; %bb.72:                               ;   in Loop: Header=BB43_16 Depth=1
	s_waitcnt vmcnt(0)
	v_lshlrev_b32_e32 v4, 3, v2
	s_mov_b64 s[28:29], 0
.LBB43_73:                              ;   Parent Loop BB43_16 Depth=1
                                        ; =>  This Inner Loop Header: Depth=2
	ds_read_b64 v[12:13], v4
	v_add_u32_e32 v2, s64, v2
	v_cmp_le_i32_e32 vcc, s18, v2
	v_add_u32_e32 v4, s6, v4
	s_waitcnt lgkmcnt(0)
	v_ashrrev_i32_e32 v5, 31, v13
	v_or_b32_e32 v14, 0x80000000, v5
	v_xor_b32_e32 v5, v5, v12
	v_xor_b32_e32 v14, v14, v13
	v_cmp_o_f64_e64 s[2:3], v[12:13], v[12:13]
	s_nop 1
	v_cndmask_b32_e64 v13, -1, v14, s[2:3]
	v_cndmask_b32_e64 v12, -1, v5, s[2:3]
	v_and_b32_e32 v15, v13, v29
	v_and_b32_e32 v14, v12, v28
	v_lshrrev_b64 v[12:13], s7, v[12:13]
	v_and_b32_e32 v18, 3, v12
	v_cmp_eq_u64_e64 s[2:3], v[14:15], v[26:27]
	v_cmp_eq_u64_e64 s[20:21], 0, v[18:19]
	;; [unrolled: 1-line block ×3, first 2 shown]
	s_and_b64 s[20:21], s[2:3], s[20:21]
	v_cmp_eq_u64_e64 s[24:25], 2, v[18:19]
	v_cmp_eq_u64_e64 s[26:27], 3, v[18:19]
	v_cndmask_b32_e64 v5, 0, 1, s[20:21]
	s_and_b64 s[20:21], s[2:3], s[22:23]
	v_cndmask_b32_e64 v12, 0, 1, s[20:21]
	s_and_b64 s[20:21], s[2:3], s[24:25]
	s_and_b64 s[2:3], s[2:3], s[26:27]
	v_cndmask_b32_e64 v13, 0, 1, s[20:21]
	v_cndmask_b32_e64 v14, 0, 1, s[2:3]
	v_cmp_ne_u32_e64 s[2:3], 0, v5
	v_cmp_ne_u32_e64 s[20:21], 0, v12
	;; [unrolled: 1-line block ×4, first 2 shown]
	s_bcnt1_i32_b64 s2, s[2:3]
	s_bcnt1_i32_b64 s3, s[20:21]
	;; [unrolled: 1-line block ×4, first 2 shown]
	v_add_u32_e32 v9, s3, v9
	v_add_u32_e32 v8, s2, v8
	;; [unrolled: 1-line block ×3, first 2 shown]
	s_or_b64 s[28:29], vcc, s[28:29]
	v_add_u32_e32 v10, s19, v10
	s_andn2_b64 exec, exec, s[28:29]
	s_cbranch_execnz .LBB43_73
; %bb.74:                               ;   in Loop: Header=BB43_16 Depth=1
	s_or_b64 exec, exec, s[28:29]
.LBB43_75:                              ;   in Loop: Header=BB43_16 Depth=1
	s_or_b64 exec, exec, s[8:9]
	s_lshl_b32 s18, s61, 6
	s_and_saveexec_b64 s[2:3], s[0:1]
	s_cbranch_execnz .LBB43_47
	s_branch .LBB43_48
.LBB43_76:                              ;   in Loop: Header=BB43_16 Depth=1
	s_or_b64 exec, exec, s[20:21]
	s_waitcnt lgkmcnt(0)
	s_barrier
	s_mov_b64 s[2:3], exec
	v_readlane_b32 s20, v60, 5
	v_readlane_b32 s21, v60, 6
	s_and_b64 s[20:21], s[2:3], s[20:21]
	s_mov_b64 exec, s[20:21]
	s_cbranch_execz .LBB43_78
; %bb.77:                               ;   in Loop: Header=BB43_16 Depth=1
	ds_read_b32 v2, v19 offset:4104
	s_waitcnt lgkmcnt(0)
	ds_write_b32 v19, v2 offset:4096
.LBB43_78:                              ;   in Loop: Header=BB43_16 Depth=1
	s_or_b64 exec, exec, s[2:3]
	s_waitcnt lgkmcnt(0)
	s_barrier
	s_mov_b64 s[2:3], -1
	s_and_b64 vcc, exec, s[8:9]
	s_cbranch_vccnz .LBB43_32
	s_branch .LBB43_42
.LBB43_79:                              ;   in Loop: Header=BB43_16 Depth=1
	v_mov_b32_e32 v4, 0
	s_mov_b32 s19, 0
	s_cbranch_execnz .LBB43_84
	s_branch .LBB43_86
.LBB43_80:                              ;   in Loop: Header=BB43_16 Depth=1
	v_mov_b32_e32 v18, v19
	v_readlane_b32 s8, v60, 30
	v_mov_b64_e32 v[4:5], v[18:19]
	v_readlane_b32 s9, v60, 31
.LBB43_81:                              ;   in Loop: Header=BB43_16 Depth=1
	v_readlane_b32 s20, v60, 21
	v_readlane_b32 s21, v60, 22
	s_andn2_b64 vcc, exec, s[20:21]
	v_readlane_b32 s19, v60, 20
	s_cbranch_vccnz .LBB43_83
.LBB43_82:                              ;   Parent Loop BB43_16 Depth=1
                                        ; =>  This Inner Loop Header: Depth=2
	v_lshl_add_u32 v9, s8, 4, v8
	v_lshl_add_u32 v10, s9, 4, v8
	ds_read_b32 v10, v10
	ds_read_b32 v9, v9
	s_add_i32 s9, s9, 2
	s_add_i32 s8, s8, 2
	s_add_i32 s19, s19, -1
	s_cmp_lg_u32 s19, 0
	s_waitcnt lgkmcnt(1)
	v_add_u32_e32 v5, v10, v5
	s_waitcnt lgkmcnt(0)
	v_add_u32_e32 v4, v9, v4
	s_cbranch_scc1 .LBB43_82
.LBB43_83:                              ;   in Loop: Header=BB43_16 Depth=1
	v_readlane_b32 s8, v60, 25
	v_add_u32_e32 v4, v4, v5
	v_readlane_b32 s19, v60, 24
	v_readlane_b32 s9, v60, 26
	s_and_b64 vcc, exec, s[8:9]
	s_cbranch_vccz .LBB43_86
.LBB43_84:                              ;   in Loop: Header=BB43_16 Depth=1
	s_lshl_b32 s8, s61, 8
	s_lshl_b32 s9, s19, 4
	s_add_i32 s8, s8, s9
	v_add_u32_e32 v5, s8, v45
	v_readlane_b32 s8, v60, 23
	s_sub_i32 s8, s8, s19
.LBB43_85:                              ;   Parent Loop BB43_16 Depth=1
                                        ; =>  This Inner Loop Header: Depth=2
	ds_read_b32 v8, v5
	s_add_i32 s8, s8, -1
	v_add_u32_e32 v5, 16, v5
	s_cmp_eq_u32 s8, 0
	s_waitcnt lgkmcnt(0)
	v_add_u32_e32 v4, v8, v4
	s_cbranch_scc0 .LBB43_85
.LBB43_86:                              ;   in Loop: Header=BB43_16 Depth=1
	v_lshlrev_b32_e32 v2, 2, v2
	ds_write_b32 v2, v4 offset:3072
.LBB43_87:                              ;   in Loop: Header=BB43_16 Depth=1
	s_or_b64 exec, exec, s[2:3]
	s_lshl_b32 s2, s18, 2
	v_mov_b32_e32 v2, s2
	s_waitcnt lgkmcnt(0)
	s_barrier
	ds_read_b128 v[8:11], v2 offset:3072
	s_lshl_b64 s[2:3], 3, s7
	s_not_b64 s[30:31], s[2:3]
	v_cmp_eq_u32_e32 vcc, 1, v47
	s_mov_b64 s[28:29], -1
	s_waitcnt lgkmcnt(0)
	v_readfirstlane_b32 s19, v8
	s_cmp_eq_u32 s19, 1
	s_cselect_b64 s[8:9], -1, 0
	v_readfirstlane_b32 s18, v9
	v_readfirstlane_b32 s56, v10
	;; [unrolled: 1-line block ×3, first 2 shown]
	s_and_b64 s[22:23], s[8:9], vcc
	s_mov_b64 s[8:9], -1
                                        ; implicit-def: $sgpr26_sgpr27
                                        ; implicit-def: $sgpr24_sgpr25
	s_and_saveexec_b64 s[20:21], s[22:23]
	s_cbranch_execz .LBB43_115
; %bb.88:                               ;   in Loop: Header=BB43_16 Depth=1
	ds_read_b32 v2, v19 offset:4096
	s_waitcnt lgkmcnt(0)
	s_barrier
	v_readfirstlane_b32 s44, v2
	s_and_saveexec_b64 s[24:25], s[4:5]
; %bb.89:                               ;   in Loop: Header=BB43_16 Depth=1
	ds_write_b64 v36, v[50:51]
; %bb.90:                               ;   in Loop: Header=BB43_16 Depth=1
	s_or_b64 exec, exec, s[24:25]
	v_and_b32_e32 v27, s31, v27
	v_and_b32_e32 v26, s30, v26
	v_or_b32_e32 v29, s3, v29
	v_or_b32_e32 v28, s2, v28
	s_mov_b64 s[24:25], -1
	s_mov_b64 s[26:27], 0
	s_cmp_lt_i32 s44, 1
	s_mov_b64 s[28:29], 0
	s_mov_b64 s[34:35], -1
	s_waitcnt lgkmcnt(0)
	s_barrier
                                        ; implicit-def: $vgpr6_vgpr7
	s_cbranch_scc0 .LBB43_102
; %bb.91:                               ;   in Loop: Header=BB43_16 Depth=1
	s_mov_b64 s[34:35], 0
                                        ; implicit-def: $vgpr6_vgpr7
	s_mov_b64 s[36:37], exec
	v_readlane_b32 s38, v60, 28
	v_readlane_b32 s39, v60, 29
	s_and_b64 s[38:39], s[36:37], s[38:39]
	s_mov_b64 exec, s[38:39]
	s_cbranch_execz .LBB43_101
; %bb.92:                               ;   in Loop: Header=BB43_16 Depth=1
	v_mov_b32_e32 v8, v16
	v_mov_b32_e32 v10, v0
                                        ; implicit-def: $sgpr38_sgpr39
	s_branch .LBB43_96
.LBB43_93:                              ;   in Loop: Header=BB43_96 Depth=2
	s_or_b64 exec, exec, s[40:41]
	s_waitcnt lgkmcnt(0)
	s_barrier
	s_waitcnt vmcnt(0)
	ds_read_b128 v[4:7], v19 offset:3072
	s_waitcnt lgkmcnt(0)
	s_barrier
	v_cmp_neq_f64_e32 vcc, 0, v[4:5]
	s_cbranch_vccnz .LBB43_99
; %bb.94:                               ;   in Loop: Header=BB43_96 Depth=2
	v_add_u32_e32 v10, s64, v10
	v_cmp_le_i32_e32 vcc, s17, v10
	v_add_u32_e32 v8, s66, v8
	s_mov_b64 s[40:41], 0
	s_orn2_b64 s[42:43], vcc, exec
.LBB43_95:                              ;   in Loop: Header=BB43_96 Depth=2
	s_and_b64 s[42:43], exec, s[42:43]
	s_or_b64 s[28:29], s[42:43], s[28:29]
	s_andn2_b64 s[38:39], s[38:39], exec
	s_and_b64 s[40:41], s[40:41], exec
	s_or_b64 s[38:39], s[38:39], s[40:41]
	s_andn2_b64 exec, exec, s[28:29]
	s_cbranch_execz .LBB43_100
.LBB43_96:                              ;   Parent Loop BB43_16 Depth=1
                                        ; =>  This Inner Loop Header: Depth=2
	v_cmp_gt_i32_e32 vcc, s60, v10
	s_and_saveexec_b64 s[40:41], vcc
	s_cbranch_execz .LBB43_93
; %bb.97:                               ;   in Loop: Header=BB43_96 Depth=2
	v_ashrrev_i32_e32 v9, 31, v8
	s_waitcnt vmcnt(0)
	v_lshl_add_u64 v[4:5], v[8:9], 3, s[72:73]
	global_load_dwordx2 v[4:5], v[4:5], off
	s_waitcnt vmcnt(0)
	v_ashrrev_i32_e32 v2, 31, v5
	v_or_b32_e32 v6, 0x80000000, v2
	v_xor_b32_e32 v2, v2, v4
	v_xor_b32_e32 v6, v6, v5
	v_cmp_o_f64_e32 vcc, v[4:5], v[4:5]
	s_nop 1
	v_cndmask_b32_e32 v2, -1, v2, vcc
	v_cndmask_b32_e32 v6, -1, v6, vcc
	v_and_b32_e32 v7, v6, v29
	v_and_b32_e32 v6, v2, v28
	v_cmp_eq_u64_e32 vcc, v[6:7], v[26:27]
	s_and_b64 exec, exec, vcc
	s_cbranch_execz .LBB43_93
; %bb.98:                               ;   in Loop: Header=BB43_96 Depth=2
	v_mov_b32_e32 v2, v19
	ds_write_b128 v19, v[2:5] offset:3072
	s_branch .LBB43_93
.LBB43_99:                              ;   in Loop: Header=BB43_96 Depth=2
	s_mov_b64 s[42:43], -1
                                        ; implicit-def: $vgpr10
                                        ; implicit-def: $vgpr8
	s_mov_b64 s[40:41], -1
	s_branch .LBB43_95
.LBB43_100:                             ;   in Loop: Header=BB43_16 Depth=1
	s_or_b64 exec, exec, s[28:29]
	s_and_b64 s[28:29], s[38:39], exec
.LBB43_101:                             ;   in Loop: Header=BB43_16 Depth=1
	s_or_b64 exec, exec, s[36:37]
.LBB43_102:                             ;   in Loop: Header=BB43_16 Depth=1
	s_and_b64 vcc, exec, s[34:35]
	s_cbranch_vccz .LBB43_114
; %bb.103:                              ;   in Loop: Header=BB43_16 Depth=1
	v_readlane_b32 s24, v60, 8
	s_add_i32 s40, s44, s24
	s_abs_i32 s25, s40
	v_readlane_b32 s26, v60, 27
	s_mul_hi_u32 s26, s25, s26
	s_mul_i32 s26, s26, s64
	s_sub_i32 s25, s25, s26
	s_ashr_i32 s24, s40, 31
	s_sub_i32 s26, s25, s64
	s_cmp_ge_u32 s25, s64
	s_cselect_b32 s25, s26, s25
	s_sub_i32 s26, s25, s64
	s_cmp_ge_u32 s25, s64
	s_cselect_b32 s25, s26, s25
	s_xor_b32 s25, s25, s24
	s_sub_i32 s24, s24, s25
	s_add_i32 s40, s40, s24
	v_cmp_gt_i32_e32 vcc, s40, v0
                                        ; implicit-def: $vgpr6_vgpr7
	s_and_saveexec_b64 s[24:25], vcc
	s_cbranch_execz .LBB43_113
; %bb.104:                              ;   in Loop: Header=BB43_16 Depth=1
	s_mov_b64 s[34:35], 0
	v_mov_b32_e32 v8, v35
	v_mov_b32_e32 v9, v0
                                        ; implicit-def: $sgpr26_sgpr27
	s_branch .LBB43_108
.LBB43_105:                             ;   in Loop: Header=BB43_108 Depth=2
	s_or_b64 exec, exec, s[36:37]
	s_waitcnt lgkmcnt(0)
	s_barrier
	s_waitcnt vmcnt(0)
	ds_read_b128 v[4:7], v19 offset:3072
	s_waitcnt lgkmcnt(0)
	s_barrier
	v_cmp_neq_f64_e32 vcc, 0, v[4:5]
	s_cbranch_vccnz .LBB43_111
; %bb.106:                              ;   in Loop: Header=BB43_108 Depth=2
	v_add_u32_e32 v9, s64, v9
	v_cmp_le_i32_e32 vcc, s40, v9
	v_add_u32_e32 v8, s6, v8
	s_mov_b64 s[36:37], 0
	s_orn2_b64 s[38:39], vcc, exec
.LBB43_107:                             ;   in Loop: Header=BB43_108 Depth=2
	s_and_b64 s[38:39], exec, s[38:39]
	s_or_b64 s[34:35], s[38:39], s[34:35]
	s_andn2_b64 s[26:27], s[26:27], exec
	s_and_b64 s[36:37], s[36:37], exec
	s_or_b64 s[26:27], s[26:27], s[36:37]
	s_andn2_b64 exec, exec, s[34:35]
	s_cbranch_execz .LBB43_112
.LBB43_108:                             ;   Parent Loop BB43_16 Depth=1
                                        ; =>  This Inner Loop Header: Depth=2
	v_cmp_gt_i32_e32 vcc, s44, v9
	s_and_saveexec_b64 s[36:37], vcc
	s_cbranch_execz .LBB43_105
; %bb.109:                              ;   in Loop: Header=BB43_108 Depth=2
	s_waitcnt vmcnt(0)
	ds_read_b64 v[4:5], v8
	s_waitcnt lgkmcnt(0)
	v_ashrrev_i32_e32 v2, 31, v5
	v_or_b32_e32 v6, 0x80000000, v2
	v_xor_b32_e32 v2, v2, v4
	v_xor_b32_e32 v6, v6, v5
	v_cmp_o_f64_e32 vcc, v[4:5], v[4:5]
	s_nop 1
	v_cndmask_b32_e32 v2, -1, v2, vcc
	v_cndmask_b32_e32 v6, -1, v6, vcc
	v_and_b32_e32 v7, v6, v29
	v_and_b32_e32 v6, v2, v28
	v_cmp_eq_u64_e32 vcc, v[6:7], v[26:27]
	s_and_b64 exec, exec, vcc
	s_cbranch_execz .LBB43_105
; %bb.110:                              ;   in Loop: Header=BB43_108 Depth=2
	v_mov_b32_e32 v2, v19
	ds_write_b128 v19, v[2:5] offset:3072
	s_branch .LBB43_105
.LBB43_111:                             ;   in Loop: Header=BB43_108 Depth=2
	s_mov_b64 s[38:39], -1
                                        ; implicit-def: $vgpr9
                                        ; implicit-def: $vgpr8
	s_mov_b64 s[36:37], -1
	s_branch .LBB43_107
.LBB43_112:                             ;   in Loop: Header=BB43_16 Depth=1
	s_or_b64 exec, exec, s[34:35]
	s_andn2_b64 s[28:29], s[28:29], exec
	s_and_b64 s[26:27], s[26:27], exec
	s_or_b64 s[28:29], s[28:29], s[26:27]
.LBB43_113:                             ;   in Loop: Header=BB43_16 Depth=1
	s_or_b64 exec, exec, s[24:25]
	s_mov_b64 s[24:25], 0
	s_mov_b64 s[26:27], -1
.LBB43_114:                             ;   in Loop: Header=BB43_16 Depth=1
	s_orn2_b64 s[28:29], s[28:29], exec
.LBB43_115:                             ;   in Loop: Header=BB43_16 Depth=1
	s_or_b64 exec, exec, s[20:21]
	s_andn2_b64 s[20:21], s[86:87], exec
	s_and_b64 s[26:27], s[26:27], exec
	s_or_b64 s[86:87], s[20:21], s[26:27]
	s_andn2_b64 s[20:21], s[70:71], exec
	s_and_b64 s[24:25], s[24:25], exec
	v_readfirstlane_b32 s34, v0
	v_readfirstlane_b32 s35, v0
	s_andn2_b64 s[68:69], s[68:69], exec
	s_or_b64 s[70:71], s[20:21], s[24:25]
                                        ; implicit-def: $vgpr11
	s_and_saveexec_b64 s[20:21], s[28:29]
	s_cbranch_execz .LBB43_15
; %bb.116:                              ;   in Loop: Header=BB43_16 Depth=1
	s_xor_b64 s[22:23], s[22:23], -1
	s_mov_b64 s[24:25], 0
	v_mov_b32_e32 v11, 1
	v_mov_b32_e32 v10, 1
	s_and_saveexec_b64 s[8:9], s[22:23]
	s_cbranch_execz .LBB43_125
; %bb.117:                              ;   in Loop: Header=BB43_16 Depth=1
	v_cmp_ge_i32_e32 vcc, s19, v47
	s_and_saveexec_b64 s[22:23], vcc
	s_xor_b64 s[22:23], exec, s[22:23]
	s_cbranch_execz .LBB43_122
; %bb.118:                              ;   in Loop: Header=BB43_16 Depth=1
	ds_read_b32 v2, v19 offset:4096
	v_and_b32_e32 v27, s31, v27
	v_and_b32_e32 v26, s30, v26
	v_or_b32_e32 v29, s3, v29
	v_or_b32_e32 v28, s2, v28
	s_waitcnt lgkmcnt(0)
	v_cmp_ne_u32_e32 vcc, 0, v2
	s_cbranch_vccnz .LBB43_122
; %bb.119:                              ;   in Loop: Header=BB43_16 Depth=1
	s_mov_b64 s[24:25], exec
	v_readlane_b32 s26, v60, 5
	v_readlane_b32 s27, v60, 6
	s_and_b64 s[26:27], s[24:25], s[26:27]
	s_mov_b64 exec, s[26:27]
; %bb.120:                              ;   in Loop: Header=BB43_16 Depth=1
	v_mov_b32_e32 v2, s19
	ds_write_b32 v19, v2 offset:4100
; %bb.121:                              ;   in Loop: Header=BB43_16 Depth=1
	s_or_b64 exec, exec, s[24:25]
	s_waitcnt lgkmcnt(0)
	s_barrier
.LBB43_122:                             ;   in Loop: Header=BB43_16 Depth=1
	s_or_saveexec_b64 s[22:23], s[22:23]
	s_mov_b64 s[24:25], 0
	v_mov_b32_e32 v10, 8
	s_xor_b64 exec, exec, s[22:23]
; %bb.123:                              ;   in Loop: Header=BB43_16 Depth=1
	s_mov_b64 s[24:25], exec
	v_subrev_u32_e32 v47, s19, v47
	v_mov_b32_e32 v10, 0
; %bb.124:                              ;   in Loop: Header=BB43_16 Depth=1
	s_or_b64 exec, exec, s[22:23]
	s_and_b64 s[24:25], s[24:25], exec
	v_mov_b32_e32 v11, v47
.LBB43_125:                             ;   in Loop: Header=BB43_16 Depth=1
	s_or_b64 exec, exec, s[8:9]
	s_mov_b64 s[22:23], -1
	s_mov_b64 s[8:9], -1
                                        ; implicit-def: $sgpr26_sgpr27
                                        ; implicit-def: $sgpr28_sgpr29
	s_and_saveexec_b64 s[34:35], s[24:25]
	s_xor_b64 s[24:25], exec, s[34:35]
	s_cbranch_execz .LBB43_248
; %bb.126:                              ;   in Loop: Header=BB43_16 Depth=1
	s_cmp_eq_u32 s18, 1
	s_cselect_b64 s[8:9], -1, 0
	v_cmp_eq_u32_e32 vcc, 1, v11
	s_and_b64 s[8:9], s[8:9], vcc
	s_mov_b64 s[36:37], -1
                                        ; implicit-def: $sgpr28_sgpr29
                                        ; implicit-def: $sgpr26_sgpr27
	s_and_saveexec_b64 s[34:35], s[8:9]
	s_cbranch_execz .LBB43_154
; %bb.127:                              ;   in Loop: Header=BB43_16 Depth=1
	ds_read_b32 v2, v19 offset:4096
	s_waitcnt lgkmcnt(0)
	s_barrier
	v_readfirstlane_b32 s19, v2
	s_and_saveexec_b64 s[26:27], s[4:5]
; %bb.128:                              ;   in Loop: Header=BB43_16 Depth=1
	ds_write_b64 v36, v[50:51]
; %bb.129:                              ;   in Loop: Header=BB43_16 Depth=1
	s_or_b64 exec, exec, s[26:27]
	s_lshl_b64 s[26:27], 1, s7
	v_and_b32_e32 v2, s31, v27
	s_waitcnt vmcnt(0)
	v_and_b32_e32 v4, s30, v26
	v_or_b32_e32 v27, s27, v2
	v_or_b32_e32 v26, s26, v4
	;; [unrolled: 1-line block ×4, first 2 shown]
	s_mov_b64 s[26:27], -1
	s_mov_b64 s[28:29], 0
	s_cmp_gt_i32 s19, 0
	s_mov_b64 s[36:37], 0
	s_mov_b64 s[38:39], -1
	s_waitcnt lgkmcnt(0)
	s_barrier
                                        ; implicit-def: $vgpr6_vgpr7
	s_cbranch_scc1 .LBB43_141
; %bb.130:                              ;   in Loop: Header=BB43_16 Depth=1
	s_mov_b64 s[38:39], 0
                                        ; implicit-def: $vgpr6_vgpr7
	s_mov_b64 s[40:41], exec
	v_readlane_b32 s42, v60, 28
	v_readlane_b32 s43, v60, 29
	s_and_b64 s[42:43], s[40:41], s[42:43]
	s_mov_b64 exec, s[42:43]
	s_cbranch_execz .LBB43_140
; %bb.131:                              ;   in Loop: Header=BB43_16 Depth=1
	v_mov_b32_e32 v8, v16
	v_mov_b32_e32 v12, v0
                                        ; implicit-def: $sgpr42_sgpr43
	s_branch .LBB43_135
.LBB43_132:                             ;   in Loop: Header=BB43_135 Depth=2
	s_or_b64 exec, exec, s[44:45]
	s_waitcnt lgkmcnt(0)
	s_barrier
	ds_read_b128 v[4:7], v19 offset:3072
	s_waitcnt lgkmcnt(0)
	s_barrier
	v_cmp_neq_f64_e32 vcc, 0, v[4:5]
	s_cbranch_vccnz .LBB43_138
; %bb.133:                              ;   in Loop: Header=BB43_135 Depth=2
	v_add_u32_e32 v12, s64, v12
	v_cmp_le_i32_e32 vcc, s17, v12
	v_add_u32_e32 v8, s66, v8
	s_mov_b64 s[44:45], 0
	s_orn2_b64 s[46:47], vcc, exec
.LBB43_134:                             ;   in Loop: Header=BB43_135 Depth=2
	s_and_b64 s[46:47], exec, s[46:47]
	s_or_b64 s[36:37], s[46:47], s[36:37]
	s_andn2_b64 s[42:43], s[42:43], exec
	s_and_b64 s[44:45], s[44:45], exec
	s_or_b64 s[42:43], s[42:43], s[44:45]
	s_andn2_b64 exec, exec, s[36:37]
	s_cbranch_execz .LBB43_139
.LBB43_135:                             ;   Parent Loop BB43_16 Depth=1
                                        ; =>  This Inner Loop Header: Depth=2
	v_cmp_gt_i32_e32 vcc, s60, v12
	s_and_saveexec_b64 s[44:45], vcc
	s_cbranch_execz .LBB43_132
; %bb.136:                              ;   in Loop: Header=BB43_135 Depth=2
	v_ashrrev_i32_e32 v9, 31, v8
	v_lshl_add_u64 v[4:5], v[8:9], 3, s[72:73]
	global_load_dwordx2 v[4:5], v[4:5], off
	s_waitcnt vmcnt(0)
	v_ashrrev_i32_e32 v2, 31, v5
	v_or_b32_e32 v6, 0x80000000, v2
	v_xor_b32_e32 v2, v2, v4
	v_xor_b32_e32 v6, v6, v5
	v_cmp_o_f64_e32 vcc, v[4:5], v[4:5]
	s_nop 1
	v_cndmask_b32_e32 v2, -1, v2, vcc
	v_cndmask_b32_e32 v6, -1, v6, vcc
	v_and_b32_e32 v7, v6, v29
	v_and_b32_e32 v6, v2, v28
	v_cmp_eq_u64_e32 vcc, v[6:7], v[26:27]
	s_and_b64 exec, exec, vcc
	s_cbranch_execz .LBB43_132
; %bb.137:                              ;   in Loop: Header=BB43_135 Depth=2
	v_mov_b32_e32 v2, v19
	ds_write_b128 v19, v[2:5] offset:3072
	s_branch .LBB43_132
.LBB43_138:                             ;   in Loop: Header=BB43_135 Depth=2
	s_mov_b64 s[46:47], -1
                                        ; implicit-def: $vgpr12
                                        ; implicit-def: $vgpr8
	s_mov_b64 s[44:45], -1
	s_branch .LBB43_134
.LBB43_139:                             ;   in Loop: Header=BB43_16 Depth=1
	s_or_b64 exec, exec, s[36:37]
	s_and_b64 s[36:37], s[42:43], exec
.LBB43_140:                             ;   in Loop: Header=BB43_16 Depth=1
	s_or_b64 exec, exec, s[40:41]
.LBB43_141:                             ;   in Loop: Header=BB43_16 Depth=1
	s_and_b64 vcc, exec, s[38:39]
	s_cbranch_vccz .LBB43_153
; %bb.142:                              ;   in Loop: Header=BB43_16 Depth=1
	v_readlane_b32 s26, v60, 8
	s_add_i32 s44, s19, s26
	s_abs_i32 s27, s44
	v_readlane_b32 s28, v60, 27
	s_mul_hi_u32 s28, s27, s28
	s_mul_i32 s28, s28, s64
	s_sub_i32 s27, s27, s28
	s_ashr_i32 s26, s44, 31
	s_sub_i32 s28, s27, s64
	s_cmp_ge_u32 s27, s64
	s_cselect_b32 s27, s28, s27
	s_sub_i32 s28, s27, s64
	s_cmp_ge_u32 s27, s64
	s_cselect_b32 s27, s28, s27
	s_xor_b32 s27, s27, s26
	s_sub_i32 s26, s26, s27
	s_add_i32 s44, s44, s26
	v_cmp_gt_i32_e32 vcc, s44, v0
                                        ; implicit-def: $vgpr6_vgpr7
	s_and_saveexec_b64 s[26:27], vcc
	s_cbranch_execz .LBB43_152
; %bb.143:                              ;   in Loop: Header=BB43_16 Depth=1
	s_mov_b64 s[28:29], 0
	v_mov_b32_e32 v8, v35
	v_mov_b32_e32 v9, v0
                                        ; implicit-def: $sgpr38_sgpr39
	s_branch .LBB43_147
.LBB43_144:                             ;   in Loop: Header=BB43_147 Depth=2
	s_or_b64 exec, exec, s[40:41]
	s_waitcnt lgkmcnt(0)
	s_barrier
	ds_read_b128 v[4:7], v19 offset:3072
	s_waitcnt lgkmcnt(0)
	s_barrier
	v_cmp_eq_f64_e32 vcc, 0, v[4:5]
	s_cbranch_vccz .LBB43_150
; %bb.145:                              ;   in Loop: Header=BB43_147 Depth=2
	v_add_u32_e32 v9, s64, v9
	v_cmp_le_i32_e32 vcc, s44, v9
	v_add_u32_e32 v8, s6, v8
	s_mov_b64 s[40:41], 0
	s_orn2_b64 s[42:43], vcc, exec
.LBB43_146:                             ;   in Loop: Header=BB43_147 Depth=2
	s_and_b64 s[42:43], exec, s[42:43]
	s_or_b64 s[28:29], s[42:43], s[28:29]
	s_andn2_b64 s[38:39], s[38:39], exec
	s_and_b64 s[40:41], s[40:41], exec
	s_or_b64 s[38:39], s[38:39], s[40:41]
	s_andn2_b64 exec, exec, s[28:29]
	s_cbranch_execz .LBB43_151
.LBB43_147:                             ;   Parent Loop BB43_16 Depth=1
                                        ; =>  This Inner Loop Header: Depth=2
	v_cmp_gt_i32_e32 vcc, s19, v9
	s_and_saveexec_b64 s[40:41], vcc
	s_cbranch_execz .LBB43_144
; %bb.148:                              ;   in Loop: Header=BB43_147 Depth=2
	ds_read_b64 v[4:5], v8
	s_waitcnt lgkmcnt(0)
	v_ashrrev_i32_e32 v2, 31, v5
	v_or_b32_e32 v6, 0x80000000, v2
	v_xor_b32_e32 v2, v2, v4
	v_xor_b32_e32 v6, v6, v5
	v_cmp_o_f64_e32 vcc, v[4:5], v[4:5]
	s_nop 1
	v_cndmask_b32_e32 v2, -1, v2, vcc
	v_cndmask_b32_e32 v6, -1, v6, vcc
	v_and_b32_e32 v7, v6, v29
	v_and_b32_e32 v6, v2, v28
	v_cmp_eq_u64_e32 vcc, v[6:7], v[26:27]
	s_and_b64 exec, exec, vcc
	s_cbranch_execz .LBB43_144
; %bb.149:                              ;   in Loop: Header=BB43_147 Depth=2
	v_mov_b32_e32 v2, v19
	ds_write_b128 v19, v[2:5] offset:3072
	s_branch .LBB43_144
.LBB43_150:                             ;   in Loop: Header=BB43_147 Depth=2
	s_mov_b64 s[42:43], -1
                                        ; implicit-def: $vgpr9
                                        ; implicit-def: $vgpr8
	s_mov_b64 s[40:41], -1
	s_branch .LBB43_146
.LBB43_151:                             ;   in Loop: Header=BB43_16 Depth=1
	s_or_b64 exec, exec, s[28:29]
	s_andn2_b64 s[28:29], s[36:37], exec
	s_and_b64 s[36:37], s[38:39], exec
	s_or_b64 s[36:37], s[28:29], s[36:37]
.LBB43_152:                             ;   in Loop: Header=BB43_16 Depth=1
	s_or_b64 exec, exec, s[26:27]
	s_mov_b64 s[26:27], 0
	s_mov_b64 s[28:29], -1
.LBB43_153:                             ;   in Loop: Header=BB43_16 Depth=1
	s_orn2_b64 s[36:37], s[36:37], exec
.LBB43_154:                             ;   in Loop: Header=BB43_16 Depth=1
	s_or_b64 exec, exec, s[34:35]
	s_mov_b64 s[38:39], 0
	s_and_saveexec_b64 s[34:35], s[36:37]
	s_cbranch_execz .LBB43_247
; %bb.155:                              ;   in Loop: Header=BB43_16 Depth=1
	s_xor_b64 s[36:37], s[8:9], -1
	s_mov_b64 s[42:43], 0
	s_waitcnt vmcnt(0)
	v_mov_b32_e32 v12, 1
	v_mov_b32_e32 v10, 1
	s_and_saveexec_b64 s[8:9], s[36:37]
	s_cbranch_execz .LBB43_164
; %bb.156:                              ;   in Loop: Header=BB43_16 Depth=1
	v_cmp_ge_i32_e32 vcc, s18, v11
	s_and_saveexec_b64 s[36:37], vcc
	s_xor_b64 s[36:37], exec, s[36:37]
	s_cbranch_execz .LBB43_161
; %bb.157:                              ;   in Loop: Header=BB43_16 Depth=1
	ds_read_b32 v4, v19 offset:4096
	s_lshl_b64 s[38:39], 1, s7
	v_and_b32_e32 v2, s31, v27
	v_and_b32_e32 v5, s30, v26
	v_or_b32_e32 v27, s39, v2
	s_waitcnt lgkmcnt(0)
	v_cmp_ne_u32_e32 vcc, 0, v4
	v_or_b32_e32 v26, s38, v5
	v_or_b32_e32 v29, s3, v29
	;; [unrolled: 1-line block ×3, first 2 shown]
	s_cbranch_vccnz .LBB43_161
; %bb.158:                              ;   in Loop: Header=BB43_16 Depth=1
	s_mov_b64 s[38:39], exec
	v_readlane_b32 s40, v60, 5
	v_readlane_b32 s41, v60, 6
	s_and_b64 s[40:41], s[38:39], s[40:41]
	s_mov_b64 exec, s[40:41]
; %bb.159:                              ;   in Loop: Header=BB43_16 Depth=1
	v_mov_b32_e32 v2, s18
	ds_write_b32 v19, v2 offset:4100
; %bb.160:                              ;   in Loop: Header=BB43_16 Depth=1
	s_or_b64 exec, exec, s[38:39]
	s_waitcnt lgkmcnt(0)
	s_barrier
.LBB43_161:                             ;   in Loop: Header=BB43_16 Depth=1
	s_or_saveexec_b64 s[36:37], s[36:37]
	s_mov_b64 s[38:39], 0
	v_mov_b32_e32 v10, 8
	s_xor_b64 exec, exec, s[36:37]
; %bb.162:                              ;   in Loop: Header=BB43_16 Depth=1
	s_mov_b64 s[38:39], exec
	v_subrev_u32_e32 v11, s18, v11
	v_mov_b32_e32 v10, 0
; %bb.163:                              ;   in Loop: Header=BB43_16 Depth=1
	s_or_b64 exec, exec, s[36:37]
	s_and_b64 s[42:43], s[38:39], exec
	v_mov_b32_e32 v12, v11
.LBB43_164:                             ;   in Loop: Header=BB43_16 Depth=1
	s_or_b64 exec, exec, s[8:9]
	s_mov_b64 s[8:9], -1
                                        ; implicit-def: $sgpr38_sgpr39
                                        ; implicit-def: $sgpr40_sgpr41
	s_and_saveexec_b64 s[36:37], s[42:43]
	s_cbranch_execz .LBB43_246
; %bb.165:                              ;   in Loop: Header=BB43_16 Depth=1
	s_cmp_eq_u32 s56, 1
	s_cselect_b64 s[8:9], -1, 0
	v_cmp_eq_u32_e32 vcc, 1, v12
	s_and_b64 s[8:9], s[8:9], vcc
	s_mov_b64 s[44:45], -1
                                        ; implicit-def: $sgpr40_sgpr41
                                        ; implicit-def: $sgpr38_sgpr39
	s_and_saveexec_b64 s[42:43], s[8:9]
	s_cbranch_execz .LBB43_193
; %bb.166:                              ;   in Loop: Header=BB43_16 Depth=1
	ds_read_b32 v2, v19 offset:4096
	s_waitcnt lgkmcnt(0)
	s_barrier
	v_readfirstlane_b32 s18, v2
	s_and_saveexec_b64 s[38:39], s[4:5]
; %bb.167:                              ;   in Loop: Header=BB43_16 Depth=1
	ds_write_b64 v36, v[50:51]
; %bb.168:                              ;   in Loop: Header=BB43_16 Depth=1
	s_or_b64 exec, exec, s[38:39]
	s_lshl_b64 s[38:39], 2, s7
	v_and_b32_e32 v2, s31, v27
	v_and_b32_e32 v4, s30, v26
	v_or_b32_e32 v27, s39, v2
	v_or_b32_e32 v26, s38, v4
	;; [unrolled: 1-line block ×4, first 2 shown]
	s_mov_b64 s[38:39], -1
	s_mov_b64 s[40:41], 0
	s_cmp_gt_i32 s18, 0
	s_mov_b64 s[44:45], 0
	s_mov_b64 s[46:47], -1
	s_waitcnt lgkmcnt(0)
	s_barrier
                                        ; implicit-def: $vgpr6_vgpr7
	s_cbranch_scc1 .LBB43_180
; %bb.169:                              ;   in Loop: Header=BB43_16 Depth=1
	s_mov_b64 s[46:47], 0
                                        ; implicit-def: $vgpr6_vgpr7
	s_mov_b64 s[48:49], exec
	v_readlane_b32 s50, v60, 28
	v_readlane_b32 s51, v60, 29
	s_and_b64 s[50:51], s[48:49], s[50:51]
	s_mov_b64 exec, s[50:51]
	s_cbranch_execz .LBB43_179
; %bb.170:                              ;   in Loop: Header=BB43_16 Depth=1
	v_mov_b32_e32 v8, v16
	v_mov_b32_e32 v11, v0
                                        ; implicit-def: $sgpr50_sgpr51
	s_branch .LBB43_174
.LBB43_171:                             ;   in Loop: Header=BB43_174 Depth=2
	s_or_b64 exec, exec, s[52:53]
	s_waitcnt lgkmcnt(0)
	s_barrier
	ds_read_b128 v[4:7], v19 offset:3072
	s_waitcnt lgkmcnt(0)
	s_barrier
	v_cmp_neq_f64_e32 vcc, 0, v[4:5]
	s_cbranch_vccnz .LBB43_177
; %bb.172:                              ;   in Loop: Header=BB43_174 Depth=2
	v_add_u32_e32 v11, s64, v11
	v_cmp_le_i32_e32 vcc, s17, v11
	v_add_u32_e32 v8, s66, v8
	s_mov_b64 s[52:53], 0
	s_orn2_b64 s[54:55], vcc, exec
.LBB43_173:                             ;   in Loop: Header=BB43_174 Depth=2
	s_and_b64 s[54:55], exec, s[54:55]
	s_or_b64 s[44:45], s[54:55], s[44:45]
	s_andn2_b64 s[50:51], s[50:51], exec
	s_and_b64 s[52:53], s[52:53], exec
	s_or_b64 s[50:51], s[50:51], s[52:53]
	s_andn2_b64 exec, exec, s[44:45]
	s_cbranch_execz .LBB43_178
.LBB43_174:                             ;   Parent Loop BB43_16 Depth=1
                                        ; =>  This Inner Loop Header: Depth=2
	v_cmp_gt_i32_e32 vcc, s60, v11
	s_and_saveexec_b64 s[52:53], vcc
	s_cbranch_execz .LBB43_171
; %bb.175:                              ;   in Loop: Header=BB43_174 Depth=2
	v_ashrrev_i32_e32 v9, 31, v8
	v_lshl_add_u64 v[4:5], v[8:9], 3, s[72:73]
	global_load_dwordx2 v[4:5], v[4:5], off
	s_waitcnt vmcnt(0)
	v_ashrrev_i32_e32 v2, 31, v5
	v_or_b32_e32 v6, 0x80000000, v2
	v_xor_b32_e32 v2, v2, v4
	v_xor_b32_e32 v6, v6, v5
	v_cmp_o_f64_e32 vcc, v[4:5], v[4:5]
	s_nop 1
	v_cndmask_b32_e32 v2, -1, v2, vcc
	v_cndmask_b32_e32 v6, -1, v6, vcc
	v_and_b32_e32 v7, v6, v29
	v_and_b32_e32 v6, v2, v28
	v_cmp_eq_u64_e32 vcc, v[6:7], v[26:27]
	s_and_b64 exec, exec, vcc
	s_cbranch_execz .LBB43_171
; %bb.176:                              ;   in Loop: Header=BB43_174 Depth=2
	v_mov_b32_e32 v2, v19
	ds_write_b128 v19, v[2:5] offset:3072
	s_branch .LBB43_171
.LBB43_177:                             ;   in Loop: Header=BB43_174 Depth=2
	s_mov_b64 s[54:55], -1
                                        ; implicit-def: $vgpr11
                                        ; implicit-def: $vgpr8
	s_mov_b64 s[52:53], -1
	s_branch .LBB43_173
.LBB43_178:                             ;   in Loop: Header=BB43_16 Depth=1
	s_or_b64 exec, exec, s[44:45]
	s_and_b64 s[44:45], s[50:51], exec
.LBB43_179:                             ;   in Loop: Header=BB43_16 Depth=1
	s_or_b64 exec, exec, s[48:49]
.LBB43_180:                             ;   in Loop: Header=BB43_16 Depth=1
	s_and_b64 vcc, exec, s[46:47]
	s_cbranch_vccz .LBB43_192
; %bb.181:                              ;   in Loop: Header=BB43_16 Depth=1
	v_readlane_b32 s19, v60, 8
	s_add_i32 s19, s18, s19
	s_abs_i32 s39, s19
	v_readlane_b32 s40, v60, 27
	s_mul_hi_u32 s40, s39, s40
	s_mul_i32 s40, s40, s64
	s_sub_i32 s39, s39, s40
	s_ashr_i32 s38, s19, 31
	s_sub_i32 s40, s39, s64
	s_cmp_ge_u32 s39, s64
	s_cselect_b32 s39, s40, s39
	s_sub_i32 s40, s39, s64
	s_cmp_ge_u32 s39, s64
	s_cselect_b32 s39, s40, s39
	s_xor_b32 s39, s39, s38
	s_sub_i32 s38, s38, s39
	s_add_i32 s19, s19, s38
	v_cmp_gt_i32_e32 vcc, s19, v0
                                        ; implicit-def: $vgpr6_vgpr7
	s_and_saveexec_b64 s[38:39], vcc
	s_cbranch_execz .LBB43_191
; %bb.182:                              ;   in Loop: Header=BB43_16 Depth=1
	s_mov_b64 s[40:41], 0
	v_mov_b32_e32 v8, v35
	v_mov_b32_e32 v9, v0
                                        ; implicit-def: $sgpr46_sgpr47
	s_branch .LBB43_186
.LBB43_183:                             ;   in Loop: Header=BB43_186 Depth=2
	s_or_b64 exec, exec, s[48:49]
	s_waitcnt lgkmcnt(0)
	s_barrier
	ds_read_b128 v[4:7], v19 offset:3072
	s_waitcnt lgkmcnt(0)
	s_barrier
	v_cmp_eq_f64_e32 vcc, 0, v[4:5]
	s_cbranch_vccz .LBB43_189
; %bb.184:                              ;   in Loop: Header=BB43_186 Depth=2
	v_add_u32_e32 v9, s64, v9
	v_cmp_le_i32_e32 vcc, s19, v9
	v_add_u32_e32 v8, s6, v8
	s_mov_b64 s[48:49], 0
	s_orn2_b64 s[50:51], vcc, exec
.LBB43_185:                             ;   in Loop: Header=BB43_186 Depth=2
	s_and_b64 s[50:51], exec, s[50:51]
	s_or_b64 s[40:41], s[50:51], s[40:41]
	s_andn2_b64 s[46:47], s[46:47], exec
	s_and_b64 s[48:49], s[48:49], exec
	s_or_b64 s[46:47], s[46:47], s[48:49]
	s_andn2_b64 exec, exec, s[40:41]
	s_cbranch_execz .LBB43_190
.LBB43_186:                             ;   Parent Loop BB43_16 Depth=1
                                        ; =>  This Inner Loop Header: Depth=2
	v_cmp_gt_i32_e32 vcc, s18, v9
	s_and_saveexec_b64 s[48:49], vcc
	s_cbranch_execz .LBB43_183
; %bb.187:                              ;   in Loop: Header=BB43_186 Depth=2
	ds_read_b64 v[4:5], v8
	s_waitcnt lgkmcnt(0)
	v_ashrrev_i32_e32 v2, 31, v5
	v_or_b32_e32 v6, 0x80000000, v2
	v_xor_b32_e32 v2, v2, v4
	v_xor_b32_e32 v6, v6, v5
	v_cmp_o_f64_e32 vcc, v[4:5], v[4:5]
	s_nop 1
	v_cndmask_b32_e32 v2, -1, v2, vcc
	v_cndmask_b32_e32 v6, -1, v6, vcc
	v_and_b32_e32 v7, v6, v29
	v_and_b32_e32 v6, v2, v28
	v_cmp_eq_u64_e32 vcc, v[6:7], v[26:27]
	s_and_b64 exec, exec, vcc
	s_cbranch_execz .LBB43_183
; %bb.188:                              ;   in Loop: Header=BB43_186 Depth=2
	v_mov_b32_e32 v2, v19
	ds_write_b128 v19, v[2:5] offset:3072
	s_branch .LBB43_183
.LBB43_189:                             ;   in Loop: Header=BB43_186 Depth=2
	s_mov_b64 s[50:51], -1
                                        ; implicit-def: $vgpr9
                                        ; implicit-def: $vgpr8
	s_mov_b64 s[48:49], -1
	s_branch .LBB43_185
.LBB43_190:                             ;   in Loop: Header=BB43_16 Depth=1
	s_or_b64 exec, exec, s[40:41]
	s_andn2_b64 s[18:19], s[44:45], exec
	s_and_b64 s[40:41], s[46:47], exec
	s_or_b64 s[44:45], s[18:19], s[40:41]
.LBB43_191:                             ;   in Loop: Header=BB43_16 Depth=1
	s_or_b64 exec, exec, s[38:39]
	s_mov_b64 s[38:39], 0
	s_mov_b64 s[40:41], -1
.LBB43_192:                             ;   in Loop: Header=BB43_16 Depth=1
	s_orn2_b64 s[44:45], s[44:45], exec
.LBB43_193:                             ;   in Loop: Header=BB43_16 Depth=1
	s_or_b64 exec, exec, s[42:43]
	s_mov_b64 s[46:47], 0
	s_and_saveexec_b64 s[42:43], s[44:45]
	s_cbranch_execz .LBB43_245
; %bb.194:                              ;   in Loop: Header=BB43_16 Depth=1
	s_xor_b64 s[18:19], s[8:9], -1
	s_mov_b64 s[48:49], 0
	v_mov_b32_e32 v11, 1
	v_mov_b32_e32 v10, 1
	s_and_saveexec_b64 s[8:9], s[18:19]
	s_cbranch_execz .LBB43_203
; %bb.195:                              ;   in Loop: Header=BB43_16 Depth=1
	v_cmp_ge_i32_e32 vcc, s56, v12
	s_and_saveexec_b64 s[18:19], vcc
	s_xor_b64 s[44:45], exec, s[18:19]
	s_cbranch_execz .LBB43_200
; %bb.196:                              ;   in Loop: Header=BB43_16 Depth=1
	ds_read_b32 v4, v19 offset:4096
	s_lshl_b64 s[18:19], 2, s7
	v_and_b32_e32 v2, s31, v27
	v_and_b32_e32 v5, s30, v26
	v_or_b32_e32 v27, s19, v2
	s_waitcnt lgkmcnt(0)
	v_cmp_ne_u32_e32 vcc, 0, v4
	v_or_b32_e32 v26, s18, v5
	v_or_b32_e32 v29, s3, v29
	;; [unrolled: 1-line block ×3, first 2 shown]
	s_cbranch_vccnz .LBB43_200
; %bb.197:                              ;   in Loop: Header=BB43_16 Depth=1
	s_mov_b64 s[30:31], exec
	v_readlane_b32 s18, v60, 5
	v_readlane_b32 s19, v60, 6
	s_and_b64 s[18:19], s[30:31], s[18:19]
	s_mov_b64 exec, s[18:19]
; %bb.198:                              ;   in Loop: Header=BB43_16 Depth=1
	v_mov_b32_e32 v2, s56
	ds_write_b32 v19, v2 offset:4100
; %bb.199:                              ;   in Loop: Header=BB43_16 Depth=1
	s_or_b64 exec, exec, s[30:31]
	s_waitcnt lgkmcnt(0)
	s_barrier
.LBB43_200:                             ;   in Loop: Header=BB43_16 Depth=1
	s_or_saveexec_b64 s[30:31], s[44:45]
	s_mov_b64 s[44:45], 0
	v_mov_b32_e32 v10, 8
	s_xor_b64 exec, exec, s[30:31]
; %bb.201:                              ;   in Loop: Header=BB43_16 Depth=1
	s_mov_b64 s[44:45], exec
	v_subrev_u32_e32 v12, s56, v12
	v_mov_b32_e32 v10, 0
; %bb.202:                              ;   in Loop: Header=BB43_16 Depth=1
	s_or_b64 exec, exec, s[30:31]
	s_and_b64 s[48:49], s[44:45], exec
	v_mov_b32_e32 v11, v12
.LBB43_203:                             ;   in Loop: Header=BB43_16 Depth=1
	s_or_b64 exec, exec, s[8:9]
	s_mov_b64 s[8:9], -1
                                        ; implicit-def: $sgpr46_sgpr47
                                        ; implicit-def: $sgpr44_sgpr45
	s_and_saveexec_b64 s[30:31], s[48:49]
	s_cbranch_execz .LBB43_244
; %bb.204:                              ;   in Loop: Header=BB43_16 Depth=1
	s_cmp_eq_u32 s88, 1
	s_cselect_b64 s[8:9], -1, 0
	v_cmp_eq_u32_e32 vcc, 1, v11
	s_and_b64 s[8:9], s[8:9], vcc
	s_mov_b64 s[50:51], -1
                                        ; implicit-def: $sgpr46_sgpr47
                                        ; implicit-def: $sgpr44_sgpr45
	s_and_saveexec_b64 s[48:49], s[8:9]
	s_cbranch_execz .LBB43_232
; %bb.205:                              ;   in Loop: Header=BB43_16 Depth=1
	ds_read_b32 v2, v19 offset:4096
	s_waitcnt lgkmcnt(0)
	s_barrier
	v_readfirstlane_b32 s18, v2
	s_and_saveexec_b64 s[44:45], s[4:5]
; %bb.206:                              ;   in Loop: Header=BB43_16 Depth=1
	ds_write_b64 v36, v[50:51]
; %bb.207:                              ;   in Loop: Header=BB43_16 Depth=1
	s_or_b64 exec, exec, s[44:45]
	v_or_b32_e32 v27, s3, v27
	v_or_b32_e32 v26, s2, v26
	;; [unrolled: 1-line block ×4, first 2 shown]
	s_mov_b64 s[44:45], -1
	s_mov_b64 s[46:47], 0
	s_cmp_gt_i32 s18, 0
	s_mov_b64 s[50:51], 0
	s_mov_b64 s[52:53], -1
	s_waitcnt lgkmcnt(0)
	s_barrier
                                        ; implicit-def: $vgpr6_vgpr7
	s_cbranch_scc1 .LBB43_219
; %bb.208:                              ;   in Loop: Header=BB43_16 Depth=1
	s_mov_b64 s[52:53], 0
                                        ; implicit-def: $vgpr6_vgpr7
	s_mov_b64 s[54:55], exec
	v_readlane_b32 s56, v60, 28
	v_readlane_b32 s57, v60, 29
	s_and_b64 s[56:57], s[54:55], s[56:57]
	s_mov_b64 exec, s[56:57]
	s_cbranch_execz .LBB43_218
; %bb.209:                              ;   in Loop: Header=BB43_16 Depth=1
	v_mov_b32_e32 v8, v16
	v_mov_b32_e32 v12, v0
                                        ; implicit-def: $sgpr56_sgpr57
	s_branch .LBB43_213
.LBB43_210:                             ;   in Loop: Header=BB43_213 Depth=2
	s_or_b64 exec, exec, s[58:59]
	s_waitcnt lgkmcnt(0)
	s_barrier
	ds_read_b128 v[4:7], v19 offset:3072
	s_waitcnt lgkmcnt(0)
	s_barrier
	v_cmp_neq_f64_e32 vcc, 0, v[4:5]
	s_cbranch_vccnz .LBB43_216
; %bb.211:                              ;   in Loop: Header=BB43_213 Depth=2
	v_add_u32_e32 v12, s64, v12
	v_cmp_le_i32_e32 vcc, s17, v12
	v_add_u32_e32 v8, s66, v8
	s_mov_b64 s[58:59], 0
	s_orn2_b64 s[74:75], vcc, exec
.LBB43_212:                             ;   in Loop: Header=BB43_213 Depth=2
	s_and_b64 s[74:75], exec, s[74:75]
	s_or_b64 s[50:51], s[74:75], s[50:51]
	s_andn2_b64 s[56:57], s[56:57], exec
	s_and_b64 s[58:59], s[58:59], exec
	s_or_b64 s[56:57], s[56:57], s[58:59]
	s_andn2_b64 exec, exec, s[50:51]
	s_cbranch_execz .LBB43_217
.LBB43_213:                             ;   Parent Loop BB43_16 Depth=1
                                        ; =>  This Inner Loop Header: Depth=2
	v_cmp_gt_i32_e32 vcc, s60, v12
	s_and_saveexec_b64 s[58:59], vcc
	s_cbranch_execz .LBB43_210
; %bb.214:                              ;   in Loop: Header=BB43_213 Depth=2
	v_ashrrev_i32_e32 v9, 31, v8
	v_lshl_add_u64 v[4:5], v[8:9], 3, s[72:73]
	global_load_dwordx2 v[4:5], v[4:5], off
	s_waitcnt vmcnt(0)
	v_ashrrev_i32_e32 v2, 31, v5
	v_or_b32_e32 v6, 0x80000000, v2
	v_xor_b32_e32 v2, v2, v4
	v_xor_b32_e32 v6, v6, v5
	v_cmp_o_f64_e32 vcc, v[4:5], v[4:5]
	s_nop 1
	v_cndmask_b32_e32 v2, -1, v2, vcc
	v_cndmask_b32_e32 v6, -1, v6, vcc
	v_and_b32_e32 v7, v6, v29
	v_and_b32_e32 v6, v2, v28
	v_cmp_eq_u64_e32 vcc, v[6:7], v[26:27]
	s_and_b64 exec, exec, vcc
	s_cbranch_execz .LBB43_210
; %bb.215:                              ;   in Loop: Header=BB43_213 Depth=2
	v_mov_b32_e32 v2, v19
	ds_write_b128 v19, v[2:5] offset:3072
	s_branch .LBB43_210
.LBB43_216:                             ;   in Loop: Header=BB43_213 Depth=2
	s_mov_b64 s[74:75], -1
                                        ; implicit-def: $vgpr12
                                        ; implicit-def: $vgpr8
	s_mov_b64 s[58:59], -1
	s_branch .LBB43_212
.LBB43_217:                             ;   in Loop: Header=BB43_16 Depth=1
	s_or_b64 exec, exec, s[50:51]
	s_and_b64 s[50:51], s[56:57], exec
.LBB43_218:                             ;   in Loop: Header=BB43_16 Depth=1
	s_or_b64 exec, exec, s[54:55]
.LBB43_219:                             ;   in Loop: Header=BB43_16 Depth=1
	s_and_b64 vcc, exec, s[52:53]
	s_cbranch_vccz .LBB43_231
; %bb.220:                              ;   in Loop: Header=BB43_16 Depth=1
	v_readlane_b32 s19, v60, 8
	s_add_i32 s19, s18, s19
	s_abs_i32 s45, s19
	v_readlane_b32 s46, v60, 27
	s_mul_hi_u32 s46, s45, s46
	s_mul_i32 s46, s46, s64
	s_sub_i32 s45, s45, s46
	s_ashr_i32 s44, s19, 31
	s_sub_i32 s46, s45, s64
	s_cmp_ge_u32 s45, s64
	s_cselect_b32 s45, s46, s45
	s_sub_i32 s46, s45, s64
	s_cmp_ge_u32 s45, s64
	s_cselect_b32 s45, s46, s45
	s_xor_b32 s45, s45, s44
	s_sub_i32 s44, s44, s45
	s_add_i32 s19, s19, s44
	v_cmp_gt_i32_e32 vcc, s19, v0
                                        ; implicit-def: $vgpr6_vgpr7
	s_and_saveexec_b64 s[44:45], vcc
	s_cbranch_execz .LBB43_230
; %bb.221:                              ;   in Loop: Header=BB43_16 Depth=1
	s_mov_b64 s[46:47], 0
	v_mov_b32_e32 v8, v35
	v_mov_b32_e32 v9, v0
                                        ; implicit-def: $sgpr52_sgpr53
	s_branch .LBB43_225
.LBB43_222:                             ;   in Loop: Header=BB43_225 Depth=2
	s_or_b64 exec, exec, s[54:55]
	s_waitcnt lgkmcnt(0)
	s_barrier
	ds_read_b128 v[4:7], v19 offset:3072
	s_waitcnt lgkmcnt(0)
	s_barrier
	v_cmp_eq_f64_e32 vcc, 0, v[4:5]
	s_cbranch_vccz .LBB43_228
; %bb.223:                              ;   in Loop: Header=BB43_225 Depth=2
	v_add_u32_e32 v9, s64, v9
	v_cmp_le_i32_e32 vcc, s19, v9
	v_add_u32_e32 v8, s6, v8
	s_mov_b64 s[54:55], 0
	s_orn2_b64 s[56:57], vcc, exec
.LBB43_224:                             ;   in Loop: Header=BB43_225 Depth=2
	s_and_b64 s[56:57], exec, s[56:57]
	s_or_b64 s[46:47], s[56:57], s[46:47]
	s_andn2_b64 s[52:53], s[52:53], exec
	s_and_b64 s[54:55], s[54:55], exec
	s_or_b64 s[52:53], s[52:53], s[54:55]
	s_andn2_b64 exec, exec, s[46:47]
	s_cbranch_execz .LBB43_229
.LBB43_225:                             ;   Parent Loop BB43_16 Depth=1
                                        ; =>  This Inner Loop Header: Depth=2
	v_cmp_gt_i32_e32 vcc, s18, v9
	s_and_saveexec_b64 s[54:55], vcc
	s_cbranch_execz .LBB43_222
; %bb.226:                              ;   in Loop: Header=BB43_225 Depth=2
	ds_read_b64 v[4:5], v8
	s_waitcnt lgkmcnt(0)
	v_ashrrev_i32_e32 v2, 31, v5
	v_or_b32_e32 v6, 0x80000000, v2
	v_xor_b32_e32 v2, v2, v4
	v_xor_b32_e32 v6, v6, v5
	v_cmp_o_f64_e32 vcc, v[4:5], v[4:5]
	s_nop 1
	v_cndmask_b32_e32 v2, -1, v2, vcc
	v_cndmask_b32_e32 v6, -1, v6, vcc
	v_and_b32_e32 v7, v6, v29
	v_and_b32_e32 v6, v2, v28
	v_cmp_eq_u64_e32 vcc, v[6:7], v[26:27]
	s_and_b64 exec, exec, vcc
	s_cbranch_execz .LBB43_222
; %bb.227:                              ;   in Loop: Header=BB43_225 Depth=2
	v_mov_b32_e32 v2, v19
	ds_write_b128 v19, v[2:5] offset:3072
	s_branch .LBB43_222
.LBB43_228:                             ;   in Loop: Header=BB43_225 Depth=2
	s_mov_b64 s[56:57], -1
                                        ; implicit-def: $vgpr9
                                        ; implicit-def: $vgpr8
	s_mov_b64 s[54:55], -1
	s_branch .LBB43_224
.LBB43_229:                             ;   in Loop: Header=BB43_16 Depth=1
	s_or_b64 exec, exec, s[46:47]
	s_andn2_b64 s[18:19], s[50:51], exec
	s_and_b64 s[46:47], s[52:53], exec
	s_or_b64 s[50:51], s[18:19], s[46:47]
.LBB43_230:                             ;   in Loop: Header=BB43_16 Depth=1
	s_or_b64 exec, exec, s[44:45]
	s_mov_b64 s[44:45], 0
	s_mov_b64 s[46:47], -1
.LBB43_231:                             ;   in Loop: Header=BB43_16 Depth=1
	s_orn2_b64 s[50:51], s[50:51], exec
.LBB43_232:                             ;   in Loop: Header=BB43_16 Depth=1
	s_or_b64 exec, exec, s[48:49]
	s_mov_b64 s[52:53], 0
	s_and_saveexec_b64 s[48:49], s[50:51]
	s_cbranch_execz .LBB43_243
; %bb.233:                              ;   in Loop: Header=BB43_16 Depth=1
	s_xor_b64 s[18:19], s[8:9], -1
	v_mov_b32_e32 v10, 1
	v_mov_b32_e32 v2, 1
	s_and_saveexec_b64 s[8:9], s[18:19]
	s_cbranch_execz .LBB43_242
; %bb.234:                              ;   in Loop: Header=BB43_16 Depth=1
	v_cmp_ge_i32_e32 vcc, s88, v11
	s_and_saveexec_b64 s[18:19], vcc
	s_xor_b64 s[50:51], exec, s[18:19]
	s_cbranch_execz .LBB43_239
; %bb.235:                              ;   in Loop: Header=BB43_16 Depth=1
	ds_read_b32 v2, v19 offset:4096
	v_or_b32_e32 v27, s3, v27
	v_or_b32_e32 v26, s2, v26
	;; [unrolled: 1-line block ×4, first 2 shown]
	s_waitcnt lgkmcnt(0)
	v_cmp_ne_u32_e32 vcc, 0, v2
	s_cbranch_vccnz .LBB43_239
; %bb.236:                              ;   in Loop: Header=BB43_16 Depth=1
	s_mov_b64 s[2:3], exec
	v_readlane_b32 s18, v60, 5
	v_readlane_b32 s19, v60, 6
	s_and_b64 s[18:19], s[2:3], s[18:19]
	s_mov_b64 exec, s[18:19]
; %bb.237:                              ;   in Loop: Header=BB43_16 Depth=1
	v_mov_b32_e32 v2, s88
	ds_write_b32 v19, v2 offset:4100
; %bb.238:                              ;   in Loop: Header=BB43_16 Depth=1
	s_or_b64 exec, exec, s[2:3]
	s_waitcnt lgkmcnt(0)
	s_barrier
.LBB43_239:                             ;   in Loop: Header=BB43_16 Depth=1
	s_andn2_saveexec_b64 s[2:3], s[50:51]
; %bb.240:                              ;   in Loop: Header=BB43_16 Depth=1
	v_subrev_u32_e32 v11, s88, v11
; %bb.241:                              ;   in Loop: Header=BB43_16 Depth=1
	s_or_b64 exec, exec, s[2:3]
	v_mov_b32_e32 v10, 8
	v_mov_b32_e32 v2, v11
.LBB43_242:                             ;   in Loop: Header=BB43_16 Depth=1
	s_or_b64 exec, exec, s[8:9]
	s_mov_b64 s[52:53], exec
	v_mov_b32_e32 v11, v2
.LBB43_243:                             ;   in Loop: Header=BB43_16 Depth=1
	s_or_b64 exec, exec, s[48:49]
	s_orn2_b64 s[8:9], s[52:53], exec
.LBB43_244:                             ;   in Loop: Header=BB43_16 Depth=1
	s_or_b64 exec, exec, s[30:31]
	s_andn2_b64 s[2:3], s[40:41], exec
	s_and_b64 s[18:19], s[46:47], exec
	s_or_b64 s[40:41], s[2:3], s[18:19]
	s_andn2_b64 s[2:3], s[38:39], exec
	s_and_b64 s[18:19], s[44:45], exec
	s_or_b64 s[38:39], s[2:3], s[18:19]
	s_and_b64 s[46:47], s[8:9], exec
	v_mov_b32_e32 v12, v11
.LBB43_245:                             ;   in Loop: Header=BB43_16 Depth=1
	s_or_b64 exec, exec, s[42:43]
	s_orn2_b64 s[8:9], s[46:47], exec
.LBB43_246:                             ;   in Loop: Header=BB43_16 Depth=1
	s_or_b64 exec, exec, s[36:37]
	s_andn2_b64 s[2:3], s[28:29], exec
	s_and_b64 s[18:19], s[40:41], exec
	s_or_b64 s[28:29], s[2:3], s[18:19]
	s_andn2_b64 s[2:3], s[26:27], exec
	s_and_b64 s[18:19], s[38:39], exec
	s_or_b64 s[26:27], s[2:3], s[18:19]
	s_and_b64 s[38:39], s[8:9], exec
	v_mov_b32_e32 v11, v12
.LBB43_247:                             ;   in Loop: Header=BB43_16 Depth=1
	s_or_b64 exec, exec, s[34:35]
	s_orn2_b64 s[8:9], s[38:39], exec
.LBB43_248:                             ;   in Loop: Header=BB43_16 Depth=1
	s_or_b64 exec, exec, s[24:25]
	s_mov_b64 s[24:25], 0
                                        ; implicit-def: $sgpr34
                                        ; implicit-def: $sgpr35
	s_and_saveexec_b64 s[2:3], s[8:9]
	s_xor_b64 s[2:3], exec, s[2:3]
	s_cbranch_execz .LBB43_14
; %bb.249:                              ;   in Loop: Header=BB43_16 Depth=1
	v_and_b32_e32 v2, 7, v10
	v_cmp_eq_u32_e32 vcc, 0, v2
	s_mov_b64 s[8:9], -1
	s_mov_b64 s[22:23], -1
                                        ; implicit-def: $sgpr34
                                        ; implicit-def: $sgpr35
	s_and_saveexec_b64 s[24:25], vcc
	s_cbranch_execz .LBB43_13
; %bb.250:                              ;   in Loop: Header=BB43_16 Depth=1
	s_xor_b32 s35, s61, 1
	s_add_i32 s34, s7, -2
	s_cmp_eq_u32 s7, 0
	s_cselect_b64 s[8:9], -1, 0
	s_xor_b64 s[22:23], exec, -1
	s_orn2_b64 s[8:9], s[8:9], exec
	s_branch .LBB43_13
.LBB43_251:
	s_or_b64 exec, exec, s[92:93]
	s_xor_b64 s[4:5], s[98:99], -1
	s_xor_b64 s[2:3], s[94:95], -1
	;; [unrolled: 1-line block ×3, first 2 shown]
	s_mov_b64 s[0:1], 0
	s_and_saveexec_b64 s[8:9], s[2:3]
	s_xor_b64 s[2:3], exec, s[8:9]
	s_cbranch_execnz .LBB43_256
; %bb.252:
	s_andn2_saveexec_b64 s[2:3], s[2:3]
	s_cbranch_execnz .LBB43_276
.LBB43_253:
	s_or_b64 exec, exec, s[2:3]
	s_and_saveexec_b64 s[2:3], s[0:1]
.LBB43_254:
	; divergent unreachable
.LBB43_255:
	s_endpgm
.LBB43_256:
	s_and_saveexec_b64 s[0:1], s[4:5]
	s_xor_b64 s[4:5], exec, s[0:1]
	s_cbranch_execz .LBB43_274
; %bb.257:
	s_and_saveexec_b64 s[0:1], s[6:7]
	s_xor_b64 s[0:1], exec, s[0:1]
; %bb.258:
	v_lshrrev_b32_e32 v2, 31, v27
	v_mov_b32_e32 v3, 0
	v_lshl_add_u64 v[2:3], v[2:3], 0, -1
	v_or_b32_e32 v1, 0x80000000, v3
	v_xor_b32_e32 v7, v1, v27
	v_xor_b32_e32 v6, v2, v26
; %bb.259:
	s_or_b64 exec, exec, s[0:1]
	s_mov_b64 s[0:1], exec
	v_readlane_b32 s6, v60, 5
	v_readlane_b32 s7, v60, 6
	s_and_b64 s[6:7], s[0:1], s[6:7]
	s_mov_b64 exec, s[6:7]
; %bb.260:
	v_mov_b32_e32 v1, 0
	v_mov_b32_e32 v2, s60
	ds_write_b32 v1, v2 offset:4108
; %bb.261:
	s_or_b64 exec, exec, s[0:1]
	v_mov_b32_e32 v1, 0
	s_waitcnt lgkmcnt(0)
	s_barrier
	ds_read_b32 v1, v1 offset:4108
	s_waitcnt lgkmcnt(0)
	v_min_i32_e32 v2, s60, v1
	v_cmp_lt_i32_e32 vcc, v0, v2
	s_and_saveexec_b64 s[6:7], vcc
	s_cbranch_execz .LBB43_271
; %bb.262:
	v_cmp_u_f64_e32 vcc, v[6:7], v[6:7]
	s_mov_b64 s[8:9], 0
	s_xor_b64 s[12:13], vcc, -1
                                        ; implicit-def: $sgpr10_sgpr11
                                        ; implicit-def: $sgpr16_sgpr17
                                        ; implicit-def: $sgpr14_sgpr15
	s_branch .LBB43_264
.LBB43_263:                             ;   in Loop: Header=BB43_264 Depth=1
	s_or_b64 exec, exec, s[0:1]
	s_and_b64 s[0:1], exec, s[16:17]
	s_or_b64 s[8:9], s[0:1], s[8:9]
	s_andn2_b64 s[0:1], s[10:11], exec
	s_and_b64 s[10:11], s[14:15], exec
	s_or_b64 s[10:11], s[0:1], s[10:11]
	s_andn2_b64 exec, exec, s[8:9]
	s_cbranch_execz .LBB43_266
.LBB43_264:                             ; =>This Inner Loop Header: Depth=1
	v_ashrrev_i32_e32 v17, 31, v16
	s_waitcnt vmcnt(0)
	v_lshl_add_u64 v[4:5], v[16:17], 3, s[72:73]
	global_load_dwordx2 v[4:5], v[4:5], off
	v_mov_b32_e32 v1, v0
	s_or_b64 s[14:15], s[14:15], exec
	s_or_b64 s[16:17], s[16:17], exec
                                        ; implicit-def: $vgpr0
	s_waitcnt vmcnt(0)
	v_cmp_o_f64_e64 s[0:1], v[4:5], v[4:5]
	v_cmp_neq_f64_e32 vcc, v[4:5], v[6:7]
	s_or_b64 s[0:1], s[0:1], s[12:13]
	s_and_b64 s[18:19], vcc, s[0:1]
	s_and_saveexec_b64 s[0:1], s[18:19]
	s_cbranch_execz .LBB43_263
; %bb.265:                              ;   in Loop: Header=BB43_264 Depth=1
	v_add_u32_e32 v0, s64, v1
	v_cmp_ge_i32_e32 vcc, v0, v2
	s_andn2_b64 s[16:17], s[16:17], exec
	s_and_b64 s[18:19], vcc, exec
	v_add_u32_e32 v16, s66, v16
	s_andn2_b64 s[14:15], s[14:15], exec
	s_or_b64 s[16:17], s[16:17], s[18:19]
	s_branch .LBB43_263
.LBB43_266:
	s_or_b64 exec, exec, s[8:9]
	s_and_saveexec_b64 s[0:1], s[10:11]
	s_xor_b64 s[0:1], exec, s[0:1]
	s_cbranch_execz .LBB43_271
; %bb.267:
	s_mov_b64 s[0:1], exec
	s_brev_b32 s8, -2
.LBB43_268:                             ; =>This Inner Loop Header: Depth=1
	s_ff1_i32_b64 s9, s[0:1]
	v_readlane_b32 s12, v1, s9
	s_lshl_b64 s[10:11], 1, s9
	s_min_i32 s8, s8, s12
	s_andn2_b64 s[0:1], s[0:1], s[10:11]
	s_cmp_lg_u64 s[0:1], 0
	s_cbranch_scc1 .LBB43_268
; %bb.269:
	v_mbcnt_lo_u32_b32 v0, exec_lo, 0
	v_mbcnt_hi_u32_b32 v0, exec_hi, v0
	v_cmp_eq_u32_e32 vcc, 0, v0
	s_and_saveexec_b64 s[0:1], vcc
	s_xor_b64 s[0:1], exec, s[0:1]
; %bb.270:
	v_mov_b32_e32 v0, 0
	v_mov_b32_e32 v1, s8
	ds_min_i32 v0, v1 offset:4108
.LBB43_271:
	s_or_b64 exec, exec, s[6:7]
	s_waitcnt lgkmcnt(0)
	s_barrier
	s_mov_b64 s[0:1], exec
	v_readlane_b32 s6, v60, 5
	v_readlane_b32 s7, v60, 6
	s_and_b64 s[6:7], s[0:1], s[6:7]
	s_mov_b64 exec, s[6:7]
	s_cbranch_execz .LBB43_273
; %bb.272:
	v_readlane_b32 s6, v60, 0
	s_mul_i32 s6, s6, s62
	v_readlane_b32 s7, v60, 7
	s_add_i32 s6, s6, s65
	s_mul_i32 s7, s7, s33
	s_add_i32 s8, s7, s67
	s_ashr_i32 s7, s6, 31
	v_mov_b32_e32 v2, 0
	s_lshl_b64 s[6:7], s[6:7], 3
	v_readlane_b32 s10, v60, 1
	ds_read_b32 v0, v2 offset:4108
	v_readlane_b32 s11, v60, 2
	s_add_u32 s6, s10, s6
	s_addc_u32 s7, s11, s7
	s_ashr_i32 s9, s8, 31
	s_lshl_b64 s[8:9], s[8:9], 3
	v_readlane_b32 s10, v60, 3
	v_readlane_b32 s11, v60, 4
	s_add_u32 s8, s10, s8
	s_addc_u32 s9, s11, s9
	s_waitcnt lgkmcnt(0)
	v_ashrrev_i32_e32 v1, 31, v0
	global_store_dwordx2 v2, v[0:1], s[8:9]
	global_store_dwordx2 v2, v[6:7], s[6:7]
.LBB43_273:
	s_or_b64 exec, exec, s[0:1]
.LBB43_274:
	s_or_saveexec_b64 s[0:1], s[4:5]
	s_mov_b64 s[4:5], 0
	s_xor_b64 exec, exec, s[0:1]
	s_cbranch_execnz .LBB43_277
.LBB43_275:
	s_or_b64 exec, exec, s[0:1]
	s_and_b64 s[0:1], s[4:5], exec
	s_andn2_saveexec_b64 s[2:3], s[2:3]
	s_cbranch_execz .LBB43_253
.LBB43_276:
	s_or_b64 s[0:1], s[0:1], exec
	s_trap 2
	s_or_b64 exec, exec, s[2:3]
	s_and_saveexec_b64 s[2:3], s[0:1]
	s_cbranch_execnz .LBB43_254
	s_branch .LBB43_255
.LBB43_277:
	s_mov_b64 s[4:5], exec
	s_trap 2
	s_branch .LBB43_275
	.section	.rodata,"a",@progbits
	.p2align	6, 0x0
	.amdhsa_kernel _ZN2at6native12_GLOBAL__N_114gatherKthValueIdiLin1EEEvNS_4cuda6detail10TensorInfoIKT_T0_EES8_S8_S8_S8_NS5_IS6_S8_EENS5_IlS8_EE
		.amdhsa_group_segment_fixed_size 4112
		.amdhsa_private_segment_fixed_size 0
		.amdhsa_kernarg_size 920
		.amdhsa_user_sgpr_count 2
		.amdhsa_user_sgpr_dispatch_ptr 0
		.amdhsa_user_sgpr_queue_ptr 0
		.amdhsa_user_sgpr_kernarg_segment_ptr 1
		.amdhsa_user_sgpr_dispatch_id 0
		.amdhsa_user_sgpr_kernarg_preload_length 0
		.amdhsa_user_sgpr_kernarg_preload_offset 0
		.amdhsa_user_sgpr_private_segment_size 0
		.amdhsa_uses_dynamic_stack 0
		.amdhsa_enable_private_segment 0
		.amdhsa_system_sgpr_workgroup_id_x 1
		.amdhsa_system_sgpr_workgroup_id_y 1
		.amdhsa_system_sgpr_workgroup_id_z 1
		.amdhsa_system_sgpr_workgroup_info 0
		.amdhsa_system_vgpr_workitem_id 0
		.amdhsa_next_free_vgpr 61
		.amdhsa_next_free_sgpr 100
		.amdhsa_accum_offset 64
		.amdhsa_reserve_vcc 1
		.amdhsa_float_round_mode_32 0
		.amdhsa_float_round_mode_16_64 0
		.amdhsa_float_denorm_mode_32 3
		.amdhsa_float_denorm_mode_16_64 3
		.amdhsa_dx10_clamp 1
		.amdhsa_ieee_mode 1
		.amdhsa_fp16_overflow 0
		.amdhsa_tg_split 0
		.amdhsa_exception_fp_ieee_invalid_op 0
		.amdhsa_exception_fp_denorm_src 0
		.amdhsa_exception_fp_ieee_div_zero 0
		.amdhsa_exception_fp_ieee_overflow 0
		.amdhsa_exception_fp_ieee_underflow 0
		.amdhsa_exception_fp_ieee_inexact 0
		.amdhsa_exception_int_div_zero 0
	.end_amdhsa_kernel
	.section	.text._ZN2at6native12_GLOBAL__N_114gatherKthValueIdiLin1EEEvNS_4cuda6detail10TensorInfoIKT_T0_EES8_S8_S8_S8_NS5_IS6_S8_EENS5_IlS8_EE,"axG",@progbits,_ZN2at6native12_GLOBAL__N_114gatherKthValueIdiLin1EEEvNS_4cuda6detail10TensorInfoIKT_T0_EES8_S8_S8_S8_NS5_IS6_S8_EENS5_IlS8_EE,comdat
.Lfunc_end43:
	.size	_ZN2at6native12_GLOBAL__N_114gatherKthValueIdiLin1EEEvNS_4cuda6detail10TensorInfoIKT_T0_EES8_S8_S8_S8_NS5_IS6_S8_EENS5_IlS8_EE, .Lfunc_end43-_ZN2at6native12_GLOBAL__N_114gatherKthValueIdiLin1EEEvNS_4cuda6detail10TensorInfoIKT_T0_EES8_S8_S8_S8_NS5_IS6_S8_EENS5_IlS8_EE
                                        ; -- End function
	.set _ZN2at6native12_GLOBAL__N_114gatherKthValueIdiLin1EEEvNS_4cuda6detail10TensorInfoIKT_T0_EES8_S8_S8_S8_NS5_IS6_S8_EENS5_IlS8_EE.num_vgpr, 61
	.set _ZN2at6native12_GLOBAL__N_114gatherKthValueIdiLin1EEEvNS_4cuda6detail10TensorInfoIKT_T0_EES8_S8_S8_S8_NS5_IS6_S8_EENS5_IlS8_EE.num_agpr, 0
	.set _ZN2at6native12_GLOBAL__N_114gatherKthValueIdiLin1EEEvNS_4cuda6detail10TensorInfoIKT_T0_EES8_S8_S8_S8_NS5_IS6_S8_EENS5_IlS8_EE.numbered_sgpr, 100
	.set _ZN2at6native12_GLOBAL__N_114gatherKthValueIdiLin1EEEvNS_4cuda6detail10TensorInfoIKT_T0_EES8_S8_S8_S8_NS5_IS6_S8_EENS5_IlS8_EE.num_named_barrier, 0
	.set _ZN2at6native12_GLOBAL__N_114gatherKthValueIdiLin1EEEvNS_4cuda6detail10TensorInfoIKT_T0_EES8_S8_S8_S8_NS5_IS6_S8_EENS5_IlS8_EE.private_seg_size, 0
	.set _ZN2at6native12_GLOBAL__N_114gatherKthValueIdiLin1EEEvNS_4cuda6detail10TensorInfoIKT_T0_EES8_S8_S8_S8_NS5_IS6_S8_EENS5_IlS8_EE.uses_vcc, 1
	.set _ZN2at6native12_GLOBAL__N_114gatherKthValueIdiLin1EEEvNS_4cuda6detail10TensorInfoIKT_T0_EES8_S8_S8_S8_NS5_IS6_S8_EENS5_IlS8_EE.uses_flat_scratch, 0
	.set _ZN2at6native12_GLOBAL__N_114gatherKthValueIdiLin1EEEvNS_4cuda6detail10TensorInfoIKT_T0_EES8_S8_S8_S8_NS5_IS6_S8_EENS5_IlS8_EE.has_dyn_sized_stack, 0
	.set _ZN2at6native12_GLOBAL__N_114gatherKthValueIdiLin1EEEvNS_4cuda6detail10TensorInfoIKT_T0_EES8_S8_S8_S8_NS5_IS6_S8_EENS5_IlS8_EE.has_recursion, 0
	.set _ZN2at6native12_GLOBAL__N_114gatherKthValueIdiLin1EEEvNS_4cuda6detail10TensorInfoIKT_T0_EES8_S8_S8_S8_NS5_IS6_S8_EENS5_IlS8_EE.has_indirect_call, 0
	.section	.AMDGPU.csdata,"",@progbits
; Kernel info:
; codeLenInByte = 10952
; TotalNumSgprs: 106
; NumVgprs: 61
; NumAgprs: 0
; TotalNumVgprs: 61
; ScratchSize: 0
; MemoryBound: 0
; FloatMode: 240
; IeeeMode: 1
; LDSByteSize: 4112 bytes/workgroup (compile time only)
; SGPRBlocks: 13
; VGPRBlocks: 7
; NumSGPRsForWavesPerEU: 106
; NumVGPRsForWavesPerEU: 61
; AccumOffset: 64
; Occupancy: 7
; WaveLimiterHint : 1
; COMPUTE_PGM_RSRC2:SCRATCH_EN: 0
; COMPUTE_PGM_RSRC2:USER_SGPR: 2
; COMPUTE_PGM_RSRC2:TRAP_HANDLER: 0
; COMPUTE_PGM_RSRC2:TGID_X_EN: 1
; COMPUTE_PGM_RSRC2:TGID_Y_EN: 1
; COMPUTE_PGM_RSRC2:TGID_Z_EN: 1
; COMPUTE_PGM_RSRC2:TIDIG_COMP_CNT: 0
; COMPUTE_PGM_RSRC3_GFX90A:ACCUM_OFFSET: 15
; COMPUTE_PGM_RSRC3_GFX90A:TG_SPLIT: 0
	.section	.text._ZN2at6native12_GLOBAL__N_114gatherKthValueIdlLi1EEEvNS_4cuda6detail10TensorInfoIKT_T0_EES8_S8_S8_S8_NS5_IS6_S8_EENS5_IlS8_EE,"axG",@progbits,_ZN2at6native12_GLOBAL__N_114gatherKthValueIdlLi1EEEvNS_4cuda6detail10TensorInfoIKT_T0_EES8_S8_S8_S8_NS5_IS6_S8_EENS5_IlS8_EE,comdat
	.globl	_ZN2at6native12_GLOBAL__N_114gatherKthValueIdlLi1EEEvNS_4cuda6detail10TensorInfoIKT_T0_EES8_S8_S8_S8_NS5_IS6_S8_EENS5_IlS8_EE ; -- Begin function _ZN2at6native12_GLOBAL__N_114gatherKthValueIdlLi1EEEvNS_4cuda6detail10TensorInfoIKT_T0_EES8_S8_S8_S8_NS5_IS6_S8_EENS5_IlS8_EE
	.p2align	8
	.type	_ZN2at6native12_GLOBAL__N_114gatherKthValueIdlLi1EEEvNS_4cuda6detail10TensorInfoIKT_T0_EES8_S8_S8_S8_NS5_IS6_S8_EENS5_IlS8_EE,@function
_ZN2at6native12_GLOBAL__N_114gatherKthValueIdlLi1EEEvNS_4cuda6detail10TensorInfoIKT_T0_EES8_S8_S8_S8_NS5_IS6_S8_EENS5_IlS8_EE: ; @_ZN2at6native12_GLOBAL__N_114gatherKthValueIdlLi1EEEvNS_4cuda6detail10TensorInfoIKT_T0_EES8_S8_S8_S8_NS5_IS6_S8_EENS5_IlS8_EE
; %bb.0:
	s_load_dwordx2 s[10:11], s[0:1], 0x500
	s_load_dwordx8 s[56:63], s[0:1], 0x1a0
	s_add_u32 s8, s0, 0x500
	s_addc_u32 s9, s1, 0
	s_mov_b32 s15, 0
	s_waitcnt lgkmcnt(0)
	s_mul_i32 s4, s11, s4
	s_add_i32 s3, s4, s3
	s_mul_i32 s3, s3, s10
	s_add_i32 s14, s3, s2
	v_mov_b64_e32 v[2:3], s[14:15]
	v_cmp_le_i64_e32 vcc, s[60:61], v[2:3]
	s_cbranch_vccnz .LBB44_277
; %bb.1:
	s_load_dwordx2 s[4:5], s[0:1], 0x430
                                        ; implicit-def: $vgpr66 : SGPR spill to VGPR lane
	v_cmp_eq_u32_e64 s[12:13], 0, v0
	s_waitcnt lgkmcnt(0)
	v_writelane_b32 v66, s4, 0
	s_nop 1
	v_writelane_b32 v66, s5, 1
	s_load_dwordx2 s[4:5], s[0:1], 0x360
	s_waitcnt lgkmcnt(0)
	v_writelane_b32 v66, s4, 2
	s_nop 1
	v_writelane_b32 v66, s5, 3
	s_load_dwordx2 s[4:5], s[0:1], 0x290
	;; [unrolled: 5-line block ×4, first 2 shown]
	s_load_dwordx2 s[4:5], s[0:1], 0x0
	s_mov_b64 s[0:1], exec
	v_writelane_b32 v66, s12, 8
	s_nop 1
	v_writelane_b32 v66, s13, 9
	s_and_b64 s[12:13], s[0:1], s[12:13]
	s_mov_b64 exec, s[12:13]
	s_cbranch_execz .LBB44_3
; %bb.2:
	v_mov_b32_e32 v2, 0
	v_mov_b32_e32 v4, s56
	;; [unrolled: 1-line block ×4, first 2 shown]
	ds_write_b32 v2, v2 offset:5136
	ds_write_b128 v2, v[2:5] offset:5120
.LBB44_3:
	s_or_b64 exec, exec, s[0:1]
	s_waitcnt lgkmcnt(0)
	s_mul_i32 s0, s7, s14
	s_mul_hi_u32 s1, s6, s14
	s_add_i32 s1, s1, s0
	s_mov_b32 s0, s14
	v_writelane_b32 v66, s0, 10
	v_mov_b64_e32 v[2:3], 0x180
	v_mbcnt_lo_u32_b32 v1, -1, 0
	v_writelane_b32 v66, s1, 11
	s_mul_i32 s0, s6, s14
	s_lshl_b64 s[0:1], s[0:1], 3
	s_add_u32 s12, s4, s0
	s_addc_u32 s13, s5, s1
	v_cmp_gt_u32_e64 s[0:1], 2, v0
	v_mov_b32_e32 v19, 0
	v_mbcnt_hi_u32_b32 v46, -1, v1
	v_writelane_b32 v66, s0, 12
	v_mov_b32_e32 v1, v19
	s_nop 0
	v_writelane_b32 v66, s1, 13
	v_cmp_gt_i64_e64 s[0:1], s[56:57], v[2:3]
	s_barrier
	s_nop 0
	v_writelane_b32 v66, s0, 14
	v_cmp_gt_u32_e32 vcc, 64, v0
	v_cmp_gt_i32_e64 s[6:7], 4, v46
	v_writelane_b32 v66, s1, 15
	v_cmp_gt_u64_e64 s[0:1], s[56:57], v[0:1]
	s_and_b64 s[74:75], vcc, s[6:7]
	v_lshlrev_b32_e32 v51, 5, v0
	v_writelane_b32 v66, s0, 16
	s_mov_b32 s77, 0
	v_lshlrev_b32_e32 v47, 3, v0
	v_writelane_b32 v66, s1, 17
	v_mad_u64_u32 v[2:3], s[0:1], s62, v0, 0
	v_mov_b32_e32 v4, v3
	v_mad_u64_u32 v[4:5], s[0:1], s63, v0, v[4:5]
	v_writelane_b32 v66, s12, 18
	v_cmp_gt_i64_e64 s[0:1], s[56:57], v[0:1]
	v_mov_b32_e32 v3, v4
	v_writelane_b32 v66, s13, 19
	v_writelane_b32 v66, s0, 20
	v_lshlrev_b32_e32 v4, 2, v46
	v_and_b32_e32 v49, 0x100, v4
	v_writelane_b32 v66, s1, 21
	s_load_dword s0, s[8:9], 0xc
	v_lshlrev_b64 v[4:5], v46, -1
	v_not_b32_e32 v23, v5
	v_not_b32_e32 v22, v4
	v_lshrrev_b32_e32 v4, 1, v0
	s_waitcnt lgkmcnt(0)
	s_and_b32 s70, s0, 0xffff
	s_bfe_u32 s0, s0, 0xa0006
	s_cmp_gt_u32 s70, 63
	s_cselect_b64 s[6:7], -1, 0
	s_add_u32 s3, s70, -1
	s_addc_u32 s1, 0, -1
	v_writelane_b32 v66, s6, 22
	s_add_u32 s85, s3, s56
	s_addc_u32 s83, s1, s57
	v_writelane_b32 v66, s7, 23
	v_writelane_b32 v66, s3, 24
	s_cmp_lt_u32 s2, s10
	v_writelane_b32 v66, s1, 25
	s_cselect_b32 s1, 12, 18
	s_add_u32 s80, s8, s1
	s_addc_u32 s81, s9, 0
	s_add_i32 s1, s0, -1
	s_bfe_u32 s2, s70, 0x30006
	s_and_b32 s1, s1, 0xffff
	s_cmp_gt_u32 s1, 6
	s_cselect_b64 s[6:7], -1, 0
	v_writelane_b32 v66, s6, 26
	s_and_b32 s33, s0, 0x3f8
	s_cmp_lg_u32 s2, 0
	v_writelane_b32 v66, s7, 27
	v_writelane_b32 v66, s2, 28
	s_cselect_b64 s[0:1], -1, 0
	v_writelane_b32 v66, s0, 29
	v_or_b32_e32 v5, 24, v51
	v_and_b32_e32 v4, 0x1e0, v4
	v_writelane_b32 v66, s1, 30
	v_mad_u64_u32 v[24:25], s[0:1], s62, v5, 0
	v_or_b32_e32 v50, 0xc00, v4
	v_mov_b32_e32 v4, v25
	v_mad_u64_u32 v[4:5], s[0:1], s63, v5, v[4:5]
	v_or_b32_e32 v5, 16, v51
	v_mad_u64_u32 v[28:29], s[0:1], s62, v5, 0
	v_mov_b32_e32 v25, v4
	v_mov_b32_e32 v4, v29
	v_mad_u64_u32 v[4:5], s[0:1], s63, v5, v[4:5]
	v_or_b32_e32 v5, 8, v51
	v_mad_u64_u32 v[30:31], s[0:1], s62, v5, 0
	v_mov_b32_e32 v29, v4
	v_mov_b32_e32 v4, v31
	v_mad_u64_u32 v[4:5], s[0:1], s63, v5, v[4:5]
	s_mul_i32 s0, s63, s70
	s_mul_hi_u32 s1, s62, s70
	v_writelane_b32 v66, s74, 31
	v_lshl_add_u64 v[16:17], v[2:3], 3, s[12:13]
	v_lshlrev_b64 v[32:33], 5, v[2:3]
	v_mov_b32_e32 v2, 0xc00
	s_add_i32 s1, s1, s0
	s_mul_i32 s0, s62, s70
	v_writelane_b32 v66, s75, 32
	v_cmp_eq_u32_e64 s[4:5], 0, v46
	v_add_u32_e32 v48, 0xc00, v47
	v_lshlrev_b32_e32 v20, 2, v0
	v_mov_b32_e32 v21, v19
	s_mov_b32 s71, s77
	s_lshl_b64 s[90:91], s[62:63], 3
	s_lshl_b64 s[92:93], s[62:63], 5
	v_mov_b32_e32 v31, v4
	v_lshl_add_u64 v[34:35], s[56:57], 0, v[0:1]
	v_lshl_or_b32 v52, v46, 3, v2
	s_lshl_b64 s[72:73], s[0:1], 3
	s_lshl_b32 s78, s70, 3
	s_mov_b32 s79, 62
	v_mov_b64_e32 v[6:7], 0
	s_mov_b64 s[94:95], 0
	v_mov_b64_e32 v[38:39], s[58:59]
	v_mov_b64_e32 v[26:27], 0
	;; [unrolled: 1-line block ×4, first 2 shown]
	v_mov_b32_e32 v3, 0x3ff00000
	v_mov_b32_e32 v56, v19
	;; [unrolled: 1-line block ×3, first 2 shown]
	s_mov_b32 s84, 0
	v_writelane_b32 v66, s80, 33
                                        ; implicit-def: $sgpr58_sgpr59
                                        ; implicit-def: $sgpr98_sgpr99
                                        ; implicit-def: $sgpr96_sgpr97
                                        ; implicit-def: $sgpr60_sgpr61
                                        ; implicit-def: $sgpr66_sgpr67
                                        ; implicit-def: $sgpr54_sgpr55
	s_nop 1
	v_writelane_b32 v66, s81, 34
	s_branch .LBB44_7
.LBB44_4:                               ;   in Loop: Header=BB44_7 Depth=1
	s_or_b64 exec, exec, s[10:11]
	s_and_b64 s[6:7], s[6:7], exec
	s_andn2_b64 s[26:27], s[26:27], exec
	s_andn2_b64 s[2:3], s[2:3], exec
	s_orn2_b64 s[18:19], s[8:9], exec
.LBB44_5:                               ;   in Loop: Header=BB44_7 Depth=1
	s_or_b64 exec, exec, s[0:1]
	s_andn2_b64 s[0:1], s[54:55], exec
	s_and_b64 s[6:7], s[6:7], exec
	s_or_b64 s[54:55], s[0:1], s[6:7]
	s_andn2_b64 s[0:1], s[66:67], exec
	s_and_b64 s[6:7], s[26:27], exec
	s_or_b64 s[66:67], s[0:1], s[6:7]
	;; [unrolled: 3-line block ×3, first 2 shown]
	s_orn2_b64 s[2:3], s[18:19], exec
.LBB44_6:                               ;   in Loop: Header=BB44_7 Depth=1
	s_or_b64 exec, exec, s[16:17]
	s_and_b64 s[0:1], exec, s[2:3]
	s_or_b64 s[94:95], s[0:1], s[94:95]
	s_andn2_b64 s[0:1], s[96:97], exec
	s_and_b64 s[2:3], s[54:55], exec
	s_or_b64 s[96:97], s[0:1], s[2:3]
	s_andn2_b64 s[0:1], s[98:99], exec
	s_and_b64 s[2:3], s[66:67], exec
	;; [unrolled: 3-line block ×3, first 2 shown]
	s_or_b64 s[58:59], s[0:1], s[2:3]
	v_mov_b64_e32 v[38:39], v[12:13]
	s_andn2_b64 exec, exec, s[94:95]
	s_cbranch_execz .LBB44_273
.LBB44_7:                               ; =>This Loop Header: Depth=1
                                        ;     Child Loop BB44_13 Depth 2
                                        ;     Child Loop BB44_26 Depth 2
	;; [unrolled: 1-line block ×16, first 2 shown]
	ds_read_b128 v[8:11], v19 offset:5120
	s_waitcnt lgkmcnt(0)
	v_readfirstlane_b32 s69, v9
	v_readfirstlane_b32 s68, v8
	s_nop 1
	v_cmp_gt_i64_e64 s[0:1], s[68:69], 0
	s_and_b64 vcc, exec, s[0:1]
	s_cbranch_vccnz .LBB44_34
; %bb.8:                                ;   in Loop: Header=BB44_7 Depth=1
	v_readlane_b32 s0, v66, 14
	v_readlane_b32 s1, v66, 15
	s_and_b64 vcc, exec, s[0:1]
	s_cbranch_vccz .LBB44_21
; %bb.9:                                ;   in Loop: Header=BB44_7 Depth=1
	s_mov_b64 s[0:1], 0x181
	v_cmp_gt_i64_e32 vcc, s[0:1], v[10:11]
	s_mov_b64 s[0:1], 0
	s_mov_b64 s[2:3], 0
	s_cbranch_vccz .LBB44_22
; %bb.10:                               ;   in Loop: Header=BB44_7 Depth=1
	s_mov_b64 s[6:7], exec
	v_readlane_b32 s2, v66, 16
	v_readlane_b32 s3, v66, 17
	s_and_b64 s[2:3], s[6:7], s[2:3]
	s_mov_b64 exec, s[2:3]
	s_cbranch_execz .LBB44_68
; %bb.11:                               ;   in Loop: Header=BB44_7 Depth=1
	global_load_ushort v2, v19, s[80:81]
	global_load_dwordx2 v[4:5], v[16:17], off
	v_readlane_b32 s2, v66, 18
	v_readlane_b32 s3, v66, 19
	s_mov_b64 s[8:9], 0
	s_waitcnt vmcnt(1)
	v_and_b32_e32 v18, 0xffff, v2
	v_mov_b64_e32 v[8:9], s[2:3]
	v_readfirstlane_b32 s2, v2
	s_and_b32 s2, 0xffff, s2
	s_mul_i32 s11, s91, s2
	v_add_u32_e32 v10, s2, v0
	s_mul_hi_u32 s12, s90, s2
	s_mul_i32 s10, s90, s2
	v_mad_u64_u32 v[8:9], s[2:3], s90, v10, v[8:9]
	v_mov_b32_e32 v2, v9
	v_mad_u64_u32 v[10:11], s[2:3], s91, v10, v[2:3]
	s_add_i32 s11, s12, s11
	v_mov_b32_e32 v9, v10
	v_mov_b64_e32 v[10:11], v[0:1]
	s_branch .LBB44_13
.LBB44_12:                              ;   in Loop: Header=BB44_13 Depth=2
	s_or_b64 exec, exec, s[2:3]
	v_lshl_add_u64 v[8:9], v[8:9], 0, s[10:11]
	v_mov_b64_e32 v[4:5], v[12:13]
	s_andn2_b64 exec, exec, s[8:9]
	s_cbranch_execz .LBB44_68
.LBB44_13:                              ;   Parent Loop BB44_7 Depth=1
                                        ; =>  This Inner Loop Header: Depth=2
	v_lshl_add_u64 v[10:11], v[10:11], 0, v[18:19]
	v_cmp_gt_i64_e64 s[2:3], s[56:57], v[10:11]
	v_cmp_le_i64_e32 vcc, s[56:57], v[10:11]
	v_mov_b64_e32 v[12:13], 0
	s_and_saveexec_b64 s[12:13], s[2:3]
	s_cbranch_execz .LBB44_15
; %bb.14:                               ;   in Loop: Header=BB44_13 Depth=2
	global_load_dwordx2 v[12:13], v[8:9], off
.LBB44_15:                              ;   in Loop: Header=BB44_13 Depth=2
	s_or_b64 exec, exec, s[12:13]
	s_waitcnt vmcnt(0) lgkmcnt(0)
	v_ashrrev_i32_e32 v2, 31, v5
	v_or_b32_e32 v14, 0x80000000, v2
	v_xor_b32_e32 v14, v14, v5
	v_xor_b32_e32 v2, v2, v4
	v_cmp_o_f64_e64 s[2:3], v[4:5], v[4:5]
	s_nop 1
	v_cndmask_b32_e64 v14, -1, v14, s[2:3]
	v_cndmask_b32_e64 v2, -1, v2, s[2:3]
	v_and_b32_e32 v15, v14, v37
	v_and_b32_e32 v14, v2, v36
	v_cmp_eq_u64_e64 s[12:13], v[14:15], v[26:27]
	s_cmp_lg_u64 s[12:13], 0
	s_cselect_b64 s[2:3], -1, 0
	s_and_b64 s[2:3], s[4:5], s[2:3]
	v_mov_b32_e32 v2, 0
	s_and_saveexec_b64 s[14:15], s[2:3]
	s_cbranch_execz .LBB44_19
; %bb.16:                               ;   in Loop: Header=BB44_13 Depth=2
	s_mov_b64 s[18:19], exec
	v_mbcnt_lo_u32_b32 v2, s18, 0
	v_mbcnt_hi_u32_b32 v2, s19, v2
	s_bcnt1_i32_b64 s20, s[12:13]
	v_cmp_eq_u32_e64 s[2:3], 0, v2
                                        ; implicit-def: $vgpr14
	s_and_saveexec_b64 s[16:17], s[2:3]
; %bb.17:                               ;   in Loop: Header=BB44_13 Depth=2
	s_bcnt1_i32_b64 s2, s[18:19]
	s_mul_i32 s2, s20, s2
	v_mov_b32_e32 v14, s2
	ds_add_rtn_u32 v14, v19, v14 offset:5136
; %bb.18:                               ;   in Loop: Header=BB44_13 Depth=2
	s_or_b64 exec, exec, s[16:17]
	s_waitcnt lgkmcnt(0)
	v_readfirstlane_b32 s2, v14
	s_nop 1
	v_mov_b32_e32 v14, s2
	v_mad_u32_u24 v2, s20, v2, v14
.LBB44_19:                              ;   in Loop: Header=BB44_13 Depth=2
	s_or_b64 exec, exec, s[14:15]
	ds_bpermute_b32 v2, v49, v2
	s_and_b64 s[2:3], exec, vcc
	s_or_b64 s[8:9], s[2:3], s[8:9]
	s_and_saveexec_b64 s[2:3], s[12:13]
	s_cbranch_execz .LBB44_12
; %bb.20:                               ;   in Loop: Header=BB44_13 Depth=2
	v_and_b32_e32 v15, s12, v22
	v_and_b32_e32 v14, s13, v23
	v_bcnt_u32_b32 v15, v15, 0
	v_bcnt_u32_b32 v14, v14, v15
	v_lshlrev_b32_e32 v14, 3, v14
	s_waitcnt lgkmcnt(0)
	v_lshl_add_u32 v2, v2, 3, v14
	ds_write_b64 v2, v[4:5]
	s_branch .LBB44_12
.LBB44_21:                              ;   in Loop: Header=BB44_7 Depth=1
	s_mov_b64 s[0:1], -1
	s_mov_b64 s[2:3], 0
.LBB44_22:                              ;   in Loop: Header=BB44_7 Depth=1
	s_and_b64 vcc, exec, s[0:1]
	s_cbranch_vccz .LBB44_32
.LBB44_23:                              ;   in Loop: Header=BB44_7 Depth=1
	s_mov_b64 s[0:1], exec
	v_readlane_b32 s2, v66, 20
	v_readlane_b32 s3, v66, 21
	s_and_b64 s[2:3], s[0:1], s[2:3]
	s_mov_b64 exec, s[2:3]
	s_cbranch_execz .LBB44_29
; %bb.24:                               ;   in Loop: Header=BB44_7 Depth=1
	global_load_ushort v2, v19, s[80:81]
	global_load_dwordx2 v[4:5], v[16:17], off
	s_waitcnt vmcnt(1)
	v_add_u32_sdwa v18, v2, v0 dst_sel:DWORD dst_unused:UNUSED_PAD src0_sel:WORD_0 src1_sel:DWORD
	v_readfirstlane_b32 s6, v2
	v_cmp_gt_i64_e32 vcc, s[56:57], v[18:19]
	v_mov_b32_e32 v2, v0
	s_and_saveexec_b64 s[2:3], vcc
	s_cbranch_execz .LBB44_28
; %bb.25:                               ;   in Loop: Header=BB44_7 Depth=1
	s_and_b32 s76, s6, 0xffff
	v_readlane_b32 s6, v66, 18
	v_readlane_b32 s7, v66, 19
	s_mov_b64 s[8:9], 0
	v_mov_b64_e32 v[12:13], v[18:19]
	v_mov_b64_e32 v[8:9], s[6:7]
	v_mad_u64_u32 v[8:9], s[6:7], s90, v18, v[8:9]
	v_mov_b32_e32 v2, v9
	v_mad_u64_u32 v[10:11], s[6:7], s91, v18, v[2:3]
	s_mul_i32 s6, s91, s76
	s_mul_hi_u32 s7, s90, s76
	v_mov_b32_e32 v9, v10
	s_add_i32 s7, s7, s6
	s_mul_i32 s6, s90, s76
	v_mov_b64_e32 v[14:15], v[0:1]
.LBB44_26:                              ;   Parent Loop BB44_7 Depth=1
                                        ; =>  This Inner Loop Header: Depth=2
	global_load_dwordx2 v[10:11], v[8:9], off
	v_mov_b64_e32 v[40:41], v[12:13]
	v_lshl_add_u64 v[12:13], v[40:41], 0, s[76:77]
	v_lshlrev_b32_e32 v2, 3, v14
	v_cmp_le_i64_e32 vcc, s[56:57], v[12:13]
	v_lshl_add_u64 v[8:9], v[8:9], 0, s[6:7]
	s_waitcnt vmcnt(1)
	ds_write_b64 v2, v[4:5]
	v_mov_b64_e32 v[14:15], v[40:41]
	s_or_b64 s[8:9], vcc, s[8:9]
	s_waitcnt vmcnt(0)
	v_mov_b64_e32 v[4:5], v[10:11]
	s_andn2_b64 exec, exec, s[8:9]
	s_cbranch_execnz .LBB44_26
; %bb.27:                               ;   in Loop: Header=BB44_7 Depth=1
	s_or_b64 exec, exec, s[8:9]
	v_subrev_u32_e32 v2, s76, v12
	v_mov_b64_e32 v[4:5], v[10:11]
.LBB44_28:                              ;   in Loop: Header=BB44_7 Depth=1
	s_or_b64 exec, exec, s[2:3]
	v_lshlrev_b32_e32 v2, 3, v2
	s_waitcnt vmcnt(0)
	ds_write_b64 v2, v[4:5]
.LBB44_29:                              ;   in Loop: Header=BB44_7 Depth=1
	s_or_b64 exec, exec, s[0:1]
	s_waitcnt lgkmcnt(0)
	s_barrier
	s_mov_b64 s[0:1], exec
	v_readlane_b32 s2, v66, 8
	v_readlane_b32 s3, v66, 9
	s_and_b64 s[2:3], s[0:1], s[2:3]
	s_mov_b64 exec, s[2:3]
; %bb.30:                               ;   in Loop: Header=BB44_7 Depth=1
	ds_write_b64 v19, v[54:55] offset:5120
; %bb.31:                               ;   in Loop: Header=BB44_7 Depth=1
	s_or_b64 exec, exec, s[0:1]
	s_mov_b64 s[2:3], -1
	s_waitcnt lgkmcnt(0)
	s_barrier
.LBB44_32:                              ;   in Loop: Header=BB44_7 Depth=1
	s_and_b64 vcc, exec, s[2:3]
	s_cbranch_vccz .LBB44_34
; %bb.33:                               ;   in Loop: Header=BB44_7 Depth=1
	ds_read_b64 v[4:5], v19 offset:5120
	s_waitcnt lgkmcnt(0)
	v_readfirstlane_b32 s68, v4
.LBB44_34:                              ;   in Loop: Header=BB44_7 Depth=1
	s_cmp_lt_i32 s68, 1
	s_mov_b64 s[0:1], -1
                                        ; implicit-def: $vgpr8_vgpr9
                                        ; implicit-def: $vgpr12_vgpr13
	s_cbranch_scc1 .LBB44_44
; %bb.35:                               ;   in Loop: Header=BB44_7 Depth=1
	s_and_b64 vcc, exec, s[0:1]
	s_cbranch_vccnz .LBB44_58
.LBB44_36:                              ;   in Loop: Header=BB44_7 Depth=1
	s_lshl_b32 s2, s84, 6
	s_and_saveexec_b64 s[0:1], s[4:5]
	s_cbranch_execz .LBB44_38
.LBB44_37:                              ;   in Loop: Header=BB44_7 Depth=1
	v_lshl_add_u32 v2, s2, 3, v50
	ds_write_b128 v2, v[8:11]
	ds_write_b128 v2, v[12:15] offset:16
.LBB44_38:                              ;   in Loop: Header=BB44_7 Depth=1
	s_or_b64 exec, exec, s[0:1]
	s_waitcnt lgkmcnt(0)
	s_barrier
	s_and_saveexec_b64 s[0:1], s[74:75]
	s_cbranch_execz .LBB44_76
; %bb.39:                               ;   in Loop: Header=BB44_7 Depth=1
	v_readlane_b32 s6, v66, 22
	v_readlane_b32 s7, v66, 23
	s_andn2_b64 vcc, exec, s[6:7]
	v_mov_b64_e32 v[4:5], 0
	s_cbranch_vccnz .LBB44_75
; %bb.40:                               ;   in Loop: Header=BB44_7 Depth=1
	v_readlane_b32 s6, v66, 26
	v_readlane_b32 s7, v66, 27
	s_andn2_b64 vcc, exec, s[6:7]
	s_cbranch_vccnz .LBB44_71
; %bb.41:                               ;   in Loop: Header=BB44_7 Depth=1
	v_lshl_add_u32 v2, s84, 9, v52
	v_mov_b64_e32 v[4:5], 0
	s_mov_b32 s3, 0
.LBB44_42:                              ;   Parent Loop BB44_7 Depth=1
                                        ; =>  This Inner Loop Header: Depth=2
	ds_read2_b64 v[8:11], v2 offset1:4
	ds_read2_b64 v[12:15], v2 offset0:8 offset1:12
	ds_read2_b64 v[40:43], v2 offset0:16 offset1:20
	;; [unrolled: 1-line block ×3, first 2 shown]
	s_add_i32 s3, s3, 8
	s_waitcnt lgkmcnt(3)
	v_lshl_add_u64 v[4:5], v[8:9], 0, v[4:5]
	v_lshl_add_u64 v[4:5], v[10:11], 0, v[4:5]
	s_waitcnt lgkmcnt(2)
	v_lshl_add_u64 v[4:5], v[12:13], 0, v[4:5]
	v_lshl_add_u64 v[4:5], v[14:15], 0, v[4:5]
	;; [unrolled: 3-line block ×3, first 2 shown]
	s_waitcnt lgkmcnt(0)
	v_lshl_add_u64 v[4:5], v[58:59], 0, v[4:5]
	v_add_u32_e32 v2, 0x100, v2
	s_cmp_eq_u32 s33, s3
	v_lshl_add_u64 v[4:5], v[60:61], 0, v[4:5]
	s_cbranch_scc0 .LBB44_42
; %bb.43:                               ;   in Loop: Header=BB44_7 Depth=1
	s_mov_b32 s3, s33
	s_branch .LBB44_72
.LBB44_44:                              ;   in Loop: Header=BB44_7 Depth=1
	global_load_ushort v2, v19, s[80:81]
	s_mov_b32 s0, s77
	s_waitcnt vmcnt(0)
	v_readfirstlane_b32 s1, v2
	s_and_b32 s10, s1, 0xffff
	s_lshl_b32 s76, s10, 2
	s_mov_b32 s1, s57
	s_cmp_lg_u64 s[0:1], 0
	s_cbranch_scc0 .LBB44_67
; %bb.45:                               ;   in Loop: Header=BB44_7 Depth=1
	s_add_u32 s0, s76, 0
	s_addc_u32 s1, 0, 0
	s_xor_b64 s[0:1], s[0:1], 0
	v_cvt_f32_u32_e32 v2, s0
	v_cvt_f32_u32_e32 v4, s1
	s_sub_u32 s6, 0, s0
	s_subb_u32 s7, 0, s1
	v_fmac_f32_e32 v2, 0x4f800000, v4
	v_rcp_f32_e32 v2, v2
	s_nop 0
	v_mul_f32_e32 v2, 0x5f7ffffc, v2
	v_mul_f32_e32 v4, 0x2f800000, v2
	v_trunc_f32_e32 v4, v4
	v_fmac_f32_e32 v2, 0xcf800000, v4
	v_cvt_u32_f32_e32 v4, v4
	v_cvt_u32_f32_e32 v2, v2
	v_readfirstlane_b32 s8, v4
	v_readfirstlane_b32 s2, v2
	s_mul_i32 s3, s6, s8
	s_mul_hi_u32 s11, s6, s2
	s_mul_i32 s9, s7, s2
	s_add_i32 s3, s11, s3
	s_mul_i32 s12, s6, s2
	s_add_i32 s3, s3, s9
	s_mul_i32 s11, s2, s3
	s_mul_hi_u32 s13, s2, s12
	s_mul_hi_u32 s9, s2, s3
	s_add_u32 s11, s13, s11
	s_addc_u32 s9, 0, s9
	s_mul_hi_u32 s14, s8, s12
	s_mul_i32 s12, s8, s12
	s_add_u32 s11, s11, s12
	s_mul_hi_u32 s13, s8, s3
	s_addc_u32 s9, s9, s14
	s_addc_u32 s11, s13, 0
	s_mul_i32 s3, s8, s3
	s_add_u32 s3, s9, s3
	s_addc_u32 s9, 0, s11
	s_add_u32 s11, s2, s3
	s_cselect_b64 s[2:3], -1, 0
	s_cmp_lg_u64 s[2:3], 0
	s_addc_u32 s8, s8, s9
	s_mul_i32 s2, s6, s8
	s_mul_hi_u32 s3, s6, s11
	s_add_i32 s2, s3, s2
	s_mul_i32 s7, s7, s11
	s_add_i32 s2, s2, s7
	s_mul_i32 s6, s6, s11
	s_mul_hi_u32 s7, s8, s6
	s_mul_i32 s9, s8, s6
	s_mul_i32 s13, s11, s2
	s_mul_hi_u32 s6, s11, s6
	s_mul_hi_u32 s12, s11, s2
	s_add_u32 s6, s6, s13
	s_addc_u32 s12, 0, s12
	s_add_u32 s6, s6, s9
	s_mul_hi_u32 s3, s8, s2
	s_addc_u32 s6, s12, s7
	s_addc_u32 s3, s3, 0
	s_mul_i32 s2, s8, s2
	s_add_u32 s2, s6, s2
	s_addc_u32 s6, 0, s3
	s_add_u32 s9, s11, s2
	s_cselect_b64 s[2:3], -1, 0
	s_cmp_lg_u64 s[2:3], 0
	s_addc_u32 s8, s8, s6
	s_ashr_i32 s2, s57, 31
	s_add_u32 s6, s56, s2
	s_mov_b32 s3, s2
	s_addc_u32 s7, s57, s2
	s_xor_b64 s[6:7], s[6:7], s[2:3]
	s_mul_i32 s12, s6, s8
	s_mul_hi_u32 s13, s6, s9
	s_mul_hi_u32 s11, s6, s8
	s_add_u32 s12, s13, s12
	s_addc_u32 s11, 0, s11
	s_mul_hi_u32 s14, s7, s9
	s_mul_i32 s9, s7, s9
	s_add_u32 s9, s12, s9
	s_mul_hi_u32 s13, s7, s8
	s_addc_u32 s9, s11, s14
	s_addc_u32 s11, s13, 0
	s_mul_i32 s8, s7, s8
	s_add_u32 s8, s9, s8
	s_addc_u32 s9, 0, s11
	s_mul_i32 s9, s0, s9
	s_mul_hi_u32 s11, s0, s8
	s_add_i32 s9, s11, s9
	s_mul_i32 s11, s1, s8
	s_add_i32 s11, s9, s11
	s_sub_i32 s12, s7, s11
	s_mul_i32 s8, s0, s8
	s_sub_u32 s6, s6, s8
	s_cselect_b64 s[8:9], -1, 0
	s_cmp_lg_u64 s[8:9], 0
	s_subb_u32 s14, s12, s1
	s_sub_u32 s15, s6, s0
	s_cselect_b64 s[12:13], -1, 0
	s_cmp_lg_u64 s[12:13], 0
	s_subb_u32 s16, s14, 0
	s_cmp_ge_u32 s16, s1
	s_cselect_b32 s17, -1, 0
	s_cmp_ge_u32 s15, s0
	s_cselect_b32 s18, -1, 0
	s_cmp_eq_u32 s16, s1
	s_cselect_b32 s17, s18, s17
	s_cmp_lg_u64 s[12:13], 0
	s_subb_u32 s14, s14, s1
	s_sub_u32 s18, s15, s0
	s_cselect_b64 s[12:13], -1, 0
	s_cmp_lg_u64 s[12:13], 0
	s_subb_u32 s12, s14, 0
	s_cmp_lg_u32 s17, 0
	s_cselect_b32 s13, s18, s15
	s_cselect_b32 s12, s12, s16
	s_cmp_lg_u64 s[8:9], 0
	s_subb_u32 s7, s7, s11
	s_cmp_ge_u32 s7, s1
	s_cselect_b32 s8, -1, 0
	s_cmp_ge_u32 s6, s0
	s_cselect_b32 s0, -1, 0
	s_cmp_eq_u32 s7, s1
	s_cselect_b32 s0, s0, s8
	s_cmp_lg_u32 s0, 0
	s_cselect_b32 s1, s12, s7
	s_cselect_b32 s0, s13, s6
	s_xor_b64 s[0:1], s[0:1], s[2:3]
	s_sub_u32 s86, s0, s2
	s_subb_u32 s87, s1, s2
	s_cbranch_execnz .LBB44_47
.LBB44_46:                              ;   in Loop: Header=BB44_7 Depth=1
	v_cvt_f32_u32_e32 v2, s76
	s_sub_i32 s0, 0, s76
	s_mov_b32 s87, s77
	v_rcp_iflag_f32_e32 v2, v2
	s_nop 0
	v_mul_f32_e32 v2, 0x4f7ffffe, v2
	v_cvt_u32_f32_e32 v2, v2
	s_nop 0
	v_readfirstlane_b32 s1, v2
	s_mul_i32 s0, s0, s1
	s_mul_hi_u32 s0, s1, s0
	s_add_i32 s1, s1, s0
	s_mul_hi_u32 s0, s56, s1
	s_mul_i32 s0, s0, s76
	s_sub_i32 s0, s56, s0
	s_sub_i32 s1, s0, s76
	s_cmp_ge_u32 s0, s76
	s_cselect_b32 s0, s1, s0
	s_sub_i32 s1, s0, s76
	s_cmp_ge_u32 s0, s76
	s_cselect_b32 s86, s1, s0
.LBB44_47:                              ;   in Loop: Header=BB44_7 Depth=1
	s_sub_u32 s88, s56, s86
	s_subb_u32 s89, s57, s87
	s_mov_b32 s11, s77
	v_cmp_gt_i64_e32 vcc, s[88:89], v[20:21]
	v_mov_b64_e32 v[8:9], 0
	v_mov_b64_e32 v[10:11], 0
	;; [unrolled: 1-line block ×4, first 2 shown]
	s_and_saveexec_b64 s[28:29], vcc
	s_cbranch_execz .LBB44_51
; %bb.48:                               ;   in Loop: Header=BB44_7 Depth=1
	s_mul_i32 s0, s93, s10
	s_mul_hi_u32 s1, s92, s10
	v_readlane_b32 s74, v66, 18
	s_add_i32 s69, s1, s0
	s_mov_b64 s[64:65], 0
	v_readlane_b32 s75, v66, 19
	s_mov_b64 s[8:9], 0
	s_mov_b64 s[80:81], 0
	;; [unrolled: 1-line block ×4, first 2 shown]
	v_mov_b64_e32 v[4:5], v[20:21]
.LBB44_49:                              ;   Parent Loop BB44_7 Depth=1
                                        ; =>  This Inner Loop Header: Depth=2
	v_lshl_add_u64 v[8:9], s[74:75], 0, v[32:33]
	v_lshl_add_u64 v[10:11], s[74:75], 0, v[30:31]
	;; [unrolled: 1-line block ×4, first 2 shown]
	global_load_dwordx2 v[8:9], v[8:9], off
	s_nop 0
	global_load_dwordx2 v[10:11], v[10:11], off
	s_nop 0
	;; [unrolled: 2-line block ×3, first 2 shown]
	global_load_dwordx2 v[14:15], v[14:15], off
	v_mov_b32_e32 v41, v19
	v_mov_b32_e32 v43, v19
	;; [unrolled: 1-line block ×3, first 2 shown]
	s_mul_i32 s82, s92, s10
	v_lshl_add_u64 v[4:5], v[4:5], 0, s[76:77]
	v_cmp_le_i64_e32 vcc, s[88:89], v[4:5]
	s_waitcnt vmcnt(3)
	v_ashrrev_i32_e32 v2, 31, v9
	s_waitcnt vmcnt(2)
	v_ashrrev_i32_e32 v18, 31, v11
	v_xor_b32_e32 v44, v18, v10
	v_cmp_o_f64_e64 s[2:3], v[10:11], v[10:11]
	v_xor_b32_e32 v10, v2, v8
	v_or_b32_e32 v2, 0x80000000, v2
	s_waitcnt vmcnt(1)
	v_ashrrev_i32_e32 v40, 31, v13
	s_waitcnt vmcnt(0)
	v_ashrrev_i32_e32 v42, 31, v15
	v_cmp_o_f64_e64 s[16:17], v[8:9], v[8:9]
	v_or_b32_e32 v8, 0x80000000, v18
	v_xor_b32_e32 v2, v2, v9
	v_xor_b32_e32 v53, v40, v12
	v_cmp_o_f64_e64 s[12:13], v[12:13], v[12:13]
	v_xor_b32_e32 v58, v42, v14
	v_cmp_o_f64_e64 s[14:15], v[14:15], v[14:15]
	v_or_b32_e32 v12, 0x80000000, v40
	v_or_b32_e32 v14, 0x80000000, v42
	v_xor_b32_e32 v11, v8, v11
	v_cndmask_b32_e64 v8, -1, v10, s[16:17]
	v_cndmask_b32_e64 v9, -1, v2, s[16:17]
	v_xor_b32_e32 v13, v12, v13
	v_xor_b32_e32 v15, v14, v15
	v_cndmask_b32_e64 v10, -1, v44, s[2:3]
	v_cndmask_b32_e64 v14, -1, v58, s[14:15]
	v_cndmask_b32_e64 v11, -1, v11, s[2:3]
	v_and_b32_e32 v58, v8, v36
	v_and_b32_e32 v59, v9, v37
	v_lshrrev_b64 v[8:9], s79, v[8:9]
	v_cndmask_b32_e64 v12, -1, v53, s[12:13]
	v_cndmask_b32_e64 v13, -1, v13, s[12:13]
	v_and_b32_e32 v60, v10, v36
	v_and_b32_e32 v61, v11, v37
	v_lshrrev_b64 v[10:11], s79, v[10:11]
	v_and_b32_e32 v18, 3, v8
	v_cndmask_b32_e64 v15, -1, v15, s[14:15]
	v_and_b32_e32 v62, v12, v36
	v_and_b32_e32 v63, v13, v37
	v_lshrrev_b64 v[12:13], s79, v[12:13]
	v_cmp_eq_u64_e64 s[2:3], v[58:59], v[26:27]
	v_and_b32_e32 v40, 3, v10
	v_cmp_eq_u64_e64 s[18:19], 0, v[18:19]
	v_and_b32_e32 v64, v14, v36
	v_and_b32_e32 v65, v15, v37
	v_lshrrev_b64 v[14:15], s79, v[14:15]
	v_cmp_eq_u64_e64 s[14:15], v[60:61], v[26:27]
	v_and_b32_e32 v42, 3, v12
	v_cmp_eq_u64_e64 s[20:21], 0, v[40:41]
	s_and_b64 s[18:19], s[2:3], s[18:19]
	v_cmp_eq_u64_e64 s[16:17], v[62:63], v[26:27]
	v_and_b32_e32 v44, 3, v14
	v_cmp_eq_u64_e64 s[22:23], 0, v[42:43]
	v_cndmask_b32_e64 v2, 0, 1, s[18:19]
	s_and_b64 s[18:19], s[14:15], s[20:21]
	v_cmp_eq_u64_e64 s[12:13], v[64:65], v[26:27]
	v_cmp_eq_u64_e64 s[24:25], 0, v[44:45]
	v_cndmask_b32_e64 v8, 0, 1, s[18:19]
	s_and_b64 s[18:19], s[16:17], s[22:23]
	v_cndmask_b32_e64 v9, 0, 1, s[18:19]
	s_and_b64 s[18:19], s[12:13], s[24:25]
	v_cndmask_b32_e64 v10, 0, 1, s[18:19]
	v_cmp_ne_u32_e64 s[18:19], 0, v2
	v_cmp_ne_u32_e64 s[20:21], 0, v8
	v_cmp_ne_u32_e64 s[22:23], 0, v9
	v_cmp_ne_u32_e64 s[24:25], 0, v10
	s_bcnt1_i32_b64 s18, s[18:19]
	s_bcnt1_i32_b64 s19, s[20:21]
	s_bcnt1_i32_b64 s20, s[22:23]
	s_bcnt1_i32_b64 s21, s[24:25]
	s_add_u32 s0, s18, s0
	s_addc_u32 s1, 0, s1
	s_add_u32 s0, s0, s19
	s_addc_u32 s1, s1, 0
	s_add_u32 s0, s0, s20
	s_addc_u32 s1, s1, 0
	v_cmp_eq_u64_e64 s[26:27], 1, v[18:19]
	s_add_u32 s0, s0, s21
	v_cmp_eq_u64_e64 s[30:31], 1, v[40:41]
	s_addc_u32 s1, s1, 0
	s_and_b64 s[18:19], s[2:3], s[26:27]
	v_cmp_eq_u64_e64 s[34:35], 1, v[42:43]
	v_cndmask_b32_e64 v2, 0, 1, s[18:19]
	s_and_b64 s[18:19], s[14:15], s[30:31]
	v_cmp_eq_u64_e64 s[36:37], 1, v[44:45]
	v_cndmask_b32_e64 v10, 0, 1, s[18:19]
	s_and_b64 s[18:19], s[16:17], s[34:35]
	v_cndmask_b32_e64 v11, 0, 1, s[18:19]
	s_and_b64 s[18:19], s[12:13], s[36:37]
	v_cndmask_b32_e64 v12, 0, 1, s[18:19]
	v_cmp_ne_u32_e64 s[18:19], 0, v2
	v_cmp_ne_u32_e64 s[20:21], 0, v10
	v_cmp_ne_u32_e64 s[22:23], 0, v11
	v_cmp_ne_u32_e64 s[24:25], 0, v12
	s_bcnt1_i32_b64 s18, s[18:19]
	s_bcnt1_i32_b64 s19, s[20:21]
	s_bcnt1_i32_b64 s20, s[22:23]
	s_bcnt1_i32_b64 s21, s[24:25]
	s_add_u32 s6, s18, s6
	s_addc_u32 s7, 0, s7
	s_add_u32 s6, s6, s19
	s_addc_u32 s7, s7, 0
	s_add_u32 s6, s6, s20
	s_addc_u32 s7, s7, 0
	v_cmp_eq_u64_e64 s[38:39], 2, v[18:19]
	s_add_u32 s6, s6, s21
	v_cmp_eq_u64_e64 s[40:41], 2, v[40:41]
	s_addc_u32 s7, s7, 0
	s_and_b64 s[18:19], s[2:3], s[38:39]
	v_cmp_eq_u64_e64 s[42:43], 2, v[42:43]
	v_cndmask_b32_e64 v2, 0, 1, s[18:19]
	s_and_b64 s[18:19], s[14:15], s[40:41]
	;; [unrolled: 28-line block ×3, first 2 shown]
	v_cmp_eq_u64_e64 s[52:53], 3, v[44:45]
	v_cndmask_b32_e64 v14, 0, 1, s[2:3]
	s_and_b64 s[2:3], s[16:17], s[50:51]
	v_cndmask_b32_e64 v15, 0, 1, s[2:3]
	s_and_b64 s[2:3], s[12:13], s[52:53]
	v_cndmask_b32_e64 v18, 0, 1, s[2:3]
	v_cmp_ne_u32_e64 s[2:3], 0, v2
	v_cmp_ne_u32_e64 s[12:13], 0, v14
	;; [unrolled: 1-line block ×4, first 2 shown]
	s_bcnt1_i32_b64 s2, s[2:3]
	s_bcnt1_i32_b64 s3, s[12:13]
	;; [unrolled: 1-line block ×4, first 2 shown]
	s_add_u32 s2, s2, s8
	s_addc_u32 s8, 0, s9
	s_add_u32 s2, s2, s3
	s_addc_u32 s3, s8, 0
	;; [unrolled: 2-line block ×5, first 2 shown]
	v_mov_b64_e32 v[8:9], s[0:1]
	v_mov_b64_e32 v[10:11], s[6:7]
	;; [unrolled: 1-line block ×3, first 2 shown]
	s_or_b64 s[64:65], vcc, s[64:65]
	v_mov_b64_e32 v[14:15], s[8:9]
	s_andn2_b64 exec, exec, s[64:65]
	s_cbranch_execnz .LBB44_49
; %bb.50:                               ;   in Loop: Header=BB44_7 Depth=1
	s_or_b64 exec, exec, s[64:65]
	v_readlane_b32 s74, v66, 31
	v_readlane_b32 s80, v66, 33
	;; [unrolled: 1-line block ×4, first 2 shown]
.LBB44_51:                              ;   in Loop: Header=BB44_7 Depth=1
	s_or_b64 exec, exec, s[28:29]
	v_lshl_add_u64 v[4:5], s[88:89], 0, v[0:1]
	v_cmp_gt_i64_e32 vcc, s[56:57], v[4:5]
	s_and_saveexec_b64 s[0:1], vcc
	s_cbranch_execz .LBB44_57
; %bb.52:                               ;   in Loop: Header=BB44_7 Depth=1
	v_mad_u64_u32 v[40:41], s[2:3], v4, s62, 0
	v_mul_lo_u32 v2, v5, s62
	v_mul_lo_u32 v18, v4, s63
	v_readlane_b32 s2, v66, 18
	v_add3_u32 v41, v41, v18, v2
	v_readlane_b32 s3, v66, 19
	v_mov_b32_e32 v2, s87
	s_mul_i32 s6, s90, s10
	v_lshl_add_u64 v[40:41], v[40:41], 3, s[2:3]
	global_load_dwordx2 v[44:45], v[40:41], off
	v_lshl_add_u64 v[40:41], v[34:35], 0, s[10:11]
	v_subrev_co_u32_e32 v18, vcc, s86, v40
	v_mul_lo_u32 v42, s91, v18
	s_nop 0
	v_subb_co_u32_e32 v2, vcc, v41, v2, vcc
	v_mov_b64_e32 v[40:41], s[2:3]
	v_mad_u64_u32 v[40:41], s[2:3], s90, v18, v[40:41]
	v_mul_lo_u32 v2, s90, v2
	s_mul_i32 s2, s91, s10
	s_mul_hi_u32 s3, s90, s10
	v_add3_u32 v41, v42, v41, v2
	s_add_i32 s7, s3, s2
	s_mov_b64 s[8:9], 0
	s_branch .LBB44_54
.LBB44_53:                              ;   in Loop: Header=BB44_54 Depth=2
	s_or_b64 exec, exec, s[12:13]
	s_waitcnt vmcnt(0)
	v_ashrrev_i32_e32 v2, 31, v45
	v_or_b32_e32 v18, 0x80000000, v2
	s_and_b64 s[2:3], exec, vcc
	v_xor_b32_e32 v18, v18, v45
	v_xor_b32_e32 v2, v2, v44
	v_cmp_o_f64_e32 vcc, v[44:45], v[44:45]
	s_or_b64 s[8:9], s[2:3], s[8:9]
	v_lshl_add_u64 v[40:41], v[40:41], 0, s[6:7]
	v_cndmask_b32_e32 v45, -1, v18, vcc
	v_cndmask_b32_e32 v44, -1, v2, vcc
	v_and_b32_e32 v59, v45, v37
	v_and_b32_e32 v58, v44, v36
	v_lshrrev_b64 v[44:45], s79, v[44:45]
	v_and_b32_e32 v18, 3, v44
	v_cmp_eq_u64_e32 vcc, v[58:59], v[26:27]
	v_cmp_eq_u64_e64 s[2:3], 0, v[18:19]
	s_and_b64 s[2:3], vcc, s[2:3]
	v_mov_b64_e32 v[44:45], v[42:43]
	v_cndmask_b32_e64 v2, 0, 1, s[2:3]
	v_cmp_ne_u32_e64 s[2:3], 0, v2
	s_bcnt1_i32_b64 s76, s[2:3]
	v_cmp_eq_u64_e64 s[2:3], 1, v[18:19]
	s_and_b64 s[2:3], vcc, s[2:3]
	v_lshl_add_u64 v[8:9], s[76:77], 0, v[8:9]
	v_cndmask_b32_e64 v2, 0, 1, s[2:3]
	v_cmp_ne_u32_e64 s[2:3], 0, v2
	s_bcnt1_i32_b64 s76, s[2:3]
	v_cmp_eq_u64_e64 s[2:3], 2, v[18:19]
	s_and_b64 s[2:3], vcc, s[2:3]
	v_lshl_add_u64 v[10:11], s[76:77], 0, v[10:11]
	v_cndmask_b32_e64 v2, 0, 1, s[2:3]
	v_cmp_ne_u32_e64 s[2:3], 0, v2
	s_bcnt1_i32_b64 s76, s[2:3]
	v_cmp_eq_u64_e64 s[2:3], 3, v[18:19]
	s_and_b64 s[2:3], vcc, s[2:3]
	v_lshl_add_u64 v[12:13], s[76:77], 0, v[12:13]
	v_cndmask_b32_e64 v2, 0, 1, s[2:3]
	v_cmp_ne_u32_e32 vcc, 0, v2
	s_bcnt1_i32_b64 s76, vcc
	v_lshl_add_u64 v[14:15], s[76:77], 0, v[14:15]
	s_andn2_b64 exec, exec, s[8:9]
	s_cbranch_execz .LBB44_56
.LBB44_54:                              ;   Parent Loop BB44_7 Depth=1
                                        ; =>  This Inner Loop Header: Depth=2
	v_lshl_add_u64 v[4:5], v[4:5], 0, s[10:11]
	v_cmp_gt_i64_e64 s[2:3], s[56:57], v[4:5]
	v_cmp_le_i64_e32 vcc, s[56:57], v[4:5]
	v_mov_b64_e32 v[42:43], 0
	s_and_saveexec_b64 s[12:13], s[2:3]
	s_cbranch_execz .LBB44_53
; %bb.55:                               ;   in Loop: Header=BB44_54 Depth=2
	global_load_dwordx2 v[42:43], v[40:41], off
	s_branch .LBB44_53
.LBB44_56:                              ;   in Loop: Header=BB44_7 Depth=1
	s_or_b64 exec, exec, s[8:9]
.LBB44_57:                              ;   in Loop: Header=BB44_7 Depth=1
	s_or_b64 exec, exec, s[0:1]
	s_branch .LBB44_36
.LBB44_58:                              ;   in Loop: Header=BB44_7 Depth=1
	global_load_ushort v2, v19, s[80:81]
	v_mov_b64_e32 v[8:9], 0
	v_mov_b64_e32 v[10:11], 0
	;; [unrolled: 1-line block ×4, first 2 shown]
	s_waitcnt vmcnt(0)
	v_readfirstlane_b32 s0, v2
	s_and_b32 s69, 0xffff, s0
	s_lshl_b32 s76, s69, 2
	v_cvt_f32_u32_e32 v4, s76
	s_sub_i32 s0, 0, s76
	v_rcp_iflag_f32_e32 v4, v4
	s_nop 0
	v_mul_f32_e32 v4, 0x4f7ffffe, v4
	v_cvt_u32_f32_e32 v4, v4
	s_nop 0
	v_readfirstlane_b32 s1, v4
	s_mul_i32 s0, s0, s1
	s_mul_hi_u32 s0, s1, s0
	s_add_i32 s1, s1, s0
	s_mul_hi_u32 s0, s68, s1
	s_mul_i32 s1, s0, s76
	s_sub_i32 s1, s68, s1
	s_add_i32 s2, s0, 1
	s_sub_i32 s3, s1, s76
	s_cmp_ge_u32 s1, s76
	s_cselect_b32 s0, s2, s0
	s_cselect_b32 s1, s3, s1
	s_add_i32 s2, s0, 1
	s_cmp_ge_u32 s1, s76
	s_cselect_b32 s0, s2, s0
	s_mul_hi_u32 s1, s69, s0
	s_mul_i32 s0, s69, s0
	s_lshl_b64 s[6:7], s[0:1], 2
	v_cmp_gt_u64_e32 vcc, s[6:7], v[20:21]
	s_and_saveexec_b64 s[8:9], vcc
	s_cbranch_execz .LBB44_62
; %bb.59:                               ;   in Loop: Header=BB44_7 Depth=1
	s_lshl_b32 s1, s69, 5
	s_mov_b64 s[10:11], 0
	v_mov_b32_e32 v53, v51
	s_mov_b64 s[28:29], 0
	s_mov_b64 s[64:65], 0
	s_mov_b64 s[74:75], 0
	s_mov_b64 s[80:81], 0
	v_mov_b64_e32 v[4:5], v[20:21]
.LBB44_60:                              ;   Parent Loop BB44_7 Depth=1
                                        ; =>  This Inner Loop Header: Depth=2
	ds_read_b128 v[12:15], v53
	ds_read_b128 v[8:11], v53 offset:16
	v_mov_b32_e32 v41, v19
	v_mov_b32_e32 v43, v19
	;; [unrolled: 1-line block ×3, first 2 shown]
	s_waitcnt lgkmcnt(1)
	v_ashrrev_i32_e32 v18, 31, v13
	s_waitcnt lgkmcnt(0)
	v_ashrrev_i32_e32 v44, 31, v11
	v_ashrrev_i32_e32 v40, 31, v15
	;; [unrolled: 1-line block ×3, first 2 shown]
	v_xor_b32_e32 v59, v44, v10
	v_cmp_o_f64_e64 s[14:15], v[10:11], v[10:11]
	v_or_b32_e32 v10, 0x80000000, v18
	v_xor_b32_e32 v58, v40, v14
	v_cmp_o_f64_e64 s[2:3], v[14:15], v[14:15]
	v_xor_b32_e32 v14, v42, v8
	v_cmp_o_f64_e64 s[12:13], v[8:9], v[8:9]
	;; [unrolled: 2-line block ×3, first 2 shown]
	v_or_b32_e32 v12, 0x80000000, v40
	v_or_b32_e32 v18, 0x80000000, v42
	v_xor_b32_e32 v13, v10, v13
	v_or_b32_e32 v40, 0x80000000, v44
	v_xor_b32_e32 v15, v12, v15
	v_xor_b32_e32 v18, v18, v9
	v_cndmask_b32_e64 v8, -1, v8, s[16:17]
	v_cndmask_b32_e64 v9, -1, v13, s[16:17]
	v_xor_b32_e32 v40, v40, v11
	v_cndmask_b32_e64 v10, -1, v58, s[2:3]
	v_cndmask_b32_e64 v12, -1, v14, s[12:13]
	;; [unrolled: 1-line block ×4, first 2 shown]
	v_and_b32_e32 v58, v8, v36
	v_and_b32_e32 v59, v9, v37
	v_lshrrev_b64 v[8:9], s79, v[8:9]
	v_cndmask_b32_e64 v13, -1, v18, s[12:13]
	v_and_b32_e32 v60, v10, v36
	v_and_b32_e32 v61, v11, v37
	v_lshrrev_b64 v[10:11], s79, v[10:11]
	v_and_b32_e32 v18, 3, v8
	v_cndmask_b32_e64 v15, -1, v40, s[14:15]
	v_and_b32_e32 v62, v12, v36
	v_and_b32_e32 v63, v13, v37
	v_lshrrev_b64 v[12:13], s79, v[12:13]
	v_cmp_eq_u64_e64 s[18:19], v[58:59], v[26:27]
	v_and_b32_e32 v40, 3, v10
	v_cmp_eq_u64_e64 s[2:3], 0, v[18:19]
	v_and_b32_e32 v64, v14, v36
	v_and_b32_e32 v65, v15, v37
	v_lshrrev_b64 v[14:15], s79, v[14:15]
	v_cmp_eq_u64_e64 s[16:17], v[60:61], v[26:27]
	v_and_b32_e32 v42, 3, v12
	v_cmp_eq_u64_e64 s[30:31], 0, v[40:41]
	s_and_b64 s[2:3], s[18:19], s[2:3]
	v_cmp_eq_u64_e64 s[14:15], v[62:63], v[26:27]
	v_and_b32_e32 v44, 3, v14
	v_cmp_eq_u64_e64 s[34:35], 0, v[42:43]
	v_cndmask_b32_e64 v8, 0, 1, s[2:3]
	s_and_b64 s[2:3], s[16:17], s[30:31]
	v_cmp_eq_u64_e64 s[12:13], v[64:65], v[26:27]
	v_cmp_eq_u64_e64 s[36:37], 0, v[44:45]
	v_cndmask_b32_e64 v9, 0, 1, s[2:3]
	s_and_b64 s[2:3], s[14:15], s[34:35]
	v_cndmask_b32_e64 v10, 0, 1, s[2:3]
	s_and_b64 s[2:3], s[12:13], s[36:37]
	v_cndmask_b32_e64 v11, 0, 1, s[2:3]
	v_cmp_ne_u32_e64 s[2:3], 0, v8
	v_cmp_ne_u32_e64 s[30:31], 0, v9
	v_cmp_ne_u32_e64 s[34:35], 0, v10
	v_cmp_ne_u32_e64 s[36:37], 0, v11
	s_bcnt1_i32_b64 s2, s[2:3]
	s_bcnt1_i32_b64 s3, s[30:31]
	s_bcnt1_i32_b64 s30, s[34:35]
	s_bcnt1_i32_b64 s31, s[36:37]
	s_add_u32 s2, s2, s80
	s_addc_u32 s34, 0, s81
	s_add_u32 s2, s2, s3
	s_addc_u32 s3, s34, 0
	s_add_u32 s2, s2, s30
	s_addc_u32 s3, s3, 0
	v_cmp_eq_u64_e64 s[38:39], 1, v[18:19]
	s_add_u32 s80, s2, s31
	v_cmp_eq_u64_e64 s[40:41], 1, v[40:41]
	s_addc_u32 s81, s3, 0
	s_and_b64 s[2:3], s[18:19], s[38:39]
	v_cmp_eq_u64_e64 s[42:43], 1, v[42:43]
	v_cndmask_b32_e64 v10, 0, 1, s[2:3]
	s_and_b64 s[2:3], s[16:17], s[40:41]
	v_cmp_eq_u64_e64 s[44:45], 1, v[44:45]
	v_cndmask_b32_e64 v11, 0, 1, s[2:3]
	s_and_b64 s[2:3], s[14:15], s[42:43]
	v_cndmask_b32_e64 v12, 0, 1, s[2:3]
	s_and_b64 s[2:3], s[12:13], s[44:45]
	v_cndmask_b32_e64 v13, 0, 1, s[2:3]
	v_cmp_ne_u32_e64 s[2:3], 0, v10
	v_cmp_ne_u32_e64 s[30:31], 0, v11
	v_cmp_ne_u32_e64 s[34:35], 0, v12
	v_cmp_ne_u32_e64 s[36:37], 0, v13
	s_bcnt1_i32_b64 s2, s[2:3]
	s_bcnt1_i32_b64 s3, s[30:31]
	s_bcnt1_i32_b64 s30, s[34:35]
	s_bcnt1_i32_b64 s31, s[36:37]
	s_add_u32 s2, s2, s74
	s_addc_u32 s34, 0, s75
	s_add_u32 s2, s2, s3
	s_addc_u32 s3, s34, 0
	s_add_u32 s2, s2, s30
	s_addc_u32 s3, s3, 0
	v_cmp_eq_u64_e64 s[46:47], 2, v[18:19]
	s_add_u32 s74, s2, s31
	v_cmp_eq_u64_e64 s[48:49], 2, v[40:41]
	s_addc_u32 s75, s3, 0
	s_and_b64 s[2:3], s[18:19], s[46:47]
	v_cmp_eq_u64_e64 s[50:51], 2, v[42:43]
	v_cndmask_b32_e64 v12, 0, 1, s[2:3]
	s_and_b64 s[2:3], s[16:17], s[48:49]
	;; [unrolled: 28-line block ×3, first 2 shown]
	v_cmp_eq_u64_e64 s[20:21], 3, v[44:45]
	v_cndmask_b32_e64 v15, 0, 1, s[2:3]
	s_and_b64 s[2:3], s[14:15], s[22:23]
	v_cndmask_b32_e64 v18, 0, 1, s[2:3]
	s_and_b64 s[2:3], s[12:13], s[20:21]
	v_cndmask_b32_e64 v40, 0, 1, s[2:3]
	v_cmp_ne_u32_e64 s[2:3], 0, v14
	v_cmp_ne_u32_e64 s[12:13], 0, v15
	;; [unrolled: 1-line block ×4, first 2 shown]
	s_bcnt1_i32_b64 s2, s[2:3]
	s_bcnt1_i32_b64 s3, s[12:13]
	;; [unrolled: 1-line block ×4, first 2 shown]
	s_add_u32 s2, s2, s28
	s_addc_u32 s14, 0, s29
	s_add_u32 s2, s2, s3
	s_addc_u32 s3, s14, 0
	;; [unrolled: 2-line block ×3, first 2 shown]
	v_lshl_add_u64 v[4:5], v[4:5], 0, s[76:77]
	s_add_u32 s28, s2, s13
	v_cmp_le_u64_e32 vcc, s[6:7], v[4:5]
	s_addc_u32 s29, s3, 0
	v_add_u32_e32 v53, s1, v53
	v_mov_b64_e32 v[8:9], s[80:81]
	v_mov_b64_e32 v[10:11], s[74:75]
	;; [unrolled: 1-line block ×3, first 2 shown]
	s_or_b64 s[10:11], vcc, s[10:11]
	v_mov_b64_e32 v[14:15], s[28:29]
	s_andn2_b64 exec, exec, s[10:11]
	s_cbranch_execnz .LBB44_60
; %bb.61:                               ;   in Loop: Header=BB44_7 Depth=1
	s_or_b64 exec, exec, s[10:11]
	v_readlane_b32 s74, v66, 31
	v_readlane_b32 s80, v66, 33
	;; [unrolled: 1-line block ×4, first 2 shown]
.LBB44_62:                              ;   in Loop: Header=BB44_7 Depth=1
	s_or_b64 exec, exec, s[8:9]
	s_and_b32 s8, s68, 0x7fffffff
	s_mov_b32 s9, s77
	v_lshl_add_u64 v[40:41], s[6:7], 0, v[0:1]
	v_and_b32_e32 v4, 0xffff, v2
	v_mov_b32_e32 v5, v19
	v_cmp_gt_u64_e32 vcc, s[8:9], v[40:41]
	s_and_saveexec_b64 s[6:7], vcc
	s_cbranch_execz .LBB44_66
; %bb.63:                               ;   in Loop: Header=BB44_7 Depth=1
	v_lshl_add_u32 v2, s0, 5, v47
	s_lshl_b32 s10, s69, 3
	s_mov_b64 s[0:1], 0
.LBB44_64:                              ;   Parent Loop BB44_7 Depth=1
                                        ; =>  This Inner Loop Header: Depth=2
	ds_read_b64 v[42:43], v2
	v_lshl_add_u64 v[40:41], v[40:41], 0, v[4:5]
	v_cmp_le_u64_e32 vcc, s[8:9], v[40:41]
	v_add_u32_e32 v2, s10, v2
	s_waitcnt lgkmcnt(0)
	v_ashrrev_i32_e32 v18, 31, v43
	v_or_b32_e32 v44, 0x80000000, v18
	v_xor_b32_e32 v18, v18, v42
	v_xor_b32_e32 v44, v44, v43
	v_cmp_o_f64_e64 s[2:3], v[42:43], v[42:43]
	s_nop 1
	v_cndmask_b32_e64 v43, -1, v44, s[2:3]
	v_cndmask_b32_e64 v42, -1, v18, s[2:3]
	v_and_b32_e32 v45, v43, v37
	v_and_b32_e32 v44, v42, v36
	v_lshrrev_b64 v[42:43], s79, v[42:43]
	v_and_b32_e32 v18, 3, v42
	v_cmp_eq_u64_e64 s[2:3], v[44:45], v[26:27]
	v_cmp_eq_u64_e64 s[12:13], 0, v[18:19]
	;; [unrolled: 1-line block ×3, first 2 shown]
	s_and_b64 s[12:13], s[2:3], s[12:13]
	v_cmp_eq_u64_e64 s[16:17], 2, v[18:19]
	v_cmp_eq_u64_e64 s[18:19], 3, v[18:19]
	v_cndmask_b32_e64 v18, 0, 1, s[12:13]
	s_and_b64 s[12:13], s[2:3], s[14:15]
	v_cndmask_b32_e64 v42, 0, 1, s[12:13]
	s_and_b64 s[12:13], s[2:3], s[16:17]
	s_and_b64 s[2:3], s[2:3], s[18:19]
	v_cndmask_b32_e64 v44, 0, 1, s[2:3]
	v_cmp_ne_u32_e64 s[2:3], 0, v18
	v_cndmask_b32_e64 v43, 0, 1, s[12:13]
	v_cmp_ne_u32_e64 s[12:13], 0, v42
	s_bcnt1_i32_b64 s76, s[2:3]
	v_cmp_ne_u32_e64 s[14:15], 0, v43
	v_lshl_add_u64 v[8:9], s[76:77], 0, v[8:9]
	s_bcnt1_i32_b64 s76, s[12:13]
	v_cmp_ne_u32_e64 s[16:17], 0, v44
	v_lshl_add_u64 v[10:11], s[76:77], 0, v[10:11]
	s_bcnt1_i32_b64 s76, s[14:15]
	v_lshl_add_u64 v[12:13], s[76:77], 0, v[12:13]
	s_bcnt1_i32_b64 s76, s[16:17]
	s_or_b64 s[0:1], vcc, s[0:1]
	v_lshl_add_u64 v[14:15], s[76:77], 0, v[14:15]
	s_andn2_b64 exec, exec, s[0:1]
	s_cbranch_execnz .LBB44_64
; %bb.65:                               ;   in Loop: Header=BB44_7 Depth=1
	s_or_b64 exec, exec, s[0:1]
.LBB44_66:                              ;   in Loop: Header=BB44_7 Depth=1
	s_or_b64 exec, exec, s[6:7]
	s_lshl_b32 s2, s84, 6
	s_and_saveexec_b64 s[0:1], s[4:5]
	s_cbranch_execnz .LBB44_37
	s_branch .LBB44_38
.LBB44_67:                              ;   in Loop: Header=BB44_7 Depth=1
                                        ; implicit-def: $sgpr86_sgpr87
	s_branch .LBB44_46
.LBB44_68:                              ;   in Loop: Header=BB44_7 Depth=1
	s_or_b64 exec, exec, s[6:7]
	s_waitcnt lgkmcnt(0)
	s_barrier
	s_mov_b64 s[2:3], exec
	v_readlane_b32 s6, v66, 8
	v_readlane_b32 s7, v66, 9
	s_and_b64 s[6:7], s[2:3], s[6:7]
	s_mov_b64 exec, s[6:7]
	s_cbranch_execz .LBB44_70
; %bb.69:                               ;   in Loop: Header=BB44_7 Depth=1
	ds_read_b32 v4, v19 offset:5136
	s_waitcnt lgkmcnt(0)
	v_ashrrev_i32_e32 v5, 31, v4
	ds_write_b64 v19, v[4:5] offset:5120
.LBB44_70:                              ;   in Loop: Header=BB44_7 Depth=1
	s_or_b64 exec, exec, s[2:3]
	s_waitcnt lgkmcnt(0)
	s_barrier
	s_mov_b64 s[2:3], -1
	s_and_b64 vcc, exec, s[0:1]
	s_cbranch_vccnz .LBB44_23
	s_branch .LBB44_32
.LBB44_71:                              ;   in Loop: Header=BB44_7 Depth=1
	s_mov_b32 s3, 0
	v_mov_b64_e32 v[4:5], 0
.LBB44_72:                              ;   in Loop: Header=BB44_7 Depth=1
	v_readlane_b32 s6, v66, 29
	v_readlane_b32 s7, v66, 30
	s_andn2_b64 vcc, exec, s[6:7]
	s_cbranch_vccnz .LBB44_75
; %bb.73:                               ;   in Loop: Header=BB44_7 Depth=1
	s_lshl_b32 s6, s84, 9
	s_lshl_b32 s3, s3, 5
	s_add_i32 s6, s6, s3
	v_add_u32_e32 v2, s6, v52
	v_readlane_b32 s3, v66, 28
.LBB44_74:                              ;   Parent Loop BB44_7 Depth=1
                                        ; =>  This Inner Loop Header: Depth=2
	ds_read_b64 v[8:9], v2
	s_add_i32 s3, s3, -1
	v_add_u32_e32 v2, 32, v2
	s_cmp_lg_u32 s3, 0
	s_waitcnt lgkmcnt(0)
	v_lshl_add_u64 v[4:5], v[8:9], 0, v[4:5]
	s_cbranch_scc1 .LBB44_74
.LBB44_75:                              ;   in Loop: Header=BB44_7 Depth=1
	v_add_lshl_u32 v2, s2, v46, 3
	ds_write_b64 v2, v[4:5] offset:3072
.LBB44_76:                              ;   in Loop: Header=BB44_7 Depth=1
	s_or_b64 exec, exec, s[0:1]
	s_lshl_b32 s0, s2, 3
	v_mov_b32_e32 v2, s0
	s_waitcnt lgkmcnt(0)
	s_barrier
	ds_read_b128 v[12:15], v2 offset:3088
	ds_read_b128 v[8:11], v2 offset:3072
	s_lshl_b64 s[14:15], 3, s79
	v_cmp_eq_u64_e64 s[2:3], 1, v[38:39]
	s_not_b64 s[24:25], s[14:15]
	s_waitcnt lgkmcnt(1)
	v_readfirstlane_b32 s22, v12
	s_waitcnt lgkmcnt(0)
	v_cmp_eq_u64_e32 vcc, 1, v[8:9]
	v_readfirstlane_b32 s23, v13
	v_readfirstlane_b32 s12, v14
	;; [unrolled: 1-line block ×3, first 2 shown]
	s_and_b64 s[10:11], vcc, s[2:3]
	s_mov_b64 s[2:3], -1
	s_mov_b64 s[8:9], -1
                                        ; implicit-def: $sgpr6_sgpr7
                                        ; implicit-def: $sgpr0_sgpr1
	s_and_saveexec_b64 s[16:17], s[10:11]
	s_cbranch_execz .LBB44_110
; %bb.77:                               ;   in Loop: Header=BB44_7 Depth=1
	ds_read_b64 v[4:5], v19 offset:5120
	s_waitcnt lgkmcnt(0)
	s_barrier
	v_readfirstlane_b32 s18, v4
	v_readfirstlane_b32 s19, v5
	s_mov_b64 s[0:1], exec
	v_readlane_b32 s6, v66, 12
	v_readlane_b32 s7, v66, 13
	s_and_b64 s[6:7], s[0:1], s[6:7]
	s_mov_b64 exec, s[6:7]
; %bb.78:                               ;   in Loop: Header=BB44_7 Depth=1
	ds_write_b64 v48, v[56:57]
; %bb.79:                               ;   in Loop: Header=BB44_7 Depth=1
	s_or_b64 exec, exec, s[0:1]
	v_cmp_lt_i64_e64 s[8:9], s[18:19], 1
	v_and_b32_e32 v27, s25, v27
	v_and_b32_e32 v26, s24, v26
	v_or_b32_e32 v37, s15, v37
	v_or_b32_e32 v36, s14, v36
	s_mov_b64 s[0:1], -1
	s_mov_b64 s[6:7], 0
	s_and_b64 vcc, exec, s[8:9]
	s_mov_b64 s[8:9], 0
	s_mov_b64 s[20:21], -1
	s_waitcnt lgkmcnt(0)
	s_barrier
                                        ; implicit-def: $vgpr6_vgpr7
	s_cbranch_vccz .LBB44_94
; %bb.80:                               ;   in Loop: Header=BB44_7 Depth=1
	s_mov_b32 s82, s77
	s_cmp_lg_u64 s[82:83], 0
	s_cbranch_scc0 .LBB44_137
; %bb.81:                               ;   in Loop: Header=BB44_7 Depth=1
	s_add_u32 s8, s70, 0
	s_addc_u32 s9, 0, 0
	s_xor_b64 s[8:9], s[8:9], 0
	v_cvt_f32_u32_e32 v2, s8
	v_cvt_f32_u32_e32 v4, s9
	s_sub_u32 s26, 0, s8
	s_subb_u32 s27, 0, s9
	v_fmac_f32_e32 v2, 0x4f800000, v4
	v_rcp_f32_e32 v2, v2
	s_nop 0
	v_mul_f32_e32 v2, 0x5f7ffffc, v2
	v_mul_f32_e32 v4, 0x2f800000, v2
	v_trunc_f32_e32 v4, v4
	v_fmac_f32_e32 v2, 0xcf800000, v4
	v_cvt_u32_f32_e32 v4, v4
	v_cvt_u32_f32_e32 v2, v2
	v_readfirstlane_b32 s28, v4
	v_readfirstlane_b32 s20, v2
	s_mul_i32 s21, s26, s28
	s_mul_hi_u32 s30, s26, s20
	s_mul_i32 s29, s27, s20
	s_add_i32 s21, s30, s21
	s_mul_i32 s31, s26, s20
	s_add_i32 s21, s21, s29
	s_mul_i32 s30, s20, s21
	s_mul_hi_u32 s34, s20, s31
	s_mul_hi_u32 s29, s20, s21
	s_add_u32 s30, s34, s30
	s_addc_u32 s29, 0, s29
	s_mul_hi_u32 s35, s28, s31
	s_mul_i32 s31, s28, s31
	s_add_u32 s30, s30, s31
	s_mul_hi_u32 s34, s28, s21
	s_addc_u32 s29, s29, s35
	s_addc_u32 s30, s34, 0
	s_mul_i32 s21, s28, s21
	s_add_u32 s21, s29, s21
	s_addc_u32 s29, 0, s30
	s_add_u32 s30, s20, s21
	s_cselect_b64 s[20:21], -1, 0
	s_cmp_lg_u64 s[20:21], 0
	s_addc_u32 s28, s28, s29
	s_mul_i32 s20, s26, s28
	s_mul_hi_u32 s21, s26, s30
	s_add_i32 s20, s21, s20
	s_mul_i32 s27, s27, s30
	s_add_i32 s20, s20, s27
	s_mul_i32 s26, s26, s30
	s_mul_hi_u32 s27, s28, s26
	s_mul_i32 s29, s28, s26
	s_mul_i32 s34, s30, s20
	s_mul_hi_u32 s26, s30, s26
	s_mul_hi_u32 s31, s30, s20
	s_add_u32 s26, s26, s34
	s_addc_u32 s31, 0, s31
	s_add_u32 s26, s26, s29
	s_mul_hi_u32 s21, s28, s20
	s_addc_u32 s26, s31, s27
	s_addc_u32 s21, s21, 0
	s_mul_i32 s20, s28, s20
	s_add_u32 s20, s26, s20
	s_addc_u32 s26, 0, s21
	s_add_u32 s29, s30, s20
	s_cselect_b64 s[20:21], -1, 0
	s_cmp_lg_u64 s[20:21], 0
	s_addc_u32 s28, s28, s26
	s_ashr_i32 s20, s83, 31
	s_add_u32 s26, s85, s20
	s_mov_b32 s21, s20
	s_addc_u32 s27, s83, s20
	s_xor_b64 s[26:27], s[26:27], s[20:21]
	s_mul_i32 s31, s26, s28
	s_mul_hi_u32 s34, s26, s29
	s_mul_hi_u32 s30, s26, s28
	s_add_u32 s31, s34, s31
	s_addc_u32 s30, 0, s30
	s_mul_hi_u32 s35, s27, s29
	s_mul_i32 s29, s27, s29
	s_add_u32 s29, s31, s29
	s_mul_hi_u32 s34, s27, s28
	s_addc_u32 s29, s30, s35
	s_addc_u32 s30, s34, 0
	s_mul_i32 s28, s27, s28
	s_add_u32 s28, s29, s28
	s_addc_u32 s29, 0, s30
	s_mul_i32 s29, s8, s29
	s_mul_hi_u32 s30, s8, s28
	s_add_i32 s29, s30, s29
	s_mul_i32 s30, s9, s28
	s_add_i32 s34, s29, s30
	s_sub_i32 s30, s27, s34
	s_mul_i32 s28, s8, s28
	s_sub_u32 s26, s26, s28
	s_cselect_b64 s[28:29], -1, 0
	s_cmp_lg_u64 s[28:29], 0
	s_subb_u32 s35, s30, s9
	s_sub_u32 s36, s26, s8
	s_cselect_b64 s[30:31], -1, 0
	s_cmp_lg_u64 s[30:31], 0
	s_subb_u32 s37, s35, 0
	s_cmp_ge_u32 s37, s9
	s_cselect_b32 s38, -1, 0
	s_cmp_ge_u32 s36, s8
	s_cselect_b32 s39, -1, 0
	s_cmp_eq_u32 s37, s9
	s_cselect_b32 s38, s39, s38
	s_cmp_lg_u64 s[30:31], 0
	s_subb_u32 s35, s35, s9
	s_sub_u32 s39, s36, s8
	s_cselect_b64 s[30:31], -1, 0
	s_cmp_lg_u64 s[30:31], 0
	s_subb_u32 s30, s35, 0
	s_cmp_lg_u32 s38, 0
	s_cselect_b32 s31, s39, s36
	s_cselect_b32 s30, s30, s37
	s_cmp_lg_u64 s[28:29], 0
	s_subb_u32 s27, s27, s34
	s_cmp_ge_u32 s27, s9
	s_cselect_b32 s28, -1, 0
	s_cmp_ge_u32 s26, s8
	s_cselect_b32 s8, -1, 0
	s_cmp_eq_u32 s27, s9
	s_cselect_b32 s8, s8, s28
	s_cmp_lg_u32 s8, 0
	s_cselect_b32 s9, s30, s27
	s_cselect_b32 s8, s31, s26
	s_xor_b64 s[8:9], s[8:9], s[20:21]
	s_sub_u32 s8, s8, s20
	s_subb_u32 s9, s9, s20
	s_cbranch_execnz .LBB44_83
.LBB44_82:                              ;   in Loop: Header=BB44_7 Depth=1
	v_cvt_f32_u32_e32 v2, s70
	s_sub_i32 s8, 0, s70
	v_rcp_iflag_f32_e32 v2, v2
	s_nop 0
	v_mul_f32_e32 v2, 0x4f7ffffe, v2
	v_cvt_u32_f32_e32 v2, v2
	s_nop 0
	v_readfirstlane_b32 s9, v2
	s_mul_i32 s8, s8, s9
	s_mul_hi_u32 s8, s9, s8
	s_add_i32 s9, s9, s8
	s_mul_hi_u32 s8, s85, s9
	s_mul_i32 s8, s8, s70
	s_sub_i32 s8, s85, s8
	s_sub_i32 s9, s8, s70
	s_cmp_ge_u32 s8, s70
	s_cselect_b32 s8, s9, s8
	s_sub_i32 s9, s8, s70
	s_cmp_ge_u32 s8, s70
	s_cselect_b32 s76, s9, s8
	s_mov_b64 s[8:9], s[76:77]
.LBB44_83:                              ;   in Loop: Header=BB44_7 Depth=1
	s_sub_u32 s28, s85, s8
	s_subb_u32 s29, s83, s9
	v_cmp_gt_i64_e32 vcc, s[28:29], v[0:1]
	s_mov_b64 s[20:21], 0
	s_mov_b64 s[8:9], 0
                                        ; implicit-def: $vgpr6_vgpr7
	s_and_saveexec_b64 s[26:27], vcc
	s_cbranch_execz .LBB44_93
; %bb.84:                               ;   in Loop: Header=BB44_7 Depth=1
	v_mov_b64_e32 v[12:13], v[16:17]
	v_mov_b64_e32 v[14:15], v[0:1]
                                        ; implicit-def: $sgpr30_sgpr31
	s_branch .LBB44_88
.LBB44_85:                              ;   in Loop: Header=BB44_88 Depth=2
	s_or_b64 exec, exec, s[34:35]
	s_waitcnt lgkmcnt(0)
	s_barrier
	ds_read_b128 v[4:7], v19 offset:3072
	s_waitcnt lgkmcnt(0)
	s_barrier
	v_cmp_neq_f64_e32 vcc, 0, v[4:5]
	s_cbranch_vccnz .LBB44_91
; %bb.86:                               ;   in Loop: Header=BB44_88 Depth=2
	v_lshl_add_u64 v[14:15], v[14:15], 0, s[70:71]
	v_cmp_le_i64_e32 vcc, s[28:29], v[14:15]
	v_lshl_add_u64 v[12:13], v[12:13], 0, s[72:73]
	s_mov_b64 s[34:35], 0
	s_orn2_b64 s[36:37], vcc, exec
.LBB44_87:                              ;   in Loop: Header=BB44_88 Depth=2
	s_and_b64 s[36:37], exec, s[36:37]
	s_or_b64 s[8:9], s[36:37], s[8:9]
	s_andn2_b64 s[30:31], s[30:31], exec
	s_and_b64 s[34:35], s[34:35], exec
	s_or_b64 s[30:31], s[30:31], s[34:35]
	s_andn2_b64 exec, exec, s[8:9]
	s_cbranch_execz .LBB44_92
.LBB44_88:                              ;   Parent Loop BB44_7 Depth=1
                                        ; =>  This Inner Loop Header: Depth=2
	v_cmp_gt_i64_e32 vcc, s[56:57], v[14:15]
	s_and_saveexec_b64 s[34:35], vcc
	s_cbranch_execz .LBB44_85
; %bb.89:                               ;   in Loop: Header=BB44_88 Depth=2
	global_load_dwordx2 v[4:5], v[12:13], off
	s_waitcnt vmcnt(0)
	v_ashrrev_i32_e32 v2, 31, v5
	v_or_b32_e32 v6, 0x80000000, v2
	v_xor_b32_e32 v2, v2, v4
	v_xor_b32_e32 v6, v6, v5
	v_cmp_o_f64_e32 vcc, v[4:5], v[4:5]
	s_nop 1
	v_cndmask_b32_e32 v2, -1, v2, vcc
	v_cndmask_b32_e32 v6, -1, v6, vcc
	v_and_b32_e32 v7, v6, v37
	v_and_b32_e32 v6, v2, v36
	v_cmp_eq_u64_e32 vcc, v[6:7], v[26:27]
	s_and_b64 exec, exec, vcc
	s_cbranch_execz .LBB44_85
; %bb.90:                               ;   in Loop: Header=BB44_88 Depth=2
	v_mov_b32_e32 v2, v19
	ds_write_b128 v19, v[2:5] offset:3072
	s_branch .LBB44_85
.LBB44_91:                              ;   in Loop: Header=BB44_88 Depth=2
	s_mov_b64 s[36:37], -1
                                        ; implicit-def: $vgpr14_vgpr15
                                        ; implicit-def: $vgpr12_vgpr13
	s_mov_b64 s[34:35], -1
	s_branch .LBB44_87
.LBB44_92:                              ;   in Loop: Header=BB44_7 Depth=1
	s_or_b64 exec, exec, s[8:9]
	s_and_b64 s[8:9], s[30:31], exec
.LBB44_93:                              ;   in Loop: Header=BB44_7 Depth=1
	s_or_b64 exec, exec, s[26:27]
.LBB44_94:                              ;   in Loop: Header=BB44_7 Depth=1
	s_and_b64 vcc, exec, s[20:21]
	s_cbranch_vccz .LBB44_109
; %bb.95:                               ;   in Loop: Header=BB44_7 Depth=1
	v_readlane_b32 s0, v66, 24
	s_add_u32 s26, s18, s0
	v_readlane_b32 s0, v66, 25
	s_addc_u32 s1, s19, s0
	s_mov_b32 s0, s77
	s_cmp_lg_u64 s[0:1], 0
	s_cbranch_scc0 .LBB44_138
; %bb.96:                               ;   in Loop: Header=BB44_7 Depth=1
	s_add_u32 s6, s70, 0
	s_addc_u32 s7, 0, 0
	s_xor_b64 s[6:7], s[6:7], 0
	v_cvt_f32_u32_e32 v2, s6
	v_cvt_f32_u32_e32 v4, s7
	s_sub_u32 s0, 0, s6
	s_subb_u32 s27, 0, s7
	v_fmac_f32_e32 v2, 0x4f800000, v4
	v_rcp_f32_e32 v2, v2
	s_nop 0
	v_mul_f32_e32 v2, 0x5f7ffffc, v2
	v_mul_f32_e32 v4, 0x2f800000, v2
	v_trunc_f32_e32 v4, v4
	v_fmac_f32_e32 v2, 0xcf800000, v4
	v_cvt_u32_f32_e32 v4, v4
	v_cvt_u32_f32_e32 v2, v2
	v_readfirstlane_b32 s28, v4
	v_readfirstlane_b32 s20, v2
	s_mul_i32 s21, s0, s28
	s_mul_hi_u32 s30, s0, s20
	s_mul_i32 s29, s27, s20
	s_add_i32 s21, s30, s21
	s_mul_i32 s31, s0, s20
	s_add_i32 s21, s21, s29
	s_mul_i32 s30, s20, s21
	s_mul_hi_u32 s34, s20, s31
	s_mul_hi_u32 s29, s20, s21
	s_add_u32 s30, s34, s30
	s_addc_u32 s29, 0, s29
	s_mul_hi_u32 s35, s28, s31
	s_mul_i32 s31, s28, s31
	s_add_u32 s30, s30, s31
	s_mul_hi_u32 s34, s28, s21
	s_addc_u32 s29, s29, s35
	s_addc_u32 s30, s34, 0
	s_mul_i32 s21, s28, s21
	s_add_u32 s21, s29, s21
	s_addc_u32 s29, 0, s30
	s_add_u32 s30, s20, s21
	s_cselect_b64 s[20:21], -1, 0
	s_cmp_lg_u64 s[20:21], 0
	s_addc_u32 s28, s28, s29
	s_mul_i32 s20, s0, s28
	s_mul_hi_u32 s21, s0, s30
	s_add_i32 s20, s21, s20
	s_mul_i32 s27, s27, s30
	s_add_i32 s20, s20, s27
	s_mul_i32 s0, s0, s30
	s_mul_hi_u32 s27, s28, s0
	s_mul_i32 s29, s28, s0
	s_mul_i32 s34, s30, s20
	s_mul_hi_u32 s0, s30, s0
	s_mul_hi_u32 s31, s30, s20
	s_add_u32 s0, s0, s34
	s_addc_u32 s31, 0, s31
	s_add_u32 s0, s0, s29
	s_mul_hi_u32 s21, s28, s20
	s_addc_u32 s0, s31, s27
	s_addc_u32 s21, s21, 0
	s_mul_i32 s20, s28, s20
	s_add_u32 s0, s0, s20
	s_addc_u32 s27, 0, s21
	s_add_u32 s0, s30, s0
	s_cselect_b64 s[20:21], -1, 0
	s_cmp_lg_u64 s[20:21], 0
	s_addc_u32 s27, s28, s27
	s_ashr_i32 s20, s1, 31
	s_add_u32 s28, s26, s20
	s_mov_b32 s21, s20
	s_addc_u32 s29, s1, s20
	s_xor_b64 s[28:29], s[28:29], s[20:21]
	s_mul_i32 s31, s28, s27
	s_mul_hi_u32 s34, s28, s0
	s_mul_hi_u32 s30, s28, s27
	s_add_u32 s31, s34, s31
	s_addc_u32 s30, 0, s30
	s_mul_hi_u32 s35, s29, s0
	s_mul_i32 s0, s29, s0
	s_add_u32 s0, s31, s0
	s_mul_hi_u32 s34, s29, s27
	s_addc_u32 s0, s30, s35
	s_addc_u32 s30, s34, 0
	s_mul_i32 s27, s29, s27
	s_add_u32 s0, s0, s27
	s_addc_u32 s27, 0, s30
	s_mul_i32 s27, s6, s27
	s_mul_hi_u32 s30, s6, s0
	s_add_i32 s27, s30, s27
	s_mul_i32 s30, s7, s0
	s_add_i32 s27, s27, s30
	s_sub_i32 s34, s29, s27
	s_mul_i32 s0, s6, s0
	s_sub_u32 s0, s28, s0
	s_cselect_b64 s[30:31], -1, 0
	s_cmp_lg_u64 s[30:31], 0
	s_subb_u32 s28, s34, s7
	s_sub_u32 s36, s0, s6
	s_cselect_b64 s[34:35], -1, 0
	s_cmp_lg_u64 s[34:35], 0
	s_subb_u32 s37, s28, 0
	s_cmp_ge_u32 s37, s7
	s_cselect_b32 s38, -1, 0
	s_cmp_ge_u32 s36, s6
	s_cselect_b32 s39, -1, 0
	s_cmp_eq_u32 s37, s7
	s_cselect_b32 s38, s39, s38
	s_cmp_lg_u64 s[34:35], 0
	s_subb_u32 s28, s28, s7
	s_sub_u32 s39, s36, s6
	s_cselect_b64 s[34:35], -1, 0
	s_cmp_lg_u64 s[34:35], 0
	s_subb_u32 s28, s28, 0
	s_cmp_lg_u32 s38, 0
	s_cselect_b32 s34, s39, s36
	s_cselect_b32 s28, s28, s37
	s_cmp_lg_u64 s[30:31], 0
	s_subb_u32 s27, s29, s27
	s_cmp_ge_u32 s27, s7
	s_cselect_b32 s29, -1, 0
	s_cmp_ge_u32 s0, s6
	s_cselect_b32 s6, -1, 0
	s_cmp_eq_u32 s27, s7
	s_cselect_b32 s6, s6, s29
	s_cmp_lg_u32 s6, 0
	s_cselect_b32 s7, s28, s27
	s_cselect_b32 s6, s34, s0
	s_xor_b64 s[6:7], s[6:7], s[20:21]
	s_sub_u32 s6, s6, s20
	s_subb_u32 s7, s7, s20
	s_cbranch_execnz .LBB44_98
.LBB44_97:                              ;   in Loop: Header=BB44_7 Depth=1
	v_cvt_f32_u32_e32 v2, s70
	s_sub_i32 s0, 0, s70
	v_rcp_iflag_f32_e32 v2, v2
	s_nop 0
	v_mul_f32_e32 v2, 0x4f7ffffe, v2
	v_cvt_u32_f32_e32 v2, v2
	s_nop 0
	v_readfirstlane_b32 s6, v2
	s_mul_i32 s0, s0, s6
	s_mul_hi_u32 s0, s6, s0
	s_add_i32 s6, s6, s0
	s_mul_hi_u32 s0, s26, s6
	s_mul_i32 s0, s0, s70
	s_sub_i32 s0, s26, s0
	s_sub_i32 s6, s0, s70
	s_cmp_ge_u32 s0, s70
	s_cselect_b32 s0, s6, s0
	s_sub_i32 s6, s0, s70
	s_cmp_ge_u32 s0, s70
	s_cselect_b32 s76, s6, s0
	s_mov_b64 s[6:7], s[76:77]
.LBB44_98:                              ;   in Loop: Header=BB44_7 Depth=1
	s_sub_u32 s6, s26, s6
	s_subb_u32 s7, s1, s7
	v_cmp_gt_i64_e32 vcc, s[6:7], v[0:1]
                                        ; implicit-def: $vgpr6_vgpr7
	s_and_saveexec_b64 s[0:1], vcc
	s_cbranch_execz .LBB44_108
; %bb.99:                               ;   in Loop: Header=BB44_7 Depth=1
	s_mov_b64 s[26:27], 0
	v_mov_b32_e32 v14, v47
	v_mov_b64_e32 v[12:13], v[0:1]
                                        ; implicit-def: $sgpr20_sgpr21
	s_branch .LBB44_103
.LBB44_100:                             ;   in Loop: Header=BB44_103 Depth=2
	s_or_b64 exec, exec, s[28:29]
	s_waitcnt lgkmcnt(0)
	s_barrier
	ds_read_b128 v[4:7], v19 offset:3072
	s_waitcnt lgkmcnt(0)
	s_barrier
	v_cmp_neq_f64_e32 vcc, 0, v[4:5]
	s_cbranch_vccnz .LBB44_106
; %bb.101:                              ;   in Loop: Header=BB44_103 Depth=2
	v_lshl_add_u64 v[12:13], v[12:13], 0, s[70:71]
	v_cmp_le_i64_e32 vcc, s[6:7], v[12:13]
	v_add_u32_e32 v14, s78, v14
	s_mov_b64 s[28:29], 0
	s_orn2_b64 s[30:31], vcc, exec
.LBB44_102:                             ;   in Loop: Header=BB44_103 Depth=2
	s_and_b64 s[30:31], exec, s[30:31]
	s_or_b64 s[26:27], s[30:31], s[26:27]
	s_andn2_b64 s[20:21], s[20:21], exec
	s_and_b64 s[28:29], s[28:29], exec
	s_or_b64 s[20:21], s[20:21], s[28:29]
	s_andn2_b64 exec, exec, s[26:27]
	s_cbranch_execz .LBB44_107
.LBB44_103:                             ;   Parent Loop BB44_7 Depth=1
                                        ; =>  This Inner Loop Header: Depth=2
	v_cmp_gt_u64_e32 vcc, s[18:19], v[12:13]
	s_and_saveexec_b64 s[28:29], vcc
	s_cbranch_execz .LBB44_100
; %bb.104:                              ;   in Loop: Header=BB44_103 Depth=2
	ds_read_b64 v[4:5], v14
	s_waitcnt lgkmcnt(0)
	v_ashrrev_i32_e32 v2, 31, v5
	v_or_b32_e32 v6, 0x80000000, v2
	v_xor_b32_e32 v2, v2, v4
	v_xor_b32_e32 v6, v6, v5
	v_cmp_o_f64_e32 vcc, v[4:5], v[4:5]
	s_nop 1
	v_cndmask_b32_e32 v6, -1, v6, vcc
	v_cndmask_b32_e32 v2, -1, v2, vcc
	v_and_b32_e32 v7, v6, v37
	v_and_b32_e32 v6, v2, v36
	v_cmp_eq_u64_e32 vcc, v[6:7], v[26:27]
	s_and_b64 exec, exec, vcc
	s_cbranch_execz .LBB44_100
; %bb.105:                              ;   in Loop: Header=BB44_103 Depth=2
	v_mov_b32_e32 v2, v19
	ds_write_b128 v19, v[2:5] offset:3072
	s_branch .LBB44_100
.LBB44_106:                             ;   in Loop: Header=BB44_103 Depth=2
	s_mov_b64 s[30:31], -1
                                        ; implicit-def: $vgpr12_vgpr13
                                        ; implicit-def: $vgpr14
	s_mov_b64 s[28:29], -1
	s_branch .LBB44_102
.LBB44_107:                             ;   in Loop: Header=BB44_7 Depth=1
	s_or_b64 exec, exec, s[26:27]
	s_andn2_b64 s[6:7], s[8:9], exec
	s_and_b64 s[8:9], s[20:21], exec
	s_or_b64 s[8:9], s[6:7], s[8:9]
.LBB44_108:                             ;   in Loop: Header=BB44_7 Depth=1
	s_or_b64 exec, exec, s[0:1]
	s_mov_b64 s[0:1], 0
	s_mov_b64 s[6:7], -1
.LBB44_109:                             ;   in Loop: Header=BB44_7 Depth=1
	s_orn2_b64 s[8:9], s[8:9], exec
.LBB44_110:                             ;   in Loop: Header=BB44_7 Depth=1
	s_or_b64 exec, exec, s[16:17]
	s_andn2_b64 s[16:17], s[66:67], exec
	s_and_b64 s[6:7], s[6:7], exec
	s_or_b64 s[66:67], s[16:17], s[6:7]
	s_andn2_b64 s[6:7], s[60:61], exec
	s_and_b64 s[0:1], s[0:1], exec
	s_andn2_b64 s[54:55], s[54:55], exec
	s_or_b64 s[60:61], s[6:7], s[0:1]
                                        ; implicit-def: $vgpr12_vgpr13
	s_and_saveexec_b64 s[16:17], s[8:9]
	s_cbranch_execz .LBB44_6
; %bb.111:                              ;   in Loop: Header=BB44_7 Depth=1
	s_xor_b64 s[2:3], s[10:11], -1
	v_mov_b32_e32 v18, 1
	s_mov_b64 s[6:7], 0
	v_mov_b64_e32 v[12:13], 1
	s_and_saveexec_b64 s[0:1], s[2:3]
	s_cbranch_execz .LBB44_120
; %bb.112:                              ;   in Loop: Header=BB44_7 Depth=1
	v_cmp_le_i64_e32 vcc, v[38:39], v[8:9]
	s_and_saveexec_b64 s[2:3], vcc
	s_xor_b64 s[2:3], exec, s[2:3]
	s_cbranch_execz .LBB44_117
; %bb.113:                              ;   in Loop: Header=BB44_7 Depth=1
	ds_read_b64 v[4:5], v19 offset:5120
	v_and_b32_e32 v27, s25, v27
	v_and_b32_e32 v26, s24, v26
	v_or_b32_e32 v37, s15, v37
	v_or_b32_e32 v36, s14, v36
	s_waitcnt lgkmcnt(0)
	v_cmp_ne_u64_e32 vcc, 0, v[4:5]
	s_cbranch_vccnz .LBB44_117
; %bb.114:                              ;   in Loop: Header=BB44_7 Depth=1
	s_mov_b64 s[6:7], exec
	v_readlane_b32 s8, v66, 8
	v_readlane_b32 s9, v66, 9
	s_and_b64 s[8:9], s[6:7], s[8:9]
	s_mov_b64 exec, s[8:9]
; %bb.115:                              ;   in Loop: Header=BB44_7 Depth=1
	ds_write_b64 v19, v[8:9] offset:5128
; %bb.116:                              ;   in Loop: Header=BB44_7 Depth=1
	s_or_b64 exec, exec, s[6:7]
	s_waitcnt lgkmcnt(0)
	s_barrier
.LBB44_117:                             ;   in Loop: Header=BB44_7 Depth=1
	s_or_saveexec_b64 s[2:3], s[2:3]
	s_mov_b64 s[6:7], 0
	v_mov_b32_e32 v18, 8
	s_xor_b64 exec, exec, s[2:3]
; %bb.118:                              ;   in Loop: Header=BB44_7 Depth=1
	v_sub_co_u32_e32 v38, vcc, v38, v8
	s_mov_b64 s[6:7], exec
	s_nop 0
	v_subb_co_u32_e32 v39, vcc, v39, v9, vcc
	v_mov_b32_e32 v18, 0
; %bb.119:                              ;   in Loop: Header=BB44_7 Depth=1
	s_or_b64 exec, exec, s[2:3]
	s_and_b64 s[6:7], s[6:7], exec
	v_mov_b64_e32 v[12:13], v[38:39]
.LBB44_120:                             ;   in Loop: Header=BB44_7 Depth=1
	s_or_b64 exec, exec, s[0:1]
	s_mov_b64 s[18:19], -1
	s_mov_b64 s[0:1], -1
                                        ; implicit-def: $sgpr2_sgpr3
                                        ; implicit-def: $sgpr26_sgpr27
	s_and_saveexec_b64 s[8:9], s[6:7]
	s_xor_b64 s[20:21], exec, s[8:9]
	s_cbranch_execz .LBB44_268
; %bb.121:                              ;   in Loop: Header=BB44_7 Depth=1
	v_cmp_eq_u64_e32 vcc, 1, v[10:11]
	v_cmp_eq_u64_e64 s[2:3], 1, v[12:13]
	s_and_b64 s[10:11], vcc, s[2:3]
                                        ; implicit-def: $sgpr26_sgpr27
                                        ; implicit-def: $sgpr2_sgpr3
	s_and_saveexec_b64 s[30:31], s[10:11]
	s_cbranch_execz .LBB44_157
; %bb.122:                              ;   in Loop: Header=BB44_7 Depth=1
	ds_read_b64 v[4:5], v19 offset:5120
	s_waitcnt lgkmcnt(0)
	s_barrier
	v_readfirstlane_b32 s34, v4
	v_readfirstlane_b32 s35, v5
	s_mov_b64 s[0:1], exec
	v_readlane_b32 s2, v66, 12
	v_readlane_b32 s3, v66, 13
	s_and_b64 s[2:3], s[0:1], s[2:3]
	s_mov_b64 exec, s[2:3]
; %bb.123:                              ;   in Loop: Header=BB44_7 Depth=1
	ds_write_b64 v48, v[56:57]
; %bb.124:                              ;   in Loop: Header=BB44_7 Depth=1
	s_or_b64 exec, exec, s[0:1]
	s_lshl_b64 s[0:1], 1, s79
	v_and_b32_e32 v2, s25, v27
	v_and_b32_e32 v4, s24, v26
	v_or_b32_e32 v27, s1, v2
	v_or_b32_e32 v26, s0, v4
	v_cmp_gt_i64_e64 s[0:1], s[34:35], 0
	v_or_b32_e32 v37, s15, v37
	v_or_b32_e32 v36, s14, v36
	s_mov_b64 s[2:3], -1
	s_mov_b64 s[26:27], 0
	s_and_b64 vcc, exec, s[0:1]
	s_mov_b64 s[0:1], 0
	s_mov_b64 s[6:7], -1
	s_waitcnt lgkmcnt(0)
	s_barrier
                                        ; implicit-def: $vgpr6_vgpr7
	s_cbranch_vccnz .LBB44_141
; %bb.125:                              ;   in Loop: Header=BB44_7 Depth=1
	s_mov_b32 s82, s77
	s_cmp_lg_u64 s[82:83], 0
	s_cbranch_scc0 .LBB44_185
; %bb.126:                              ;   in Loop: Header=BB44_7 Depth=1
	s_add_u32 s0, s70, 0
	s_addc_u32 s1, 0, 0
	s_xor_b64 s[0:1], s[0:1], 0
	v_cvt_f32_u32_e32 v2, s0
	v_cvt_f32_u32_e32 v4, s1
	s_sub_u32 s8, 0, s0
	s_subb_u32 s9, 0, s1
	v_fmac_f32_e32 v2, 0x4f800000, v4
	v_rcp_f32_e32 v2, v2
	s_nop 0
	v_mul_f32_e32 v2, 0x5f7ffffc, v2
	v_mul_f32_e32 v4, 0x2f800000, v2
	v_trunc_f32_e32 v4, v4
	v_fmac_f32_e32 v2, 0xcf800000, v4
	v_cvt_u32_f32_e32 v4, v4
	v_cvt_u32_f32_e32 v2, v2
	v_readfirstlane_b32 s28, v4
	v_readfirstlane_b32 s6, v2
	s_mul_i32 s7, s8, s28
	s_mul_hi_u32 s36, s8, s6
	s_mul_i32 s29, s9, s6
	s_add_i32 s7, s36, s7
	s_mul_i32 s37, s8, s6
	s_add_i32 s7, s7, s29
	s_mul_i32 s36, s6, s7
	s_mul_hi_u32 s38, s6, s37
	s_mul_hi_u32 s29, s6, s7
	s_add_u32 s36, s38, s36
	s_addc_u32 s29, 0, s29
	s_mul_hi_u32 s39, s28, s37
	s_mul_i32 s37, s28, s37
	s_add_u32 s36, s36, s37
	s_mul_hi_u32 s38, s28, s7
	s_addc_u32 s29, s29, s39
	s_addc_u32 s36, s38, 0
	s_mul_i32 s7, s28, s7
	s_add_u32 s7, s29, s7
	s_addc_u32 s29, 0, s36
	s_add_u32 s36, s6, s7
	s_cselect_b64 s[6:7], -1, 0
	s_cmp_lg_u64 s[6:7], 0
	s_addc_u32 s28, s28, s29
	s_mul_i32 s6, s8, s28
	s_mul_hi_u32 s7, s8, s36
	s_add_i32 s6, s7, s6
	s_mul_i32 s9, s9, s36
	s_add_i32 s6, s6, s9
	s_mul_i32 s8, s8, s36
	s_mul_hi_u32 s9, s28, s8
	s_mul_i32 s29, s28, s8
	s_mul_i32 s38, s36, s6
	s_mul_hi_u32 s8, s36, s8
	s_mul_hi_u32 s37, s36, s6
	s_add_u32 s8, s8, s38
	s_addc_u32 s37, 0, s37
	s_add_u32 s8, s8, s29
	s_mul_hi_u32 s7, s28, s6
	s_addc_u32 s8, s37, s9
	s_addc_u32 s7, s7, 0
	s_mul_i32 s6, s28, s6
	s_add_u32 s6, s8, s6
	s_addc_u32 s8, 0, s7
	s_add_u32 s29, s36, s6
	s_cselect_b64 s[6:7], -1, 0
	s_cmp_lg_u64 s[6:7], 0
	s_addc_u32 s28, s28, s8
	s_ashr_i32 s6, s83, 31
	s_add_u32 s8, s85, s6
	s_mov_b32 s7, s6
	s_addc_u32 s9, s83, s6
	s_xor_b64 s[8:9], s[8:9], s[6:7]
	s_mul_i32 s37, s8, s28
	s_mul_hi_u32 s38, s8, s29
	s_mul_hi_u32 s36, s8, s28
	s_add_u32 s37, s38, s37
	s_addc_u32 s36, 0, s36
	s_mul_hi_u32 s39, s9, s29
	s_mul_i32 s29, s9, s29
	s_add_u32 s29, s37, s29
	s_mul_hi_u32 s38, s9, s28
	s_addc_u32 s29, s36, s39
	s_addc_u32 s36, s38, 0
	s_mul_i32 s28, s9, s28
	s_add_u32 s28, s29, s28
	s_addc_u32 s29, 0, s36
	s_mul_i32 s29, s0, s29
	s_mul_hi_u32 s36, s0, s28
	s_add_i32 s29, s36, s29
	s_mul_i32 s36, s1, s28
	s_add_i32 s38, s29, s36
	s_sub_i32 s36, s9, s38
	s_mul_i32 s28, s0, s28
	s_sub_u32 s8, s8, s28
	s_cselect_b64 s[28:29], -1, 0
	s_cmp_lg_u64 s[28:29], 0
	s_subb_u32 s39, s36, s1
	s_sub_u32 s40, s8, s0
	s_cselect_b64 s[36:37], -1, 0
	s_cmp_lg_u64 s[36:37], 0
	s_subb_u32 s41, s39, 0
	s_cmp_ge_u32 s41, s1
	s_cselect_b32 s42, -1, 0
	s_cmp_ge_u32 s40, s0
	s_cselect_b32 s43, -1, 0
	s_cmp_eq_u32 s41, s1
	s_cselect_b32 s42, s43, s42
	s_cmp_lg_u64 s[36:37], 0
	s_subb_u32 s39, s39, s1
	s_sub_u32 s43, s40, s0
	s_cselect_b64 s[36:37], -1, 0
	s_cmp_lg_u64 s[36:37], 0
	s_subb_u32 s36, s39, 0
	s_cmp_lg_u32 s42, 0
	s_cselect_b32 s37, s43, s40
	s_cselect_b32 s36, s36, s41
	s_cmp_lg_u64 s[28:29], 0
	s_subb_u32 s9, s9, s38
	s_cmp_ge_u32 s9, s1
	s_cselect_b32 s28, -1, 0
	s_cmp_ge_u32 s8, s0
	s_cselect_b32 s0, -1, 0
	s_cmp_eq_u32 s9, s1
	s_cselect_b32 s0, s0, s28
	s_cmp_lg_u32 s0, 0
	s_cselect_b32 s1, s36, s9
	s_cselect_b32 s0, s37, s8
	s_xor_b64 s[0:1], s[0:1], s[6:7]
	s_sub_u32 s0, s0, s6
	s_subb_u32 s1, s1, s6
	s_cbranch_execnz .LBB44_128
.LBB44_127:                             ;   in Loop: Header=BB44_7 Depth=1
	v_cvt_f32_u32_e32 v2, s70
	s_sub_i32 s0, 0, s70
	v_rcp_iflag_f32_e32 v2, v2
	s_nop 0
	v_mul_f32_e32 v2, 0x4f7ffffe, v2
	v_cvt_u32_f32_e32 v2, v2
	s_nop 0
	v_readfirstlane_b32 s1, v2
	s_mul_i32 s0, s0, s1
	s_mul_hi_u32 s0, s1, s0
	s_add_i32 s1, s1, s0
	s_mul_hi_u32 s0, s85, s1
	s_mul_i32 s0, s0, s70
	s_sub_i32 s0, s85, s0
	s_sub_i32 s1, s0, s70
	s_cmp_ge_u32 s0, s70
	s_cselect_b32 s0, s1, s0
	s_sub_i32 s1, s0, s70
	s_cmp_ge_u32 s0, s70
	s_cselect_b32 s76, s1, s0
	s_mov_b64 s[0:1], s[76:77]
.LBB44_128:                             ;   in Loop: Header=BB44_7 Depth=1
	s_sub_u32 s28, s85, s0
	s_subb_u32 s29, s83, s1
	v_cmp_gt_i64_e32 vcc, s[28:29], v[0:1]
	s_mov_b64 s[6:7], 0
	s_mov_b64 s[0:1], 0
                                        ; implicit-def: $vgpr6_vgpr7
	s_and_saveexec_b64 s[8:9], vcc
	s_cbranch_execz .LBB44_140
; %bb.129:                              ;   in Loop: Header=BB44_7 Depth=1
	v_mov_b64_e32 v[8:9], v[16:17]
	v_mov_b64_e32 v[14:15], v[0:1]
                                        ; implicit-def: $sgpr36_sgpr37
	s_branch .LBB44_133
.LBB44_130:                             ;   in Loop: Header=BB44_133 Depth=2
	s_or_b64 exec, exec, s[38:39]
	s_waitcnt lgkmcnt(0)
	s_barrier
	ds_read_b128 v[4:7], v19 offset:3072
	s_waitcnt lgkmcnt(0)
	s_barrier
	v_cmp_neq_f64_e32 vcc, 0, v[4:5]
	s_cbranch_vccnz .LBB44_136
; %bb.131:                              ;   in Loop: Header=BB44_133 Depth=2
	v_lshl_add_u64 v[14:15], v[14:15], 0, s[70:71]
	v_cmp_le_i64_e32 vcc, s[28:29], v[14:15]
	v_lshl_add_u64 v[8:9], v[8:9], 0, s[72:73]
	s_mov_b64 s[38:39], 0
	s_orn2_b64 s[40:41], vcc, exec
.LBB44_132:                             ;   in Loop: Header=BB44_133 Depth=2
	s_and_b64 s[40:41], exec, s[40:41]
	s_or_b64 s[0:1], s[40:41], s[0:1]
	s_andn2_b64 s[36:37], s[36:37], exec
	s_and_b64 s[38:39], s[38:39], exec
	s_or_b64 s[36:37], s[36:37], s[38:39]
	s_andn2_b64 exec, exec, s[0:1]
	s_cbranch_execz .LBB44_139
.LBB44_133:                             ;   Parent Loop BB44_7 Depth=1
                                        ; =>  This Inner Loop Header: Depth=2
	v_cmp_gt_i64_e32 vcc, s[56:57], v[14:15]
	s_and_saveexec_b64 s[38:39], vcc
	s_cbranch_execz .LBB44_130
; %bb.134:                              ;   in Loop: Header=BB44_133 Depth=2
	global_load_dwordx2 v[4:5], v[8:9], off
	s_waitcnt vmcnt(0)
	v_ashrrev_i32_e32 v2, 31, v5
	v_or_b32_e32 v6, 0x80000000, v2
	v_xor_b32_e32 v2, v2, v4
	v_xor_b32_e32 v6, v6, v5
	v_cmp_o_f64_e32 vcc, v[4:5], v[4:5]
	s_nop 1
	v_cndmask_b32_e32 v2, -1, v2, vcc
	v_cndmask_b32_e32 v6, -1, v6, vcc
	v_and_b32_e32 v7, v6, v37
	v_and_b32_e32 v6, v2, v36
	v_cmp_eq_u64_e32 vcc, v[6:7], v[26:27]
	s_and_b64 exec, exec, vcc
	s_cbranch_execz .LBB44_130
; %bb.135:                              ;   in Loop: Header=BB44_133 Depth=2
	v_mov_b32_e32 v2, v19
	ds_write_b128 v19, v[2:5] offset:3072
	s_branch .LBB44_130
.LBB44_136:                             ;   in Loop: Header=BB44_133 Depth=2
	s_mov_b64 s[40:41], -1
                                        ; implicit-def: $vgpr14_vgpr15
                                        ; implicit-def: $vgpr8_vgpr9
	s_mov_b64 s[38:39], -1
	s_branch .LBB44_132
.LBB44_137:                             ;   in Loop: Header=BB44_7 Depth=1
                                        ; implicit-def: $sgpr8_sgpr9
	s_andn2_b64 vcc, exec, s[20:21]
	s_cbranch_vccz .LBB44_82
	s_branch .LBB44_83
.LBB44_138:                             ;   in Loop: Header=BB44_7 Depth=1
                                        ; implicit-def: $sgpr6_sgpr7
	s_branch .LBB44_97
.LBB44_139:                             ;   in Loop: Header=BB44_7 Depth=1
	s_or_b64 exec, exec, s[0:1]
	s_and_b64 s[0:1], s[36:37], exec
.LBB44_140:                             ;   in Loop: Header=BB44_7 Depth=1
	s_or_b64 exec, exec, s[8:9]
.LBB44_141:                             ;   in Loop: Header=BB44_7 Depth=1
	s_and_b64 vcc, exec, s[6:7]
	s_cbranch_vccz .LBB44_156
; %bb.142:                              ;   in Loop: Header=BB44_7 Depth=1
	v_readlane_b32 s2, v66, 24
	s_add_u32 s26, s34, s2
	v_readlane_b32 s2, v66, 25
	s_addc_u32 s3, s35, s2
	s_mov_b32 s2, s77
	s_cmp_lg_u64 s[2:3], 0
	s_cbranch_scc0 .LBB44_186
; %bb.143:                              ;   in Loop: Header=BB44_7 Depth=1
	s_add_u32 s6, s70, 0
	s_addc_u32 s7, 0, 0
	s_xor_b64 s[6:7], s[6:7], 0
	v_cvt_f32_u32_e32 v2, s6
	v_cvt_f32_u32_e32 v4, s7
	s_sub_u32 s2, 0, s6
	s_subb_u32 s27, 0, s7
	v_fmac_f32_e32 v2, 0x4f800000, v4
	v_rcp_f32_e32 v2, v2
	s_nop 0
	v_mul_f32_e32 v2, 0x5f7ffffc, v2
	v_mul_f32_e32 v4, 0x2f800000, v2
	v_trunc_f32_e32 v4, v4
	v_fmac_f32_e32 v2, 0xcf800000, v4
	v_cvt_u32_f32_e32 v4, v4
	v_cvt_u32_f32_e32 v2, v2
	v_readfirstlane_b32 s28, v4
	v_readfirstlane_b32 s8, v2
	s_mul_i32 s9, s2, s28
	s_mul_hi_u32 s36, s2, s8
	s_mul_i32 s29, s27, s8
	s_add_i32 s9, s36, s9
	s_mul_i32 s37, s2, s8
	s_add_i32 s9, s9, s29
	s_mul_i32 s36, s8, s9
	s_mul_hi_u32 s38, s8, s37
	s_mul_hi_u32 s29, s8, s9
	s_add_u32 s36, s38, s36
	s_addc_u32 s29, 0, s29
	s_mul_hi_u32 s39, s28, s37
	s_mul_i32 s37, s28, s37
	s_add_u32 s36, s36, s37
	s_mul_hi_u32 s38, s28, s9
	s_addc_u32 s29, s29, s39
	s_addc_u32 s36, s38, 0
	s_mul_i32 s9, s28, s9
	s_add_u32 s9, s29, s9
	s_addc_u32 s29, 0, s36
	s_add_u32 s36, s8, s9
	s_cselect_b64 s[8:9], -1, 0
	s_cmp_lg_u64 s[8:9], 0
	s_addc_u32 s28, s28, s29
	s_mul_i32 s8, s2, s28
	s_mul_hi_u32 s9, s2, s36
	s_add_i32 s8, s9, s8
	s_mul_i32 s27, s27, s36
	s_add_i32 s8, s8, s27
	s_mul_i32 s2, s2, s36
	s_mul_hi_u32 s27, s28, s2
	s_mul_i32 s29, s28, s2
	s_mul_i32 s38, s36, s8
	s_mul_hi_u32 s2, s36, s2
	s_mul_hi_u32 s37, s36, s8
	s_add_u32 s2, s2, s38
	s_addc_u32 s37, 0, s37
	s_add_u32 s2, s2, s29
	s_mul_hi_u32 s9, s28, s8
	s_addc_u32 s2, s37, s27
	s_addc_u32 s9, s9, 0
	s_mul_i32 s8, s28, s8
	s_add_u32 s2, s2, s8
	s_addc_u32 s27, 0, s9
	s_add_u32 s2, s36, s2
	s_cselect_b64 s[8:9], -1, 0
	s_cmp_lg_u64 s[8:9], 0
	s_addc_u32 s27, s28, s27
	s_ashr_i32 s8, s3, 31
	s_add_u32 s28, s26, s8
	s_mov_b32 s9, s8
	s_addc_u32 s29, s3, s8
	s_xor_b64 s[28:29], s[28:29], s[8:9]
	s_mul_i32 s37, s28, s27
	s_mul_hi_u32 s38, s28, s2
	s_mul_hi_u32 s36, s28, s27
	s_add_u32 s37, s38, s37
	s_addc_u32 s36, 0, s36
	s_mul_hi_u32 s39, s29, s2
	s_mul_i32 s2, s29, s2
	s_add_u32 s2, s37, s2
	s_mul_hi_u32 s38, s29, s27
	s_addc_u32 s2, s36, s39
	s_addc_u32 s36, s38, 0
	s_mul_i32 s27, s29, s27
	s_add_u32 s2, s2, s27
	s_addc_u32 s27, 0, s36
	s_mul_i32 s27, s6, s27
	s_mul_hi_u32 s36, s6, s2
	s_add_i32 s27, s36, s27
	s_mul_i32 s36, s7, s2
	s_add_i32 s27, s27, s36
	s_sub_i32 s38, s29, s27
	s_mul_i32 s2, s6, s2
	s_sub_u32 s2, s28, s2
	s_cselect_b64 s[36:37], -1, 0
	s_cmp_lg_u64 s[36:37], 0
	s_subb_u32 s28, s38, s7
	s_sub_u32 s40, s2, s6
	s_cselect_b64 s[38:39], -1, 0
	s_cmp_lg_u64 s[38:39], 0
	s_subb_u32 s41, s28, 0
	s_cmp_ge_u32 s41, s7
	s_cselect_b32 s42, -1, 0
	s_cmp_ge_u32 s40, s6
	s_cselect_b32 s43, -1, 0
	s_cmp_eq_u32 s41, s7
	s_cselect_b32 s42, s43, s42
	s_cmp_lg_u64 s[38:39], 0
	s_subb_u32 s28, s28, s7
	s_sub_u32 s43, s40, s6
	s_cselect_b64 s[38:39], -1, 0
	s_cmp_lg_u64 s[38:39], 0
	s_subb_u32 s28, s28, 0
	s_cmp_lg_u32 s42, 0
	s_cselect_b32 s38, s43, s40
	s_cselect_b32 s28, s28, s41
	s_cmp_lg_u64 s[36:37], 0
	s_subb_u32 s27, s29, s27
	s_cmp_ge_u32 s27, s7
	s_cselect_b32 s29, -1, 0
	s_cmp_ge_u32 s2, s6
	s_cselect_b32 s6, -1, 0
	s_cmp_eq_u32 s27, s7
	s_cselect_b32 s6, s6, s29
	s_cmp_lg_u32 s6, 0
	s_cselect_b32 s7, s28, s27
	s_cselect_b32 s6, s38, s2
	s_xor_b64 s[6:7], s[6:7], s[8:9]
	s_sub_u32 s6, s6, s8
	s_subb_u32 s7, s7, s8
	s_cbranch_execnz .LBB44_145
.LBB44_144:                             ;   in Loop: Header=BB44_7 Depth=1
	v_cvt_f32_u32_e32 v2, s70
	s_sub_i32 s2, 0, s70
	v_rcp_iflag_f32_e32 v2, v2
	s_nop 0
	v_mul_f32_e32 v2, 0x4f7ffffe, v2
	v_cvt_u32_f32_e32 v2, v2
	s_nop 0
	v_readfirstlane_b32 s6, v2
	s_mul_i32 s2, s2, s6
	s_mul_hi_u32 s2, s6, s2
	s_add_i32 s6, s6, s2
	s_mul_hi_u32 s2, s26, s6
	s_mul_i32 s2, s2, s70
	s_sub_i32 s2, s26, s2
	s_sub_i32 s6, s2, s70
	s_cmp_ge_u32 s2, s70
	s_cselect_b32 s2, s6, s2
	s_sub_i32 s6, s2, s70
	s_cmp_ge_u32 s2, s70
	s_cselect_b32 s76, s6, s2
	s_mov_b64 s[6:7], s[76:77]
.LBB44_145:                             ;   in Loop: Header=BB44_7 Depth=1
	s_sub_u32 s6, s26, s6
	s_subb_u32 s7, s3, s7
	v_cmp_gt_i64_e32 vcc, s[6:7], v[0:1]
                                        ; implicit-def: $vgpr6_vgpr7
	s_and_saveexec_b64 s[2:3], vcc
	s_cbranch_execz .LBB44_155
; %bb.146:                              ;   in Loop: Header=BB44_7 Depth=1
	s_mov_b64 s[8:9], 0
	v_mov_b32_e32 v14, v47
	v_mov_b64_e32 v[8:9], v[0:1]
                                        ; implicit-def: $sgpr26_sgpr27
	s_branch .LBB44_150
.LBB44_147:                             ;   in Loop: Header=BB44_150 Depth=2
	s_or_b64 exec, exec, s[28:29]
	s_waitcnt lgkmcnt(0)
	s_barrier
	ds_read_b128 v[4:7], v19 offset:3072
	s_waitcnt lgkmcnt(0)
	s_barrier
	v_cmp_eq_f64_e32 vcc, 0, v[4:5]
	s_cbranch_vccz .LBB44_153
; %bb.148:                              ;   in Loop: Header=BB44_150 Depth=2
	v_lshl_add_u64 v[8:9], v[8:9], 0, s[70:71]
	v_cmp_le_i64_e32 vcc, s[6:7], v[8:9]
	v_add_u32_e32 v14, s78, v14
	s_mov_b64 s[28:29], 0
	s_orn2_b64 s[36:37], vcc, exec
.LBB44_149:                             ;   in Loop: Header=BB44_150 Depth=2
	s_and_b64 s[36:37], exec, s[36:37]
	s_or_b64 s[8:9], s[36:37], s[8:9]
	s_andn2_b64 s[26:27], s[26:27], exec
	s_and_b64 s[28:29], s[28:29], exec
	s_or_b64 s[26:27], s[26:27], s[28:29]
	s_andn2_b64 exec, exec, s[8:9]
	s_cbranch_execz .LBB44_154
.LBB44_150:                             ;   Parent Loop BB44_7 Depth=1
                                        ; =>  This Inner Loop Header: Depth=2
	v_cmp_gt_u64_e32 vcc, s[34:35], v[8:9]
	s_and_saveexec_b64 s[28:29], vcc
	s_cbranch_execz .LBB44_147
; %bb.151:                              ;   in Loop: Header=BB44_150 Depth=2
	ds_read_b64 v[4:5], v14
	s_waitcnt lgkmcnt(0)
	v_ashrrev_i32_e32 v2, 31, v5
	v_or_b32_e32 v6, 0x80000000, v2
	v_xor_b32_e32 v2, v2, v4
	v_xor_b32_e32 v6, v6, v5
	v_cmp_o_f64_e32 vcc, v[4:5], v[4:5]
	s_nop 1
	v_cndmask_b32_e32 v2, -1, v2, vcc
	v_cndmask_b32_e32 v6, -1, v6, vcc
	v_and_b32_e32 v7, v6, v37
	v_and_b32_e32 v6, v2, v36
	v_cmp_eq_u64_e32 vcc, v[6:7], v[26:27]
	s_and_b64 exec, exec, vcc
	s_cbranch_execz .LBB44_147
; %bb.152:                              ;   in Loop: Header=BB44_150 Depth=2
	v_mov_b32_e32 v2, v19
	ds_write_b128 v19, v[2:5] offset:3072
	s_branch .LBB44_147
.LBB44_153:                             ;   in Loop: Header=BB44_150 Depth=2
	s_mov_b64 s[36:37], -1
                                        ; implicit-def: $vgpr8_vgpr9
                                        ; implicit-def: $vgpr14
	s_mov_b64 s[28:29], -1
	s_branch .LBB44_149
.LBB44_154:                             ;   in Loop: Header=BB44_7 Depth=1
	s_or_b64 exec, exec, s[8:9]
	s_andn2_b64 s[0:1], s[0:1], exec
	s_and_b64 s[6:7], s[26:27], exec
	s_or_b64 s[0:1], s[0:1], s[6:7]
.LBB44_155:                             ;   in Loop: Header=BB44_7 Depth=1
	s_or_b64 exec, exec, s[2:3]
	s_mov_b64 s[2:3], 0
	s_mov_b64 s[26:27], -1
.LBB44_156:                             ;   in Loop: Header=BB44_7 Depth=1
	s_orn2_b64 s[0:1], s[0:1], exec
.LBB44_157:                             ;   in Loop: Header=BB44_7 Depth=1
	s_or_b64 exec, exec, s[30:31]
	s_mov_b64 s[6:7], 0
	s_and_saveexec_b64 s[30:31], s[0:1]
	s_cbranch_execz .LBB44_267
; %bb.158:                              ;   in Loop: Header=BB44_7 Depth=1
	s_xor_b64 s[8:9], s[10:11], -1
	v_mov_b32_e32 v18, 1
	v_mov_b64_e32 v[8:9], 1
	s_and_saveexec_b64 s[0:1], s[8:9]
	s_cbranch_execz .LBB44_168
; %bb.159:                              ;   in Loop: Header=BB44_7 Depth=1
	v_cmp_le_i64_e32 vcc, v[12:13], v[10:11]
	s_and_saveexec_b64 s[6:7], vcc
	s_xor_b64 s[6:7], exec, s[6:7]
	s_cbranch_execz .LBB44_165
; %bb.160:                              ;   in Loop: Header=BB44_7 Depth=1
	ds_read_b64 v[4:5], v19 offset:5120
	s_lshl_b64 s[8:9], 1, s79
	v_and_b32_e32 v2, s25, v27
	v_and_b32_e32 v8, s24, v26
	v_or_b32_e32 v27, s9, v2
	s_waitcnt lgkmcnt(0)
	v_cmp_ne_u64_e32 vcc, 0, v[4:5]
	v_or_b32_e32 v26, s8, v8
	v_or_b32_e32 v37, s15, v37
	;; [unrolled: 1-line block ×3, first 2 shown]
	s_cbranch_vccnz .LBB44_164
; %bb.161:                              ;   in Loop: Header=BB44_7 Depth=1
	s_mov_b64 s[8:9], exec
	v_readlane_b32 s10, v66, 8
	v_readlane_b32 s11, v66, 9
	s_and_b64 s[10:11], s[8:9], s[10:11]
	s_mov_b64 exec, s[10:11]
; %bb.162:                              ;   in Loop: Header=BB44_7 Depth=1
	ds_write_b64 v19, v[10:11] offset:5128
; %bb.163:                              ;   in Loop: Header=BB44_7 Depth=1
	s_or_b64 exec, exec, s[8:9]
	s_waitcnt lgkmcnt(0)
	s_barrier
.LBB44_164:                             ;   in Loop: Header=BB44_7 Depth=1
                                        ; implicit-def: $vgpr8_vgpr9_vgpr10_vgpr11
.LBB44_165:                             ;   in Loop: Header=BB44_7 Depth=1
	s_or_saveexec_b64 s[6:7], s[6:7]
	s_mov_b64 s[8:9], 0
	v_mov_b32_e32 v18, 8
	s_xor_b64 exec, exec, s[6:7]
; %bb.166:                              ;   in Loop: Header=BB44_7 Depth=1
	v_sub_co_u32_e32 v12, vcc, v12, v10
	s_mov_b64 s[8:9], exec
	s_nop 0
	v_subb_co_u32_e32 v13, vcc, v13, v11, vcc
	v_mov_b32_e32 v18, 0
; %bb.167:                              ;   in Loop: Header=BB44_7 Depth=1
	s_or_b64 exec, exec, s[6:7]
	s_and_b64 s[6:7], s[8:9], exec
	v_mov_b64_e32 v[8:9], v[12:13]
.LBB44_168:                             ;   in Loop: Header=BB44_7 Depth=1
	s_or_b64 exec, exec, s[0:1]
	s_mov_b64 s[0:1], -1
                                        ; implicit-def: $sgpr36_sgpr37
                                        ; implicit-def: $sgpr38_sgpr39
	s_and_saveexec_b64 s[34:35], s[6:7]
	s_cbranch_execz .LBB44_266
; %bb.169:                              ;   in Loop: Header=BB44_7 Depth=1
	s_cmp_eq_u64 s[22:23], 1
	s_cselect_b64 s[0:1], -1, 0
	v_cmp_eq_u64_e32 vcc, 1, v[8:9]
	s_and_b64 s[10:11], s[0:1], vcc
	s_mov_b64 s[0:1], -1
                                        ; implicit-def: $sgpr38_sgpr39
                                        ; implicit-def: $sgpr36_sgpr37
	s_and_saveexec_b64 s[40:41], s[10:11]
	s_cbranch_execz .LBB44_205
; %bb.170:                              ;   in Loop: Header=BB44_7 Depth=1
	ds_read_b64 v[4:5], v19 offset:5120
	s_waitcnt lgkmcnt(0)
	s_barrier
	v_readfirstlane_b32 s42, v4
	v_readfirstlane_b32 s43, v5
	s_mov_b64 s[0:1], exec
	v_readlane_b32 s6, v66, 12
	v_readlane_b32 s7, v66, 13
	s_and_b64 s[6:7], s[0:1], s[6:7]
	s_mov_b64 exec, s[6:7]
; %bb.171:                              ;   in Loop: Header=BB44_7 Depth=1
	ds_write_b64 v48, v[56:57]
; %bb.172:                              ;   in Loop: Header=BB44_7 Depth=1
	s_or_b64 exec, exec, s[0:1]
	s_lshl_b64 s[0:1], 2, s79
	v_and_b32_e32 v2, s25, v27
	v_and_b32_e32 v4, s24, v26
	v_or_b32_e32 v27, s1, v2
	v_or_b32_e32 v26, s0, v4
	v_cmp_gt_i64_e64 s[0:1], s[42:43], 0
	v_or_b32_e32 v37, s15, v37
	v_or_b32_e32 v36, s14, v36
	s_mov_b64 s[36:37], -1
	s_mov_b64 s[38:39], 0
	s_and_b64 vcc, exec, s[0:1]
	s_mov_b64 s[0:1], 0
	s_mov_b64 s[6:7], -1
	s_waitcnt lgkmcnt(0)
	s_barrier
                                        ; implicit-def: $vgpr6_vgpr7
	s_cbranch_vccnz .LBB44_189
; %bb.173:                              ;   in Loop: Header=BB44_7 Depth=1
	s_mov_b32 s82, s77
	s_cmp_lg_u64 s[82:83], 0
	s_cbranch_scc0 .LBB44_232
; %bb.174:                              ;   in Loop: Header=BB44_7 Depth=1
	s_add_u32 s0, s70, 0
	s_addc_u32 s1, 0, 0
	s_xor_b64 s[0:1], s[0:1], 0
	v_cvt_f32_u32_e32 v2, s0
	v_cvt_f32_u32_e32 v4, s1
	s_sub_u32 s8, 0, s0
	s_subb_u32 s9, 0, s1
	v_fmac_f32_e32 v2, 0x4f800000, v4
	v_rcp_f32_e32 v2, v2
	s_nop 0
	v_mul_f32_e32 v2, 0x5f7ffffc, v2
	v_mul_f32_e32 v4, 0x2f800000, v2
	v_trunc_f32_e32 v4, v4
	v_fmac_f32_e32 v2, 0xcf800000, v4
	v_cvt_u32_f32_e32 v4, v4
	v_cvt_u32_f32_e32 v2, v2
	v_readfirstlane_b32 s28, v4
	v_readfirstlane_b32 s6, v2
	s_mul_i32 s7, s8, s28
	s_mul_hi_u32 s44, s8, s6
	s_mul_i32 s29, s9, s6
	s_add_i32 s7, s44, s7
	s_mul_i32 s45, s8, s6
	s_add_i32 s7, s7, s29
	s_mul_i32 s44, s6, s7
	s_mul_hi_u32 s46, s6, s45
	s_mul_hi_u32 s29, s6, s7
	s_add_u32 s44, s46, s44
	s_addc_u32 s29, 0, s29
	s_mul_hi_u32 s47, s28, s45
	s_mul_i32 s45, s28, s45
	s_add_u32 s44, s44, s45
	s_mul_hi_u32 s46, s28, s7
	s_addc_u32 s29, s29, s47
	s_addc_u32 s44, s46, 0
	s_mul_i32 s7, s28, s7
	s_add_u32 s7, s29, s7
	s_addc_u32 s29, 0, s44
	s_add_u32 s44, s6, s7
	s_cselect_b64 s[6:7], -1, 0
	s_cmp_lg_u64 s[6:7], 0
	s_addc_u32 s28, s28, s29
	s_mul_i32 s6, s8, s28
	s_mul_hi_u32 s7, s8, s44
	s_add_i32 s6, s7, s6
	s_mul_i32 s9, s9, s44
	s_add_i32 s6, s6, s9
	s_mul_i32 s8, s8, s44
	s_mul_hi_u32 s9, s28, s8
	s_mul_i32 s29, s28, s8
	s_mul_i32 s46, s44, s6
	s_mul_hi_u32 s8, s44, s8
	s_mul_hi_u32 s45, s44, s6
	s_add_u32 s8, s8, s46
	s_addc_u32 s45, 0, s45
	s_add_u32 s8, s8, s29
	s_mul_hi_u32 s7, s28, s6
	s_addc_u32 s8, s45, s9
	s_addc_u32 s7, s7, 0
	s_mul_i32 s6, s28, s6
	s_add_u32 s6, s8, s6
	s_addc_u32 s8, 0, s7
	s_add_u32 s29, s44, s6
	s_cselect_b64 s[6:7], -1, 0
	s_cmp_lg_u64 s[6:7], 0
	s_addc_u32 s28, s28, s8
	s_ashr_i32 s6, s83, 31
	s_add_u32 s8, s85, s6
	s_mov_b32 s7, s6
	s_addc_u32 s9, s83, s6
	s_xor_b64 s[8:9], s[8:9], s[6:7]
	s_mul_i32 s45, s8, s28
	s_mul_hi_u32 s46, s8, s29
	s_mul_hi_u32 s44, s8, s28
	s_add_u32 s45, s46, s45
	s_addc_u32 s44, 0, s44
	s_mul_hi_u32 s47, s9, s29
	s_mul_i32 s29, s9, s29
	s_add_u32 s29, s45, s29
	s_mul_hi_u32 s46, s9, s28
	s_addc_u32 s29, s44, s47
	s_addc_u32 s44, s46, 0
	s_mul_i32 s28, s9, s28
	s_add_u32 s28, s29, s28
	s_addc_u32 s29, 0, s44
	s_mul_i32 s29, s0, s29
	s_mul_hi_u32 s44, s0, s28
	s_add_i32 s29, s44, s29
	s_mul_i32 s44, s1, s28
	s_add_i32 s46, s29, s44
	s_sub_i32 s44, s9, s46
	s_mul_i32 s28, s0, s28
	s_sub_u32 s8, s8, s28
	s_cselect_b64 s[28:29], -1, 0
	s_cmp_lg_u64 s[28:29], 0
	s_subb_u32 s47, s44, s1
	s_sub_u32 s48, s8, s0
	s_cselect_b64 s[44:45], -1, 0
	s_cmp_lg_u64 s[44:45], 0
	s_subb_u32 s49, s47, 0
	s_cmp_ge_u32 s49, s1
	s_cselect_b32 s50, -1, 0
	s_cmp_ge_u32 s48, s0
	s_cselect_b32 s51, -1, 0
	s_cmp_eq_u32 s49, s1
	s_cselect_b32 s50, s51, s50
	s_cmp_lg_u64 s[44:45], 0
	s_subb_u32 s47, s47, s1
	s_sub_u32 s51, s48, s0
	s_cselect_b64 s[44:45], -1, 0
	s_cmp_lg_u64 s[44:45], 0
	s_subb_u32 s44, s47, 0
	s_cmp_lg_u32 s50, 0
	s_cselect_b32 s45, s51, s48
	s_cselect_b32 s44, s44, s49
	s_cmp_lg_u64 s[28:29], 0
	s_subb_u32 s9, s9, s46
	s_cmp_ge_u32 s9, s1
	s_cselect_b32 s28, -1, 0
	s_cmp_ge_u32 s8, s0
	s_cselect_b32 s0, -1, 0
	s_cmp_eq_u32 s9, s1
	s_cselect_b32 s0, s0, s28
	s_cmp_lg_u32 s0, 0
	s_cselect_b32 s1, s44, s9
	s_cselect_b32 s0, s45, s8
	s_xor_b64 s[0:1], s[0:1], s[6:7]
	s_sub_u32 s0, s0, s6
	s_subb_u32 s1, s1, s6
	s_cbranch_execnz .LBB44_176
.LBB44_175:                             ;   in Loop: Header=BB44_7 Depth=1
	v_cvt_f32_u32_e32 v2, s70
	s_sub_i32 s0, 0, s70
	v_rcp_iflag_f32_e32 v2, v2
	s_nop 0
	v_mul_f32_e32 v2, 0x4f7ffffe, v2
	v_cvt_u32_f32_e32 v2, v2
	s_nop 0
	v_readfirstlane_b32 s1, v2
	s_mul_i32 s0, s0, s1
	s_mul_hi_u32 s0, s1, s0
	s_add_i32 s1, s1, s0
	s_mul_hi_u32 s0, s85, s1
	s_mul_i32 s0, s0, s70
	s_sub_i32 s0, s85, s0
	s_sub_i32 s1, s0, s70
	s_cmp_ge_u32 s0, s70
	s_cselect_b32 s0, s1, s0
	s_sub_i32 s1, s0, s70
	s_cmp_ge_u32 s0, s70
	s_cselect_b32 s76, s1, s0
	s_mov_b64 s[0:1], s[76:77]
.LBB44_176:                             ;   in Loop: Header=BB44_7 Depth=1
	s_sub_u32 s28, s85, s0
	s_subb_u32 s29, s83, s1
	v_cmp_gt_i64_e32 vcc, s[28:29], v[0:1]
	s_mov_b64 s[6:7], 0
	s_mov_b64 s[0:1], 0
                                        ; implicit-def: $vgpr6_vgpr7
	s_and_saveexec_b64 s[8:9], vcc
	s_cbranch_execz .LBB44_188
; %bb.177:                              ;   in Loop: Header=BB44_7 Depth=1
	v_mov_b64_e32 v[10:11], v[16:17]
	v_mov_b64_e32 v[12:13], v[0:1]
                                        ; implicit-def: $sgpr44_sgpr45
	s_branch .LBB44_181
.LBB44_178:                             ;   in Loop: Header=BB44_181 Depth=2
	s_or_b64 exec, exec, s[46:47]
	s_waitcnt lgkmcnt(0)
	s_barrier
	ds_read_b128 v[4:7], v19 offset:3072
	s_waitcnt lgkmcnt(0)
	s_barrier
	v_cmp_neq_f64_e32 vcc, 0, v[4:5]
	s_cbranch_vccnz .LBB44_184
; %bb.179:                              ;   in Loop: Header=BB44_181 Depth=2
	v_lshl_add_u64 v[12:13], v[12:13], 0, s[70:71]
	v_cmp_le_i64_e32 vcc, s[28:29], v[12:13]
	v_lshl_add_u64 v[10:11], v[10:11], 0, s[72:73]
	s_mov_b64 s[46:47], 0
	s_orn2_b64 s[48:49], vcc, exec
.LBB44_180:                             ;   in Loop: Header=BB44_181 Depth=2
	s_and_b64 s[48:49], exec, s[48:49]
	s_or_b64 s[0:1], s[48:49], s[0:1]
	s_andn2_b64 s[44:45], s[44:45], exec
	s_and_b64 s[46:47], s[46:47], exec
	s_or_b64 s[44:45], s[44:45], s[46:47]
	s_andn2_b64 exec, exec, s[0:1]
	s_cbranch_execz .LBB44_187
.LBB44_181:                             ;   Parent Loop BB44_7 Depth=1
                                        ; =>  This Inner Loop Header: Depth=2
	v_cmp_gt_i64_e32 vcc, s[56:57], v[12:13]
	s_and_saveexec_b64 s[46:47], vcc
	s_cbranch_execz .LBB44_178
; %bb.182:                              ;   in Loop: Header=BB44_181 Depth=2
	global_load_dwordx2 v[4:5], v[10:11], off
	s_waitcnt vmcnt(0)
	v_ashrrev_i32_e32 v2, 31, v5
	v_or_b32_e32 v6, 0x80000000, v2
	v_xor_b32_e32 v2, v2, v4
	v_xor_b32_e32 v6, v6, v5
	v_cmp_o_f64_e32 vcc, v[4:5], v[4:5]
	s_nop 1
	v_cndmask_b32_e32 v2, -1, v2, vcc
	v_cndmask_b32_e32 v6, -1, v6, vcc
	v_and_b32_e32 v7, v6, v37
	v_and_b32_e32 v6, v2, v36
	v_cmp_eq_u64_e32 vcc, v[6:7], v[26:27]
	s_and_b64 exec, exec, vcc
	s_cbranch_execz .LBB44_178
; %bb.183:                              ;   in Loop: Header=BB44_181 Depth=2
	v_mov_b32_e32 v2, v19
	ds_write_b128 v19, v[2:5] offset:3072
	s_branch .LBB44_178
.LBB44_184:                             ;   in Loop: Header=BB44_181 Depth=2
	s_mov_b64 s[48:49], -1
                                        ; implicit-def: $vgpr12_vgpr13
                                        ; implicit-def: $vgpr10_vgpr11
	s_mov_b64 s[46:47], -1
	s_branch .LBB44_180
.LBB44_185:                             ;   in Loop: Header=BB44_7 Depth=1
                                        ; implicit-def: $sgpr0_sgpr1
	s_andn2_b64 vcc, exec, s[6:7]
	s_cbranch_vccz .LBB44_127
	s_branch .LBB44_128
.LBB44_186:                             ;   in Loop: Header=BB44_7 Depth=1
                                        ; implicit-def: $sgpr6_sgpr7
	s_branch .LBB44_144
.LBB44_187:                             ;   in Loop: Header=BB44_7 Depth=1
	s_or_b64 exec, exec, s[0:1]
	s_and_b64 s[0:1], s[44:45], exec
.LBB44_188:                             ;   in Loop: Header=BB44_7 Depth=1
	s_or_b64 exec, exec, s[8:9]
.LBB44_189:                             ;   in Loop: Header=BB44_7 Depth=1
	s_and_b64 vcc, exec, s[6:7]
	s_cbranch_vccz .LBB44_204
; %bb.190:                              ;   in Loop: Header=BB44_7 Depth=1
	v_readlane_b32 s6, v66, 24
	s_add_u32 s36, s42, s6
	v_readlane_b32 s6, v66, 25
	s_addc_u32 s7, s43, s6
	s_mov_b32 s6, s77
	s_cmp_lg_u64 s[6:7], 0
	s_cbranch_scc0 .LBB44_233
; %bb.191:                              ;   in Loop: Header=BB44_7 Depth=1
	s_add_u32 s8, s70, 0
	s_addc_u32 s9, 0, 0
	s_xor_b64 s[8:9], s[8:9], 0
	v_cvt_f32_u32_e32 v2, s8
	v_cvt_f32_u32_e32 v4, s9
	s_sub_u32 s6, 0, s8
	s_subb_u32 s37, 0, s9
	v_fmac_f32_e32 v2, 0x4f800000, v4
	v_rcp_f32_e32 v2, v2
	s_nop 0
	v_mul_f32_e32 v2, 0x5f7ffffc, v2
	v_mul_f32_e32 v4, 0x2f800000, v2
	v_trunc_f32_e32 v4, v4
	v_fmac_f32_e32 v2, 0xcf800000, v4
	v_cvt_u32_f32_e32 v4, v4
	v_cvt_u32_f32_e32 v2, v2
	v_readfirstlane_b32 s38, v4
	v_readfirstlane_b32 s28, v2
	s_mul_i32 s29, s6, s38
	s_mul_hi_u32 s44, s6, s28
	s_mul_i32 s39, s37, s28
	s_add_i32 s29, s44, s29
	s_mul_i32 s45, s6, s28
	s_add_i32 s29, s29, s39
	s_mul_i32 s44, s28, s29
	s_mul_hi_u32 s46, s28, s45
	s_mul_hi_u32 s39, s28, s29
	s_add_u32 s44, s46, s44
	s_addc_u32 s39, 0, s39
	s_mul_hi_u32 s47, s38, s45
	s_mul_i32 s45, s38, s45
	s_add_u32 s44, s44, s45
	s_mul_hi_u32 s46, s38, s29
	s_addc_u32 s39, s39, s47
	s_addc_u32 s44, s46, 0
	s_mul_i32 s29, s38, s29
	s_add_u32 s29, s39, s29
	s_addc_u32 s39, 0, s44
	s_add_u32 s44, s28, s29
	s_cselect_b64 s[28:29], -1, 0
	s_cmp_lg_u64 s[28:29], 0
	s_addc_u32 s38, s38, s39
	s_mul_i32 s28, s6, s38
	s_mul_hi_u32 s29, s6, s44
	s_add_i32 s28, s29, s28
	s_mul_i32 s37, s37, s44
	s_add_i32 s28, s28, s37
	s_mul_i32 s6, s6, s44
	s_mul_hi_u32 s37, s38, s6
	s_mul_i32 s39, s38, s6
	s_mul_i32 s46, s44, s28
	s_mul_hi_u32 s6, s44, s6
	s_mul_hi_u32 s45, s44, s28
	s_add_u32 s6, s6, s46
	s_addc_u32 s45, 0, s45
	s_add_u32 s6, s6, s39
	s_mul_hi_u32 s29, s38, s28
	s_addc_u32 s6, s45, s37
	s_addc_u32 s29, s29, 0
	s_mul_i32 s28, s38, s28
	s_add_u32 s6, s6, s28
	s_addc_u32 s37, 0, s29
	s_add_u32 s6, s44, s6
	s_cselect_b64 s[28:29], -1, 0
	s_cmp_lg_u64 s[28:29], 0
	s_addc_u32 s37, s38, s37
	s_ashr_i32 s28, s7, 31
	s_add_u32 s38, s36, s28
	s_mov_b32 s29, s28
	s_addc_u32 s39, s7, s28
	s_xor_b64 s[38:39], s[38:39], s[28:29]
	s_mul_i32 s45, s38, s37
	s_mul_hi_u32 s46, s38, s6
	s_mul_hi_u32 s44, s38, s37
	s_add_u32 s45, s46, s45
	s_addc_u32 s44, 0, s44
	s_mul_hi_u32 s47, s39, s6
	s_mul_i32 s6, s39, s6
	s_add_u32 s6, s45, s6
	s_mul_hi_u32 s46, s39, s37
	s_addc_u32 s6, s44, s47
	s_addc_u32 s44, s46, 0
	s_mul_i32 s37, s39, s37
	s_add_u32 s6, s6, s37
	s_addc_u32 s37, 0, s44
	s_mul_i32 s37, s8, s37
	s_mul_hi_u32 s44, s8, s6
	s_add_i32 s37, s44, s37
	s_mul_i32 s44, s9, s6
	s_add_i32 s37, s37, s44
	s_sub_i32 s46, s39, s37
	s_mul_i32 s6, s8, s6
	s_sub_u32 s6, s38, s6
	s_cselect_b64 s[44:45], -1, 0
	s_cmp_lg_u64 s[44:45], 0
	s_subb_u32 s38, s46, s9
	s_sub_u32 s48, s6, s8
	s_cselect_b64 s[46:47], -1, 0
	s_cmp_lg_u64 s[46:47], 0
	s_subb_u32 s49, s38, 0
	s_cmp_ge_u32 s49, s9
	s_cselect_b32 s50, -1, 0
	s_cmp_ge_u32 s48, s8
	s_cselect_b32 s51, -1, 0
	s_cmp_eq_u32 s49, s9
	s_cselect_b32 s50, s51, s50
	s_cmp_lg_u64 s[46:47], 0
	s_subb_u32 s38, s38, s9
	s_sub_u32 s51, s48, s8
	s_cselect_b64 s[46:47], -1, 0
	s_cmp_lg_u64 s[46:47], 0
	s_subb_u32 s38, s38, 0
	s_cmp_lg_u32 s50, 0
	s_cselect_b32 s46, s51, s48
	s_cselect_b32 s38, s38, s49
	s_cmp_lg_u64 s[44:45], 0
	s_subb_u32 s37, s39, s37
	s_cmp_ge_u32 s37, s9
	s_cselect_b32 s39, -1, 0
	s_cmp_ge_u32 s6, s8
	s_cselect_b32 s8, -1, 0
	s_cmp_eq_u32 s37, s9
	s_cselect_b32 s8, s8, s39
	s_cmp_lg_u32 s8, 0
	s_cselect_b32 s9, s38, s37
	s_cselect_b32 s8, s46, s6
	s_xor_b64 s[8:9], s[8:9], s[28:29]
	s_sub_u32 s8, s8, s28
	s_subb_u32 s9, s9, s28
	s_cbranch_execnz .LBB44_193
.LBB44_192:                             ;   in Loop: Header=BB44_7 Depth=1
	v_cvt_f32_u32_e32 v2, s70
	s_sub_i32 s6, 0, s70
	v_rcp_iflag_f32_e32 v2, v2
	s_nop 0
	v_mul_f32_e32 v2, 0x4f7ffffe, v2
	v_cvt_u32_f32_e32 v2, v2
	s_nop 0
	v_readfirstlane_b32 s8, v2
	s_mul_i32 s6, s6, s8
	s_mul_hi_u32 s6, s8, s6
	s_add_i32 s8, s8, s6
	s_mul_hi_u32 s6, s36, s8
	s_mul_i32 s6, s6, s70
	s_sub_i32 s6, s36, s6
	s_sub_i32 s8, s6, s70
	s_cmp_ge_u32 s6, s70
	s_cselect_b32 s6, s8, s6
	s_sub_i32 s8, s6, s70
	s_cmp_ge_u32 s6, s70
	s_cselect_b32 s76, s8, s6
	s_mov_b64 s[8:9], s[76:77]
.LBB44_193:                             ;   in Loop: Header=BB44_7 Depth=1
	s_sub_u32 s8, s36, s8
	s_subb_u32 s9, s7, s9
	v_cmp_gt_i64_e32 vcc, s[8:9], v[0:1]
                                        ; implicit-def: $vgpr6_vgpr7
	s_and_saveexec_b64 s[6:7], vcc
	s_cbranch_execz .LBB44_203
; %bb.194:                              ;   in Loop: Header=BB44_7 Depth=1
	s_mov_b64 s[28:29], 0
	v_mov_b32_e32 v12, v47
	v_mov_b64_e32 v[10:11], v[0:1]
                                        ; implicit-def: $sgpr36_sgpr37
	s_branch .LBB44_198
.LBB44_195:                             ;   in Loop: Header=BB44_198 Depth=2
	s_or_b64 exec, exec, s[38:39]
	s_waitcnt lgkmcnt(0)
	s_barrier
	ds_read_b128 v[4:7], v19 offset:3072
	s_waitcnt lgkmcnt(0)
	s_barrier
	v_cmp_eq_f64_e32 vcc, 0, v[4:5]
	s_cbranch_vccz .LBB44_201
; %bb.196:                              ;   in Loop: Header=BB44_198 Depth=2
	v_lshl_add_u64 v[10:11], v[10:11], 0, s[70:71]
	v_cmp_le_i64_e32 vcc, s[8:9], v[10:11]
	v_add_u32_e32 v12, s78, v12
	s_mov_b64 s[38:39], 0
	s_orn2_b64 s[44:45], vcc, exec
.LBB44_197:                             ;   in Loop: Header=BB44_198 Depth=2
	s_and_b64 s[44:45], exec, s[44:45]
	s_or_b64 s[28:29], s[44:45], s[28:29]
	s_andn2_b64 s[36:37], s[36:37], exec
	s_and_b64 s[38:39], s[38:39], exec
	s_or_b64 s[36:37], s[36:37], s[38:39]
	s_andn2_b64 exec, exec, s[28:29]
	s_cbranch_execz .LBB44_202
.LBB44_198:                             ;   Parent Loop BB44_7 Depth=1
                                        ; =>  This Inner Loop Header: Depth=2
	v_cmp_gt_u64_e32 vcc, s[42:43], v[10:11]
	s_and_saveexec_b64 s[38:39], vcc
	s_cbranch_execz .LBB44_195
; %bb.199:                              ;   in Loop: Header=BB44_198 Depth=2
	ds_read_b64 v[4:5], v12
	s_waitcnt lgkmcnt(0)
	v_ashrrev_i32_e32 v2, 31, v5
	v_or_b32_e32 v6, 0x80000000, v2
	v_xor_b32_e32 v2, v2, v4
	v_xor_b32_e32 v6, v6, v5
	v_cmp_o_f64_e32 vcc, v[4:5], v[4:5]
	s_nop 1
	v_cndmask_b32_e32 v2, -1, v2, vcc
	v_cndmask_b32_e32 v6, -1, v6, vcc
	v_and_b32_e32 v7, v6, v37
	v_and_b32_e32 v6, v2, v36
	v_cmp_eq_u64_e32 vcc, v[6:7], v[26:27]
	s_and_b64 exec, exec, vcc
	s_cbranch_execz .LBB44_195
; %bb.200:                              ;   in Loop: Header=BB44_198 Depth=2
	v_mov_b32_e32 v2, v19
	ds_write_b128 v19, v[2:5] offset:3072
	s_branch .LBB44_195
.LBB44_201:                             ;   in Loop: Header=BB44_198 Depth=2
	s_mov_b64 s[44:45], -1
                                        ; implicit-def: $vgpr10_vgpr11
                                        ; implicit-def: $vgpr12
	s_mov_b64 s[38:39], -1
	s_branch .LBB44_197
.LBB44_202:                             ;   in Loop: Header=BB44_7 Depth=1
	s_or_b64 exec, exec, s[28:29]
	s_andn2_b64 s[0:1], s[0:1], exec
	s_and_b64 s[8:9], s[36:37], exec
	s_or_b64 s[0:1], s[0:1], s[8:9]
.LBB44_203:                             ;   in Loop: Header=BB44_7 Depth=1
	s_or_b64 exec, exec, s[6:7]
	s_mov_b64 s[36:37], 0
	s_mov_b64 s[38:39], -1
.LBB44_204:                             ;   in Loop: Header=BB44_7 Depth=1
	s_orn2_b64 s[0:1], s[0:1], exec
.LBB44_205:                             ;   in Loop: Header=BB44_7 Depth=1
	s_or_b64 exec, exec, s[40:41]
	s_mov_b64 s[6:7], 0
	s_and_saveexec_b64 s[40:41], s[0:1]
	s_cbranch_execz .LBB44_265
; %bb.206:                              ;   in Loop: Header=BB44_7 Depth=1
	s_xor_b64 s[6:7], s[10:11], -1
	v_mov_b32_e32 v18, 1
	s_mov_b64 s[28:29], 0
	v_mov_b64_e32 v[10:11], 1
	s_and_saveexec_b64 s[0:1], s[6:7]
	s_cbranch_execz .LBB44_215
; %bb.207:                              ;   in Loop: Header=BB44_7 Depth=1
	v_cmp_ge_i64_e32 vcc, s[22:23], v[8:9]
	s_and_saveexec_b64 s[6:7], vcc
	s_xor_b64 s[6:7], exec, s[6:7]
	s_cbranch_execz .LBB44_212
; %bb.208:                              ;   in Loop: Header=BB44_7 Depth=1
	ds_read_b64 v[4:5], v19 offset:5120
	s_lshl_b64 s[8:9], 2, s79
	v_and_b32_e32 v2, s25, v27
	v_and_b32_e32 v10, s24, v26
	v_or_b32_e32 v27, s9, v2
	s_waitcnt lgkmcnt(0)
	v_cmp_ne_u64_e32 vcc, 0, v[4:5]
	v_or_b32_e32 v26, s8, v10
	v_or_b32_e32 v37, s15, v37
	;; [unrolled: 1-line block ×3, first 2 shown]
	s_cbranch_vccnz .LBB44_212
; %bb.209:                              ;   in Loop: Header=BB44_7 Depth=1
	s_mov_b64 s[8:9], exec
	v_readlane_b32 s10, v66, 8
	v_readlane_b32 s11, v66, 9
	s_and_b64 s[10:11], s[8:9], s[10:11]
	s_mov_b64 exec, s[10:11]
; %bb.210:                              ;   in Loop: Header=BB44_7 Depth=1
	v_mov_b64_e32 v[4:5], s[22:23]
	ds_write_b64 v19, v[4:5] offset:5128
; %bb.211:                              ;   in Loop: Header=BB44_7 Depth=1
	s_or_b64 exec, exec, s[8:9]
	s_waitcnt lgkmcnt(0)
	s_barrier
.LBB44_212:                             ;   in Loop: Header=BB44_7 Depth=1
	s_or_saveexec_b64 s[6:7], s[6:7]
	s_mov_b64 s[8:9], 0
	v_mov_b32_e32 v18, 8
	s_xor_b64 exec, exec, s[6:7]
; %bb.213:                              ;   in Loop: Header=BB44_7 Depth=1
	v_mov_b32_e32 v2, s23
	v_subrev_co_u32_e32 v8, vcc, s22, v8
	s_mov_b64 s[8:9], exec
	s_nop 0
	v_subb_co_u32_e32 v9, vcc, v9, v2, vcc
	v_mov_b32_e32 v18, 0
; %bb.214:                              ;   in Loop: Header=BB44_7 Depth=1
	s_or_b64 exec, exec, s[6:7]
	s_and_b64 s[28:29], s[8:9], exec
	v_mov_b64_e32 v[10:11], v[8:9]
.LBB44_215:                             ;   in Loop: Header=BB44_7 Depth=1
	s_or_b64 exec, exec, s[0:1]
	s_mov_b64 s[8:9], -1
                                        ; implicit-def: $sgpr6_sgpr7
                                        ; implicit-def: $sgpr0_sgpr1
	s_and_saveexec_b64 s[10:11], s[28:29]
	s_cbranch_execz .LBB44_264
; %bb.216:                              ;   in Loop: Header=BB44_7 Depth=1
	s_cmp_eq_u64 s[12:13], 1
	s_cselect_b64 s[0:1], -1, 0
	v_cmp_eq_u64_e32 vcc, 1, v[10:11]
	s_and_b64 s[22:23], s[0:1], vcc
	s_mov_b64 s[28:29], -1
                                        ; implicit-def: $sgpr6_sgpr7
                                        ; implicit-def: $sgpr0_sgpr1
	s_and_saveexec_b64 s[24:25], s[22:23]
	s_cbranch_execz .LBB44_252
; %bb.217:                              ;   in Loop: Header=BB44_7 Depth=1
	ds_read_b64 v[4:5], v19 offset:5120
	s_waitcnt lgkmcnt(0)
	s_barrier
	v_readfirstlane_b32 s42, v4
	v_readfirstlane_b32 s43, v5
	s_mov_b64 s[0:1], exec
	v_readlane_b32 s6, v66, 12
	v_readlane_b32 s7, v66, 13
	s_and_b64 s[6:7], s[0:1], s[6:7]
	s_mov_b64 exec, s[6:7]
; %bb.218:                              ;   in Loop: Header=BB44_7 Depth=1
	ds_write_b64 v48, v[56:57]
; %bb.219:                              ;   in Loop: Header=BB44_7 Depth=1
	s_or_b64 exec, exec, s[0:1]
	v_cmp_gt_i64_e64 s[8:9], s[42:43], 0
	v_or_b32_e32 v27, s15, v27
	v_or_b32_e32 v26, s14, v26
	;; [unrolled: 1-line block ×4, first 2 shown]
	s_mov_b64 s[0:1], -1
	s_mov_b64 s[6:7], 0
	s_and_b64 vcc, exec, s[8:9]
	s_mov_b64 s[8:9], 0
	s_waitcnt lgkmcnt(0)
	s_barrier
                                        ; implicit-def: $vgpr6_vgpr7
	s_cbranch_vccnz .LBB44_236
; %bb.220:                              ;   in Loop: Header=BB44_7 Depth=1
	s_mov_b32 s82, s77
	s_cmp_lg_u64 s[82:83], 0
	s_cbranch_scc0 .LBB44_271
; %bb.221:                              ;   in Loop: Header=BB44_7 Depth=1
	s_add_u32 s8, s70, 0
	s_addc_u32 s9, 0, 0
	s_xor_b64 s[8:9], s[8:9], 0
	v_cvt_f32_u32_e32 v2, s8
	v_cvt_f32_u32_e32 v4, s9
	s_sub_u32 s44, 0, s8
	s_subb_u32 s45, 0, s9
	v_fmac_f32_e32 v2, 0x4f800000, v4
	v_rcp_f32_e32 v2, v2
	s_nop 0
	v_mul_f32_e32 v2, 0x5f7ffffc, v2
	v_mul_f32_e32 v4, 0x2f800000, v2
	v_trunc_f32_e32 v4, v4
	v_fmac_f32_e32 v2, 0xcf800000, v4
	v_cvt_u32_f32_e32 v4, v4
	v_cvt_u32_f32_e32 v2, v2
	v_readfirstlane_b32 s46, v4
	v_readfirstlane_b32 s28, v2
	s_mul_i32 s29, s44, s46
	s_mul_hi_u32 s48, s44, s28
	s_mul_i32 s47, s45, s28
	s_add_i32 s29, s48, s29
	s_mul_i32 s49, s44, s28
	s_add_i32 s29, s29, s47
	s_mul_i32 s48, s28, s29
	s_mul_hi_u32 s50, s28, s49
	s_mul_hi_u32 s47, s28, s29
	s_add_u32 s48, s50, s48
	s_addc_u32 s47, 0, s47
	s_mul_hi_u32 s51, s46, s49
	s_mul_i32 s49, s46, s49
	s_add_u32 s48, s48, s49
	s_mul_hi_u32 s50, s46, s29
	s_addc_u32 s47, s47, s51
	s_addc_u32 s48, s50, 0
	s_mul_i32 s29, s46, s29
	s_add_u32 s29, s47, s29
	s_addc_u32 s47, 0, s48
	s_add_u32 s48, s28, s29
	s_cselect_b64 s[28:29], -1, 0
	s_cmp_lg_u64 s[28:29], 0
	s_addc_u32 s46, s46, s47
	s_mul_i32 s28, s44, s46
	s_mul_hi_u32 s29, s44, s48
	s_add_i32 s28, s29, s28
	s_mul_i32 s45, s45, s48
	s_add_i32 s28, s28, s45
	s_mul_i32 s44, s44, s48
	s_mul_hi_u32 s45, s46, s44
	s_mul_i32 s47, s46, s44
	s_mul_i32 s50, s48, s28
	s_mul_hi_u32 s44, s48, s44
	s_mul_hi_u32 s49, s48, s28
	s_add_u32 s44, s44, s50
	s_addc_u32 s49, 0, s49
	s_add_u32 s44, s44, s47
	s_mul_hi_u32 s29, s46, s28
	s_addc_u32 s44, s49, s45
	s_addc_u32 s29, s29, 0
	s_mul_i32 s28, s46, s28
	s_add_u32 s28, s44, s28
	s_addc_u32 s44, 0, s29
	s_add_u32 s47, s48, s28
	s_cselect_b64 s[28:29], -1, 0
	s_cmp_lg_u64 s[28:29], 0
	s_addc_u32 s46, s46, s44
	s_ashr_i32 s28, s83, 31
	s_add_u32 s44, s85, s28
	s_mov_b32 s29, s28
	s_addc_u32 s45, s83, s28
	s_xor_b64 s[44:45], s[44:45], s[28:29]
	s_mul_i32 s49, s44, s46
	s_mul_hi_u32 s50, s44, s47
	s_mul_hi_u32 s48, s44, s46
	s_add_u32 s49, s50, s49
	s_addc_u32 s48, 0, s48
	s_mul_hi_u32 s51, s45, s47
	s_mul_i32 s47, s45, s47
	s_add_u32 s47, s49, s47
	s_mul_hi_u32 s50, s45, s46
	s_addc_u32 s47, s48, s51
	s_addc_u32 s48, s50, 0
	s_mul_i32 s46, s45, s46
	s_add_u32 s46, s47, s46
	s_addc_u32 s47, 0, s48
	s_mul_i32 s47, s8, s47
	s_mul_hi_u32 s48, s8, s46
	s_add_i32 s47, s48, s47
	s_mul_i32 s48, s9, s46
	s_add_i32 s50, s47, s48
	s_sub_i32 s48, s45, s50
	s_mul_i32 s46, s8, s46
	s_sub_u32 s44, s44, s46
	s_cselect_b64 s[46:47], -1, 0
	s_cmp_lg_u64 s[46:47], 0
	s_subb_u32 s51, s48, s9
	s_sub_u32 s52, s44, s8
	s_cselect_b64 s[48:49], -1, 0
	s_cmp_lg_u64 s[48:49], 0
	s_subb_u32 s53, s51, 0
	s_cmp_ge_u32 s53, s9
	s_cselect_b32 s64, -1, 0
	s_cmp_ge_u32 s52, s8
	s_cselect_b32 s65, -1, 0
	s_cmp_eq_u32 s53, s9
	s_cselect_b32 s64, s65, s64
	s_cmp_lg_u64 s[48:49], 0
	s_subb_u32 s51, s51, s9
	s_sub_u32 s65, s52, s8
	s_cselect_b64 s[48:49], -1, 0
	s_cmp_lg_u64 s[48:49], 0
	s_subb_u32 s48, s51, 0
	s_cmp_lg_u32 s64, 0
	s_cselect_b32 s49, s65, s52
	s_cselect_b32 s48, s48, s53
	s_cmp_lg_u64 s[46:47], 0
	s_subb_u32 s45, s45, s50
	s_cmp_ge_u32 s45, s9
	s_cselect_b32 s46, -1, 0
	s_cmp_ge_u32 s44, s8
	s_cselect_b32 s8, -1, 0
	s_cmp_eq_u32 s45, s9
	s_cselect_b32 s8, s8, s46
	s_cmp_lg_u32 s8, 0
	s_cselect_b32 s9, s48, s45
	s_cselect_b32 s8, s49, s44
	s_xor_b64 s[8:9], s[8:9], s[28:29]
	s_sub_u32 s8, s8, s28
	s_subb_u32 s9, s9, s28
	s_cbranch_execnz .LBB44_223
.LBB44_222:                             ;   in Loop: Header=BB44_7 Depth=1
	v_cvt_f32_u32_e32 v2, s70
	s_sub_i32 s8, 0, s70
	v_rcp_iflag_f32_e32 v2, v2
	s_nop 0
	v_mul_f32_e32 v2, 0x4f7ffffe, v2
	v_cvt_u32_f32_e32 v2, v2
	s_nop 0
	v_readfirstlane_b32 s9, v2
	s_mul_i32 s8, s8, s9
	s_mul_hi_u32 s8, s9, s8
	s_add_i32 s9, s9, s8
	s_mul_hi_u32 s8, s85, s9
	s_mul_i32 s8, s8, s70
	s_sub_i32 s8, s85, s8
	s_sub_i32 s9, s8, s70
	s_cmp_ge_u32 s8, s70
	s_cselect_b32 s8, s9, s8
	s_sub_i32 s9, s8, s70
	s_cmp_ge_u32 s8, s70
	s_cselect_b32 s76, s9, s8
	s_mov_b64 s[8:9], s[76:77]
.LBB44_223:                             ;   in Loop: Header=BB44_7 Depth=1
	s_sub_u32 s46, s85, s8
	s_subb_u32 s47, s83, s9
	v_cmp_gt_i64_e32 vcc, s[46:47], v[0:1]
	s_mov_b64 s[28:29], 0
	s_mov_b64 s[8:9], 0
                                        ; implicit-def: $vgpr6_vgpr7
	s_and_saveexec_b64 s[44:45], vcc
	s_cbranch_execz .LBB44_235
; %bb.224:                              ;   in Loop: Header=BB44_7 Depth=1
	v_mov_b64_e32 v[8:9], v[16:17]
	v_mov_b64_e32 v[12:13], v[0:1]
                                        ; implicit-def: $sgpr48_sgpr49
	s_branch .LBB44_228
.LBB44_225:                             ;   in Loop: Header=BB44_228 Depth=2
	s_or_b64 exec, exec, s[50:51]
	s_waitcnt lgkmcnt(0)
	s_barrier
	ds_read_b128 v[4:7], v19 offset:3072
	s_waitcnt lgkmcnt(0)
	s_barrier
	v_cmp_neq_f64_e32 vcc, 0, v[4:5]
	s_cbranch_vccnz .LBB44_231
; %bb.226:                              ;   in Loop: Header=BB44_228 Depth=2
	v_lshl_add_u64 v[12:13], v[12:13], 0, s[70:71]
	v_cmp_le_i64_e32 vcc, s[46:47], v[12:13]
	v_lshl_add_u64 v[8:9], v[8:9], 0, s[72:73]
	s_mov_b64 s[50:51], 0
	s_orn2_b64 s[52:53], vcc, exec
.LBB44_227:                             ;   in Loop: Header=BB44_228 Depth=2
	s_and_b64 s[52:53], exec, s[52:53]
	s_or_b64 s[8:9], s[52:53], s[8:9]
	s_andn2_b64 s[48:49], s[48:49], exec
	s_and_b64 s[50:51], s[50:51], exec
	s_or_b64 s[48:49], s[48:49], s[50:51]
	s_andn2_b64 exec, exec, s[8:9]
	s_cbranch_execz .LBB44_234
.LBB44_228:                             ;   Parent Loop BB44_7 Depth=1
                                        ; =>  This Inner Loop Header: Depth=2
	v_cmp_gt_i64_e32 vcc, s[56:57], v[12:13]
	s_and_saveexec_b64 s[50:51], vcc
	s_cbranch_execz .LBB44_225
; %bb.229:                              ;   in Loop: Header=BB44_228 Depth=2
	global_load_dwordx2 v[4:5], v[8:9], off
	s_waitcnt vmcnt(0)
	v_ashrrev_i32_e32 v2, 31, v5
	v_or_b32_e32 v6, 0x80000000, v2
	v_xor_b32_e32 v2, v2, v4
	v_xor_b32_e32 v6, v6, v5
	v_cmp_o_f64_e32 vcc, v[4:5], v[4:5]
	s_nop 1
	v_cndmask_b32_e32 v2, -1, v2, vcc
	v_cndmask_b32_e32 v6, -1, v6, vcc
	v_and_b32_e32 v7, v6, v37
	v_and_b32_e32 v6, v2, v36
	v_cmp_eq_u64_e32 vcc, v[6:7], v[26:27]
	s_and_b64 exec, exec, vcc
	s_cbranch_execz .LBB44_225
; %bb.230:                              ;   in Loop: Header=BB44_228 Depth=2
	v_mov_b32_e32 v2, v19
	ds_write_b128 v19, v[2:5] offset:3072
	s_branch .LBB44_225
.LBB44_231:                             ;   in Loop: Header=BB44_228 Depth=2
	s_mov_b64 s[52:53], -1
                                        ; implicit-def: $vgpr12_vgpr13
                                        ; implicit-def: $vgpr8_vgpr9
	s_mov_b64 s[50:51], -1
	s_branch .LBB44_227
.LBB44_232:                             ;   in Loop: Header=BB44_7 Depth=1
                                        ; implicit-def: $sgpr0_sgpr1
	s_andn2_b64 vcc, exec, s[6:7]
	s_cbranch_vccz .LBB44_175
	s_branch .LBB44_176
.LBB44_233:                             ;   in Loop: Header=BB44_7 Depth=1
                                        ; implicit-def: $sgpr8_sgpr9
	s_branch .LBB44_192
.LBB44_234:                             ;   in Loop: Header=BB44_7 Depth=1
	s_or_b64 exec, exec, s[8:9]
	s_and_b64 s[8:9], s[48:49], exec
.LBB44_235:                             ;   in Loop: Header=BB44_7 Depth=1
	s_or_b64 exec, exec, s[44:45]
.LBB44_236:                             ;   in Loop: Header=BB44_7 Depth=1
	s_and_b64 vcc, exec, s[28:29]
	s_cbranch_vccz .LBB44_251
; %bb.237:                              ;   in Loop: Header=BB44_7 Depth=1
	v_readlane_b32 s0, v66, 24
	s_add_u32 s44, s42, s0
	v_readlane_b32 s0, v66, 25
	s_addc_u32 s1, s43, s0
	s_mov_b32 s0, s77
	s_cmp_lg_u64 s[0:1], 0
	s_cbranch_scc0 .LBB44_272
; %bb.238:                              ;   in Loop: Header=BB44_7 Depth=1
	s_add_u32 s6, s70, 0
	s_addc_u32 s7, 0, 0
	s_xor_b64 s[6:7], s[6:7], 0
	v_cvt_f32_u32_e32 v2, s6
	v_cvt_f32_u32_e32 v4, s7
	s_sub_u32 s0, 0, s6
	s_subb_u32 s45, 0, s7
	v_fmac_f32_e32 v2, 0x4f800000, v4
	v_rcp_f32_e32 v2, v2
	s_nop 0
	v_mul_f32_e32 v2, 0x5f7ffffc, v2
	v_mul_f32_e32 v4, 0x2f800000, v2
	v_trunc_f32_e32 v4, v4
	v_fmac_f32_e32 v2, 0xcf800000, v4
	v_cvt_u32_f32_e32 v4, v4
	v_cvt_u32_f32_e32 v2, v2
	v_readfirstlane_b32 s46, v4
	v_readfirstlane_b32 s28, v2
	s_mul_i32 s29, s0, s46
	s_mul_hi_u32 s48, s0, s28
	s_mul_i32 s47, s45, s28
	s_add_i32 s29, s48, s29
	s_mul_i32 s49, s0, s28
	s_add_i32 s29, s29, s47
	s_mul_i32 s48, s28, s29
	s_mul_hi_u32 s50, s28, s49
	s_mul_hi_u32 s47, s28, s29
	s_add_u32 s48, s50, s48
	s_addc_u32 s47, 0, s47
	s_mul_hi_u32 s51, s46, s49
	s_mul_i32 s49, s46, s49
	s_add_u32 s48, s48, s49
	s_mul_hi_u32 s50, s46, s29
	s_addc_u32 s47, s47, s51
	s_addc_u32 s48, s50, 0
	s_mul_i32 s29, s46, s29
	s_add_u32 s29, s47, s29
	s_addc_u32 s47, 0, s48
	s_add_u32 s48, s28, s29
	s_cselect_b64 s[28:29], -1, 0
	s_cmp_lg_u64 s[28:29], 0
	s_addc_u32 s46, s46, s47
	s_mul_i32 s28, s0, s46
	s_mul_hi_u32 s29, s0, s48
	s_add_i32 s28, s29, s28
	s_mul_i32 s45, s45, s48
	s_add_i32 s28, s28, s45
	s_mul_i32 s0, s0, s48
	s_mul_hi_u32 s45, s46, s0
	s_mul_i32 s47, s46, s0
	s_mul_i32 s50, s48, s28
	s_mul_hi_u32 s0, s48, s0
	s_mul_hi_u32 s49, s48, s28
	s_add_u32 s0, s0, s50
	s_addc_u32 s49, 0, s49
	s_add_u32 s0, s0, s47
	s_mul_hi_u32 s29, s46, s28
	s_addc_u32 s0, s49, s45
	s_addc_u32 s29, s29, 0
	s_mul_i32 s28, s46, s28
	s_add_u32 s0, s0, s28
	s_addc_u32 s45, 0, s29
	s_add_u32 s0, s48, s0
	s_cselect_b64 s[28:29], -1, 0
	s_cmp_lg_u64 s[28:29], 0
	s_addc_u32 s45, s46, s45
	s_ashr_i32 s28, s1, 31
	s_add_u32 s46, s44, s28
	s_mov_b32 s29, s28
	s_addc_u32 s47, s1, s28
	s_xor_b64 s[46:47], s[46:47], s[28:29]
	s_mul_i32 s49, s46, s45
	s_mul_hi_u32 s50, s46, s0
	s_mul_hi_u32 s48, s46, s45
	s_add_u32 s49, s50, s49
	s_addc_u32 s48, 0, s48
	s_mul_hi_u32 s51, s47, s0
	s_mul_i32 s0, s47, s0
	s_add_u32 s0, s49, s0
	s_mul_hi_u32 s50, s47, s45
	s_addc_u32 s0, s48, s51
	s_addc_u32 s48, s50, 0
	s_mul_i32 s45, s47, s45
	s_add_u32 s0, s0, s45
	s_addc_u32 s45, 0, s48
	s_mul_i32 s45, s6, s45
	s_mul_hi_u32 s48, s6, s0
	s_add_i32 s45, s48, s45
	s_mul_i32 s48, s7, s0
	s_add_i32 s45, s45, s48
	s_sub_i32 s50, s47, s45
	s_mul_i32 s0, s6, s0
	s_sub_u32 s0, s46, s0
	s_cselect_b64 s[48:49], -1, 0
	s_cmp_lg_u64 s[48:49], 0
	s_subb_u32 s46, s50, s7
	s_sub_u32 s52, s0, s6
	s_cselect_b64 s[50:51], -1, 0
	s_cmp_lg_u64 s[50:51], 0
	s_subb_u32 s53, s46, 0
	s_cmp_ge_u32 s53, s7
	s_cselect_b32 s64, -1, 0
	s_cmp_ge_u32 s52, s6
	s_cselect_b32 s65, -1, 0
	s_cmp_eq_u32 s53, s7
	s_cselect_b32 s64, s65, s64
	s_cmp_lg_u64 s[50:51], 0
	s_subb_u32 s46, s46, s7
	s_sub_u32 s65, s52, s6
	s_cselect_b64 s[50:51], -1, 0
	s_cmp_lg_u64 s[50:51], 0
	s_subb_u32 s46, s46, 0
	s_cmp_lg_u32 s64, 0
	s_cselect_b32 s50, s65, s52
	s_cselect_b32 s46, s46, s53
	s_cmp_lg_u64 s[48:49], 0
	s_subb_u32 s45, s47, s45
	s_cmp_ge_u32 s45, s7
	s_cselect_b32 s47, -1, 0
	s_cmp_ge_u32 s0, s6
	s_cselect_b32 s6, -1, 0
	s_cmp_eq_u32 s45, s7
	s_cselect_b32 s6, s6, s47
	s_cmp_lg_u32 s6, 0
	s_cselect_b32 s7, s46, s45
	s_cselect_b32 s6, s50, s0
	s_xor_b64 s[6:7], s[6:7], s[28:29]
	s_sub_u32 s6, s6, s28
	s_subb_u32 s7, s7, s28
	s_cbranch_execnz .LBB44_240
.LBB44_239:                             ;   in Loop: Header=BB44_7 Depth=1
	v_cvt_f32_u32_e32 v2, s70
	s_sub_i32 s0, 0, s70
	v_rcp_iflag_f32_e32 v2, v2
	s_nop 0
	v_mul_f32_e32 v2, 0x4f7ffffe, v2
	v_cvt_u32_f32_e32 v2, v2
	s_nop 0
	v_readfirstlane_b32 s6, v2
	s_mul_i32 s0, s0, s6
	s_mul_hi_u32 s0, s6, s0
	s_add_i32 s6, s6, s0
	s_mul_hi_u32 s0, s44, s6
	s_mul_i32 s0, s0, s70
	s_sub_i32 s0, s44, s0
	s_sub_i32 s6, s0, s70
	s_cmp_ge_u32 s0, s70
	s_cselect_b32 s0, s6, s0
	s_sub_i32 s6, s0, s70
	s_cmp_ge_u32 s0, s70
	s_cselect_b32 s76, s6, s0
	s_mov_b64 s[6:7], s[76:77]
.LBB44_240:                             ;   in Loop: Header=BB44_7 Depth=1
	s_sub_u32 s6, s44, s6
	s_subb_u32 s7, s1, s7
	v_cmp_gt_i64_e32 vcc, s[6:7], v[0:1]
                                        ; implicit-def: $vgpr6_vgpr7
	s_and_saveexec_b64 s[0:1], vcc
	s_cbranch_execz .LBB44_250
; %bb.241:                              ;   in Loop: Header=BB44_7 Depth=1
	s_mov_b64 s[28:29], 0
	v_mov_b32_e32 v12, v47
	v_mov_b64_e32 v[8:9], v[0:1]
                                        ; implicit-def: $sgpr44_sgpr45
	s_branch .LBB44_245
.LBB44_242:                             ;   in Loop: Header=BB44_245 Depth=2
	s_or_b64 exec, exec, s[46:47]
	s_waitcnt lgkmcnt(0)
	s_barrier
	ds_read_b128 v[4:7], v19 offset:3072
	s_waitcnt lgkmcnt(0)
	s_barrier
	v_cmp_eq_f64_e32 vcc, 0, v[4:5]
	s_cbranch_vccz .LBB44_248
; %bb.243:                              ;   in Loop: Header=BB44_245 Depth=2
	v_lshl_add_u64 v[8:9], v[8:9], 0, s[70:71]
	v_cmp_le_i64_e32 vcc, s[6:7], v[8:9]
	v_add_u32_e32 v12, s78, v12
	s_mov_b64 s[46:47], 0
	s_orn2_b64 s[48:49], vcc, exec
.LBB44_244:                             ;   in Loop: Header=BB44_245 Depth=2
	s_and_b64 s[48:49], exec, s[48:49]
	s_or_b64 s[28:29], s[48:49], s[28:29]
	s_andn2_b64 s[44:45], s[44:45], exec
	s_and_b64 s[46:47], s[46:47], exec
	s_or_b64 s[44:45], s[44:45], s[46:47]
	s_andn2_b64 exec, exec, s[28:29]
	s_cbranch_execz .LBB44_249
.LBB44_245:                             ;   Parent Loop BB44_7 Depth=1
                                        ; =>  This Inner Loop Header: Depth=2
	v_cmp_gt_u64_e32 vcc, s[42:43], v[8:9]
	s_and_saveexec_b64 s[46:47], vcc
	s_cbranch_execz .LBB44_242
; %bb.246:                              ;   in Loop: Header=BB44_245 Depth=2
	ds_read_b64 v[4:5], v12
	s_waitcnt lgkmcnt(0)
	v_ashrrev_i32_e32 v2, 31, v5
	v_or_b32_e32 v6, 0x80000000, v2
	v_xor_b32_e32 v2, v2, v4
	v_xor_b32_e32 v6, v6, v5
	v_cmp_o_f64_e32 vcc, v[4:5], v[4:5]
	s_nop 1
	v_cndmask_b32_e32 v2, -1, v2, vcc
	v_cndmask_b32_e32 v6, -1, v6, vcc
	v_and_b32_e32 v7, v6, v37
	v_and_b32_e32 v6, v2, v36
	v_cmp_eq_u64_e32 vcc, v[6:7], v[26:27]
	s_and_b64 exec, exec, vcc
	s_cbranch_execz .LBB44_242
; %bb.247:                              ;   in Loop: Header=BB44_245 Depth=2
	v_mov_b32_e32 v2, v19
	ds_write_b128 v19, v[2:5] offset:3072
	s_branch .LBB44_242
.LBB44_248:                             ;   in Loop: Header=BB44_245 Depth=2
	s_mov_b64 s[48:49], -1
                                        ; implicit-def: $vgpr8_vgpr9
                                        ; implicit-def: $vgpr12
	s_mov_b64 s[46:47], -1
	s_branch .LBB44_244
.LBB44_249:                             ;   in Loop: Header=BB44_7 Depth=1
	s_or_b64 exec, exec, s[28:29]
	s_andn2_b64 s[6:7], s[8:9], exec
	s_and_b64 s[8:9], s[44:45], exec
	s_or_b64 s[8:9], s[6:7], s[8:9]
.LBB44_250:                             ;   in Loop: Header=BB44_7 Depth=1
	s_or_b64 exec, exec, s[0:1]
	s_mov_b64 s[0:1], 0
	s_mov_b64 s[6:7], -1
.LBB44_251:                             ;   in Loop: Header=BB44_7 Depth=1
	s_orn2_b64 s[28:29], s[8:9], exec
.LBB44_252:                             ;   in Loop: Header=BB44_7 Depth=1
	s_or_b64 exec, exec, s[24:25]
	s_mov_b64 s[24:25], 0
	s_and_saveexec_b64 s[8:9], s[28:29]
	s_cbranch_execz .LBB44_263
; %bb.253:                              ;   in Loop: Header=BB44_7 Depth=1
	s_xor_b64 s[24:25], s[22:23], -1
	v_mov_b64_e32 v[4:5], 1
	v_mov_b32_e32 v18, 1
	s_and_saveexec_b64 s[22:23], s[24:25]
	s_cbranch_execz .LBB44_262
; %bb.254:                              ;   in Loop: Header=BB44_7 Depth=1
	v_cmp_ge_i64_e32 vcc, s[12:13], v[10:11]
	s_and_saveexec_b64 s[24:25], vcc
	s_xor_b64 s[24:25], exec, s[24:25]
	s_cbranch_execz .LBB44_259
; %bb.255:                              ;   in Loop: Header=BB44_7 Depth=1
	ds_read_b64 v[4:5], v19 offset:5120
	v_or_b32_e32 v27, s15, v27
	v_or_b32_e32 v26, s14, v26
	;; [unrolled: 1-line block ×4, first 2 shown]
	s_waitcnt lgkmcnt(0)
	v_cmp_ne_u64_e32 vcc, 0, v[4:5]
	s_cbranch_vccnz .LBB44_259
; %bb.256:                              ;   in Loop: Header=BB44_7 Depth=1
	s_mov_b64 s[14:15], exec
	v_readlane_b32 s28, v66, 8
	v_readlane_b32 s29, v66, 9
	s_and_b64 s[28:29], s[14:15], s[28:29]
	s_mov_b64 exec, s[28:29]
; %bb.257:                              ;   in Loop: Header=BB44_7 Depth=1
	v_mov_b64_e32 v[4:5], s[12:13]
	ds_write_b64 v19, v[4:5] offset:5128
; %bb.258:                              ;   in Loop: Header=BB44_7 Depth=1
	s_or_b64 exec, exec, s[14:15]
	s_waitcnt lgkmcnt(0)
	s_barrier
.LBB44_259:                             ;   in Loop: Header=BB44_7 Depth=1
	s_andn2_saveexec_b64 s[14:15], s[24:25]
; %bb.260:                              ;   in Loop: Header=BB44_7 Depth=1
	v_mov_b32_e32 v2, s13
	v_subrev_co_u32_e32 v10, vcc, s12, v10
	s_nop 1
	v_subb_co_u32_e32 v11, vcc, v11, v2, vcc
; %bb.261:                              ;   in Loop: Header=BB44_7 Depth=1
	s_or_b64 exec, exec, s[14:15]
	v_mov_b32_e32 v18, 8
	v_mov_b64_e32 v[4:5], v[10:11]
.LBB44_262:                             ;   in Loop: Header=BB44_7 Depth=1
	s_or_b64 exec, exec, s[22:23]
	s_mov_b64 s[24:25], exec
	v_mov_b64_e32 v[10:11], v[4:5]
.LBB44_263:                             ;   in Loop: Header=BB44_7 Depth=1
	s_or_b64 exec, exec, s[8:9]
	s_orn2_b64 s[8:9], s[24:25], exec
.LBB44_264:                             ;   in Loop: Header=BB44_7 Depth=1
	s_or_b64 exec, exec, s[10:11]
	s_andn2_b64 s[10:11], s[38:39], exec
	s_and_b64 s[6:7], s[6:7], exec
	s_or_b64 s[38:39], s[10:11], s[6:7]
	s_andn2_b64 s[6:7], s[36:37], exec
	s_and_b64 s[0:1], s[0:1], exec
	s_or_b64 s[36:37], s[6:7], s[0:1]
	s_and_b64 s[6:7], s[8:9], exec
	v_mov_b64_e32 v[8:9], v[10:11]
.LBB44_265:                             ;   in Loop: Header=BB44_7 Depth=1
	s_or_b64 exec, exec, s[40:41]
	s_orn2_b64 s[0:1], s[6:7], exec
.LBB44_266:                             ;   in Loop: Header=BB44_7 Depth=1
	s_or_b64 exec, exec, s[34:35]
	s_andn2_b64 s[6:7], s[26:27], exec
	s_and_b64 s[8:9], s[38:39], exec
	s_or_b64 s[26:27], s[6:7], s[8:9]
	s_andn2_b64 s[2:3], s[2:3], exec
	s_and_b64 s[6:7], s[36:37], exec
	s_or_b64 s[2:3], s[2:3], s[6:7]
	s_and_b64 s[6:7], s[0:1], exec
	v_mov_b64_e32 v[12:13], v[8:9]
.LBB44_267:                             ;   in Loop: Header=BB44_7 Depth=1
	s_or_b64 exec, exec, s[30:31]
	s_orn2_b64 s[0:1], s[6:7], exec
.LBB44_268:                             ;   in Loop: Header=BB44_7 Depth=1
	s_or_b64 exec, exec, s[20:21]
	s_mov_b64 s[6:7], 0
	s_and_saveexec_b64 s[8:9], s[0:1]
	s_xor_b64 s[0:1], exec, s[8:9]
	s_cbranch_execz .LBB44_5
; %bb.269:                              ;   in Loop: Header=BB44_7 Depth=1
	v_and_b32_e32 v2, 7, v18
	v_cmp_eq_u32_e32 vcc, 0, v2
	s_mov_b64 s[8:9], -1
	s_mov_b64 s[6:7], -1
	s_and_saveexec_b64 s[10:11], vcc
	s_cbranch_execz .LBB44_4
; %bb.270:                              ;   in Loop: Header=BB44_7 Depth=1
	s_xor_b32 s84, s84, 1
	s_add_i32 s12, s79, -2
	s_cmp_eq_u32 s79, 0
	s_cselect_b64 s[8:9], -1, 0
	s_xor_b64 s[6:7], exec, -1
	s_orn2_b64 s[8:9], s[8:9], exec
	s_mov_b32 s79, s12
	s_branch .LBB44_4
.LBB44_271:                             ;   in Loop: Header=BB44_7 Depth=1
                                        ; implicit-def: $sgpr8_sgpr9
	s_andn2_b64 vcc, exec, s[28:29]
	s_cbranch_vccz .LBB44_222
	s_branch .LBB44_223
.LBB44_272:                             ;   in Loop: Header=BB44_7 Depth=1
                                        ; implicit-def: $sgpr6_sgpr7
	s_branch .LBB44_239
.LBB44_273:
	s_or_b64 exec, exec, s[94:95]
	s_xor_b64 s[4:5], s[98:99], -1
	s_xor_b64 s[0:1], s[58:59], -1
	;; [unrolled: 1-line block ×3, first 2 shown]
	s_mov_b64 s[2:3], 0
	s_and_saveexec_b64 s[8:9], s[0:1]
	s_xor_b64 s[0:1], exec, s[8:9]
	s_cbranch_execnz .LBB44_278
; %bb.274:
	s_andn2_saveexec_b64 s[0:1], s[0:1]
	s_cbranch_execnz .LBB44_300
.LBB44_275:
	s_or_b64 exec, exec, s[0:1]
	s_and_saveexec_b64 s[0:1], s[2:3]
.LBB44_276:
	; divergent unreachable
.LBB44_277:
	s_endpgm
.LBB44_278:
	s_and_saveexec_b64 s[2:3], s[4:5]
	s_xor_b64 s[4:5], exec, s[2:3]
	s_cbranch_execz .LBB44_298
; %bb.279:
	s_and_saveexec_b64 s[2:3], s[6:7]
	s_xor_b64 s[2:3], exec, s[2:3]
; %bb.280:
	v_lshrrev_b32_e32 v2, 31, v27
	v_mov_b32_e32 v3, 0
	v_lshl_add_u64 v[2:3], v[2:3], 0, -1
	v_or_b32_e32 v3, 0x80000000, v3
	v_xor_b32_e32 v7, v3, v27
	v_xor_b32_e32 v6, v2, v26
; %bb.281:
	s_or_b64 exec, exec, s[2:3]
	s_mov_b64 s[2:3], exec
	v_readlane_b32 s6, v66, 8
	v_readlane_b32 s7, v66, 9
	s_and_b64 s[6:7], s[2:3], s[6:7]
	v_readlane_b32 s26, v66, 10
	v_readlane_b32 s27, v66, 11
	s_mov_b64 exec, s[6:7]
; %bb.282:
	v_mov_b32_e32 v2, 0
	v_mov_b32_e32 v3, s56
	ds_write_b32 v2, v3 offset:5140
; %bb.283:
	s_or_b64 exec, exec, s[2:3]
	s_waitcnt lgkmcnt(0)
	s_barrier
	s_mov_b64 s[6:7], exec
	v_readlane_b32 s2, v66, 20
	v_readlane_b32 s3, v66, 21
	s_and_b64 s[2:3], s[6:7], s[2:3]
	s_mov_b64 exec, s[2:3]
	s_cbranch_execz .LBB44_295
; %bb.284:
	v_mov_b32_e32 v2, 0
	ds_read_b32 v4, v2 offset:5140
	v_cmp_u_f64_e32 vcc, v[6:7], v[6:7]
	s_mov_b64 s[8:9], 0
	s_xor_b64 s[10:11], vcc, -1
                                        ; implicit-def: $sgpr12_sgpr13
                                        ; implicit-def: $sgpr14_sgpr15
                                        ; implicit-def: $sgpr16_sgpr17
	s_waitcnt lgkmcnt(0)
	v_ashrrev_i32_e32 v5, 31, v4
	s_branch .LBB44_287
.LBB44_285:                             ;   in Loop: Header=BB44_287 Depth=1
	s_or_b64 exec, exec, s[22:23]
	s_andn2_b64 s[16:17], s[16:17], exec
	s_and_b64 s[2:3], s[2:3], exec
	s_or_b64 s[16:17], s[16:17], s[2:3]
	s_andn2_b64 s[2:3], s[14:15], exec
	s_and_b64 s[14:15], s[20:21], exec
	s_or_b64 s[14:15], s[2:3], s[14:15]
.LBB44_286:                             ;   in Loop: Header=BB44_287 Depth=1
	s_or_b64 exec, exec, s[18:19]
	s_and_b64 s[2:3], exec, s[14:15]
	s_or_b64 s[8:9], s[2:3], s[8:9]
	s_andn2_b64 s[2:3], s[12:13], exec
	s_and_b64 s[12:13], s[16:17], exec
	s_or_b64 s[12:13], s[2:3], s[12:13]
	s_andn2_b64 exec, exec, s[8:9]
	s_cbranch_execz .LBB44_290
.LBB44_287:                             ; =>This Inner Loop Header: Depth=1
	v_mov_b64_e32 v[2:3], v[0:1]
	v_cmp_lt_i64_e32 vcc, v[2:3], v[4:5]
	s_or_b64 s[16:17], s[16:17], exec
	s_or_b64 s[14:15], s[14:15], exec
                                        ; implicit-def: $vgpr0_vgpr1
	s_and_saveexec_b64 s[18:19], vcc
	s_cbranch_execz .LBB44_286
; %bb.288:                              ;   in Loop: Header=BB44_287 Depth=1
	global_load_dwordx2 v[0:1], v[16:17], off
	s_mov_b64 s[20:21], -1
	s_waitcnt vmcnt(0)
	v_cmp_o_f64_e64 s[2:3], v[0:1], v[0:1]
	v_cmp_neq_f64_e32 vcc, v[0:1], v[6:7]
	s_or_b64 s[2:3], s[2:3], s[10:11]
	s_and_b64 s[24:25], vcc, s[2:3]
	s_mov_b64 s[2:3], 0
                                        ; implicit-def: $vgpr0_vgpr1
	s_and_saveexec_b64 s[22:23], s[24:25]
	s_cbranch_execz .LBB44_285
; %bb.289:                              ;   in Loop: Header=BB44_287 Depth=1
	v_lshl_add_u64 v[0:1], v[2:3], 0, s[70:71]
	v_cmp_le_i64_e32 vcc, s[56:57], v[0:1]
	s_mov_b64 s[2:3], exec
	v_lshl_add_u64 v[16:17], v[16:17], 0, s[72:73]
	s_orn2_b64 s[20:21], vcc, exec
	s_branch .LBB44_285
.LBB44_290:
	s_or_b64 exec, exec, s[8:9]
	s_xor_b64 s[2:3], s[12:13], -1
	s_and_saveexec_b64 s[8:9], s[2:3]
	s_xor_b64 s[8:9], exec, s[8:9]
	s_cbranch_execz .LBB44_295
; %bb.291:
	s_mov_b64 s[2:3], exec
	s_brev_b32 s8, -2
.LBB44_292:                             ; =>This Inner Loop Header: Depth=1
	s_ff1_i32_b64 s9, s[2:3]
	v_readlane_b32 s12, v2, s9
	s_lshl_b64 s[10:11], 1, s9
	s_min_i32 s8, s8, s12
	s_andn2_b64 s[2:3], s[2:3], s[10:11]
	s_cmp_lg_u64 s[2:3], 0
	s_cbranch_scc1 .LBB44_292
; %bb.293:
	v_mbcnt_lo_u32_b32 v0, exec_lo, 0
	v_mbcnt_hi_u32_b32 v0, exec_hi, v0
	v_cmp_eq_u32_e32 vcc, 0, v0
	s_and_saveexec_b64 s[2:3], vcc
	s_xor_b64 s[2:3], exec, s[2:3]
; %bb.294:
	v_mov_b32_e32 v0, 0
	v_mov_b32_e32 v1, s8
	ds_min_i32 v0, v1 offset:5140
.LBB44_295:
	s_or_b64 exec, exec, s[6:7]
	s_waitcnt lgkmcnt(0)
	s_barrier
	s_mov_b64 s[2:3], exec
	v_readlane_b32 s6, v66, 8
	v_readlane_b32 s7, v66, 9
	s_and_b64 s[6:7], s[2:3], s[6:7]
	s_mov_b64 exec, s[6:7]
	s_cbranch_execz .LBB44_297
; %bb.296:
	v_readlane_b32 s8, v66, 4
	v_readlane_b32 s9, v66, 5
	;; [unrolled: 1-line block ×3, first 2 shown]
	s_mul_i32 s6, s9, s26
	s_mul_hi_u32 s7, s8, s26
	v_readlane_b32 s11, v66, 1
	v_mov_b32_e32 v2, 0
	s_add_i32 s7, s7, s6
	s_mul_i32 s6, s8, s26
	s_mul_i32 s8, s11, s26
	s_mul_hi_u32 s9, s10, s26
	ds_read_b32 v0, v2 offset:5140
	s_add_i32 s9, s9, s8
	s_mul_i32 s8, s10, s26
	s_lshl_b64 s[6:7], s[6:7], 3
	v_readlane_b32 s10, v66, 6
	v_readlane_b32 s11, v66, 7
	s_add_u32 s6, s10, s6
	s_addc_u32 s7, s11, s7
	s_lshl_b64 s[8:9], s[8:9], 3
	v_readlane_b32 s10, v66, 2
	v_readlane_b32 s11, v66, 3
	s_add_u32 s8, s10, s8
	s_addc_u32 s9, s11, s9
	s_waitcnt lgkmcnt(0)
	v_ashrrev_i32_e32 v1, 31, v0
	global_store_dwordx2 v2, v[0:1], s[8:9]
	global_store_dwordx2 v2, v[6:7], s[6:7]
.LBB44_297:
	s_or_b64 exec, exec, s[2:3]
.LBB44_298:
	s_or_saveexec_b64 s[2:3], s[4:5]
	s_mov_b64 s[4:5], 0
	s_xor_b64 exec, exec, s[2:3]
	s_cbranch_execnz .LBB44_301
.LBB44_299:
	s_or_b64 exec, exec, s[2:3]
	s_and_b64 s[2:3], s[4:5], exec
	s_andn2_saveexec_b64 s[0:1], s[0:1]
	s_cbranch_execz .LBB44_275
.LBB44_300:
	s_or_b64 s[2:3], s[2:3], exec
	s_trap 2
	s_or_b64 exec, exec, s[0:1]
	s_and_saveexec_b64 s[0:1], s[2:3]
	s_cbranch_execnz .LBB44_276
	s_branch .LBB44_277
.LBB44_301:
	s_mov_b64 s[4:5], exec
	s_trap 2
	s_branch .LBB44_299
	.section	.rodata,"a",@progbits
	.p2align	6, 0x0
	.amdhsa_kernel _ZN2at6native12_GLOBAL__N_114gatherKthValueIdlLi1EEEvNS_4cuda6detail10TensorInfoIKT_T0_EES8_S8_S8_S8_NS5_IS6_S8_EENS5_IlS8_EE
		.amdhsa_group_segment_fixed_size 5144
		.amdhsa_private_segment_fixed_size 0
		.amdhsa_kernarg_size 1536
		.amdhsa_user_sgpr_count 2
		.amdhsa_user_sgpr_dispatch_ptr 0
		.amdhsa_user_sgpr_queue_ptr 0
		.amdhsa_user_sgpr_kernarg_segment_ptr 1
		.amdhsa_user_sgpr_dispatch_id 0
		.amdhsa_user_sgpr_kernarg_preload_length 0
		.amdhsa_user_sgpr_kernarg_preload_offset 0
		.amdhsa_user_sgpr_private_segment_size 0
		.amdhsa_uses_dynamic_stack 0
		.amdhsa_enable_private_segment 0
		.amdhsa_system_sgpr_workgroup_id_x 1
		.amdhsa_system_sgpr_workgroup_id_y 1
		.amdhsa_system_sgpr_workgroup_id_z 1
		.amdhsa_system_sgpr_workgroup_info 0
		.amdhsa_system_vgpr_workitem_id 0
		.amdhsa_next_free_vgpr 67
		.amdhsa_next_free_sgpr 100
		.amdhsa_accum_offset 68
		.amdhsa_reserve_vcc 1
		.amdhsa_float_round_mode_32 0
		.amdhsa_float_round_mode_16_64 0
		.amdhsa_float_denorm_mode_32 3
		.amdhsa_float_denorm_mode_16_64 3
		.amdhsa_dx10_clamp 1
		.amdhsa_ieee_mode 1
		.amdhsa_fp16_overflow 0
		.amdhsa_tg_split 0
		.amdhsa_exception_fp_ieee_invalid_op 0
		.amdhsa_exception_fp_denorm_src 0
		.amdhsa_exception_fp_ieee_div_zero 0
		.amdhsa_exception_fp_ieee_overflow 0
		.amdhsa_exception_fp_ieee_underflow 0
		.amdhsa_exception_fp_ieee_inexact 0
		.amdhsa_exception_int_div_zero 0
	.end_amdhsa_kernel
	.section	.text._ZN2at6native12_GLOBAL__N_114gatherKthValueIdlLi1EEEvNS_4cuda6detail10TensorInfoIKT_T0_EES8_S8_S8_S8_NS5_IS6_S8_EENS5_IlS8_EE,"axG",@progbits,_ZN2at6native12_GLOBAL__N_114gatherKthValueIdlLi1EEEvNS_4cuda6detail10TensorInfoIKT_T0_EES8_S8_S8_S8_NS5_IS6_S8_EENS5_IlS8_EE,comdat
.Lfunc_end44:
	.size	_ZN2at6native12_GLOBAL__N_114gatherKthValueIdlLi1EEEvNS_4cuda6detail10TensorInfoIKT_T0_EES8_S8_S8_S8_NS5_IS6_S8_EENS5_IlS8_EE, .Lfunc_end44-_ZN2at6native12_GLOBAL__N_114gatherKthValueIdlLi1EEEvNS_4cuda6detail10TensorInfoIKT_T0_EES8_S8_S8_S8_NS5_IS6_S8_EENS5_IlS8_EE
                                        ; -- End function
	.set _ZN2at6native12_GLOBAL__N_114gatherKthValueIdlLi1EEEvNS_4cuda6detail10TensorInfoIKT_T0_EES8_S8_S8_S8_NS5_IS6_S8_EENS5_IlS8_EE.num_vgpr, 67
	.set _ZN2at6native12_GLOBAL__N_114gatherKthValueIdlLi1EEEvNS_4cuda6detail10TensorInfoIKT_T0_EES8_S8_S8_S8_NS5_IS6_S8_EENS5_IlS8_EE.num_agpr, 0
	.set _ZN2at6native12_GLOBAL__N_114gatherKthValueIdlLi1EEEvNS_4cuda6detail10TensorInfoIKT_T0_EES8_S8_S8_S8_NS5_IS6_S8_EENS5_IlS8_EE.numbered_sgpr, 100
	.set _ZN2at6native12_GLOBAL__N_114gatherKthValueIdlLi1EEEvNS_4cuda6detail10TensorInfoIKT_T0_EES8_S8_S8_S8_NS5_IS6_S8_EENS5_IlS8_EE.num_named_barrier, 0
	.set _ZN2at6native12_GLOBAL__N_114gatherKthValueIdlLi1EEEvNS_4cuda6detail10TensorInfoIKT_T0_EES8_S8_S8_S8_NS5_IS6_S8_EENS5_IlS8_EE.private_seg_size, 0
	.set _ZN2at6native12_GLOBAL__N_114gatherKthValueIdlLi1EEEvNS_4cuda6detail10TensorInfoIKT_T0_EES8_S8_S8_S8_NS5_IS6_S8_EENS5_IlS8_EE.uses_vcc, 1
	.set _ZN2at6native12_GLOBAL__N_114gatherKthValueIdlLi1EEEvNS_4cuda6detail10TensorInfoIKT_T0_EES8_S8_S8_S8_NS5_IS6_S8_EENS5_IlS8_EE.uses_flat_scratch, 0
	.set _ZN2at6native12_GLOBAL__N_114gatherKthValueIdlLi1EEEvNS_4cuda6detail10TensorInfoIKT_T0_EES8_S8_S8_S8_NS5_IS6_S8_EENS5_IlS8_EE.has_dyn_sized_stack, 0
	.set _ZN2at6native12_GLOBAL__N_114gatherKthValueIdlLi1EEEvNS_4cuda6detail10TensorInfoIKT_T0_EES8_S8_S8_S8_NS5_IS6_S8_EENS5_IlS8_EE.has_recursion, 0
	.set _ZN2at6native12_GLOBAL__N_114gatherKthValueIdlLi1EEEvNS_4cuda6detail10TensorInfoIKT_T0_EES8_S8_S8_S8_NS5_IS6_S8_EENS5_IlS8_EE.has_indirect_call, 0
	.section	.AMDGPU.csdata,"",@progbits
; Kernel info:
; codeLenInByte = 16392
; TotalNumSgprs: 106
; NumVgprs: 67
; NumAgprs: 0
; TotalNumVgprs: 67
; ScratchSize: 0
; MemoryBound: 0
; FloatMode: 240
; IeeeMode: 1
; LDSByteSize: 5144 bytes/workgroup (compile time only)
; SGPRBlocks: 13
; VGPRBlocks: 8
; NumSGPRsForWavesPerEU: 106
; NumVGPRsForWavesPerEU: 67
; AccumOffset: 68
; Occupancy: 7
; WaveLimiterHint : 1
; COMPUTE_PGM_RSRC2:SCRATCH_EN: 0
; COMPUTE_PGM_RSRC2:USER_SGPR: 2
; COMPUTE_PGM_RSRC2:TRAP_HANDLER: 0
; COMPUTE_PGM_RSRC2:TGID_X_EN: 1
; COMPUTE_PGM_RSRC2:TGID_Y_EN: 1
; COMPUTE_PGM_RSRC2:TGID_Z_EN: 1
; COMPUTE_PGM_RSRC2:TIDIG_COMP_CNT: 0
; COMPUTE_PGM_RSRC3_GFX90A:ACCUM_OFFSET: 16
; COMPUTE_PGM_RSRC3_GFX90A:TG_SPLIT: 0
	.section	.text._ZN2at6native12_GLOBAL__N_114gatherKthValueIdlLi2EEEvNS_4cuda6detail10TensorInfoIKT_T0_EES8_S8_S8_S8_NS5_IS6_S8_EENS5_IlS8_EE,"axG",@progbits,_ZN2at6native12_GLOBAL__N_114gatherKthValueIdlLi2EEEvNS_4cuda6detail10TensorInfoIKT_T0_EES8_S8_S8_S8_NS5_IS6_S8_EENS5_IlS8_EE,comdat
	.globl	_ZN2at6native12_GLOBAL__N_114gatherKthValueIdlLi2EEEvNS_4cuda6detail10TensorInfoIKT_T0_EES8_S8_S8_S8_NS5_IS6_S8_EENS5_IlS8_EE ; -- Begin function _ZN2at6native12_GLOBAL__N_114gatherKthValueIdlLi2EEEvNS_4cuda6detail10TensorInfoIKT_T0_EES8_S8_S8_S8_NS5_IS6_S8_EENS5_IlS8_EE
	.p2align	8
	.type	_ZN2at6native12_GLOBAL__N_114gatherKthValueIdlLi2EEEvNS_4cuda6detail10TensorInfoIKT_T0_EES8_S8_S8_S8_NS5_IS6_S8_EENS5_IlS8_EE,@function
_ZN2at6native12_GLOBAL__N_114gatherKthValueIdlLi2EEEvNS_4cuda6detail10TensorInfoIKT_T0_EES8_S8_S8_S8_NS5_IS6_S8_EENS5_IlS8_EE: ; @_ZN2at6native12_GLOBAL__N_114gatherKthValueIdlLi2EEEvNS_4cuda6detail10TensorInfoIKT_T0_EES8_S8_S8_S8_NS5_IS6_S8_EENS5_IlS8_EE
; %bb.0:
	s_load_dwordx2 s[14:15], s[0:1], 0x500
	s_load_dwordx8 s[56:63], s[0:1], 0x1a0
	s_add_u32 s10, s0, 0x500
	s_addc_u32 s11, s1, 0
	s_mov_b32 s29, 0
	s_waitcnt lgkmcnt(0)
	s_mul_i32 s4, s15, s4
	s_add_i32 s3, s4, s3
	s_mul_i32 s3, s3, s14
	s_add_i32 s28, s3, s2
	v_mov_b64_e32 v[2:3], s[28:29]
	v_cmp_le_i64_e32 vcc, s[60:61], v[2:3]
	s_cbranch_vccnz .LBB45_286
; %bb.1:
	s_load_dwordx2 s[8:9], s[0:1], 0x10
	s_load_dwordx2 s[26:27], s[0:1], 0x1d0
	s_mov_b32 s4, s29
	s_waitcnt lgkmcnt(0)
	s_mov_b32 s5, s9
	s_cmp_lg_u64 s[4:5], 0
	s_cbranch_scc0 .LBB45_299
; %bb.2:
	s_ashr_i32 s4, s9, 31
	s_add_u32 s6, s8, s4
	s_mov_b32 s5, s4
	s_addc_u32 s7, s9, s4
	s_xor_b64 s[12:13], s[6:7], s[4:5]
	v_cvt_f32_u32_e32 v1, s12
	v_cvt_f32_u32_e32 v2, s13
	s_sub_u32 s3, 0, s12
	s_subb_u32 s15, 0, s13
	v_fmamk_f32 v1, v2, 0x4f800000, v1
	v_rcp_f32_e32 v1, v1
	s_nop 0
	v_mul_f32_e32 v1, 0x5f7ffffc, v1
	v_mul_f32_e32 v2, 0x2f800000, v1
	v_trunc_f32_e32 v2, v2
	v_fmamk_f32 v1, v2, 0xcf800000, v1
	v_cvt_u32_f32_e32 v2, v2
	v_cvt_u32_f32_e32 v1, v1
	v_readfirstlane_b32 s18, v2
	v_readfirstlane_b32 s16, v1
	s_mul_i32 s17, s3, s18
	s_mul_hi_u32 s20, s3, s16
	s_mul_i32 s19, s15, s16
	s_add_i32 s17, s20, s17
	s_add_i32 s17, s17, s19
	s_mul_i32 s21, s3, s16
	s_mul_i32 s20, s16, s17
	s_mul_hi_u32 s22, s16, s21
	s_mul_hi_u32 s19, s16, s17
	s_add_u32 s20, s22, s20
	s_addc_u32 s19, 0, s19
	s_mul_hi_u32 s23, s18, s21
	s_mul_i32 s21, s18, s21
	s_add_u32 s20, s20, s21
	s_mul_hi_u32 s22, s18, s17
	s_addc_u32 s19, s19, s23
	s_addc_u32 s20, s22, 0
	s_mul_i32 s17, s18, s17
	s_add_u32 s17, s19, s17
	s_addc_u32 s19, 0, s20
	s_add_u32 s20, s16, s17
	s_cselect_b64 s[16:17], -1, 0
	s_cmp_lg_u64 s[16:17], 0
	s_addc_u32 s18, s18, s19
	s_mul_i32 s16, s3, s18
	s_mul_hi_u32 s17, s3, s20
	s_add_i32 s16, s17, s16
	s_mul_i32 s15, s15, s20
	s_add_i32 s16, s16, s15
	s_mul_i32 s3, s3, s20
	s_mul_hi_u32 s17, s18, s3
	s_mul_i32 s19, s18, s3
	s_mul_i32 s22, s20, s16
	s_mul_hi_u32 s3, s20, s3
	s_mul_hi_u32 s21, s20, s16
	s_add_u32 s3, s3, s22
	s_addc_u32 s21, 0, s21
	s_add_u32 s3, s3, s19
	s_mul_hi_u32 s15, s18, s16
	s_addc_u32 s3, s21, s17
	s_addc_u32 s15, s15, 0
	s_mul_i32 s16, s18, s16
	s_add_u32 s3, s3, s16
	s_addc_u32 s15, 0, s15
	s_add_u32 s3, s20, s3
	s_cselect_b64 s[16:17], -1, 0
	s_cmp_lg_u64 s[16:17], 0
	s_addc_u32 s15, s18, s15
	s_add_u32 s16, s28, 0
	s_addc_u32 s17, 0, 0
	s_xor_b64 s[16:17], s[16:17], 0
	s_mul_i32 s19, s16, s15
	s_mul_hi_u32 s20, s16, s3
	s_mul_hi_u32 s18, s16, s15
	s_add_u32 s19, s20, s19
	s_addc_u32 s18, 0, s18
	s_mul_hi_u32 s21, s17, s3
	s_mul_i32 s3, s17, s3
	s_add_u32 s3, s19, s3
	s_mul_hi_u32 s20, s17, s15
	s_addc_u32 s3, s18, s21
	s_addc_u32 s18, s20, 0
	s_mul_i32 s15, s17, s15
	s_add_u32 s3, s3, s15
	s_addc_u32 s15, 0, s18
	s_mul_i32 s18, s12, s15
	s_mul_hi_u32 s19, s12, s3
	s_add_i32 s18, s19, s18
	s_mul_i32 s19, s13, s3
	s_add_i32 s22, s18, s19
	s_sub_i32 s20, s17, s22
	s_mul_i32 s18, s12, s3
	s_sub_u32 s16, s16, s18
	s_cselect_b64 s[18:19], -1, 0
	s_cmp_lg_u64 s[18:19], 0
	s_subb_u32 s23, s20, s13
	s_sub_u32 s24, s16, s12
	s_cselect_b64 s[20:21], -1, 0
	s_cmp_lg_u64 s[20:21], 0
	s_subb_u32 s20, s23, 0
	s_cmp_ge_u32 s20, s13
	s_cselect_b32 s21, -1, 0
	s_cmp_ge_u32 s24, s12
	s_cselect_b32 s23, -1, 0
	s_cmp_eq_u32 s20, s13
	s_cselect_b32 s20, s23, s21
	s_add_u32 s21, s3, 1
	s_addc_u32 s23, s15, 0
	s_add_u32 s24, s3, 2
	s_addc_u32 s25, s15, 0
	s_cmp_lg_u32 s20, 0
	s_cselect_b32 s20, s24, s21
	s_cselect_b32 s21, s25, s23
	s_cmp_lg_u64 s[18:19], 0
	s_subb_u32 s17, s17, s22
	s_cmp_ge_u32 s17, s13
	s_cselect_b32 s18, -1, 0
	s_cmp_ge_u32 s16, s12
	s_cselect_b32 s12, -1, 0
	s_cmp_eq_u32 s17, s13
	s_cselect_b32 s12, s12, s18
	s_cmp_lg_u32 s12, 0
	s_cselect_b32 s13, s21, s15
	s_cselect_b32 s12, s20, s3
	s_xor_b64 s[4:5], 0, s[4:5]
	s_xor_b64 s[12:13], s[12:13], s[4:5]
	s_sub_u32 s12, s12, s4
	s_subb_u32 s13, s13, s5
	s_cbranch_execnz .LBB45_4
.LBB45_3:
	v_cvt_f32_u32_e32 v1, s8
	s_sub_i32 s3, 0, s8
	s_mov_b32 s13, 0
	v_rcp_iflag_f32_e32 v1, v1
	s_nop 0
	v_mul_f32_e32 v1, 0x4f7ffffe, v1
	v_cvt_u32_f32_e32 v1, v1
	s_nop 0
	v_readfirstlane_b32 s4, v1
	s_mul_i32 s3, s3, s4
	s_mul_hi_u32 s3, s4, s3
	s_add_i32 s4, s4, s3
	s_mul_hi_u32 s3, s28, s4
	s_mul_i32 s5, s3, s8
	s_sub_i32 s5, s28, s5
	s_add_i32 s4, s3, 1
	s_sub_i32 s6, s5, s8
	s_cmp_ge_u32 s5, s8
	s_cselect_b32 s3, s4, s3
	s_cselect_b32 s5, s6, s5
	s_add_i32 s4, s3, 1
	s_cmp_ge_u32 s5, s8
	s_cselect_b32 s12, s4, s3
.LBB45_4:
	s_load_dwordx2 s[30:31], s[0:1], 0x370
	s_mov_b32 s4, 0
	s_mov_b32 s5, s27
                                        ; implicit-def: $vgpr68 : SGPR spill to VGPR lane
	s_cmp_lg_u64 s[4:5], 0
	v_writelane_b32 v68, s26, 0
	s_nop 1
	v_writelane_b32 v68, s27, 1
	s_cbranch_scc0 .LBB45_300
; %bb.5:
	s_ashr_i32 s4, s27, 31
	s_add_u32 s6, s26, s4
	s_mov_b32 s5, s4
	s_addc_u32 s7, s27, s4
	s_xor_b64 s[16:17], s[6:7], s[4:5]
	v_cvt_f32_u32_e32 v1, s16
	v_cvt_f32_u32_e32 v2, s17
	s_sub_u32 s3, 0, s16
	s_subb_u32 s15, 0, s17
	v_fmamk_f32 v1, v2, 0x4f800000, v1
	v_rcp_f32_e32 v1, v1
	s_nop 0
	v_mul_f32_e32 v1, 0x5f7ffffc, v1
	v_mul_f32_e32 v2, 0x2f800000, v1
	v_trunc_f32_e32 v2, v2
	v_fmamk_f32 v1, v2, 0xcf800000, v1
	v_cvt_u32_f32_e32 v2, v2
	v_cvt_u32_f32_e32 v1, v1
	v_readfirstlane_b32 s20, v2
	v_readfirstlane_b32 s18, v1
	s_mul_i32 s19, s3, s20
	s_mul_hi_u32 s22, s3, s18
	s_mul_i32 s21, s15, s18
	s_add_i32 s19, s22, s19
	s_add_i32 s19, s19, s21
	s_mul_i32 s23, s3, s18
	s_mul_i32 s22, s18, s19
	s_mul_hi_u32 s24, s18, s23
	s_mul_hi_u32 s21, s18, s19
	s_add_u32 s22, s24, s22
	s_addc_u32 s21, 0, s21
	s_mul_hi_u32 s25, s20, s23
	s_mul_i32 s23, s20, s23
	s_add_u32 s22, s22, s23
	s_mul_hi_u32 s24, s20, s19
	s_addc_u32 s21, s21, s25
	s_addc_u32 s22, s24, 0
	s_mul_i32 s19, s20, s19
	s_add_u32 s19, s21, s19
	s_addc_u32 s21, 0, s22
	s_add_u32 s22, s18, s19
	s_cselect_b64 s[18:19], -1, 0
	s_cmp_lg_u64 s[18:19], 0
	s_addc_u32 s20, s20, s21
	s_mul_i32 s18, s3, s20
	s_mul_hi_u32 s19, s3, s22
	s_add_i32 s18, s19, s18
	s_mul_i32 s15, s15, s22
	s_add_i32 s18, s18, s15
	s_mul_i32 s3, s3, s22
	s_mul_hi_u32 s19, s20, s3
	s_mul_i32 s21, s20, s3
	s_mul_i32 s24, s22, s18
	s_mul_hi_u32 s3, s22, s3
	s_mul_hi_u32 s23, s22, s18
	s_add_u32 s3, s3, s24
	s_addc_u32 s23, 0, s23
	s_add_u32 s3, s3, s21
	s_mul_hi_u32 s15, s20, s18
	s_addc_u32 s3, s23, s19
	s_addc_u32 s15, s15, 0
	s_mul_i32 s18, s20, s18
	s_add_u32 s3, s3, s18
	s_addc_u32 s15, 0, s15
	s_add_u32 s3, s22, s3
	s_cselect_b64 s[18:19], -1, 0
	s_cmp_lg_u64 s[18:19], 0
	s_addc_u32 s15, s20, s15
	s_add_u32 s18, s28, 0
	s_addc_u32 s19, 0, 0
	s_xor_b64 s[18:19], s[18:19], 0
	s_mul_i32 s21, s18, s15
	s_mul_hi_u32 s22, s18, s3
	s_mul_hi_u32 s20, s18, s15
	s_add_u32 s21, s22, s21
	s_addc_u32 s20, 0, s20
	s_mul_hi_u32 s23, s19, s3
	s_mul_i32 s3, s19, s3
	s_add_u32 s3, s21, s3
	s_mul_hi_u32 s22, s19, s15
	s_addc_u32 s3, s20, s23
	s_addc_u32 s20, s22, 0
	s_mul_i32 s15, s19, s15
	s_add_u32 s3, s3, s15
	s_addc_u32 s15, 0, s20
	s_mul_i32 s20, s16, s15
	s_mul_hi_u32 s21, s16, s3
	s_add_i32 s20, s21, s20
	s_mul_i32 s21, s17, s3
	s_add_i32 s24, s20, s21
	s_sub_i32 s22, s19, s24
	s_mul_i32 s20, s16, s3
	s_sub_u32 s18, s18, s20
	s_cselect_b64 s[20:21], -1, 0
	s_cmp_lg_u64 s[20:21], 0
	s_subb_u32 s25, s22, s17
	s_sub_u32 s26, s18, s16
	s_cselect_b64 s[22:23], -1, 0
	s_cmp_lg_u64 s[22:23], 0
	s_subb_u32 s22, s25, 0
	s_cmp_ge_u32 s22, s17
	s_cselect_b32 s23, -1, 0
	s_cmp_ge_u32 s26, s16
	s_cselect_b32 s25, -1, 0
	s_cmp_eq_u32 s22, s17
	s_cselect_b32 s22, s25, s23
	s_add_u32 s23, s3, 1
	s_addc_u32 s25, s15, 0
	s_add_u32 s26, s3, 2
	s_addc_u32 s27, s15, 0
	s_cmp_lg_u32 s22, 0
	s_cselect_b32 s22, s26, s23
	s_cselect_b32 s23, s27, s25
	s_cmp_lg_u64 s[20:21], 0
	s_subb_u32 s19, s19, s24
	s_cmp_ge_u32 s19, s17
	s_cselect_b32 s20, -1, 0
	s_cmp_ge_u32 s18, s16
	s_cselect_b32 s16, -1, 0
	s_cmp_eq_u32 s19, s17
	s_cselect_b32 s16, s16, s20
	s_cmp_lg_u32 s16, 0
	s_cselect_b32 s17, s23, s15
	s_cselect_b32 s16, s22, s3
	s_xor_b64 s[4:5], 0, s[4:5]
	s_load_dwordx2 s[26:27], s[0:1], 0x1d0
	s_xor_b64 s[16:17], s[16:17], s[4:5]
	s_sub_u32 s4, s16, s4
	s_subb_u32 s5, s17, s5
	v_writelane_b32 v68, s4, 2
	s_nop 1
	v_writelane_b32 v68, s5, 3
	s_cbranch_execnz .LBB45_7
.LBB45_6:
	s_waitcnt lgkmcnt(0)
	v_cvt_f32_u32_e32 v1, s26
	s_sub_i32 s3, 0, s26
	s_mov_b32 s7, 0
	v_rcp_iflag_f32_e32 v1, v1
	s_nop 0
	v_mul_f32_e32 v1, 0x4f7ffffe, v1
	v_cvt_u32_f32_e32 v1, v1
	s_nop 0
	v_readfirstlane_b32 s4, v1
	s_mul_i32 s3, s3, s4
	s_mul_hi_u32 s3, s4, s3
	s_add_i32 s4, s4, s3
	s_mul_hi_u32 s3, s28, s4
	s_mul_i32 s5, s3, s26
	s_sub_i32 s5, s28, s5
	s_add_i32 s4, s3, 1
	s_sub_i32 s6, s5, s26
	s_cmp_ge_u32 s5, s26
	s_cselect_b32 s3, s4, s3
	s_cselect_b32 s5, s6, s5
	s_add_i32 s4, s3, 1
	s_cmp_ge_u32 s5, s26
	s_cselect_b32 s6, s4, s3
	v_writelane_b32 v68, s6, 2
	s_nop 1
	v_writelane_b32 v68, s7, 3
.LBB45_7:
	s_mov_b32 s4, 0
	s_waitcnt lgkmcnt(0)
	s_mov_b32 s5, s31
	s_cmp_lg_u64 s[4:5], 0
	s_cbranch_scc0 .LBB45_301
; %bb.8:
	s_ashr_i32 s6, s31, 31
	s_add_u32 s4, s30, s6
	s_mov_b32 s7, s6
	s_addc_u32 s5, s31, s6
	s_xor_b64 s[16:17], s[4:5], s[6:7]
	v_cvt_f32_u32_e32 v1, s16
	v_cvt_f32_u32_e32 v2, s17
	s_sub_u32 s3, 0, s16
	s_subb_u32 s15, 0, s17
	v_fmamk_f32 v1, v2, 0x4f800000, v1
	v_rcp_f32_e32 v1, v1
	s_nop 0
	v_mul_f32_e32 v1, 0x5f7ffffc, v1
	v_mul_f32_e32 v2, 0x2f800000, v1
	v_trunc_f32_e32 v2, v2
	v_fmamk_f32 v1, v2, 0xcf800000, v1
	v_cvt_u32_f32_e32 v2, v2
	v_cvt_u32_f32_e32 v1, v1
	v_readfirstlane_b32 s20, v2
	v_readfirstlane_b32 s18, v1
	s_mul_i32 s19, s3, s20
	s_mul_hi_u32 s22, s3, s18
	s_mul_i32 s21, s15, s18
	s_add_i32 s19, s22, s19
	s_add_i32 s19, s19, s21
	s_mul_i32 s23, s3, s18
	s_mul_i32 s22, s18, s19
	s_mul_hi_u32 s24, s18, s23
	s_mul_hi_u32 s21, s18, s19
	s_add_u32 s22, s24, s22
	s_addc_u32 s21, 0, s21
	s_mul_hi_u32 s25, s20, s23
	s_mul_i32 s23, s20, s23
	s_add_u32 s22, s22, s23
	s_mul_hi_u32 s24, s20, s19
	s_addc_u32 s21, s21, s25
	s_addc_u32 s22, s24, 0
	s_mul_i32 s19, s20, s19
	s_add_u32 s19, s21, s19
	s_addc_u32 s21, 0, s22
	s_add_u32 s22, s18, s19
	s_cselect_b64 s[18:19], -1, 0
	s_cmp_lg_u64 s[18:19], 0
	s_addc_u32 s20, s20, s21
	s_mul_i32 s18, s3, s20
	s_mul_hi_u32 s19, s3, s22
	s_add_i32 s18, s19, s18
	s_mul_i32 s15, s15, s22
	s_add_i32 s18, s18, s15
	s_mul_i32 s3, s3, s22
	s_mul_hi_u32 s19, s20, s3
	s_mul_i32 s21, s20, s3
	s_mul_i32 s24, s22, s18
	s_mul_hi_u32 s3, s22, s3
	s_mul_hi_u32 s23, s22, s18
	s_add_u32 s3, s3, s24
	s_addc_u32 s23, 0, s23
	s_add_u32 s3, s3, s21
	s_mul_hi_u32 s15, s20, s18
	s_addc_u32 s3, s23, s19
	s_addc_u32 s15, s15, 0
	s_mul_i32 s18, s20, s18
	s_add_u32 s3, s3, s18
	s_addc_u32 s15, 0, s15
	s_add_u32 s3, s22, s3
	s_cselect_b64 s[18:19], -1, 0
	s_cmp_lg_u64 s[18:19], 0
	s_addc_u32 s15, s20, s15
	s_add_u32 s18, s28, 0
	s_addc_u32 s19, 0, 0
	s_xor_b64 s[18:19], s[18:19], 0
	s_mul_i32 s21, s18, s15
	s_mul_hi_u32 s22, s18, s3
	s_mul_hi_u32 s20, s18, s15
	s_add_u32 s21, s22, s21
	s_addc_u32 s20, 0, s20
	s_mul_hi_u32 s23, s19, s3
	s_mul_i32 s3, s19, s3
	s_add_u32 s3, s21, s3
	s_mul_hi_u32 s22, s19, s15
	s_addc_u32 s3, s20, s23
	s_addc_u32 s20, s22, 0
	s_mul_i32 s15, s19, s15
	s_add_u32 s3, s3, s15
	s_addc_u32 s15, 0, s20
	s_mul_i32 s20, s16, s15
	s_mul_hi_u32 s21, s16, s3
	s_add_i32 s20, s21, s20
	s_mul_i32 s21, s17, s3
	s_add_i32 s24, s20, s21
	s_sub_i32 s22, s19, s24
	s_mul_i32 s20, s16, s3
	s_sub_u32 s18, s18, s20
	s_cselect_b64 s[20:21], -1, 0
	s_cmp_lg_u64 s[20:21], 0
	s_subb_u32 s25, s22, s17
	s_sub_u32 s26, s18, s16
	s_cselect_b64 s[22:23], -1, 0
	s_cmp_lg_u64 s[22:23], 0
	s_subb_u32 s22, s25, 0
	s_cmp_ge_u32 s22, s17
	s_cselect_b32 s23, -1, 0
	s_cmp_ge_u32 s26, s16
	s_cselect_b32 s25, -1, 0
	s_cmp_eq_u32 s22, s17
	s_cselect_b32 s22, s25, s23
	s_add_u32 s23, s3, 1
	s_addc_u32 s25, s15, 0
	s_add_u32 s26, s3, 2
	s_addc_u32 s27, s15, 0
	s_cmp_lg_u32 s22, 0
	s_cselect_b32 s22, s26, s23
	s_cselect_b32 s23, s27, s25
	s_cmp_lg_u64 s[20:21], 0
	s_subb_u32 s19, s19, s24
	s_cmp_ge_u32 s19, s17
	s_cselect_b32 s20, -1, 0
	s_cmp_ge_u32 s18, s16
	s_cselect_b32 s16, -1, 0
	s_cmp_eq_u32 s19, s17
	s_cselect_b32 s16, s16, s20
	s_cmp_lg_u32 s16, 0
	s_cselect_b32 s17, s23, s15
	s_cselect_b32 s16, s22, s3
	s_xor_b64 s[6:7], 0, s[6:7]
	s_xor_b64 s[16:17], s[16:17], s[6:7]
	s_sub_u32 s6, s16, s6
	s_subb_u32 s7, s17, s7
	v_writelane_b32 v68, s6, 4
	s_nop 1
	v_writelane_b32 v68, s7, 5
	s_load_dwordx2 s[16:17], s[0:1], 0x0
	s_cbranch_execnz .LBB45_10
.LBB45_9:
	v_cvt_f32_u32_e32 v1, s30
	s_sub_i32 s3, 0, s30
	s_mov_b32 s7, 0
	v_rcp_iflag_f32_e32 v1, v1
	s_nop 0
	v_mul_f32_e32 v1, 0x4f7ffffe, v1
	v_cvt_u32_f32_e32 v1, v1
	s_nop 0
	v_readfirstlane_b32 s4, v1
	s_mul_i32 s3, s3, s4
	s_mul_hi_u32 s3, s4, s3
	s_add_i32 s4, s4, s3
	s_mul_hi_u32 s3, s28, s4
	s_mul_i32 s5, s3, s30
	s_sub_i32 s5, s28, s5
	s_add_i32 s4, s3, 1
	s_sub_i32 s6, s5, s30
	s_cmp_ge_u32 s5, s30
	s_cselect_b32 s3, s4, s3
	s_cselect_b32 s5, s6, s5
	s_add_i32 s4, s3, 1
	s_cmp_ge_u32 s5, s30
	s_cselect_b32 s6, s4, s3
	v_writelane_b32 v68, s6, 4
	s_nop 1
	v_writelane_b32 v68, s7, 5
.LBB45_10:
	s_load_dwordx2 s[4:5], s[0:1], 0x360
	v_writelane_b32 v68, s30, 6
	s_mov_b32 s85, 0
	v_cmp_eq_u32_e64 s[20:21], 0, v0
	v_writelane_b32 v68, s31, 7
	s_waitcnt lgkmcnt(0)
	v_writelane_b32 v68, s4, 8
	s_nop 1
	v_writelane_b32 v68, s5, 9
	s_load_dwordx2 s[4:5], s[0:1], 0x1c0
	s_waitcnt lgkmcnt(0)
	v_writelane_b32 v68, s4, 10
	s_nop 1
	v_writelane_b32 v68, s5, 11
	s_load_dwordx4 s[4:7], s[0:1], 0xd0
	s_mov_b64 s[18:19], exec
	v_writelane_b32 v68, s20, 12
	s_nop 1
	v_writelane_b32 v68, s21, 13
	s_and_b64 s[20:21], s[18:19], s[20:21]
	s_mov_b64 exec, s[20:21]
	s_cbranch_execz .LBB45_12
; %bb.11:
	v_mov_b32_e32 v2, 0
	v_mov_b32_e32 v4, s56
	v_mov_b32_e32 v5, s57
	v_mov_b32_e32 v3, v2
	ds_write_b32 v2, v2 offset:5136
	ds_write_b128 v2, v[2:5] offset:5120
.LBB45_12:
	s_or_b64 exec, exec, s[18:19]
	s_load_dwordx4 s[20:23], s[0:1], 0x430
                                        ; kill: killed $sgpr0 killed $sgpr1
	v_mbcnt_lo_u32_b32 v1, -1, 0
	v_mbcnt_hi_u32_b32 v48, -1, v1
	v_cmp_gt_u32_e32 vcc, 64, v0
	v_mov_b64_e32 v[2:3], 0x180
	s_waitcnt lgkmcnt(0)
	v_writelane_b32 v68, s20, 14
	v_mov_b32_e32 v19, 0
	v_mov_b32_e32 v1, v19
	v_writelane_b32 v68, s21, 15
	v_writelane_b32 v68, s22, 16
	;; [unrolled: 1-line block ×3, first 2 shown]
	s_load_dwordx4 s[20:23], s[0:1], 0x290
	s_mul_i32 s0, s12, s9
	s_mul_hi_u32 s1, s12, s8
	s_add_i32 s0, s1, s0
	s_mul_i32 s1, s13, s8
	s_add_i32 s0, s0, s1
	s_mul_i32 s1, s12, s8
	s_sub_u32 s3, s28, s1
	s_subb_u32 s0, 0, s0
	s_mul_i32 s1, s3, s7
	s_mul_hi_u32 s7, s3, s6
	s_add_i32 s1, s7, s1
	s_mul_i32 s0, s0, s6
	s_waitcnt lgkmcnt(0)
	v_writelane_b32 v68, s20, 18
	s_add_i32 s1, s1, s0
	s_mul_i32 s0, s3, s6
	s_mul_i32 s3, s12, s5
	s_mul_hi_u32 s5, s12, s4
	v_writelane_b32 v68, s21, 19
	s_add_i32 s3, s5, s3
	s_mul_i32 s5, s13, s4
	v_writelane_b32 v68, s22, 20
	s_add_i32 s5, s3, s5
	s_mul_i32 s4, s12, s4
	v_writelane_b32 v68, s23, 21
	s_mov_b32 s8, s28
	s_lshl_b64 s[6:7], s[4:5], 3
	v_writelane_b32 v68, s8, 22
	s_add_u32 s3, s16, s6
	s_addc_u32 s4, s17, s7
	v_writelane_b32 v68, s9, 23
	s_lshl_b64 s[8:9], s[0:1], 3
	s_add_u32 s92, s3, s8
	v_cmp_gt_i32_e64 s[0:1], 4, v48
	s_addc_u32 s93, s4, s9
	s_and_b64 s[80:81], vcc, s[0:1]
	v_cmp_gt_u32_e64 s[0:1], 2, v0
	s_barrier
	s_nop 0
	v_writelane_b32 v68, s0, 24
	v_lshlrev_b32_e32 v6, 2, v48
	s_nop 0
	v_writelane_b32 v68, s1, 25
	v_cmp_gt_i64_e64 s[0:1], s[56:57], v[2:3]
	v_and_b32_e32 v51, 0x100, v6
	v_lshlrev_b64 v[6:7], v48, -1
	v_writelane_b32 v68, s0, 26
	v_lshlrev_b32_e32 v53, 5, v0
	v_not_b32_e32 v25, v7
	v_writelane_b32 v68, s1, 27
	v_cmp_gt_u64_e64 s[0:1], s[56:57], v[0:1]
	v_not_b32_e32 v24, v6
	v_lshrrev_b32_e32 v6, 1, v0
	v_writelane_b32 v68, s0, 28
	v_or_b32_e32 v7, 24, v53
	v_and_b32_e32 v6, 0x1e0, v6
	v_writelane_b32 v68, s1, 29
	v_mad_u64_u32 v[2:3], s[0:1], s62, v0, 0
	v_mov_b32_e32 v4, v3
	v_mad_u64_u32 v[4:5], s[0:1], s63, v0, v[4:5]
	v_cmp_gt_i64_e64 s[0:1], s[56:57], v[0:1]
	v_or_b32_e32 v52, 0xc00, v6
	v_mov_b32_e32 v3, v4
	v_writelane_b32 v68, s0, 30
	v_lshlrev_b32_e32 v49, 3, v0
	v_lshlrev_b64 v[4:5], 3, v[2:3]
	v_writelane_b32 v68, s1, 31
	s_load_dword s0, s[10:11], 0xc
	v_lshlrev_b64 v[34:35], 5, v[2:3]
	v_mov_b32_e32 v2, 0xc00
	v_cmp_eq_u32_e64 s[4:5], 0, v48
	v_add_u32_e32 v50, 0xc00, v49
	s_waitcnt lgkmcnt(0)
	s_and_b32 s82, s0, 0xffff
	s_bfe_u32 s0, s0, 0xa0006
	s_cmp_gt_u32 s82, 63
	s_cselect_b64 s[12:13], -1, 0
	v_writelane_b32 v68, s12, 32
	s_add_u32 s1, s82, -1
	s_addc_u32 s3, 0, -1
	v_writelane_b32 v68, s13, 33
	v_writelane_b32 v68, s1, 34
	s_add_u32 s1, s1, s56
	s_addc_u32 s95, s3, s57
	s_cmp_lt_u32 s2, s14
	v_writelane_b32 v68, s1, 35
	s_cselect_b32 s1, 12, 18
	s_add_u32 s88, s10, s1
	s_addc_u32 s89, s11, 0
	s_add_i32 s1, s0, -1
	s_bfe_u32 s2, s82, 0x30006
	s_and_b32 s1, s1, 0xffff
	s_cmp_gt_u32 s1, 6
	v_writelane_b32 v68, s3, 36
	s_cselect_b64 s[10:11], -1, 0
	v_writelane_b32 v68, s10, 37
	s_and_b32 s33, s0, 0x3f8
	s_cmp_lg_u32 s2, 0
	v_writelane_b32 v68, s11, 38
	v_writelane_b32 v68, s2, 39
	s_cselect_b64 s[0:1], -1, 0
	v_writelane_b32 v68, s0, 40
	v_lshl_add_u64 v[20:21], s[92:93], 0, v[4:5]
	v_lshlrev_b32_e32 v22, 2, v0
	v_writelane_b32 v68, s1, 41
	s_add_u32 s0, s6, s8
	s_addc_u32 s1, s7, s9
	s_add_u32 s2, s16, s0
	s_addc_u32 s3, s17, s1
	s_lshl_b64 s[0:1], s[62:63], 3
	v_writelane_b32 v68, s0, 42
	v_mov_b32_e32 v23, v19
	s_mov_b32 s83, s85
	v_writelane_b32 v68, s1, 43
	v_mad_u64_u32 v[26:27], s[0:1], s62, v7, 0
	v_mov_b32_e32 v6, v27
	v_mad_u64_u32 v[6:7], s[0:1], s63, v7, v[6:7]
	v_or_b32_e32 v7, 16, v53
	v_mad_u64_u32 v[28:29], s[0:1], s62, v7, 0
	v_mov_b32_e32 v27, v6
	v_mov_b32_e32 v6, v29
	v_mad_u64_u32 v[6:7], s[0:1], s63, v7, v[6:7]
	v_or_b32_e32 v7, 8, v53
	v_mad_u64_u32 v[32:33], s[0:1], s62, v7, 0
	v_mov_b32_e32 v29, v6
	v_mov_b32_e32 v6, v33
	v_writelane_b32 v68, s2, 44
	v_mad_u64_u32 v[6:7], s[0:1], s63, v7, v[6:7]
	s_nop 0
	v_writelane_b32 v68, s3, 45
	s_mul_i32 s0, s63, s82
	s_mul_hi_u32 s1, s62, s82
	v_writelane_b32 v68, s80, 46
	s_add_i32 s1, s1, s0
	s_mul_i32 s0, s62, s82
	v_writelane_b32 v68, s81, 47
	s_lshl_b64 s[66:67], s[62:63], 5
	v_mov_b32_e32 v33, v6
	v_lshl_add_u64 v[36:37], s[56:57], 0, v[0:1]
	v_lshl_or_b32 v54, v48, 3, v2
	v_lshl_add_u64 v[16:17], s[2:3], 0, v[4:5]
	s_lshl_b64 s[86:87], s[0:1], 3
	s_lshl_b32 s90, s82, 3
	s_mov_b32 s91, 62
	v_mov_b64_e32 v[6:7], 0
	s_mov_b64 s[68:69], 0
	v_mov_b64_e32 v[40:41], s[58:59]
	v_mov_b64_e32 v[30:31], 0
	;; [unrolled: 1-line block ×4, first 2 shown]
	v_mov_b32_e32 v3, 0x3ff00000
	v_mov_b32_e32 v58, v19
	;; [unrolled: 1-line block ×3, first 2 shown]
	s_mov_b32 s96, 0
	v_writelane_b32 v68, s88, 48
                                        ; implicit-def: $sgpr58_sgpr59
                                        ; implicit-def: $sgpr74_sgpr75
                                        ; implicit-def: $sgpr70_sgpr71
                                        ; implicit-def: $sgpr76_sgpr77
                                        ; implicit-def: $sgpr10_sgpr11
                                        ; implicit-def: $sgpr60_sgpr61
	s_nop 1
	v_writelane_b32 v68, s89, 49
	s_branch .LBB45_16
.LBB45_13:                              ;   in Loop: Header=BB45_16 Depth=1
	s_or_b64 exec, exec, s[12:13]
	s_and_b64 s[8:9], s[8:9], exec
	s_andn2_b64 s[26:27], s[26:27], exec
	s_andn2_b64 s[0:1], s[0:1], exec
	s_orn2_b64 s[18:19], s[6:7], exec
.LBB45_14:                              ;   in Loop: Header=BB45_16 Depth=1
	s_or_b64 exec, exec, s[2:3]
	s_andn2_b64 s[2:3], s[60:61], exec
	s_and_b64 s[6:7], s[8:9], exec
	s_or_b64 s[60:61], s[2:3], s[6:7]
	s_andn2_b64 s[2:3], s[10:11], exec
	s_and_b64 s[6:7], s[26:27], exec
	s_or_b64 s[10:11], s[2:3], s[6:7]
	;; [unrolled: 3-line block ×3, first 2 shown]
	s_orn2_b64 s[0:1], s[18:19], exec
.LBB45_15:                              ;   in Loop: Header=BB45_16 Depth=1
	s_or_b64 exec, exec, s[16:17]
	s_and_b64 s[0:1], exec, s[0:1]
	s_or_b64 s[68:69], s[0:1], s[68:69]
	s_andn2_b64 s[0:1], s[70:71], exec
	s_and_b64 s[2:3], s[60:61], exec
	s_or_b64 s[70:71], s[0:1], s[2:3]
	s_andn2_b64 s[0:1], s[74:75], exec
	s_and_b64 s[2:3], s[10:11], exec
	;; [unrolled: 3-line block ×3, first 2 shown]
	s_or_b64 s[58:59], s[0:1], s[2:3]
	v_mov_b64_e32 v[40:41], v[12:13]
	s_andn2_b64 exec, exec, s[68:69]
	s_cbranch_execz .LBB45_282
.LBB45_16:                              ; =>This Loop Header: Depth=1
                                        ;     Child Loop BB45_22 Depth 2
                                        ;     Child Loop BB45_35 Depth 2
	;; [unrolled: 1-line block ×16, first 2 shown]
	ds_read_b128 v[8:11], v19 offset:5120
	s_waitcnt lgkmcnt(0)
	v_readfirstlane_b32 s73, v9
	v_readfirstlane_b32 s72, v8
	s_nop 1
	v_cmp_gt_i64_e64 s[0:1], s[72:73], 0
	s_and_b64 vcc, exec, s[0:1]
	s_cbranch_vccnz .LBB45_43
; %bb.17:                               ;   in Loop: Header=BB45_16 Depth=1
	v_readlane_b32 s0, v68, 26
	v_readlane_b32 s1, v68, 27
	s_and_b64 vcc, exec, s[0:1]
	s_cbranch_vccz .LBB45_30
; %bb.18:                               ;   in Loop: Header=BB45_16 Depth=1
	s_mov_b64 s[0:1], 0x181
	v_cmp_gt_i64_e32 vcc, s[0:1], v[10:11]
	s_mov_b64 s[6:7], 0
	s_mov_b64 s[0:1], 0
	s_cbranch_vccz .LBB45_31
; %bb.19:                               ;   in Loop: Header=BB45_16 Depth=1
	s_mov_b64 s[8:9], exec
	v_readlane_b32 s0, v68, 28
	v_readlane_b32 s1, v68, 29
	s_and_b64 s[0:1], s[8:9], s[0:1]
	s_mov_b64 exec, s[0:1]
	s_cbranch_execz .LBB45_77
; %bb.20:                               ;   in Loop: Header=BB45_16 Depth=1
	global_load_ushort v2, v19, s[88:89]
	global_load_dwordx2 v[4:5], v[20:21], off
	v_readlane_b32 s0, v68, 44
	v_readlane_b32 s1, v68, 45
	;; [unrolled: 1-line block ×4, first 2 shown]
	v_mov_b64_e32 v[8:9], s[0:1]
	s_mov_b64 s[12:13], 0
	s_waitcnt vmcnt(1)
	v_readfirstlane_b32 s0, v2
	s_and_b32 s0, 0xffff, s0
	s_nop 0
	v_add_u32_e32 v10, s0, v0
	s_mul_i32 s2, s17, s0
	s_mul_hi_u32 s3, s16, s0
	s_mul_i32 s14, s16, s0
	v_mad_u64_u32 v[8:9], s[0:1], s16, v10, v[8:9]
	v_and_b32_e32 v18, 0xffff, v2
	v_mov_b32_e32 v2, v9
	v_mad_u64_u32 v[10:11], s[0:1], s17, v10, v[2:3]
	s_add_i32 s15, s3, s2
	v_mov_b32_e32 v9, v10
	v_mov_b64_e32 v[10:11], v[0:1]
	s_branch .LBB45_22
.LBB45_21:                              ;   in Loop: Header=BB45_22 Depth=2
	s_or_b64 exec, exec, s[2:3]
	v_lshl_add_u64 v[8:9], v[8:9], 0, s[14:15]
	v_mov_b64_e32 v[4:5], v[12:13]
	s_andn2_b64 exec, exec, s[12:13]
	s_cbranch_execz .LBB45_77
.LBB45_22:                              ;   Parent Loop BB45_16 Depth=1
                                        ; =>  This Inner Loop Header: Depth=2
	v_lshl_add_u64 v[10:11], v[10:11], 0, v[18:19]
	v_cmp_gt_i64_e64 s[0:1], s[56:57], v[10:11]
	v_cmp_le_i64_e32 vcc, s[56:57], v[10:11]
	v_mov_b64_e32 v[12:13], 0
	s_and_saveexec_b64 s[2:3], s[0:1]
	s_cbranch_execz .LBB45_24
; %bb.23:                               ;   in Loop: Header=BB45_22 Depth=2
	global_load_dwordx2 v[12:13], v[8:9], off
.LBB45_24:                              ;   in Loop: Header=BB45_22 Depth=2
	s_or_b64 exec, exec, s[2:3]
	s_waitcnt vmcnt(0) lgkmcnt(0)
	v_ashrrev_i32_e32 v2, 31, v5
	v_or_b32_e32 v14, 0x80000000, v2
	v_xor_b32_e32 v14, v14, v5
	v_xor_b32_e32 v2, v2, v4
	v_cmp_o_f64_e64 s[0:1], v[4:5], v[4:5]
	s_nop 1
	v_cndmask_b32_e64 v14, -1, v14, s[0:1]
	v_cndmask_b32_e64 v2, -1, v2, s[0:1]
	v_and_b32_e32 v15, v14, v39
	v_and_b32_e32 v14, v2, v38
	v_cmp_eq_u64_e64 s[0:1], v[14:15], v[30:31]
	s_cmp_lg_u64 s[0:1], 0
	s_cselect_b64 s[2:3], -1, 0
	s_and_b64 s[2:3], s[4:5], s[2:3]
	v_mov_b32_e32 v2, 0
	s_and_saveexec_b64 s[16:17], s[2:3]
	s_cbranch_execz .LBB45_28
; %bb.25:                               ;   in Loop: Header=BB45_22 Depth=2
	s_mov_b64 s[20:21], exec
	v_mbcnt_lo_u32_b32 v2, s20, 0
	v_mbcnt_hi_u32_b32 v2, s21, v2
	s_bcnt1_i32_b64 s22, s[0:1]
	v_cmp_eq_u32_e64 s[2:3], 0, v2
                                        ; implicit-def: $vgpr14
	s_and_saveexec_b64 s[18:19], s[2:3]
; %bb.26:                               ;   in Loop: Header=BB45_22 Depth=2
	s_bcnt1_i32_b64 s2, s[20:21]
	s_mul_i32 s2, s22, s2
	v_mov_b32_e32 v14, s2
	ds_add_rtn_u32 v14, v19, v14 offset:5136
; %bb.27:                               ;   in Loop: Header=BB45_22 Depth=2
	s_or_b64 exec, exec, s[18:19]
	s_waitcnt lgkmcnt(0)
	v_readfirstlane_b32 s2, v14
	s_nop 1
	v_mov_b32_e32 v14, s2
	v_mad_u32_u24 v2, s22, v2, v14
.LBB45_28:                              ;   in Loop: Header=BB45_22 Depth=2
	s_or_b64 exec, exec, s[16:17]
	ds_bpermute_b32 v2, v51, v2
	s_and_b64 s[2:3], exec, vcc
	s_or_b64 s[12:13], s[2:3], s[12:13]
	s_and_saveexec_b64 s[2:3], s[0:1]
	s_cbranch_execz .LBB45_21
; %bb.29:                               ;   in Loop: Header=BB45_22 Depth=2
	v_and_b32_e32 v15, s0, v24
	v_and_b32_e32 v14, s1, v25
	v_bcnt_u32_b32 v15, v15, 0
	v_bcnt_u32_b32 v14, v14, v15
	v_lshlrev_b32_e32 v14, 3, v14
	s_waitcnt lgkmcnt(0)
	v_lshl_add_u32 v2, v2, 3, v14
	ds_write_b64 v2, v[4:5]
	s_branch .LBB45_21
.LBB45_30:                              ;   in Loop: Header=BB45_16 Depth=1
	s_mov_b64 s[6:7], -1
	s_mov_b64 s[0:1], 0
.LBB45_31:                              ;   in Loop: Header=BB45_16 Depth=1
	s_and_b64 vcc, exec, s[6:7]
	s_cbranch_vccz .LBB45_41
.LBB45_32:                              ;   in Loop: Header=BB45_16 Depth=1
	s_mov_b64 s[0:1], exec
	v_readlane_b32 s2, v68, 30
	v_readlane_b32 s3, v68, 31
	s_and_b64 s[2:3], s[0:1], s[2:3]
	s_mov_b64 exec, s[2:3]
	s_cbranch_execz .LBB45_38
; %bb.33:                               ;   in Loop: Header=BB45_16 Depth=1
	global_load_ushort v2, v19, s[88:89]
	global_load_dwordx2 v[4:5], v[20:21], off
	s_waitcnt vmcnt(1)
	v_add_u32_sdwa v18, v2, v0 dst_sel:DWORD dst_unused:UNUSED_PAD src0_sel:WORD_0 src1_sel:DWORD
	v_readfirstlane_b32 s6, v2
	v_cmp_gt_i64_e32 vcc, s[56:57], v[18:19]
	v_mov_b32_e32 v2, v0
	s_and_saveexec_b64 s[2:3], vcc
	s_cbranch_execz .LBB45_37
; %bb.34:                               ;   in Loop: Header=BB45_16 Depth=1
	s_and_b32 s84, s6, 0xffff
	v_readlane_b32 s6, v68, 44
	v_readlane_b32 s7, v68, 45
	;; [unrolled: 1-line block ×4, first 2 shown]
	v_mov_b64_e32 v[8:9], s[6:7]
	v_mad_u64_u32 v[8:9], s[6:7], s8, v18, v[8:9]
	v_mov_b32_e32 v2, v9
	v_mad_u64_u32 v[10:11], s[6:7], s9, v18, v[2:3]
	s_mul_i32 s6, s9, s84
	s_mul_hi_u32 s7, s8, s84
	v_mov_b32_e32 v9, v10
	s_add_i32 s7, s7, s6
	s_mul_i32 s6, s8, s84
	s_mov_b64 s[8:9], 0
	v_mov_b64_e32 v[12:13], v[18:19]
	v_mov_b64_e32 v[14:15], v[0:1]
.LBB45_35:                              ;   Parent Loop BB45_16 Depth=1
                                        ; =>  This Inner Loop Header: Depth=2
	global_load_dwordx2 v[10:11], v[8:9], off
	v_mov_b64_e32 v[42:43], v[12:13]
	v_lshl_add_u64 v[12:13], v[42:43], 0, s[84:85]
	v_lshlrev_b32_e32 v2, 3, v14
	v_cmp_le_i64_e32 vcc, s[56:57], v[12:13]
	v_lshl_add_u64 v[8:9], v[8:9], 0, s[6:7]
	s_waitcnt vmcnt(1)
	ds_write_b64 v2, v[4:5]
	v_mov_b64_e32 v[14:15], v[42:43]
	s_or_b64 s[8:9], vcc, s[8:9]
	s_waitcnt vmcnt(0)
	v_mov_b64_e32 v[4:5], v[10:11]
	s_andn2_b64 exec, exec, s[8:9]
	s_cbranch_execnz .LBB45_35
; %bb.36:                               ;   in Loop: Header=BB45_16 Depth=1
	s_or_b64 exec, exec, s[8:9]
	v_subrev_u32_e32 v2, s84, v12
	v_mov_b64_e32 v[4:5], v[10:11]
.LBB45_37:                              ;   in Loop: Header=BB45_16 Depth=1
	s_or_b64 exec, exec, s[2:3]
	v_lshlrev_b32_e32 v2, 3, v2
	s_waitcnt vmcnt(0)
	ds_write_b64 v2, v[4:5]
.LBB45_38:                              ;   in Loop: Header=BB45_16 Depth=1
	s_or_b64 exec, exec, s[0:1]
	s_waitcnt lgkmcnt(0)
	s_barrier
	s_mov_b64 s[0:1], exec
	v_readlane_b32 s2, v68, 12
	v_readlane_b32 s3, v68, 13
	s_and_b64 s[2:3], s[0:1], s[2:3]
	s_mov_b64 exec, s[2:3]
; %bb.39:                               ;   in Loop: Header=BB45_16 Depth=1
	ds_write_b64 v19, v[56:57] offset:5120
; %bb.40:                               ;   in Loop: Header=BB45_16 Depth=1
	s_or_b64 exec, exec, s[0:1]
	s_mov_b64 s[0:1], -1
	s_waitcnt lgkmcnt(0)
	s_barrier
.LBB45_41:                              ;   in Loop: Header=BB45_16 Depth=1
	s_and_b64 vcc, exec, s[0:1]
	s_cbranch_vccz .LBB45_43
; %bb.42:                               ;   in Loop: Header=BB45_16 Depth=1
	ds_read_b64 v[4:5], v19 offset:5120
	s_waitcnt lgkmcnt(0)
	v_readfirstlane_b32 s72, v4
.LBB45_43:                              ;   in Loop: Header=BB45_16 Depth=1
	s_cmp_lt_i32 s72, 1
	s_mov_b64 s[0:1], -1
                                        ; implicit-def: $vgpr8_vgpr9
                                        ; implicit-def: $vgpr12_vgpr13
	s_cbranch_scc1 .LBB45_53
; %bb.44:                               ;   in Loop: Header=BB45_16 Depth=1
	s_and_b64 vcc, exec, s[0:1]
	s_cbranch_vccnz .LBB45_67
.LBB45_45:                              ;   in Loop: Header=BB45_16 Depth=1
	s_lshl_b32 s2, s96, 6
	s_and_saveexec_b64 s[0:1], s[4:5]
	s_cbranch_execz .LBB45_47
.LBB45_46:                              ;   in Loop: Header=BB45_16 Depth=1
	v_lshl_add_u32 v2, s2, 3, v52
	ds_write_b128 v2, v[8:11]
	ds_write_b128 v2, v[12:15] offset:16
.LBB45_47:                              ;   in Loop: Header=BB45_16 Depth=1
	s_or_b64 exec, exec, s[0:1]
	s_waitcnt lgkmcnt(0)
	s_barrier
	s_and_saveexec_b64 s[0:1], s[80:81]
	s_cbranch_execz .LBB45_85
; %bb.48:                               ;   in Loop: Header=BB45_16 Depth=1
	v_readlane_b32 s6, v68, 32
	v_readlane_b32 s7, v68, 33
	s_andn2_b64 vcc, exec, s[6:7]
	v_mov_b64_e32 v[4:5], 0
	s_cbranch_vccnz .LBB45_84
; %bb.49:                               ;   in Loop: Header=BB45_16 Depth=1
	v_readlane_b32 s6, v68, 37
	v_readlane_b32 s7, v68, 38
	s_andn2_b64 vcc, exec, s[6:7]
	s_cbranch_vccnz .LBB45_80
; %bb.50:                               ;   in Loop: Header=BB45_16 Depth=1
	v_lshl_add_u32 v2, s96, 9, v54
	v_mov_b64_e32 v[4:5], 0
	s_mov_b32 s3, 0
.LBB45_51:                              ;   Parent Loop BB45_16 Depth=1
                                        ; =>  This Inner Loop Header: Depth=2
	ds_read2_b64 v[8:11], v2 offset1:4
	ds_read2_b64 v[12:15], v2 offset0:8 offset1:12
	ds_read2_b64 v[42:45], v2 offset0:16 offset1:20
	;; [unrolled: 1-line block ×3, first 2 shown]
	s_add_i32 s3, s3, 8
	s_waitcnt lgkmcnt(3)
	v_lshl_add_u64 v[4:5], v[8:9], 0, v[4:5]
	v_lshl_add_u64 v[4:5], v[10:11], 0, v[4:5]
	s_waitcnt lgkmcnt(2)
	v_lshl_add_u64 v[4:5], v[12:13], 0, v[4:5]
	v_lshl_add_u64 v[4:5], v[14:15], 0, v[4:5]
	;; [unrolled: 3-line block ×3, first 2 shown]
	s_waitcnt lgkmcnt(0)
	v_lshl_add_u64 v[4:5], v[60:61], 0, v[4:5]
	v_add_u32_e32 v2, 0x100, v2
	s_cmp_eq_u32 s33, s3
	v_lshl_add_u64 v[4:5], v[62:63], 0, v[4:5]
	s_cbranch_scc0 .LBB45_51
; %bb.52:                               ;   in Loop: Header=BB45_16 Depth=1
	s_mov_b32 s3, s33
	s_branch .LBB45_81
.LBB45_53:                              ;   in Loop: Header=BB45_16 Depth=1
	global_load_ushort v2, v19, s[88:89]
	s_mov_b32 s0, s85
	s_waitcnt vmcnt(0)
	v_readfirstlane_b32 s1, v2
	s_and_b32 s98, s1, 0xffff
	s_lshl_b32 s84, s98, 2
	s_mov_b32 s1, s57
	s_cmp_lg_u64 s[0:1], 0
	s_cbranch_scc0 .LBB45_76
; %bb.54:                               ;   in Loop: Header=BB45_16 Depth=1
	s_add_u32 s0, s84, 0
	s_addc_u32 s1, 0, 0
	s_xor_b64 s[0:1], s[0:1], 0
	v_cvt_f32_u32_e32 v2, s0
	v_cvt_f32_u32_e32 v4, s1
	s_sub_u32 s6, 0, s0
	s_subb_u32 s7, 0, s1
	v_fmac_f32_e32 v2, 0x4f800000, v4
	v_rcp_f32_e32 v2, v2
	s_nop 0
	v_mul_f32_e32 v2, 0x5f7ffffc, v2
	v_mul_f32_e32 v4, 0x2f800000, v2
	v_trunc_f32_e32 v4, v4
	v_fmac_f32_e32 v2, 0xcf800000, v4
	v_cvt_u32_f32_e32 v4, v4
	v_cvt_u32_f32_e32 v2, v2
	v_readfirstlane_b32 s8, v4
	v_readfirstlane_b32 s2, v2
	s_mul_i32 s3, s6, s8
	s_mul_hi_u32 s12, s6, s2
	s_mul_i32 s9, s7, s2
	s_add_i32 s3, s12, s3
	s_mul_i32 s13, s6, s2
	s_add_i32 s3, s3, s9
	s_mul_i32 s12, s2, s3
	s_mul_hi_u32 s14, s2, s13
	s_mul_hi_u32 s9, s2, s3
	s_add_u32 s12, s14, s12
	s_addc_u32 s9, 0, s9
	s_mul_hi_u32 s15, s8, s13
	s_mul_i32 s13, s8, s13
	s_add_u32 s12, s12, s13
	s_mul_hi_u32 s14, s8, s3
	s_addc_u32 s9, s9, s15
	s_addc_u32 s12, s14, 0
	s_mul_i32 s3, s8, s3
	s_add_u32 s3, s9, s3
	s_addc_u32 s9, 0, s12
	s_add_u32 s12, s2, s3
	s_cselect_b64 s[2:3], -1, 0
	s_cmp_lg_u64 s[2:3], 0
	s_addc_u32 s8, s8, s9
	s_mul_i32 s2, s6, s8
	s_mul_hi_u32 s3, s6, s12
	s_add_i32 s2, s3, s2
	s_mul_i32 s7, s7, s12
	s_add_i32 s2, s2, s7
	s_mul_i32 s6, s6, s12
	s_mul_hi_u32 s7, s8, s6
	s_mul_i32 s9, s8, s6
	s_mul_i32 s14, s12, s2
	s_mul_hi_u32 s6, s12, s6
	s_mul_hi_u32 s13, s12, s2
	s_add_u32 s6, s6, s14
	s_addc_u32 s13, 0, s13
	s_add_u32 s6, s6, s9
	s_mul_hi_u32 s3, s8, s2
	s_addc_u32 s6, s13, s7
	s_addc_u32 s3, s3, 0
	s_mul_i32 s2, s8, s2
	s_add_u32 s2, s6, s2
	s_addc_u32 s6, 0, s3
	s_add_u32 s9, s12, s2
	s_cselect_b64 s[2:3], -1, 0
	s_cmp_lg_u64 s[2:3], 0
	s_addc_u32 s8, s8, s6
	s_ashr_i32 s2, s57, 31
	s_add_u32 s6, s56, s2
	s_mov_b32 s3, s2
	s_addc_u32 s7, s57, s2
	s_xor_b64 s[6:7], s[6:7], s[2:3]
	s_mul_i32 s13, s6, s8
	s_mul_hi_u32 s14, s6, s9
	s_mul_hi_u32 s12, s6, s8
	s_add_u32 s13, s14, s13
	s_addc_u32 s12, 0, s12
	s_mul_hi_u32 s15, s7, s9
	s_mul_i32 s9, s7, s9
	s_add_u32 s9, s13, s9
	s_mul_hi_u32 s14, s7, s8
	s_addc_u32 s9, s12, s15
	s_addc_u32 s12, s14, 0
	s_mul_i32 s8, s7, s8
	s_add_u32 s8, s9, s8
	s_addc_u32 s9, 0, s12
	s_mul_i32 s9, s0, s9
	s_mul_hi_u32 s12, s0, s8
	s_add_i32 s9, s12, s9
	s_mul_i32 s12, s1, s8
	s_add_i32 s14, s9, s12
	s_sub_i32 s12, s7, s14
	s_mul_i32 s8, s0, s8
	s_sub_u32 s6, s6, s8
	s_cselect_b64 s[8:9], -1, 0
	s_cmp_lg_u64 s[8:9], 0
	s_subb_u32 s15, s12, s1
	s_sub_u32 s16, s6, s0
	s_cselect_b64 s[12:13], -1, 0
	s_cmp_lg_u64 s[12:13], 0
	s_subb_u32 s17, s15, 0
	s_cmp_ge_u32 s17, s1
	s_cselect_b32 s18, -1, 0
	s_cmp_ge_u32 s16, s0
	s_cselect_b32 s19, -1, 0
	s_cmp_eq_u32 s17, s1
	s_cselect_b32 s18, s19, s18
	s_cmp_lg_u64 s[12:13], 0
	s_subb_u32 s15, s15, s1
	s_sub_u32 s19, s16, s0
	s_cselect_b64 s[12:13], -1, 0
	s_cmp_lg_u64 s[12:13], 0
	s_subb_u32 s12, s15, 0
	s_cmp_lg_u32 s18, 0
	s_cselect_b32 s13, s19, s16
	s_cselect_b32 s12, s12, s17
	s_cmp_lg_u64 s[8:9], 0
	s_subb_u32 s7, s7, s14
	s_cmp_ge_u32 s7, s1
	s_cselect_b32 s8, -1, 0
	s_cmp_ge_u32 s6, s0
	s_cselect_b32 s0, -1, 0
	s_cmp_eq_u32 s7, s1
	s_cselect_b32 s0, s0, s8
	s_cmp_lg_u32 s0, 0
	s_cselect_b32 s1, s12, s7
	s_cselect_b32 s0, s13, s6
	s_xor_b64 s[0:1], s[0:1], s[2:3]
	s_sub_u32 s78, s0, s2
	s_subb_u32 s79, s1, s2
	s_cbranch_execnz .LBB45_56
.LBB45_55:                              ;   in Loop: Header=BB45_16 Depth=1
	v_cvt_f32_u32_e32 v2, s84
	s_sub_i32 s0, 0, s84
	s_mov_b32 s79, s85
	v_rcp_iflag_f32_e32 v2, v2
	s_nop 0
	v_mul_f32_e32 v2, 0x4f7ffffe, v2
	v_cvt_u32_f32_e32 v2, v2
	s_nop 0
	v_readfirstlane_b32 s1, v2
	s_mul_i32 s0, s0, s1
	s_mul_hi_u32 s0, s1, s0
	s_add_i32 s1, s1, s0
	s_mul_hi_u32 s0, s56, s1
	s_mul_i32 s0, s0, s84
	s_sub_i32 s0, s56, s0
	s_sub_i32 s1, s0, s84
	s_cmp_ge_u32 s0, s84
	s_cselect_b32 s0, s1, s0
	s_sub_i32 s1, s0, s84
	s_cmp_ge_u32 s0, s84
	s_cselect_b32 s78, s1, s0
.LBB45_56:                              ;   in Loop: Header=BB45_16 Depth=1
	s_sub_u32 s28, s56, s78
	s_subb_u32 s29, s57, s79
	s_mov_b32 s99, s85
	v_cmp_gt_i64_e32 vcc, s[28:29], v[22:23]
	v_mov_b64_e32 v[8:9], 0
	v_mov_b64_e32 v[10:11], 0
	;; [unrolled: 1-line block ×4, first 2 shown]
	s_and_saveexec_b64 s[54:55], vcc
	s_cbranch_execz .LBB45_60
; %bb.57:                               ;   in Loop: Header=BB45_16 Depth=1
	s_mul_i32 s0, s67, s98
	s_mul_hi_u32 s1, s66, s98
	s_add_i32 s73, s1, s0
	s_mov_b64 s[12:13], 0
	s_mov_b64 s[64:65], s[92:93]
	;; [unrolled: 1-line block ×7, first 2 shown]
	v_mov_b64_e32 v[4:5], v[22:23]
.LBB45_58:                              ;   Parent Loop BB45_16 Depth=1
                                        ; =>  This Inner Loop Header: Depth=2
	v_lshl_add_u64 v[8:9], s[88:89], 0, v[34:35]
	v_lshl_add_u64 v[10:11], s[88:89], 0, v[32:33]
	;; [unrolled: 1-line block ×4, first 2 shown]
	global_load_dwordx2 v[8:9], v[8:9], off
	s_nop 0
	global_load_dwordx2 v[10:11], v[10:11], off
	s_nop 0
	;; [unrolled: 2-line block ×3, first 2 shown]
	global_load_dwordx2 v[14:15], v[14:15], off
	v_mov_b32_e32 v43, v19
	v_mov_b32_e32 v45, v19
	;; [unrolled: 1-line block ×3, first 2 shown]
	s_mul_i32 s94, s66, s98
	v_lshl_add_u64 v[4:5], v[4:5], 0, s[84:85]
	v_cmp_le_i64_e32 vcc, s[28:29], v[4:5]
	s_waitcnt vmcnt(3)
	v_ashrrev_i32_e32 v2, 31, v9
	s_waitcnt vmcnt(2)
	v_ashrrev_i32_e32 v18, 31, v11
	v_xor_b32_e32 v46, v18, v10
	v_cmp_o_f64_e64 s[0:1], v[10:11], v[10:11]
	v_xor_b32_e32 v10, v2, v8
	v_or_b32_e32 v2, 0x80000000, v2
	s_waitcnt vmcnt(1)
	v_ashrrev_i32_e32 v42, 31, v13
	s_waitcnt vmcnt(0)
	v_ashrrev_i32_e32 v44, 31, v15
	v_cmp_o_f64_e64 s[16:17], v[8:9], v[8:9]
	v_or_b32_e32 v8, 0x80000000, v18
	v_xor_b32_e32 v2, v2, v9
	v_xor_b32_e32 v55, v42, v12
	v_cmp_o_f64_e64 s[2:3], v[12:13], v[12:13]
	v_xor_b32_e32 v60, v44, v14
	v_cmp_o_f64_e64 s[14:15], v[14:15], v[14:15]
	v_or_b32_e32 v12, 0x80000000, v42
	v_or_b32_e32 v14, 0x80000000, v44
	v_xor_b32_e32 v11, v8, v11
	v_cndmask_b32_e64 v8, -1, v10, s[16:17]
	v_cndmask_b32_e64 v9, -1, v2, s[16:17]
	v_xor_b32_e32 v13, v12, v13
	v_xor_b32_e32 v15, v14, v15
	v_cndmask_b32_e64 v10, -1, v46, s[0:1]
	v_cndmask_b32_e64 v14, -1, v60, s[14:15]
	v_cndmask_b32_e64 v11, -1, v11, s[0:1]
	v_and_b32_e32 v60, v8, v38
	v_and_b32_e32 v61, v9, v39
	v_lshrrev_b64 v[8:9], s91, v[8:9]
	v_cndmask_b32_e64 v12, -1, v55, s[2:3]
	v_cndmask_b32_e64 v13, -1, v13, s[2:3]
	v_and_b32_e32 v62, v10, v38
	v_and_b32_e32 v63, v11, v39
	v_lshrrev_b64 v[10:11], s91, v[10:11]
	v_and_b32_e32 v18, 3, v8
	v_cndmask_b32_e64 v15, -1, v15, s[14:15]
	v_and_b32_e32 v64, v12, v38
	v_and_b32_e32 v65, v13, v39
	v_lshrrev_b64 v[12:13], s91, v[12:13]
	v_cmp_eq_u64_e64 s[2:3], v[60:61], v[30:31]
	v_and_b32_e32 v42, 3, v10
	v_cmp_eq_u64_e64 s[18:19], 0, v[18:19]
	v_and_b32_e32 v66, v14, v38
	v_and_b32_e32 v67, v15, v39
	v_lshrrev_b64 v[14:15], s91, v[14:15]
	v_cmp_eq_u64_e64 s[14:15], v[62:63], v[30:31]
	v_and_b32_e32 v44, 3, v12
	v_cmp_eq_u64_e64 s[20:21], 0, v[42:43]
	s_and_b64 s[18:19], s[2:3], s[18:19]
	v_cmp_eq_u64_e64 s[16:17], v[64:65], v[30:31]
	v_and_b32_e32 v46, 3, v14
	v_cmp_eq_u64_e64 s[22:23], 0, v[44:45]
	v_cndmask_b32_e64 v2, 0, 1, s[18:19]
	s_and_b64 s[18:19], s[14:15], s[20:21]
	v_cmp_eq_u64_e64 s[0:1], v[66:67], v[30:31]
	v_cmp_eq_u64_e64 s[24:25], 0, v[46:47]
	v_cndmask_b32_e64 v8, 0, 1, s[18:19]
	s_and_b64 s[18:19], s[16:17], s[22:23]
	v_cndmask_b32_e64 v9, 0, 1, s[18:19]
	s_and_b64 s[18:19], s[0:1], s[24:25]
	v_cndmask_b32_e64 v10, 0, 1, s[18:19]
	v_cmp_ne_u32_e64 s[18:19], 0, v2
	v_cmp_ne_u32_e64 s[20:21], 0, v8
	v_cmp_ne_u32_e64 s[22:23], 0, v9
	v_cmp_ne_u32_e64 s[24:25], 0, v10
	s_bcnt1_i32_b64 s18, s[18:19]
	s_bcnt1_i32_b64 s19, s[20:21]
	s_bcnt1_i32_b64 s20, s[22:23]
	s_bcnt1_i32_b64 s21, s[24:25]
	s_add_u32 s6, s18, s6
	s_addc_u32 s7, 0, s7
	s_add_u32 s6, s6, s19
	s_addc_u32 s7, s7, 0
	;; [unrolled: 2-line block ×3, first 2 shown]
	v_cmp_eq_u64_e64 s[26:27], 1, v[18:19]
	s_add_u32 s6, s6, s21
	v_cmp_eq_u64_e64 s[30:31], 1, v[42:43]
	s_addc_u32 s7, s7, 0
	s_and_b64 s[18:19], s[2:3], s[26:27]
	v_cmp_eq_u64_e64 s[34:35], 1, v[44:45]
	v_cndmask_b32_e64 v2, 0, 1, s[18:19]
	s_and_b64 s[18:19], s[14:15], s[30:31]
	v_cmp_eq_u64_e64 s[36:37], 1, v[46:47]
	v_cndmask_b32_e64 v10, 0, 1, s[18:19]
	s_and_b64 s[18:19], s[16:17], s[34:35]
	v_cndmask_b32_e64 v11, 0, 1, s[18:19]
	s_and_b64 s[18:19], s[0:1], s[36:37]
	v_cndmask_b32_e64 v12, 0, 1, s[18:19]
	v_cmp_ne_u32_e64 s[18:19], 0, v2
	v_cmp_ne_u32_e64 s[20:21], 0, v10
	;; [unrolled: 1-line block ×4, first 2 shown]
	s_bcnt1_i32_b64 s18, s[18:19]
	s_bcnt1_i32_b64 s19, s[20:21]
	;; [unrolled: 1-line block ×4, first 2 shown]
	s_add_u32 s18, s18, s80
	s_addc_u32 s22, 0, s81
	s_add_u32 s18, s18, s19
	s_addc_u32 s19, s22, 0
	;; [unrolled: 2-line block ×3, first 2 shown]
	v_cmp_eq_u64_e64 s[38:39], 2, v[18:19]
	s_add_u32 s80, s18, s21
	v_cmp_eq_u64_e64 s[40:41], 2, v[42:43]
	s_addc_u32 s81, s19, 0
	s_and_b64 s[18:19], s[2:3], s[38:39]
	v_cmp_eq_u64_e64 s[42:43], 2, v[44:45]
	v_cndmask_b32_e64 v2, 0, 1, s[18:19]
	s_and_b64 s[18:19], s[14:15], s[40:41]
	v_cmp_eq_u64_e64 s[44:45], 2, v[46:47]
	v_cndmask_b32_e64 v12, 0, 1, s[18:19]
	s_and_b64 s[18:19], s[16:17], s[42:43]
	v_cndmask_b32_e64 v13, 0, 1, s[18:19]
	s_and_b64 s[18:19], s[0:1], s[44:45]
	v_cndmask_b32_e64 v14, 0, 1, s[18:19]
	v_cmp_ne_u32_e64 s[18:19], 0, v2
	v_cmp_ne_u32_e64 s[20:21], 0, v12
	;; [unrolled: 1-line block ×4, first 2 shown]
	s_bcnt1_i32_b64 s18, s[18:19]
	s_bcnt1_i32_b64 s19, s[20:21]
	s_bcnt1_i32_b64 s20, s[22:23]
	s_bcnt1_i32_b64 s21, s[24:25]
	s_add_u32 s18, s18, s92
	s_addc_u32 s22, 0, s93
	s_add_u32 s18, s18, s19
	s_addc_u32 s19, s22, 0
	;; [unrolled: 2-line block ×3, first 2 shown]
	v_cmp_eq_u64_e64 s[46:47], 3, v[18:19]
	s_add_u32 s92, s18, s21
	v_cmp_eq_u64_e64 s[48:49], 3, v[42:43]
	s_addc_u32 s93, s19, 0
	s_and_b64 s[2:3], s[2:3], s[46:47]
	v_cmp_eq_u64_e64 s[50:51], 3, v[44:45]
	v_cmp_eq_u64_e64 s[52:53], 3, v[46:47]
	v_cndmask_b32_e64 v2, 0, 1, s[2:3]
	s_and_b64 s[2:3], s[14:15], s[48:49]
	v_cndmask_b32_e64 v14, 0, 1, s[2:3]
	s_and_b64 s[2:3], s[16:17], s[50:51]
	s_and_b64 s[0:1], s[0:1], s[52:53]
	v_cndmask_b32_e64 v15, 0, 1, s[2:3]
	v_cndmask_b32_e64 v18, 0, 1, s[0:1]
	v_cmp_ne_u32_e64 s[0:1], 0, v2
	v_cmp_ne_u32_e64 s[2:3], 0, v14
	;; [unrolled: 1-line block ×4, first 2 shown]
	s_bcnt1_i32_b64 s0, s[0:1]
	s_bcnt1_i32_b64 s1, s[2:3]
	;; [unrolled: 1-line block ×4, first 2 shown]
	s_add_u32 s0, s0, s8
	s_addc_u32 s8, 0, s9
	s_add_u32 s0, s0, s1
	s_addc_u32 s1, s8, 0
	;; [unrolled: 2-line block ×5, first 2 shown]
	v_mov_b64_e32 v[8:9], s[6:7]
	v_mov_b64_e32 v[10:11], s[80:81]
	;; [unrolled: 1-line block ×3, first 2 shown]
	s_or_b64 s[12:13], vcc, s[12:13]
	v_mov_b64_e32 v[14:15], s[8:9]
	s_andn2_b64 exec, exec, s[12:13]
	s_cbranch_execnz .LBB45_58
; %bb.59:                               ;   in Loop: Header=BB45_16 Depth=1
	s_or_b64 exec, exec, s[12:13]
	v_readlane_b32 s80, v68, 46
	v_readlane_b32 s88, v68, 48
	s_mov_b64 s[92:93], s[64:65]
	v_readlane_b32 s81, v68, 47
	v_readlane_b32 s89, v68, 49
.LBB45_60:                              ;   in Loop: Header=BB45_16 Depth=1
	s_or_b64 exec, exec, s[54:55]
	v_lshl_add_u64 v[4:5], s[28:29], 0, v[0:1]
	v_cmp_gt_i64_e32 vcc, s[56:57], v[4:5]
	s_and_saveexec_b64 s[2:3], vcc
	s_cbranch_execz .LBB45_66
; %bb.61:                               ;   in Loop: Header=BB45_16 Depth=1
	v_mul_lo_u32 v2, v5, s62
	v_mul_lo_u32 v18, v4, s63
	v_mad_u64_u32 v[42:43], s[0:1], v4, s62, 0
	v_add3_u32 v43, v43, v18, v2
	v_lshl_add_u64 v[42:43], v[42:43], 3, s[92:93]
	global_load_dwordx2 v[44:45], v[42:43], off
	v_lshl_add_u64 v[42:43], v[36:37], 0, s[98:99]
	v_readlane_b32 s0, v68, 44
	v_mov_b32_e32 v2, s79
	v_subrev_co_u32_e32 v18, vcc, s78, v42
	v_readlane_b32 s1, v68, 45
	s_nop 0
	v_subb_co_u32_e32 v2, vcc, v43, v2, vcc
	v_readlane_b32 s6, v68, 42
	v_mov_b64_e32 v[42:43], s[0:1]
	v_readlane_b32 s7, v68, 43
	v_mad_u64_u32 v[42:43], s[0:1], s6, v18, v[42:43]
	v_mul_lo_u32 v2, s6, v2
	v_mul_lo_u32 v46, s7, v18
	s_mul_i32 s0, s7, s98
	s_mul_hi_u32 s1, s6, s98
	v_add3_u32 v43, v46, v43, v2
	s_add_i32 s7, s1, s0
	s_mul_i32 s6, s6, s98
	s_mov_b64 s[8:9], 0
	s_branch .LBB45_63
.LBB45_62:                              ;   in Loop: Header=BB45_63 Depth=2
	s_or_b64 exec, exec, s[12:13]
	s_waitcnt vmcnt(0)
	v_ashrrev_i32_e32 v2, 31, v45
	v_or_b32_e32 v18, 0x80000000, v2
	s_and_b64 s[0:1], exec, vcc
	v_xor_b32_e32 v18, v18, v45
	v_xor_b32_e32 v2, v2, v44
	v_cmp_o_f64_e32 vcc, v[44:45], v[44:45]
	s_or_b64 s[8:9], s[0:1], s[8:9]
	v_lshl_add_u64 v[42:43], v[42:43], 0, s[6:7]
	v_cndmask_b32_e32 v45, -1, v18, vcc
	v_cndmask_b32_e32 v44, -1, v2, vcc
	v_and_b32_e32 v61, v45, v39
	v_and_b32_e32 v60, v44, v38
	v_lshrrev_b64 v[44:45], s91, v[44:45]
	v_and_b32_e32 v18, 3, v44
	v_cmp_eq_u64_e32 vcc, v[60:61], v[30:31]
	v_cmp_eq_u64_e64 s[0:1], 0, v[18:19]
	s_and_b64 s[0:1], vcc, s[0:1]
	v_mov_b64_e32 v[44:45], v[46:47]
	v_cndmask_b32_e64 v2, 0, 1, s[0:1]
	v_cmp_ne_u32_e64 s[0:1], 0, v2
	s_bcnt1_i32_b64 s84, s[0:1]
	v_cmp_eq_u64_e64 s[0:1], 1, v[18:19]
	s_and_b64 s[0:1], vcc, s[0:1]
	v_lshl_add_u64 v[8:9], s[84:85], 0, v[8:9]
	v_cndmask_b32_e64 v2, 0, 1, s[0:1]
	v_cmp_ne_u32_e64 s[0:1], 0, v2
	s_bcnt1_i32_b64 s84, s[0:1]
	v_cmp_eq_u64_e64 s[0:1], 2, v[18:19]
	s_and_b64 s[0:1], vcc, s[0:1]
	v_lshl_add_u64 v[10:11], s[84:85], 0, v[10:11]
	;; [unrolled: 6-line block ×3, first 2 shown]
	v_cndmask_b32_e64 v2, 0, 1, s[0:1]
	v_cmp_ne_u32_e32 vcc, 0, v2
	s_bcnt1_i32_b64 s84, vcc
	v_lshl_add_u64 v[14:15], s[84:85], 0, v[14:15]
	s_andn2_b64 exec, exec, s[8:9]
	s_cbranch_execz .LBB45_65
.LBB45_63:                              ;   Parent Loop BB45_16 Depth=1
                                        ; =>  This Inner Loop Header: Depth=2
	v_lshl_add_u64 v[4:5], v[4:5], 0, s[98:99]
	v_cmp_gt_i64_e64 s[0:1], s[56:57], v[4:5]
	v_cmp_le_i64_e32 vcc, s[56:57], v[4:5]
	v_mov_b64_e32 v[46:47], 0
	s_and_saveexec_b64 s[12:13], s[0:1]
	s_cbranch_execz .LBB45_62
; %bb.64:                               ;   in Loop: Header=BB45_63 Depth=2
	global_load_dwordx2 v[46:47], v[42:43], off
	s_branch .LBB45_62
.LBB45_65:                              ;   in Loop: Header=BB45_16 Depth=1
	s_or_b64 exec, exec, s[8:9]
.LBB45_66:                              ;   in Loop: Header=BB45_16 Depth=1
	s_or_b64 exec, exec, s[2:3]
	s_branch .LBB45_45
.LBB45_67:                              ;   in Loop: Header=BB45_16 Depth=1
	global_load_ushort v2, v19, s[88:89]
	v_mov_b64_e32 v[8:9], 0
	v_mov_b64_e32 v[10:11], 0
	;; [unrolled: 1-line block ×4, first 2 shown]
	s_waitcnt vmcnt(0)
	v_readfirstlane_b32 s0, v2
	s_and_b32 s73, 0xffff, s0
	s_lshl_b32 s84, s73, 2
	v_cvt_f32_u32_e32 v4, s84
	s_sub_i32 s0, 0, s84
	v_rcp_iflag_f32_e32 v4, v4
	s_nop 0
	v_mul_f32_e32 v4, 0x4f7ffffe, v4
	v_cvt_u32_f32_e32 v4, v4
	s_nop 0
	v_readfirstlane_b32 s1, v4
	s_mul_i32 s0, s0, s1
	s_mul_hi_u32 s0, s1, s0
	s_add_i32 s1, s1, s0
	s_mul_hi_u32 s0, s72, s1
	s_mul_i32 s1, s0, s84
	s_sub_i32 s1, s72, s1
	s_add_i32 s2, s0, 1
	s_sub_i32 s3, s1, s84
	s_cmp_ge_u32 s1, s84
	s_cselect_b32 s0, s2, s0
	s_cselect_b32 s1, s3, s1
	s_add_i32 s2, s0, 1
	s_cmp_ge_u32 s1, s84
	s_cselect_b32 s0, s2, s0
	s_mul_hi_u32 s7, s73, s0
	s_mul_i32 s6, s73, s0
	s_lshl_b64 s[8:9], s[6:7], 2
	v_cmp_gt_u64_e32 vcc, s[8:9], v[22:23]
	s_and_saveexec_b64 s[12:13], vcc
	s_cbranch_execz .LBB45_71
; %bb.68:                               ;   in Loop: Header=BB45_16 Depth=1
	s_lshl_b32 s7, s73, 5
	s_mov_b64 s[28:29], 0
	v_mov_b32_e32 v55, v53
	s_mov_b64 s[54:55], 0
	s_mov_b64 s[78:79], 0
	;; [unrolled: 1-line block ×4, first 2 shown]
	v_mov_b64_e32 v[4:5], v[22:23]
.LBB45_69:                              ;   Parent Loop BB45_16 Depth=1
                                        ; =>  This Inner Loop Header: Depth=2
	ds_read_b128 v[12:15], v55
	ds_read_b128 v[8:11], v55 offset:16
	v_mov_b32_e32 v43, v19
	v_mov_b32_e32 v45, v19
	;; [unrolled: 1-line block ×3, first 2 shown]
	s_waitcnt lgkmcnt(1)
	v_ashrrev_i32_e32 v18, 31, v13
	s_waitcnt lgkmcnt(0)
	v_ashrrev_i32_e32 v46, 31, v11
	v_ashrrev_i32_e32 v42, 31, v15
	;; [unrolled: 1-line block ×3, first 2 shown]
	v_xor_b32_e32 v61, v46, v10
	v_cmp_o_f64_e64 s[14:15], v[10:11], v[10:11]
	v_or_b32_e32 v10, 0x80000000, v18
	v_xor_b32_e32 v60, v42, v14
	v_cmp_o_f64_e64 s[0:1], v[14:15], v[14:15]
	v_xor_b32_e32 v14, v44, v8
	v_cmp_o_f64_e64 s[2:3], v[8:9], v[8:9]
	v_xor_b32_e32 v8, v18, v12
	v_cmp_o_f64_e64 s[16:17], v[12:13], v[12:13]
	v_or_b32_e32 v12, 0x80000000, v42
	v_or_b32_e32 v18, 0x80000000, v44
	v_xor_b32_e32 v13, v10, v13
	v_or_b32_e32 v42, 0x80000000, v46
	v_xor_b32_e32 v15, v12, v15
	v_xor_b32_e32 v18, v18, v9
	v_cndmask_b32_e64 v8, -1, v8, s[16:17]
	v_cndmask_b32_e64 v9, -1, v13, s[16:17]
	v_xor_b32_e32 v42, v42, v11
	v_cndmask_b32_e64 v10, -1, v60, s[0:1]
	v_cndmask_b32_e64 v12, -1, v14, s[2:3]
	;; [unrolled: 1-line block ×4, first 2 shown]
	v_and_b32_e32 v60, v8, v38
	v_and_b32_e32 v61, v9, v39
	v_lshrrev_b64 v[8:9], s91, v[8:9]
	v_cndmask_b32_e64 v13, -1, v18, s[2:3]
	v_and_b32_e32 v62, v10, v38
	v_and_b32_e32 v63, v11, v39
	v_lshrrev_b64 v[10:11], s91, v[10:11]
	v_and_b32_e32 v18, 3, v8
	v_cndmask_b32_e64 v15, -1, v42, s[14:15]
	v_and_b32_e32 v64, v12, v38
	v_and_b32_e32 v65, v13, v39
	v_lshrrev_b64 v[12:13], s91, v[12:13]
	v_cmp_eq_u64_e64 s[18:19], v[60:61], v[30:31]
	v_and_b32_e32 v42, 3, v10
	v_cmp_eq_u64_e64 s[2:3], 0, v[18:19]
	v_and_b32_e32 v66, v14, v38
	v_and_b32_e32 v67, v15, v39
	v_lshrrev_b64 v[14:15], s91, v[14:15]
	v_cmp_eq_u64_e64 s[16:17], v[62:63], v[30:31]
	v_and_b32_e32 v44, 3, v12
	v_cmp_eq_u64_e64 s[30:31], 0, v[42:43]
	s_and_b64 s[2:3], s[18:19], s[2:3]
	v_cmp_eq_u64_e64 s[14:15], v[64:65], v[30:31]
	v_and_b32_e32 v46, 3, v14
	v_cmp_eq_u64_e64 s[34:35], 0, v[44:45]
	v_cndmask_b32_e64 v8, 0, 1, s[2:3]
	s_and_b64 s[2:3], s[16:17], s[30:31]
	v_cmp_eq_u64_e64 s[0:1], v[66:67], v[30:31]
	v_cmp_eq_u64_e64 s[36:37], 0, v[46:47]
	v_cndmask_b32_e64 v9, 0, 1, s[2:3]
	s_and_b64 s[2:3], s[14:15], s[34:35]
	v_cndmask_b32_e64 v10, 0, 1, s[2:3]
	s_and_b64 s[2:3], s[0:1], s[36:37]
	v_cndmask_b32_e64 v11, 0, 1, s[2:3]
	v_cmp_ne_u32_e64 s[2:3], 0, v8
	v_cmp_ne_u32_e64 s[30:31], 0, v9
	v_cmp_ne_u32_e64 s[34:35], 0, v10
	v_cmp_ne_u32_e64 s[36:37], 0, v11
	s_bcnt1_i32_b64 s2, s[2:3]
	s_bcnt1_i32_b64 s3, s[30:31]
	;; [unrolled: 1-line block ×4, first 2 shown]
	s_add_u32 s2, s2, s88
	s_addc_u32 s34, 0, s89
	s_add_u32 s2, s2, s3
	s_addc_u32 s3, s34, 0
	;; [unrolled: 2-line block ×3, first 2 shown]
	v_cmp_eq_u64_e64 s[38:39], 1, v[18:19]
	s_add_u32 s88, s2, s31
	v_cmp_eq_u64_e64 s[40:41], 1, v[42:43]
	s_addc_u32 s89, s3, 0
	s_and_b64 s[2:3], s[18:19], s[38:39]
	v_cmp_eq_u64_e64 s[42:43], 1, v[44:45]
	v_cndmask_b32_e64 v10, 0, 1, s[2:3]
	s_and_b64 s[2:3], s[16:17], s[40:41]
	v_cmp_eq_u64_e64 s[44:45], 1, v[46:47]
	v_cndmask_b32_e64 v11, 0, 1, s[2:3]
	s_and_b64 s[2:3], s[14:15], s[42:43]
	v_cndmask_b32_e64 v12, 0, 1, s[2:3]
	s_and_b64 s[2:3], s[0:1], s[44:45]
	v_cndmask_b32_e64 v13, 0, 1, s[2:3]
	v_cmp_ne_u32_e64 s[2:3], 0, v10
	v_cmp_ne_u32_e64 s[30:31], 0, v11
	;; [unrolled: 1-line block ×4, first 2 shown]
	s_bcnt1_i32_b64 s2, s[2:3]
	s_bcnt1_i32_b64 s3, s[30:31]
	;; [unrolled: 1-line block ×4, first 2 shown]
	s_add_u32 s2, s2, s80
	s_addc_u32 s34, 0, s81
	s_add_u32 s2, s2, s3
	s_addc_u32 s3, s34, 0
	;; [unrolled: 2-line block ×3, first 2 shown]
	v_cmp_eq_u64_e64 s[46:47], 2, v[18:19]
	s_add_u32 s80, s2, s31
	v_cmp_eq_u64_e64 s[48:49], 2, v[42:43]
	s_addc_u32 s81, s3, 0
	s_and_b64 s[2:3], s[18:19], s[46:47]
	v_cmp_eq_u64_e64 s[50:51], 2, v[44:45]
	v_cndmask_b32_e64 v12, 0, 1, s[2:3]
	s_and_b64 s[2:3], s[16:17], s[48:49]
	v_cmp_eq_u64_e64 s[52:53], 2, v[46:47]
	v_cndmask_b32_e64 v13, 0, 1, s[2:3]
	s_and_b64 s[2:3], s[14:15], s[50:51]
	v_cndmask_b32_e64 v14, 0, 1, s[2:3]
	s_and_b64 s[2:3], s[0:1], s[52:53]
	v_cndmask_b32_e64 v15, 0, 1, s[2:3]
	v_cmp_ne_u32_e64 s[2:3], 0, v12
	v_cmp_ne_u32_e64 s[30:31], 0, v13
	;; [unrolled: 1-line block ×4, first 2 shown]
	s_bcnt1_i32_b64 s2, s[2:3]
	s_bcnt1_i32_b64 s3, s[30:31]
	;; [unrolled: 1-line block ×4, first 2 shown]
	s_add_u32 s2, s2, s78
	s_addc_u32 s34, 0, s79
	s_add_u32 s2, s2, s3
	s_addc_u32 s3, s34, 0
	;; [unrolled: 2-line block ×3, first 2 shown]
	v_cmp_eq_u64_e64 s[26:27], 3, v[18:19]
	s_add_u32 s78, s2, s31
	v_cmp_eq_u64_e64 s[24:25], 3, v[42:43]
	s_addc_u32 s79, s3, 0
	s_and_b64 s[2:3], s[18:19], s[26:27]
	v_cmp_eq_u64_e64 s[22:23], 3, v[44:45]
	v_cmp_eq_u64_e64 s[20:21], 3, v[46:47]
	v_cndmask_b32_e64 v14, 0, 1, s[2:3]
	s_and_b64 s[2:3], s[16:17], s[24:25]
	v_cndmask_b32_e64 v15, 0, 1, s[2:3]
	s_and_b64 s[2:3], s[14:15], s[22:23]
	s_and_b64 s[0:1], s[0:1], s[20:21]
	v_cndmask_b32_e64 v18, 0, 1, s[2:3]
	v_cndmask_b32_e64 v42, 0, 1, s[0:1]
	v_cmp_ne_u32_e64 s[0:1], 0, v14
	v_cmp_ne_u32_e64 s[2:3], 0, v15
	;; [unrolled: 1-line block ×4, first 2 shown]
	s_bcnt1_i32_b64 s0, s[0:1]
	s_bcnt1_i32_b64 s1, s[2:3]
	;; [unrolled: 1-line block ×4, first 2 shown]
	s_add_u32 s0, s0, s54
	s_addc_u32 s14, 0, s55
	s_add_u32 s0, s0, s1
	s_addc_u32 s1, s14, 0
	s_add_u32 s0, s0, s2
	s_addc_u32 s1, s1, 0
	v_lshl_add_u64 v[4:5], v[4:5], 0, s[84:85]
	s_add_u32 s54, s0, s3
	v_cmp_le_u64_e32 vcc, s[8:9], v[4:5]
	s_addc_u32 s55, s1, 0
	v_add_u32_e32 v55, s7, v55
	v_mov_b64_e32 v[8:9], s[88:89]
	v_mov_b64_e32 v[10:11], s[80:81]
	;; [unrolled: 1-line block ×3, first 2 shown]
	s_or_b64 s[28:29], vcc, s[28:29]
	v_mov_b64_e32 v[14:15], s[54:55]
	s_andn2_b64 exec, exec, s[28:29]
	s_cbranch_execnz .LBB45_69
; %bb.70:                               ;   in Loop: Header=BB45_16 Depth=1
	s_or_b64 exec, exec, s[28:29]
	v_readlane_b32 s80, v68, 46
	v_readlane_b32 s88, v68, 48
	;; [unrolled: 1-line block ×4, first 2 shown]
.LBB45_71:                              ;   in Loop: Header=BB45_16 Depth=1
	s_or_b64 exec, exec, s[12:13]
	s_and_b32 s12, s72, 0x7fffffff
	s_mov_b32 s13, s85
	v_lshl_add_u64 v[42:43], s[8:9], 0, v[0:1]
	v_and_b32_e32 v4, 0xffff, v2
	v_mov_b32_e32 v5, v19
	v_cmp_gt_u64_e32 vcc, s[12:13], v[42:43]
	s_and_saveexec_b64 s[8:9], vcc
	s_cbranch_execz .LBB45_75
; %bb.72:                               ;   in Loop: Header=BB45_16 Depth=1
	v_lshl_add_u32 v2, s6, 5, v49
	s_lshl_b32 s20, s73, 3
	s_mov_b64 s[6:7], 0
.LBB45_73:                              ;   Parent Loop BB45_16 Depth=1
                                        ; =>  This Inner Loop Header: Depth=2
	ds_read_b64 v[44:45], v2
	v_lshl_add_u64 v[42:43], v[42:43], 0, v[4:5]
	v_cmp_le_u64_e32 vcc, s[12:13], v[42:43]
	v_add_u32_e32 v2, s20, v2
	s_waitcnt lgkmcnt(0)
	v_ashrrev_i32_e32 v18, 31, v45
	v_xor_b32_e32 v46, v18, v44
	v_or_b32_e32 v18, 0x80000000, v18
	v_cmp_o_f64_e64 s[0:1], v[44:45], v[44:45]
	v_xor_b32_e32 v18, v18, v45
	s_nop 0
	v_cndmask_b32_e64 v44, -1, v46, s[0:1]
	v_cndmask_b32_e64 v45, -1, v18, s[0:1]
	v_and_b32_e32 v46, v44, v38
	v_and_b32_e32 v47, v45, v39
	v_lshrrev_b64 v[44:45], s91, v[44:45]
	v_and_b32_e32 v18, 3, v44
	v_cmp_eq_u64_e64 s[0:1], v[46:47], v[30:31]
	v_cmp_eq_u64_e64 s[2:3], 0, v[18:19]
	;; [unrolled: 1-line block ×3, first 2 shown]
	s_and_b64 s[2:3], s[0:1], s[2:3]
	v_cmp_eq_u64_e64 s[16:17], 2, v[18:19]
	v_cmp_eq_u64_e64 s[18:19], 3, v[18:19]
	v_cndmask_b32_e64 v18, 0, 1, s[2:3]
	s_and_b64 s[2:3], s[0:1], s[14:15]
	v_cndmask_b32_e64 v44, 0, 1, s[2:3]
	s_and_b64 s[2:3], s[0:1], s[16:17]
	s_and_b64 s[0:1], s[0:1], s[18:19]
	v_cndmask_b32_e64 v46, 0, 1, s[0:1]
	v_cmp_ne_u32_e64 s[0:1], 0, v18
	v_cndmask_b32_e64 v45, 0, 1, s[2:3]
	v_cmp_ne_u32_e64 s[2:3], 0, v44
	s_bcnt1_i32_b64 s84, s[0:1]
	v_cmp_ne_u32_e64 s[14:15], 0, v45
	v_lshl_add_u64 v[8:9], s[84:85], 0, v[8:9]
	s_bcnt1_i32_b64 s84, s[2:3]
	v_cmp_ne_u32_e64 s[16:17], 0, v46
	v_lshl_add_u64 v[10:11], s[84:85], 0, v[10:11]
	s_bcnt1_i32_b64 s84, s[14:15]
	v_lshl_add_u64 v[12:13], s[84:85], 0, v[12:13]
	s_bcnt1_i32_b64 s84, s[16:17]
	s_or_b64 s[6:7], vcc, s[6:7]
	v_lshl_add_u64 v[14:15], s[84:85], 0, v[14:15]
	s_andn2_b64 exec, exec, s[6:7]
	s_cbranch_execnz .LBB45_73
; %bb.74:                               ;   in Loop: Header=BB45_16 Depth=1
	s_or_b64 exec, exec, s[6:7]
.LBB45_75:                              ;   in Loop: Header=BB45_16 Depth=1
	s_or_b64 exec, exec, s[8:9]
	s_lshl_b32 s2, s96, 6
	s_and_saveexec_b64 s[0:1], s[4:5]
	s_cbranch_execnz .LBB45_46
	s_branch .LBB45_47
.LBB45_76:                              ;   in Loop: Header=BB45_16 Depth=1
                                        ; implicit-def: $sgpr78_sgpr79
	s_branch .LBB45_55
.LBB45_77:                              ;   in Loop: Header=BB45_16 Depth=1
	s_or_b64 exec, exec, s[8:9]
	s_waitcnt lgkmcnt(0)
	s_barrier
	s_mov_b64 s[0:1], exec
	v_readlane_b32 s2, v68, 12
	v_readlane_b32 s3, v68, 13
	s_and_b64 s[2:3], s[0:1], s[2:3]
	s_mov_b64 exec, s[2:3]
	s_cbranch_execz .LBB45_79
; %bb.78:                               ;   in Loop: Header=BB45_16 Depth=1
	ds_read_b32 v4, v19 offset:5136
	s_waitcnt lgkmcnt(0)
	v_ashrrev_i32_e32 v5, 31, v4
	ds_write_b64 v19, v[4:5] offset:5120
.LBB45_79:                              ;   in Loop: Header=BB45_16 Depth=1
	s_or_b64 exec, exec, s[0:1]
	s_waitcnt lgkmcnt(0)
	s_barrier
	s_mov_b64 s[0:1], -1
	s_and_b64 vcc, exec, s[6:7]
	s_cbranch_vccnz .LBB45_32
	s_branch .LBB45_41
.LBB45_80:                              ;   in Loop: Header=BB45_16 Depth=1
	s_mov_b32 s3, 0
	v_mov_b64_e32 v[4:5], 0
.LBB45_81:                              ;   in Loop: Header=BB45_16 Depth=1
	v_readlane_b32 s6, v68, 40
	v_readlane_b32 s7, v68, 41
	s_andn2_b64 vcc, exec, s[6:7]
	s_cbranch_vccnz .LBB45_84
; %bb.82:                               ;   in Loop: Header=BB45_16 Depth=1
	s_lshl_b32 s6, s96, 9
	s_lshl_b32 s3, s3, 5
	s_add_i32 s6, s6, s3
	v_add_u32_e32 v2, s6, v54
	v_readlane_b32 s3, v68, 39
.LBB45_83:                              ;   Parent Loop BB45_16 Depth=1
                                        ; =>  This Inner Loop Header: Depth=2
	ds_read_b64 v[8:9], v2
	s_add_i32 s3, s3, -1
	v_add_u32_e32 v2, 32, v2
	s_cmp_lg_u32 s3, 0
	s_waitcnt lgkmcnt(0)
	v_lshl_add_u64 v[4:5], v[8:9], 0, v[4:5]
	s_cbranch_scc1 .LBB45_83
.LBB45_84:                              ;   in Loop: Header=BB45_16 Depth=1
	v_add_lshl_u32 v2, s2, v48, 3
	ds_write_b64 v2, v[4:5] offset:3072
.LBB45_85:                              ;   in Loop: Header=BB45_16 Depth=1
	s_or_b64 exec, exec, s[0:1]
	s_lshl_b32 s0, s2, 3
	v_mov_b32_e32 v2, s0
	s_waitcnt lgkmcnt(0)
	s_barrier
	ds_read_b128 v[12:15], v2 offset:3088
	ds_read_b128 v[8:11], v2 offset:3072
	s_lshl_b64 s[14:15], 3, s91
	v_cmp_eq_u64_e64 s[0:1], 1, v[40:41]
	s_not_b64 s[24:25], s[14:15]
	s_waitcnt lgkmcnt(1)
	v_readfirstlane_b32 s22, v12
	s_waitcnt lgkmcnt(0)
	v_cmp_eq_u64_e32 vcc, 1, v[8:9]
	v_readfirstlane_b32 s23, v13
	v_readfirstlane_b32 s2, v14
	v_readfirstlane_b32 s3, v15
	s_and_b64 s[18:19], vcc, s[0:1]
	s_mov_b64 s[0:1], -1
	s_mov_b64 s[12:13], -1
                                        ; implicit-def: $sgpr8_sgpr9
                                        ; implicit-def: $sgpr6_sgpr7
	s_and_saveexec_b64 s[16:17], s[18:19]
	s_cbranch_execz .LBB45_119
; %bb.86:                               ;   in Loop: Header=BB45_16 Depth=1
	ds_read_b64 v[4:5], v19 offset:5120
	s_waitcnt lgkmcnt(0)
	s_barrier
	v_readfirstlane_b32 s20, v4
	v_readfirstlane_b32 s21, v5
	s_mov_b64 s[6:7], exec
	v_readlane_b32 s8, v68, 24
	v_readlane_b32 s9, v68, 25
	s_and_b64 s[8:9], s[6:7], s[8:9]
	s_mov_b64 exec, s[8:9]
; %bb.87:                               ;   in Loop: Header=BB45_16 Depth=1
	ds_write_b64 v50, v[58:59]
; %bb.88:                               ;   in Loop: Header=BB45_16 Depth=1
	s_or_b64 exec, exec, s[6:7]
	v_cmp_lt_i64_e64 s[12:13], s[20:21], 1
	v_and_b32_e32 v31, s25, v31
	v_and_b32_e32 v30, s24, v30
	v_or_b32_e32 v39, s15, v39
	v_or_b32_e32 v38, s14, v38
	s_mov_b64 s[6:7], -1
	s_mov_b64 s[8:9], 0
	s_and_b64 vcc, exec, s[12:13]
	s_mov_b64 s[12:13], 0
	s_mov_b64 s[26:27], -1
	s_waitcnt lgkmcnt(0)
	s_barrier
                                        ; implicit-def: $vgpr6_vgpr7
	s_cbranch_vccz .LBB45_103
; %bb.89:                               ;   in Loop: Header=BB45_16 Depth=1
	s_mov_b32 s94, s85
	s_cmp_lg_u64 s[94:95], 0
	s_cbranch_scc0 .LBB45_146
; %bb.90:                               ;   in Loop: Header=BB45_16 Depth=1
	s_add_u32 s12, s82, 0
	s_addc_u32 s13, 0, 0
	s_xor_b64 s[12:13], s[12:13], 0
	v_cvt_f32_u32_e32 v2, s12
	v_cvt_f32_u32_e32 v4, s13
	s_sub_u32 s28, 0, s12
	s_subb_u32 s29, 0, s13
	v_fmac_f32_e32 v2, 0x4f800000, v4
	v_rcp_f32_e32 v2, v2
	s_nop 0
	v_mul_f32_e32 v2, 0x5f7ffffc, v2
	v_mul_f32_e32 v4, 0x2f800000, v2
	v_trunc_f32_e32 v4, v4
	v_fmac_f32_e32 v2, 0xcf800000, v4
	v_cvt_u32_f32_e32 v4, v4
	v_cvt_u32_f32_e32 v2, v2
	v_readfirstlane_b32 s30, v4
	v_readfirstlane_b32 s26, v2
	s_mul_i32 s27, s28, s30
	s_mul_hi_u32 s34, s28, s26
	s_mul_i32 s31, s29, s26
	s_add_i32 s27, s34, s27
	s_mul_i32 s35, s28, s26
	s_add_i32 s27, s27, s31
	s_mul_i32 s34, s26, s27
	s_mul_hi_u32 s36, s26, s35
	s_mul_hi_u32 s31, s26, s27
	s_add_u32 s34, s36, s34
	s_addc_u32 s31, 0, s31
	s_mul_hi_u32 s37, s30, s35
	s_mul_i32 s35, s30, s35
	s_add_u32 s34, s34, s35
	s_mul_hi_u32 s36, s30, s27
	s_addc_u32 s31, s31, s37
	s_addc_u32 s34, s36, 0
	s_mul_i32 s27, s30, s27
	s_add_u32 s27, s31, s27
	s_addc_u32 s31, 0, s34
	s_add_u32 s34, s26, s27
	s_cselect_b64 s[26:27], -1, 0
	s_cmp_lg_u64 s[26:27], 0
	s_addc_u32 s30, s30, s31
	s_mul_i32 s26, s28, s30
	s_mul_hi_u32 s27, s28, s34
	s_add_i32 s26, s27, s26
	s_mul_i32 s29, s29, s34
	s_add_i32 s26, s26, s29
	s_mul_i32 s28, s28, s34
	s_mul_hi_u32 s29, s30, s28
	s_mul_i32 s31, s30, s28
	s_mul_i32 s36, s34, s26
	s_mul_hi_u32 s28, s34, s28
	s_mul_hi_u32 s35, s34, s26
	s_add_u32 s28, s28, s36
	s_addc_u32 s35, 0, s35
	s_add_u32 s28, s28, s31
	s_mul_hi_u32 s27, s30, s26
	s_addc_u32 s28, s35, s29
	s_addc_u32 s27, s27, 0
	s_mul_i32 s26, s30, s26
	s_add_u32 s26, s28, s26
	s_addc_u32 s28, 0, s27
	s_add_u32 s31, s34, s26
	s_cselect_b64 s[26:27], -1, 0
	s_cmp_lg_u64 s[26:27], 0
	s_addc_u32 s30, s30, s28
	s_ashr_i32 s26, s95, 31
	v_readlane_b32 s28, v68, 35
	s_add_u32 s28, s28, s26
	s_mov_b32 s27, s26
	s_addc_u32 s29, s95, s26
	s_xor_b64 s[28:29], s[28:29], s[26:27]
	s_mul_i32 s35, s28, s30
	s_mul_hi_u32 s36, s28, s31
	s_mul_hi_u32 s34, s28, s30
	s_add_u32 s35, s36, s35
	s_addc_u32 s34, 0, s34
	s_mul_hi_u32 s37, s29, s31
	s_mul_i32 s31, s29, s31
	s_add_u32 s31, s35, s31
	s_mul_hi_u32 s36, s29, s30
	s_addc_u32 s31, s34, s37
	s_addc_u32 s34, s36, 0
	s_mul_i32 s30, s29, s30
	s_add_u32 s30, s31, s30
	s_addc_u32 s31, 0, s34
	s_mul_i32 s31, s12, s31
	s_mul_hi_u32 s34, s12, s30
	s_add_i32 s31, s34, s31
	s_mul_i32 s34, s13, s30
	s_add_i32 s36, s31, s34
	s_sub_i32 s34, s29, s36
	s_mul_i32 s30, s12, s30
	s_sub_u32 s28, s28, s30
	s_cselect_b64 s[30:31], -1, 0
	s_cmp_lg_u64 s[30:31], 0
	s_subb_u32 s37, s34, s13
	s_sub_u32 s38, s28, s12
	s_cselect_b64 s[34:35], -1, 0
	s_cmp_lg_u64 s[34:35], 0
	s_subb_u32 s39, s37, 0
	s_cmp_ge_u32 s39, s13
	s_cselect_b32 s40, -1, 0
	s_cmp_ge_u32 s38, s12
	s_cselect_b32 s41, -1, 0
	s_cmp_eq_u32 s39, s13
	s_cselect_b32 s40, s41, s40
	s_cmp_lg_u64 s[34:35], 0
	s_subb_u32 s37, s37, s13
	s_sub_u32 s41, s38, s12
	s_cselect_b64 s[34:35], -1, 0
	s_cmp_lg_u64 s[34:35], 0
	s_subb_u32 s34, s37, 0
	s_cmp_lg_u32 s40, 0
	s_cselect_b32 s35, s41, s38
	s_cselect_b32 s34, s34, s39
	s_cmp_lg_u64 s[30:31], 0
	s_subb_u32 s29, s29, s36
	s_cmp_ge_u32 s29, s13
	s_cselect_b32 s30, -1, 0
	s_cmp_ge_u32 s28, s12
	s_cselect_b32 s12, -1, 0
	s_cmp_eq_u32 s29, s13
	s_cselect_b32 s12, s12, s30
	s_cmp_lg_u32 s12, 0
	s_cselect_b32 s13, s34, s29
	s_cselect_b32 s12, s35, s28
	s_xor_b64 s[12:13], s[12:13], s[26:27]
	s_sub_u32 s12, s12, s26
	s_subb_u32 s13, s13, s26
	s_cbranch_execnz .LBB45_92
.LBB45_91:                              ;   in Loop: Header=BB45_16 Depth=1
	v_cvt_f32_u32_e32 v2, s82
	s_sub_i32 s12, 0, s82
	v_readlane_b32 s26, v68, 35
	v_rcp_iflag_f32_e32 v2, v2
	s_nop 0
	v_mul_f32_e32 v2, 0x4f7ffffe, v2
	v_cvt_u32_f32_e32 v2, v2
	s_nop 0
	v_readfirstlane_b32 s13, v2
	s_mul_i32 s12, s12, s13
	s_mul_hi_u32 s12, s13, s12
	s_add_i32 s13, s13, s12
	s_mul_hi_u32 s12, s26, s13
	s_mul_i32 s12, s12, s82
	s_sub_i32 s12, s26, s12
	s_sub_i32 s13, s12, s82
	s_cmp_ge_u32 s12, s82
	s_cselect_b32 s12, s13, s12
	s_sub_i32 s13, s12, s82
	s_cmp_ge_u32 s12, s82
	s_cselect_b32 s84, s13, s12
	s_mov_b64 s[12:13], s[84:85]
.LBB45_92:                              ;   in Loop: Header=BB45_16 Depth=1
	v_readlane_b32 s26, v68, 35
	s_sub_u32 s30, s26, s12
	s_subb_u32 s31, s95, s13
	v_cmp_gt_i64_e32 vcc, s[30:31], v[0:1]
	s_mov_b64 s[26:27], 0
	s_mov_b64 s[12:13], 0
                                        ; implicit-def: $vgpr6_vgpr7
	s_and_saveexec_b64 s[28:29], vcc
	s_cbranch_execz .LBB45_102
; %bb.93:                               ;   in Loop: Header=BB45_16 Depth=1
	v_mov_b64_e32 v[12:13], v[16:17]
	v_mov_b64_e32 v[14:15], v[0:1]
                                        ; implicit-def: $sgpr34_sgpr35
	s_branch .LBB45_97
.LBB45_94:                              ;   in Loop: Header=BB45_97 Depth=2
	s_or_b64 exec, exec, s[36:37]
	s_waitcnt lgkmcnt(0)
	s_barrier
	ds_read_b128 v[4:7], v19 offset:3072
	s_waitcnt lgkmcnt(0)
	s_barrier
	v_cmp_neq_f64_e32 vcc, 0, v[4:5]
	s_cbranch_vccnz .LBB45_100
; %bb.95:                               ;   in Loop: Header=BB45_97 Depth=2
	v_lshl_add_u64 v[14:15], v[14:15], 0, s[82:83]
	v_cmp_le_i64_e32 vcc, s[30:31], v[14:15]
	v_lshl_add_u64 v[12:13], v[12:13], 0, s[86:87]
	s_mov_b64 s[36:37], 0
	s_orn2_b64 s[38:39], vcc, exec
.LBB45_96:                              ;   in Loop: Header=BB45_97 Depth=2
	s_and_b64 s[38:39], exec, s[38:39]
	s_or_b64 s[12:13], s[38:39], s[12:13]
	s_andn2_b64 s[34:35], s[34:35], exec
	s_and_b64 s[36:37], s[36:37], exec
	s_or_b64 s[34:35], s[34:35], s[36:37]
	s_andn2_b64 exec, exec, s[12:13]
	s_cbranch_execz .LBB45_101
.LBB45_97:                              ;   Parent Loop BB45_16 Depth=1
                                        ; =>  This Inner Loop Header: Depth=2
	v_cmp_gt_i64_e32 vcc, s[56:57], v[14:15]
	s_and_saveexec_b64 s[36:37], vcc
	s_cbranch_execz .LBB45_94
; %bb.98:                               ;   in Loop: Header=BB45_97 Depth=2
	global_load_dwordx2 v[4:5], v[12:13], off
	s_waitcnt vmcnt(0)
	v_ashrrev_i32_e32 v2, 31, v5
	v_or_b32_e32 v6, 0x80000000, v2
	v_xor_b32_e32 v2, v2, v4
	v_xor_b32_e32 v6, v6, v5
	v_cmp_o_f64_e32 vcc, v[4:5], v[4:5]
	s_nop 1
	v_cndmask_b32_e32 v2, -1, v2, vcc
	v_cndmask_b32_e32 v6, -1, v6, vcc
	v_and_b32_e32 v7, v6, v39
	v_and_b32_e32 v6, v2, v38
	v_cmp_eq_u64_e32 vcc, v[6:7], v[30:31]
	s_and_b64 exec, exec, vcc
	s_cbranch_execz .LBB45_94
; %bb.99:                               ;   in Loop: Header=BB45_97 Depth=2
	v_mov_b32_e32 v2, v19
	ds_write_b128 v19, v[2:5] offset:3072
	s_branch .LBB45_94
.LBB45_100:                             ;   in Loop: Header=BB45_97 Depth=2
	s_mov_b64 s[38:39], -1
                                        ; implicit-def: $vgpr14_vgpr15
                                        ; implicit-def: $vgpr12_vgpr13
	s_mov_b64 s[36:37], -1
	s_branch .LBB45_96
.LBB45_101:                             ;   in Loop: Header=BB45_16 Depth=1
	s_or_b64 exec, exec, s[12:13]
	s_and_b64 s[12:13], s[34:35], exec
.LBB45_102:                             ;   in Loop: Header=BB45_16 Depth=1
	s_or_b64 exec, exec, s[28:29]
.LBB45_103:                             ;   in Loop: Header=BB45_16 Depth=1
	s_and_b64 vcc, exec, s[26:27]
	s_cbranch_vccz .LBB45_118
; %bb.104:                              ;   in Loop: Header=BB45_16 Depth=1
	v_readlane_b32 s6, v68, 34
	s_add_u32 s28, s20, s6
	v_readlane_b32 s6, v68, 36
	s_addc_u32 s7, s21, s6
	s_mov_b32 s6, s85
	s_cmp_lg_u64 s[6:7], 0
	s_cbranch_scc0 .LBB45_147
; %bb.105:                              ;   in Loop: Header=BB45_16 Depth=1
	s_add_u32 s8, s82, 0
	s_addc_u32 s9, 0, 0
	s_xor_b64 s[8:9], s[8:9], 0
	v_cvt_f32_u32_e32 v2, s8
	v_cvt_f32_u32_e32 v4, s9
	s_sub_u32 s6, 0, s8
	s_subb_u32 s29, 0, s9
	v_fmac_f32_e32 v2, 0x4f800000, v4
	v_rcp_f32_e32 v2, v2
	s_nop 0
	v_mul_f32_e32 v2, 0x5f7ffffc, v2
	v_mul_f32_e32 v4, 0x2f800000, v2
	v_trunc_f32_e32 v4, v4
	v_fmac_f32_e32 v2, 0xcf800000, v4
	v_cvt_u32_f32_e32 v4, v4
	v_cvt_u32_f32_e32 v2, v2
	v_readfirstlane_b32 s30, v4
	v_readfirstlane_b32 s26, v2
	s_mul_i32 s27, s6, s30
	s_mul_hi_u32 s34, s6, s26
	s_mul_i32 s31, s29, s26
	s_add_i32 s27, s34, s27
	s_mul_i32 s35, s6, s26
	s_add_i32 s27, s27, s31
	s_mul_i32 s34, s26, s27
	s_mul_hi_u32 s36, s26, s35
	s_mul_hi_u32 s31, s26, s27
	s_add_u32 s34, s36, s34
	s_addc_u32 s31, 0, s31
	s_mul_hi_u32 s37, s30, s35
	s_mul_i32 s35, s30, s35
	s_add_u32 s34, s34, s35
	s_mul_hi_u32 s36, s30, s27
	s_addc_u32 s31, s31, s37
	s_addc_u32 s34, s36, 0
	s_mul_i32 s27, s30, s27
	s_add_u32 s27, s31, s27
	s_addc_u32 s31, 0, s34
	s_add_u32 s34, s26, s27
	s_cselect_b64 s[26:27], -1, 0
	s_cmp_lg_u64 s[26:27], 0
	s_addc_u32 s30, s30, s31
	s_mul_i32 s26, s6, s30
	s_mul_hi_u32 s27, s6, s34
	s_add_i32 s26, s27, s26
	s_mul_i32 s29, s29, s34
	s_add_i32 s26, s26, s29
	s_mul_i32 s6, s6, s34
	s_mul_hi_u32 s29, s30, s6
	s_mul_i32 s31, s30, s6
	s_mul_i32 s36, s34, s26
	s_mul_hi_u32 s6, s34, s6
	s_mul_hi_u32 s35, s34, s26
	s_add_u32 s6, s6, s36
	s_addc_u32 s35, 0, s35
	s_add_u32 s6, s6, s31
	s_mul_hi_u32 s27, s30, s26
	s_addc_u32 s6, s35, s29
	s_addc_u32 s27, s27, 0
	s_mul_i32 s26, s30, s26
	s_add_u32 s6, s6, s26
	s_addc_u32 s29, 0, s27
	s_add_u32 s6, s34, s6
	s_cselect_b64 s[26:27], -1, 0
	s_cmp_lg_u64 s[26:27], 0
	s_addc_u32 s29, s30, s29
	s_ashr_i32 s26, s7, 31
	s_add_u32 s30, s28, s26
	s_mov_b32 s27, s26
	s_addc_u32 s31, s7, s26
	s_xor_b64 s[30:31], s[30:31], s[26:27]
	s_mul_i32 s35, s30, s29
	s_mul_hi_u32 s36, s30, s6
	s_mul_hi_u32 s34, s30, s29
	s_add_u32 s35, s36, s35
	s_addc_u32 s34, 0, s34
	s_mul_hi_u32 s37, s31, s6
	s_mul_i32 s6, s31, s6
	s_add_u32 s6, s35, s6
	s_mul_hi_u32 s36, s31, s29
	s_addc_u32 s6, s34, s37
	s_addc_u32 s34, s36, 0
	s_mul_i32 s29, s31, s29
	s_add_u32 s6, s6, s29
	s_addc_u32 s29, 0, s34
	s_mul_i32 s29, s8, s29
	s_mul_hi_u32 s34, s8, s6
	s_add_i32 s29, s34, s29
	s_mul_i32 s34, s9, s6
	s_add_i32 s29, s29, s34
	s_sub_i32 s36, s31, s29
	s_mul_i32 s6, s8, s6
	s_sub_u32 s6, s30, s6
	s_cselect_b64 s[34:35], -1, 0
	s_cmp_lg_u64 s[34:35], 0
	s_subb_u32 s30, s36, s9
	s_sub_u32 s38, s6, s8
	s_cselect_b64 s[36:37], -1, 0
	s_cmp_lg_u64 s[36:37], 0
	s_subb_u32 s39, s30, 0
	s_cmp_ge_u32 s39, s9
	s_cselect_b32 s40, -1, 0
	s_cmp_ge_u32 s38, s8
	s_cselect_b32 s41, -1, 0
	s_cmp_eq_u32 s39, s9
	s_cselect_b32 s40, s41, s40
	s_cmp_lg_u64 s[36:37], 0
	s_subb_u32 s30, s30, s9
	s_sub_u32 s41, s38, s8
	s_cselect_b64 s[36:37], -1, 0
	s_cmp_lg_u64 s[36:37], 0
	s_subb_u32 s30, s30, 0
	s_cmp_lg_u32 s40, 0
	s_cselect_b32 s36, s41, s38
	s_cselect_b32 s30, s30, s39
	s_cmp_lg_u64 s[34:35], 0
	s_subb_u32 s29, s31, s29
	s_cmp_ge_u32 s29, s9
	s_cselect_b32 s31, -1, 0
	s_cmp_ge_u32 s6, s8
	s_cselect_b32 s8, -1, 0
	s_cmp_eq_u32 s29, s9
	s_cselect_b32 s8, s8, s31
	s_cmp_lg_u32 s8, 0
	s_cselect_b32 s9, s30, s29
	s_cselect_b32 s8, s36, s6
	s_xor_b64 s[8:9], s[8:9], s[26:27]
	s_sub_u32 s8, s8, s26
	s_subb_u32 s9, s9, s26
	s_cbranch_execnz .LBB45_107
.LBB45_106:                             ;   in Loop: Header=BB45_16 Depth=1
	v_cvt_f32_u32_e32 v2, s82
	s_sub_i32 s6, 0, s82
	v_rcp_iflag_f32_e32 v2, v2
	s_nop 0
	v_mul_f32_e32 v2, 0x4f7ffffe, v2
	v_cvt_u32_f32_e32 v2, v2
	s_nop 0
	v_readfirstlane_b32 s8, v2
	s_mul_i32 s6, s6, s8
	s_mul_hi_u32 s6, s8, s6
	s_add_i32 s8, s8, s6
	s_mul_hi_u32 s6, s28, s8
	s_mul_i32 s6, s6, s82
	s_sub_i32 s6, s28, s6
	s_sub_i32 s8, s6, s82
	s_cmp_ge_u32 s6, s82
	s_cselect_b32 s6, s8, s6
	s_sub_i32 s8, s6, s82
	s_cmp_ge_u32 s6, s82
	s_cselect_b32 s84, s8, s6
	s_mov_b64 s[8:9], s[84:85]
.LBB45_107:                             ;   in Loop: Header=BB45_16 Depth=1
	s_sub_u32 s8, s28, s8
	s_subb_u32 s9, s7, s9
	v_cmp_gt_i64_e32 vcc, s[8:9], v[0:1]
                                        ; implicit-def: $vgpr6_vgpr7
	s_and_saveexec_b64 s[6:7], vcc
	s_cbranch_execz .LBB45_117
; %bb.108:                              ;   in Loop: Header=BB45_16 Depth=1
	s_mov_b64 s[28:29], 0
	v_mov_b32_e32 v14, v49
	v_mov_b64_e32 v[12:13], v[0:1]
                                        ; implicit-def: $sgpr26_sgpr27
	s_branch .LBB45_112
.LBB45_109:                             ;   in Loop: Header=BB45_112 Depth=2
	s_or_b64 exec, exec, s[30:31]
	s_waitcnt lgkmcnt(0)
	s_barrier
	ds_read_b128 v[4:7], v19 offset:3072
	s_waitcnt lgkmcnt(0)
	s_barrier
	v_cmp_neq_f64_e32 vcc, 0, v[4:5]
	s_cbranch_vccnz .LBB45_115
; %bb.110:                              ;   in Loop: Header=BB45_112 Depth=2
	v_lshl_add_u64 v[12:13], v[12:13], 0, s[82:83]
	v_cmp_le_i64_e32 vcc, s[8:9], v[12:13]
	v_add_u32_e32 v14, s90, v14
	s_mov_b64 s[30:31], 0
	s_orn2_b64 s[34:35], vcc, exec
.LBB45_111:                             ;   in Loop: Header=BB45_112 Depth=2
	s_and_b64 s[34:35], exec, s[34:35]
	s_or_b64 s[28:29], s[34:35], s[28:29]
	s_andn2_b64 s[26:27], s[26:27], exec
	s_and_b64 s[30:31], s[30:31], exec
	s_or_b64 s[26:27], s[26:27], s[30:31]
	s_andn2_b64 exec, exec, s[28:29]
	s_cbranch_execz .LBB45_116
.LBB45_112:                             ;   Parent Loop BB45_16 Depth=1
                                        ; =>  This Inner Loop Header: Depth=2
	v_cmp_gt_u64_e32 vcc, s[20:21], v[12:13]
	s_and_saveexec_b64 s[30:31], vcc
	s_cbranch_execz .LBB45_109
; %bb.113:                              ;   in Loop: Header=BB45_112 Depth=2
	ds_read_b64 v[4:5], v14
	s_waitcnt lgkmcnt(0)
	v_ashrrev_i32_e32 v2, 31, v5
	v_or_b32_e32 v6, 0x80000000, v2
	v_xor_b32_e32 v2, v2, v4
	v_xor_b32_e32 v6, v6, v5
	v_cmp_o_f64_e32 vcc, v[4:5], v[4:5]
	s_nop 1
	v_cndmask_b32_e32 v2, -1, v2, vcc
	v_cndmask_b32_e32 v6, -1, v6, vcc
	v_and_b32_e32 v7, v6, v39
	v_and_b32_e32 v6, v2, v38
	v_cmp_eq_u64_e32 vcc, v[6:7], v[30:31]
	s_and_b64 exec, exec, vcc
	s_cbranch_execz .LBB45_109
; %bb.114:                              ;   in Loop: Header=BB45_112 Depth=2
	v_mov_b32_e32 v2, v19
	ds_write_b128 v19, v[2:5] offset:3072
	s_branch .LBB45_109
.LBB45_115:                             ;   in Loop: Header=BB45_112 Depth=2
	s_mov_b64 s[34:35], -1
                                        ; implicit-def: $vgpr12_vgpr13
                                        ; implicit-def: $vgpr14
	s_mov_b64 s[30:31], -1
	s_branch .LBB45_111
.LBB45_116:                             ;   in Loop: Header=BB45_16 Depth=1
	s_or_b64 exec, exec, s[28:29]
	s_andn2_b64 s[8:9], s[12:13], exec
	s_and_b64 s[12:13], s[26:27], exec
	s_or_b64 s[12:13], s[8:9], s[12:13]
.LBB45_117:                             ;   in Loop: Header=BB45_16 Depth=1
	s_or_b64 exec, exec, s[6:7]
	s_mov_b64 s[6:7], 0
	s_mov_b64 s[8:9], -1
.LBB45_118:                             ;   in Loop: Header=BB45_16 Depth=1
	s_orn2_b64 s[12:13], s[12:13], exec
.LBB45_119:                             ;   in Loop: Header=BB45_16 Depth=1
	s_or_b64 exec, exec, s[16:17]
	s_andn2_b64 s[10:11], s[10:11], exec
	s_and_b64 s[8:9], s[8:9], exec
	s_or_b64 s[10:11], s[10:11], s[8:9]
	s_andn2_b64 s[8:9], s[76:77], exec
	s_and_b64 s[6:7], s[6:7], exec
	s_andn2_b64 s[60:61], s[60:61], exec
	s_or_b64 s[76:77], s[8:9], s[6:7]
                                        ; implicit-def: $vgpr12_vgpr13
	s_and_saveexec_b64 s[16:17], s[12:13]
	s_cbranch_execz .LBB45_15
; %bb.120:                              ;   in Loop: Header=BB45_16 Depth=1
	s_xor_b64 s[6:7], s[18:19], -1
	v_mov_b32_e32 v18, 1
	s_mov_b64 s[8:9], 0
	v_mov_b64_e32 v[12:13], 1
	s_and_saveexec_b64 s[0:1], s[6:7]
	s_cbranch_execz .LBB45_129
; %bb.121:                              ;   in Loop: Header=BB45_16 Depth=1
	v_cmp_le_i64_e32 vcc, v[40:41], v[8:9]
	s_and_saveexec_b64 s[6:7], vcc
	s_xor_b64 s[6:7], exec, s[6:7]
	s_cbranch_execz .LBB45_126
; %bb.122:                              ;   in Loop: Header=BB45_16 Depth=1
	ds_read_b64 v[4:5], v19 offset:5120
	v_and_b32_e32 v31, s25, v31
	v_and_b32_e32 v30, s24, v30
	v_or_b32_e32 v39, s15, v39
	v_or_b32_e32 v38, s14, v38
	s_waitcnt lgkmcnt(0)
	v_cmp_ne_u64_e32 vcc, 0, v[4:5]
	s_cbranch_vccnz .LBB45_126
; %bb.123:                              ;   in Loop: Header=BB45_16 Depth=1
	s_mov_b64 s[8:9], exec
	v_readlane_b32 s12, v68, 12
	v_readlane_b32 s13, v68, 13
	s_and_b64 s[12:13], s[8:9], s[12:13]
	s_mov_b64 exec, s[12:13]
; %bb.124:                              ;   in Loop: Header=BB45_16 Depth=1
	ds_write_b64 v19, v[8:9] offset:5128
; %bb.125:                              ;   in Loop: Header=BB45_16 Depth=1
	s_or_b64 exec, exec, s[8:9]
	s_waitcnt lgkmcnt(0)
	s_barrier
.LBB45_126:                             ;   in Loop: Header=BB45_16 Depth=1
	s_or_saveexec_b64 s[6:7], s[6:7]
	s_mov_b64 s[8:9], 0
	v_mov_b32_e32 v18, 8
	s_xor_b64 exec, exec, s[6:7]
; %bb.127:                              ;   in Loop: Header=BB45_16 Depth=1
	v_sub_co_u32_e32 v40, vcc, v40, v8
	s_mov_b64 s[8:9], exec
	s_nop 0
	v_subb_co_u32_e32 v41, vcc, v41, v9, vcc
	v_mov_b32_e32 v18, 0
; %bb.128:                              ;   in Loop: Header=BB45_16 Depth=1
	s_or_b64 exec, exec, s[6:7]
	s_and_b64 s[8:9], s[8:9], exec
	v_mov_b64_e32 v[12:13], v[40:41]
.LBB45_129:                             ;   in Loop: Header=BB45_16 Depth=1
	s_or_b64 exec, exec, s[0:1]
	s_mov_b64 s[18:19], -1
	s_mov_b64 s[6:7], -1
                                        ; implicit-def: $sgpr0_sgpr1
                                        ; implicit-def: $sgpr26_sgpr27
	s_and_saveexec_b64 s[12:13], s[8:9]
	s_xor_b64 s[20:21], exec, s[12:13]
	s_cbranch_execz .LBB45_277
; %bb.130:                              ;   in Loop: Header=BB45_16 Depth=1
	v_cmp_eq_u64_e32 vcc, 1, v[10:11]
	v_cmp_eq_u64_e64 s[0:1], 1, v[12:13]
	s_and_b64 s[34:35], vcc, s[0:1]
                                        ; implicit-def: $sgpr26_sgpr27
                                        ; implicit-def: $sgpr0_sgpr1
	s_and_saveexec_b64 s[30:31], s[34:35]
	s_cbranch_execz .LBB45_166
; %bb.131:                              ;   in Loop: Header=BB45_16 Depth=1
	ds_read_b64 v[4:5], v19 offset:5120
	s_waitcnt lgkmcnt(0)
	s_barrier
	v_readfirstlane_b32 s36, v4
	v_readfirstlane_b32 s37, v5
	s_mov_b64 s[0:1], exec
	v_readlane_b32 s6, v68, 24
	v_readlane_b32 s7, v68, 25
	s_and_b64 s[6:7], s[0:1], s[6:7]
	s_mov_b64 exec, s[6:7]
; %bb.132:                              ;   in Loop: Header=BB45_16 Depth=1
	ds_write_b64 v50, v[58:59]
; %bb.133:                              ;   in Loop: Header=BB45_16 Depth=1
	s_or_b64 exec, exec, s[0:1]
	s_lshl_b64 s[0:1], 1, s91
	v_and_b32_e32 v2, s25, v31
	v_and_b32_e32 v4, s24, v30
	v_cmp_gt_i64_e64 s[6:7], s[36:37], 0
	v_or_b32_e32 v31, s1, v2
	v_or_b32_e32 v30, s0, v4
	;; [unrolled: 1-line block ×4, first 2 shown]
	s_mov_b64 s[0:1], -1
	s_mov_b64 s[26:27], 0
	s_and_b64 vcc, exec, s[6:7]
	s_mov_b64 s[6:7], 0
	s_mov_b64 s[8:9], -1
	s_waitcnt lgkmcnt(0)
	s_barrier
                                        ; implicit-def: $vgpr6_vgpr7
	s_cbranch_vccnz .LBB45_150
; %bb.134:                              ;   in Loop: Header=BB45_16 Depth=1
	s_mov_b32 s94, s85
	s_cmp_lg_u64 s[94:95], 0
	s_cbranch_scc0 .LBB45_194
; %bb.135:                              ;   in Loop: Header=BB45_16 Depth=1
	s_add_u32 s6, s82, 0
	s_addc_u32 s7, 0, 0
	s_xor_b64 s[6:7], s[6:7], 0
	v_cvt_f32_u32_e32 v2, s6
	v_cvt_f32_u32_e32 v4, s7
	s_sub_u32 s12, 0, s6
	s_subb_u32 s13, 0, s7
	v_fmac_f32_e32 v2, 0x4f800000, v4
	v_rcp_f32_e32 v2, v2
	s_nop 0
	v_mul_f32_e32 v2, 0x5f7ffffc, v2
	v_mul_f32_e32 v4, 0x2f800000, v2
	v_trunc_f32_e32 v4, v4
	v_fmac_f32_e32 v2, 0xcf800000, v4
	v_cvt_u32_f32_e32 v4, v4
	v_cvt_u32_f32_e32 v2, v2
	v_readfirstlane_b32 s28, v4
	v_readfirstlane_b32 s8, v2
	s_mul_i32 s9, s12, s28
	s_mul_hi_u32 s38, s12, s8
	s_mul_i32 s29, s13, s8
	s_add_i32 s9, s38, s9
	s_mul_i32 s39, s12, s8
	s_add_i32 s9, s9, s29
	s_mul_i32 s38, s8, s9
	s_mul_hi_u32 s40, s8, s39
	s_mul_hi_u32 s29, s8, s9
	s_add_u32 s38, s40, s38
	s_addc_u32 s29, 0, s29
	s_mul_hi_u32 s41, s28, s39
	s_mul_i32 s39, s28, s39
	s_add_u32 s38, s38, s39
	s_mul_hi_u32 s40, s28, s9
	s_addc_u32 s29, s29, s41
	s_addc_u32 s38, s40, 0
	s_mul_i32 s9, s28, s9
	s_add_u32 s9, s29, s9
	s_addc_u32 s29, 0, s38
	s_add_u32 s38, s8, s9
	s_cselect_b64 s[8:9], -1, 0
	s_cmp_lg_u64 s[8:9], 0
	s_addc_u32 s28, s28, s29
	s_mul_i32 s8, s12, s28
	s_mul_hi_u32 s9, s12, s38
	s_add_i32 s8, s9, s8
	s_mul_i32 s13, s13, s38
	s_add_i32 s8, s8, s13
	s_mul_i32 s12, s12, s38
	s_mul_hi_u32 s13, s28, s12
	s_mul_i32 s29, s28, s12
	s_mul_i32 s40, s38, s8
	s_mul_hi_u32 s12, s38, s12
	s_mul_hi_u32 s39, s38, s8
	s_add_u32 s12, s12, s40
	s_addc_u32 s39, 0, s39
	s_add_u32 s12, s12, s29
	s_mul_hi_u32 s9, s28, s8
	s_addc_u32 s12, s39, s13
	s_addc_u32 s9, s9, 0
	s_mul_i32 s8, s28, s8
	s_add_u32 s8, s12, s8
	s_addc_u32 s12, 0, s9
	s_add_u32 s29, s38, s8
	s_cselect_b64 s[8:9], -1, 0
	s_cmp_lg_u64 s[8:9], 0
	s_addc_u32 s28, s28, s12
	s_ashr_i32 s8, s95, 31
	v_readlane_b32 s12, v68, 35
	s_add_u32 s12, s12, s8
	s_mov_b32 s9, s8
	s_addc_u32 s13, s95, s8
	s_xor_b64 s[12:13], s[12:13], s[8:9]
	s_mul_i32 s39, s12, s28
	s_mul_hi_u32 s40, s12, s29
	s_mul_hi_u32 s38, s12, s28
	s_add_u32 s39, s40, s39
	s_addc_u32 s38, 0, s38
	s_mul_hi_u32 s41, s13, s29
	s_mul_i32 s29, s13, s29
	s_add_u32 s29, s39, s29
	s_mul_hi_u32 s40, s13, s28
	s_addc_u32 s29, s38, s41
	s_addc_u32 s38, s40, 0
	s_mul_i32 s28, s13, s28
	s_add_u32 s28, s29, s28
	s_addc_u32 s29, 0, s38
	s_mul_i32 s29, s6, s29
	s_mul_hi_u32 s38, s6, s28
	s_add_i32 s29, s38, s29
	s_mul_i32 s38, s7, s28
	s_add_i32 s40, s29, s38
	s_sub_i32 s38, s13, s40
	s_mul_i32 s28, s6, s28
	s_sub_u32 s12, s12, s28
	s_cselect_b64 s[28:29], -1, 0
	s_cmp_lg_u64 s[28:29], 0
	s_subb_u32 s41, s38, s7
	s_sub_u32 s42, s12, s6
	s_cselect_b64 s[38:39], -1, 0
	s_cmp_lg_u64 s[38:39], 0
	s_subb_u32 s43, s41, 0
	s_cmp_ge_u32 s43, s7
	s_cselect_b32 s44, -1, 0
	s_cmp_ge_u32 s42, s6
	s_cselect_b32 s45, -1, 0
	s_cmp_eq_u32 s43, s7
	s_cselect_b32 s44, s45, s44
	s_cmp_lg_u64 s[38:39], 0
	s_subb_u32 s41, s41, s7
	s_sub_u32 s45, s42, s6
	s_cselect_b64 s[38:39], -1, 0
	s_cmp_lg_u64 s[38:39], 0
	s_subb_u32 s38, s41, 0
	s_cmp_lg_u32 s44, 0
	s_cselect_b32 s39, s45, s42
	s_cselect_b32 s38, s38, s43
	s_cmp_lg_u64 s[28:29], 0
	s_subb_u32 s13, s13, s40
	s_cmp_ge_u32 s13, s7
	s_cselect_b32 s28, -1, 0
	s_cmp_ge_u32 s12, s6
	s_cselect_b32 s6, -1, 0
	s_cmp_eq_u32 s13, s7
	s_cselect_b32 s6, s6, s28
	s_cmp_lg_u32 s6, 0
	s_cselect_b32 s7, s38, s13
	s_cselect_b32 s6, s39, s12
	s_xor_b64 s[6:7], s[6:7], s[8:9]
	s_sub_u32 s6, s6, s8
	s_subb_u32 s7, s7, s8
	s_cbranch_execnz .LBB45_137
.LBB45_136:                             ;   in Loop: Header=BB45_16 Depth=1
	v_cvt_f32_u32_e32 v2, s82
	s_sub_i32 s6, 0, s82
	v_readlane_b32 s8, v68, 35
	v_rcp_iflag_f32_e32 v2, v2
	s_nop 0
	v_mul_f32_e32 v2, 0x4f7ffffe, v2
	v_cvt_u32_f32_e32 v2, v2
	s_nop 0
	v_readfirstlane_b32 s7, v2
	s_mul_i32 s6, s6, s7
	s_mul_hi_u32 s6, s7, s6
	s_add_i32 s7, s7, s6
	s_mul_hi_u32 s6, s8, s7
	s_mul_i32 s6, s6, s82
	s_sub_i32 s6, s8, s6
	s_sub_i32 s7, s6, s82
	s_cmp_ge_u32 s6, s82
	s_cselect_b32 s6, s7, s6
	s_sub_i32 s7, s6, s82
	s_cmp_ge_u32 s6, s82
	s_cselect_b32 s84, s7, s6
	s_mov_b64 s[6:7], s[84:85]
.LBB45_137:                             ;   in Loop: Header=BB45_16 Depth=1
	v_readlane_b32 s8, v68, 35
	s_sub_u32 s28, s8, s6
	s_subb_u32 s29, s95, s7
	v_cmp_gt_i64_e32 vcc, s[28:29], v[0:1]
	s_mov_b64 s[8:9], 0
	s_mov_b64 s[6:7], 0
                                        ; implicit-def: $vgpr6_vgpr7
	s_and_saveexec_b64 s[12:13], vcc
	s_cbranch_execz .LBB45_149
; %bb.138:                              ;   in Loop: Header=BB45_16 Depth=1
	v_mov_b64_e32 v[8:9], v[16:17]
	v_mov_b64_e32 v[14:15], v[0:1]
                                        ; implicit-def: $sgpr38_sgpr39
	s_branch .LBB45_142
.LBB45_139:                             ;   in Loop: Header=BB45_142 Depth=2
	s_or_b64 exec, exec, s[40:41]
	s_waitcnt lgkmcnt(0)
	s_barrier
	ds_read_b128 v[4:7], v19 offset:3072
	s_waitcnt lgkmcnt(0)
	s_barrier
	v_cmp_neq_f64_e32 vcc, 0, v[4:5]
	s_cbranch_vccnz .LBB45_145
; %bb.140:                              ;   in Loop: Header=BB45_142 Depth=2
	v_lshl_add_u64 v[14:15], v[14:15], 0, s[82:83]
	v_cmp_le_i64_e32 vcc, s[28:29], v[14:15]
	v_lshl_add_u64 v[8:9], v[8:9], 0, s[86:87]
	s_mov_b64 s[40:41], 0
	s_orn2_b64 s[42:43], vcc, exec
.LBB45_141:                             ;   in Loop: Header=BB45_142 Depth=2
	s_and_b64 s[42:43], exec, s[42:43]
	s_or_b64 s[6:7], s[42:43], s[6:7]
	s_andn2_b64 s[38:39], s[38:39], exec
	s_and_b64 s[40:41], s[40:41], exec
	s_or_b64 s[38:39], s[38:39], s[40:41]
	s_andn2_b64 exec, exec, s[6:7]
	s_cbranch_execz .LBB45_148
.LBB45_142:                             ;   Parent Loop BB45_16 Depth=1
                                        ; =>  This Inner Loop Header: Depth=2
	v_cmp_gt_i64_e32 vcc, s[56:57], v[14:15]
	s_and_saveexec_b64 s[40:41], vcc
	s_cbranch_execz .LBB45_139
; %bb.143:                              ;   in Loop: Header=BB45_142 Depth=2
	global_load_dwordx2 v[4:5], v[8:9], off
	s_waitcnt vmcnt(0)
	v_ashrrev_i32_e32 v2, 31, v5
	v_or_b32_e32 v6, 0x80000000, v2
	v_xor_b32_e32 v2, v2, v4
	v_xor_b32_e32 v6, v6, v5
	v_cmp_o_f64_e32 vcc, v[4:5], v[4:5]
	s_nop 1
	v_cndmask_b32_e32 v2, -1, v2, vcc
	v_cndmask_b32_e32 v6, -1, v6, vcc
	v_and_b32_e32 v7, v6, v39
	v_and_b32_e32 v6, v2, v38
	v_cmp_eq_u64_e32 vcc, v[6:7], v[30:31]
	s_and_b64 exec, exec, vcc
	s_cbranch_execz .LBB45_139
; %bb.144:                              ;   in Loop: Header=BB45_142 Depth=2
	v_mov_b32_e32 v2, v19
	ds_write_b128 v19, v[2:5] offset:3072
	s_branch .LBB45_139
.LBB45_145:                             ;   in Loop: Header=BB45_142 Depth=2
	s_mov_b64 s[42:43], -1
                                        ; implicit-def: $vgpr14_vgpr15
                                        ; implicit-def: $vgpr8_vgpr9
	s_mov_b64 s[40:41], -1
	s_branch .LBB45_141
.LBB45_146:                             ;   in Loop: Header=BB45_16 Depth=1
                                        ; implicit-def: $sgpr12_sgpr13
	s_andn2_b64 vcc, exec, s[26:27]
	s_cbranch_vccz .LBB45_91
	s_branch .LBB45_92
.LBB45_147:                             ;   in Loop: Header=BB45_16 Depth=1
                                        ; implicit-def: $sgpr8_sgpr9
	s_branch .LBB45_106
.LBB45_148:                             ;   in Loop: Header=BB45_16 Depth=1
	s_or_b64 exec, exec, s[6:7]
	s_and_b64 s[6:7], s[38:39], exec
.LBB45_149:                             ;   in Loop: Header=BB45_16 Depth=1
	s_or_b64 exec, exec, s[12:13]
.LBB45_150:                             ;   in Loop: Header=BB45_16 Depth=1
	s_and_b64 vcc, exec, s[8:9]
	s_cbranch_vccz .LBB45_165
; %bb.151:                              ;   in Loop: Header=BB45_16 Depth=1
	v_readlane_b32 s0, v68, 34
	s_add_u32 s26, s36, s0
	v_readlane_b32 s0, v68, 36
	s_addc_u32 s1, s37, s0
	s_mov_b32 s0, s85
	s_cmp_lg_u64 s[0:1], 0
	s_cbranch_scc0 .LBB45_195
; %bb.152:                              ;   in Loop: Header=BB45_16 Depth=1
	s_add_u32 s8, s82, 0
	s_addc_u32 s9, 0, 0
	s_xor_b64 s[8:9], s[8:9], 0
	v_cvt_f32_u32_e32 v2, s8
	v_cvt_f32_u32_e32 v4, s9
	s_sub_u32 s0, 0, s8
	s_subb_u32 s27, 0, s9
	v_fmac_f32_e32 v2, 0x4f800000, v4
	v_rcp_f32_e32 v2, v2
	s_nop 0
	v_mul_f32_e32 v2, 0x5f7ffffc, v2
	v_mul_f32_e32 v4, 0x2f800000, v2
	v_trunc_f32_e32 v4, v4
	v_fmac_f32_e32 v2, 0xcf800000, v4
	v_cvt_u32_f32_e32 v4, v4
	v_cvt_u32_f32_e32 v2, v2
	v_readfirstlane_b32 s28, v4
	v_readfirstlane_b32 s12, v2
	s_mul_i32 s13, s0, s28
	s_mul_hi_u32 s38, s0, s12
	s_mul_i32 s29, s27, s12
	s_add_i32 s13, s38, s13
	s_mul_i32 s39, s0, s12
	s_add_i32 s13, s13, s29
	s_mul_i32 s38, s12, s13
	s_mul_hi_u32 s40, s12, s39
	s_mul_hi_u32 s29, s12, s13
	s_add_u32 s38, s40, s38
	s_addc_u32 s29, 0, s29
	s_mul_hi_u32 s41, s28, s39
	s_mul_i32 s39, s28, s39
	s_add_u32 s38, s38, s39
	s_mul_hi_u32 s40, s28, s13
	s_addc_u32 s29, s29, s41
	s_addc_u32 s38, s40, 0
	s_mul_i32 s13, s28, s13
	s_add_u32 s13, s29, s13
	s_addc_u32 s29, 0, s38
	s_add_u32 s38, s12, s13
	s_cselect_b64 s[12:13], -1, 0
	s_cmp_lg_u64 s[12:13], 0
	s_addc_u32 s28, s28, s29
	s_mul_i32 s12, s0, s28
	s_mul_hi_u32 s13, s0, s38
	s_add_i32 s12, s13, s12
	s_mul_i32 s27, s27, s38
	s_add_i32 s12, s12, s27
	s_mul_i32 s0, s0, s38
	s_mul_hi_u32 s27, s28, s0
	s_mul_i32 s29, s28, s0
	s_mul_i32 s40, s38, s12
	s_mul_hi_u32 s0, s38, s0
	s_mul_hi_u32 s39, s38, s12
	s_add_u32 s0, s0, s40
	s_addc_u32 s39, 0, s39
	s_add_u32 s0, s0, s29
	s_mul_hi_u32 s13, s28, s12
	s_addc_u32 s0, s39, s27
	s_addc_u32 s13, s13, 0
	s_mul_i32 s12, s28, s12
	s_add_u32 s0, s0, s12
	s_addc_u32 s27, 0, s13
	s_add_u32 s0, s38, s0
	s_cselect_b64 s[12:13], -1, 0
	s_cmp_lg_u64 s[12:13], 0
	s_addc_u32 s27, s28, s27
	s_ashr_i32 s12, s1, 31
	s_add_u32 s28, s26, s12
	s_mov_b32 s13, s12
	s_addc_u32 s29, s1, s12
	s_xor_b64 s[28:29], s[28:29], s[12:13]
	s_mul_i32 s39, s28, s27
	s_mul_hi_u32 s40, s28, s0
	s_mul_hi_u32 s38, s28, s27
	s_add_u32 s39, s40, s39
	s_addc_u32 s38, 0, s38
	s_mul_hi_u32 s41, s29, s0
	s_mul_i32 s0, s29, s0
	s_add_u32 s0, s39, s0
	s_mul_hi_u32 s40, s29, s27
	s_addc_u32 s0, s38, s41
	s_addc_u32 s38, s40, 0
	s_mul_i32 s27, s29, s27
	s_add_u32 s0, s0, s27
	s_addc_u32 s27, 0, s38
	s_mul_i32 s27, s8, s27
	s_mul_hi_u32 s38, s8, s0
	s_add_i32 s27, s38, s27
	s_mul_i32 s38, s9, s0
	s_add_i32 s27, s27, s38
	s_sub_i32 s40, s29, s27
	s_mul_i32 s0, s8, s0
	s_sub_u32 s0, s28, s0
	s_cselect_b64 s[38:39], -1, 0
	s_cmp_lg_u64 s[38:39], 0
	s_subb_u32 s28, s40, s9
	s_sub_u32 s42, s0, s8
	s_cselect_b64 s[40:41], -1, 0
	s_cmp_lg_u64 s[40:41], 0
	s_subb_u32 s43, s28, 0
	s_cmp_ge_u32 s43, s9
	s_cselect_b32 s44, -1, 0
	s_cmp_ge_u32 s42, s8
	s_cselect_b32 s45, -1, 0
	s_cmp_eq_u32 s43, s9
	s_cselect_b32 s44, s45, s44
	s_cmp_lg_u64 s[40:41], 0
	s_subb_u32 s28, s28, s9
	s_sub_u32 s45, s42, s8
	s_cselect_b64 s[40:41], -1, 0
	s_cmp_lg_u64 s[40:41], 0
	s_subb_u32 s28, s28, 0
	s_cmp_lg_u32 s44, 0
	s_cselect_b32 s40, s45, s42
	s_cselect_b32 s28, s28, s43
	s_cmp_lg_u64 s[38:39], 0
	s_subb_u32 s27, s29, s27
	s_cmp_ge_u32 s27, s9
	s_cselect_b32 s29, -1, 0
	s_cmp_ge_u32 s0, s8
	s_cselect_b32 s8, -1, 0
	s_cmp_eq_u32 s27, s9
	s_cselect_b32 s8, s8, s29
	s_cmp_lg_u32 s8, 0
	s_cselect_b32 s9, s28, s27
	s_cselect_b32 s8, s40, s0
	s_xor_b64 s[8:9], s[8:9], s[12:13]
	s_sub_u32 s8, s8, s12
	s_subb_u32 s9, s9, s12
	s_cbranch_execnz .LBB45_154
.LBB45_153:                             ;   in Loop: Header=BB45_16 Depth=1
	v_cvt_f32_u32_e32 v2, s82
	s_sub_i32 s0, 0, s82
	v_rcp_iflag_f32_e32 v2, v2
	s_nop 0
	v_mul_f32_e32 v2, 0x4f7ffffe, v2
	v_cvt_u32_f32_e32 v2, v2
	s_nop 0
	v_readfirstlane_b32 s8, v2
	s_mul_i32 s0, s0, s8
	s_mul_hi_u32 s0, s8, s0
	s_add_i32 s8, s8, s0
	s_mul_hi_u32 s0, s26, s8
	s_mul_i32 s0, s0, s82
	s_sub_i32 s0, s26, s0
	s_sub_i32 s8, s0, s82
	s_cmp_ge_u32 s0, s82
	s_cselect_b32 s0, s8, s0
	s_sub_i32 s8, s0, s82
	s_cmp_ge_u32 s0, s82
	s_cselect_b32 s84, s8, s0
	s_mov_b64 s[8:9], s[84:85]
.LBB45_154:                             ;   in Loop: Header=BB45_16 Depth=1
	s_sub_u32 s8, s26, s8
	s_subb_u32 s9, s1, s9
	v_cmp_gt_i64_e32 vcc, s[8:9], v[0:1]
                                        ; implicit-def: $vgpr6_vgpr7
	s_and_saveexec_b64 s[0:1], vcc
	s_cbranch_execz .LBB45_164
; %bb.155:                              ;   in Loop: Header=BB45_16 Depth=1
	s_mov_b64 s[12:13], 0
	v_mov_b32_e32 v14, v49
	v_mov_b64_e32 v[8:9], v[0:1]
                                        ; implicit-def: $sgpr26_sgpr27
	s_branch .LBB45_159
.LBB45_156:                             ;   in Loop: Header=BB45_159 Depth=2
	s_or_b64 exec, exec, s[28:29]
	s_waitcnt lgkmcnt(0)
	s_barrier
	ds_read_b128 v[4:7], v19 offset:3072
	s_waitcnt lgkmcnt(0)
	s_barrier
	v_cmp_eq_f64_e32 vcc, 0, v[4:5]
	s_cbranch_vccz .LBB45_162
; %bb.157:                              ;   in Loop: Header=BB45_159 Depth=2
	v_lshl_add_u64 v[8:9], v[8:9], 0, s[82:83]
	v_cmp_le_i64_e32 vcc, s[8:9], v[8:9]
	v_add_u32_e32 v14, s90, v14
	s_mov_b64 s[28:29], 0
	s_orn2_b64 s[38:39], vcc, exec
.LBB45_158:                             ;   in Loop: Header=BB45_159 Depth=2
	s_and_b64 s[38:39], exec, s[38:39]
	s_or_b64 s[12:13], s[38:39], s[12:13]
	s_andn2_b64 s[26:27], s[26:27], exec
	s_and_b64 s[28:29], s[28:29], exec
	s_or_b64 s[26:27], s[26:27], s[28:29]
	s_andn2_b64 exec, exec, s[12:13]
	s_cbranch_execz .LBB45_163
.LBB45_159:                             ;   Parent Loop BB45_16 Depth=1
                                        ; =>  This Inner Loop Header: Depth=2
	v_cmp_gt_u64_e32 vcc, s[36:37], v[8:9]
	s_and_saveexec_b64 s[28:29], vcc
	s_cbranch_execz .LBB45_156
; %bb.160:                              ;   in Loop: Header=BB45_159 Depth=2
	ds_read_b64 v[4:5], v14
	s_waitcnt lgkmcnt(0)
	v_ashrrev_i32_e32 v2, 31, v5
	v_or_b32_e32 v6, 0x80000000, v2
	v_xor_b32_e32 v2, v2, v4
	v_xor_b32_e32 v6, v6, v5
	v_cmp_o_f64_e32 vcc, v[4:5], v[4:5]
	s_nop 1
	v_cndmask_b32_e32 v2, -1, v2, vcc
	v_cndmask_b32_e32 v6, -1, v6, vcc
	v_and_b32_e32 v7, v6, v39
	v_and_b32_e32 v6, v2, v38
	v_cmp_eq_u64_e32 vcc, v[6:7], v[30:31]
	s_and_b64 exec, exec, vcc
	s_cbranch_execz .LBB45_156
; %bb.161:                              ;   in Loop: Header=BB45_159 Depth=2
	v_mov_b32_e32 v2, v19
	ds_write_b128 v19, v[2:5] offset:3072
	s_branch .LBB45_156
.LBB45_162:                             ;   in Loop: Header=BB45_159 Depth=2
	s_mov_b64 s[38:39], -1
                                        ; implicit-def: $vgpr8_vgpr9
                                        ; implicit-def: $vgpr14
	s_mov_b64 s[28:29], -1
	s_branch .LBB45_158
.LBB45_163:                             ;   in Loop: Header=BB45_16 Depth=1
	s_or_b64 exec, exec, s[12:13]
	s_andn2_b64 s[6:7], s[6:7], exec
	s_and_b64 s[8:9], s[26:27], exec
	s_or_b64 s[6:7], s[6:7], s[8:9]
.LBB45_164:                             ;   in Loop: Header=BB45_16 Depth=1
	s_or_b64 exec, exec, s[0:1]
	s_mov_b64 s[0:1], 0
	s_mov_b64 s[26:27], -1
.LBB45_165:                             ;   in Loop: Header=BB45_16 Depth=1
	s_orn2_b64 s[6:7], s[6:7], exec
.LBB45_166:                             ;   in Loop: Header=BB45_16 Depth=1
	s_or_b64 exec, exec, s[30:31]
	s_mov_b64 s[8:9], 0
	s_and_saveexec_b64 s[30:31], s[6:7]
	s_cbranch_execz .LBB45_276
; %bb.167:                              ;   in Loop: Header=BB45_16 Depth=1
	s_xor_b64 s[12:13], s[34:35], -1
	v_mov_b32_e32 v18, 1
	v_mov_b64_e32 v[8:9], 1
	s_and_saveexec_b64 s[6:7], s[12:13]
	s_cbranch_execz .LBB45_177
; %bb.168:                              ;   in Loop: Header=BB45_16 Depth=1
	v_cmp_le_i64_e32 vcc, v[12:13], v[10:11]
	s_and_saveexec_b64 s[8:9], vcc
	s_xor_b64 s[8:9], exec, s[8:9]
	s_cbranch_execz .LBB45_174
; %bb.169:                              ;   in Loop: Header=BB45_16 Depth=1
	ds_read_b64 v[4:5], v19 offset:5120
	s_lshl_b64 s[12:13], 1, s91
	v_and_b32_e32 v2, s25, v31
	v_and_b32_e32 v8, s24, v30
	v_or_b32_e32 v31, s13, v2
	s_waitcnt lgkmcnt(0)
	v_cmp_ne_u64_e32 vcc, 0, v[4:5]
	v_or_b32_e32 v30, s12, v8
	v_or_b32_e32 v39, s15, v39
	;; [unrolled: 1-line block ×3, first 2 shown]
	s_cbranch_vccnz .LBB45_173
; %bb.170:                              ;   in Loop: Header=BB45_16 Depth=1
	s_mov_b64 s[12:13], exec
	v_readlane_b32 s28, v68, 12
	v_readlane_b32 s29, v68, 13
	s_and_b64 s[28:29], s[12:13], s[28:29]
	s_mov_b64 exec, s[28:29]
; %bb.171:                              ;   in Loop: Header=BB45_16 Depth=1
	ds_write_b64 v19, v[10:11] offset:5128
; %bb.172:                              ;   in Loop: Header=BB45_16 Depth=1
	s_or_b64 exec, exec, s[12:13]
	s_waitcnt lgkmcnt(0)
	s_barrier
.LBB45_173:                             ;   in Loop: Header=BB45_16 Depth=1
                                        ; implicit-def: $vgpr8_vgpr9_vgpr10_vgpr11
.LBB45_174:                             ;   in Loop: Header=BB45_16 Depth=1
	s_or_saveexec_b64 s[8:9], s[8:9]
	s_mov_b64 s[12:13], 0
	v_mov_b32_e32 v18, 8
	s_xor_b64 exec, exec, s[8:9]
; %bb.175:                              ;   in Loop: Header=BB45_16 Depth=1
	v_sub_co_u32_e32 v12, vcc, v12, v10
	s_mov_b64 s[12:13], exec
	s_nop 0
	v_subb_co_u32_e32 v13, vcc, v13, v11, vcc
	v_mov_b32_e32 v18, 0
; %bb.176:                              ;   in Loop: Header=BB45_16 Depth=1
	s_or_b64 exec, exec, s[8:9]
	s_and_b64 s[8:9], s[12:13], exec
	v_mov_b64_e32 v[8:9], v[12:13]
.LBB45_177:                             ;   in Loop: Header=BB45_16 Depth=1
	s_or_b64 exec, exec, s[6:7]
	s_mov_b64 s[6:7], -1
                                        ; implicit-def: $sgpr36_sgpr37
                                        ; implicit-def: $sgpr38_sgpr39
	s_and_saveexec_b64 s[34:35], s[8:9]
	s_cbranch_execz .LBB45_275
; %bb.178:                              ;   in Loop: Header=BB45_16 Depth=1
	s_cmp_eq_u64 s[22:23], 1
	s_cselect_b64 s[6:7], -1, 0
	v_cmp_eq_u64_e32 vcc, 1, v[8:9]
	s_and_b64 s[42:43], s[6:7], vcc
	s_mov_b64 s[6:7], -1
                                        ; implicit-def: $sgpr38_sgpr39
                                        ; implicit-def: $sgpr36_sgpr37
	s_and_saveexec_b64 s[40:41], s[42:43]
	s_cbranch_execz .LBB45_214
; %bb.179:                              ;   in Loop: Header=BB45_16 Depth=1
	ds_read_b64 v[4:5], v19 offset:5120
	s_waitcnt lgkmcnt(0)
	s_barrier
	v_readfirstlane_b32 s44, v4
	v_readfirstlane_b32 s45, v5
	s_mov_b64 s[6:7], exec
	v_readlane_b32 s8, v68, 24
	v_readlane_b32 s9, v68, 25
	s_and_b64 s[8:9], s[6:7], s[8:9]
	s_mov_b64 exec, s[8:9]
; %bb.180:                              ;   in Loop: Header=BB45_16 Depth=1
	ds_write_b64 v50, v[58:59]
; %bb.181:                              ;   in Loop: Header=BB45_16 Depth=1
	s_or_b64 exec, exec, s[6:7]
	s_lshl_b64 s[6:7], 2, s91
	v_and_b32_e32 v2, s25, v31
	v_and_b32_e32 v4, s24, v30
	v_or_b32_e32 v31, s7, v2
	v_or_b32_e32 v30, s6, v4
	v_cmp_gt_i64_e64 s[6:7], s[44:45], 0
	v_or_b32_e32 v39, s15, v39
	v_or_b32_e32 v38, s14, v38
	s_mov_b64 s[36:37], -1
	s_mov_b64 s[38:39], 0
	s_and_b64 vcc, exec, s[6:7]
	s_mov_b64 s[6:7], 0
	s_mov_b64 s[8:9], -1
	s_waitcnt lgkmcnt(0)
	s_barrier
                                        ; implicit-def: $vgpr6_vgpr7
	s_cbranch_vccnz .LBB45_198
; %bb.182:                              ;   in Loop: Header=BB45_16 Depth=1
	s_mov_b32 s94, s85
	s_cmp_lg_u64 s[94:95], 0
	s_cbranch_scc0 .LBB45_241
; %bb.183:                              ;   in Loop: Header=BB45_16 Depth=1
	s_add_u32 s6, s82, 0
	s_addc_u32 s7, 0, 0
	s_xor_b64 s[6:7], s[6:7], 0
	v_cvt_f32_u32_e32 v2, s6
	v_cvt_f32_u32_e32 v4, s7
	s_sub_u32 s12, 0, s6
	s_subb_u32 s13, 0, s7
	v_fmac_f32_e32 v2, 0x4f800000, v4
	v_rcp_f32_e32 v2, v2
	s_nop 0
	v_mul_f32_e32 v2, 0x5f7ffffc, v2
	v_mul_f32_e32 v4, 0x2f800000, v2
	v_trunc_f32_e32 v4, v4
	v_fmac_f32_e32 v2, 0xcf800000, v4
	v_cvt_u32_f32_e32 v4, v4
	v_cvt_u32_f32_e32 v2, v2
	v_readfirstlane_b32 s28, v4
	v_readfirstlane_b32 s8, v2
	s_mul_i32 s9, s12, s28
	s_mul_hi_u32 s46, s12, s8
	s_mul_i32 s29, s13, s8
	s_add_i32 s9, s46, s9
	s_mul_i32 s47, s12, s8
	s_add_i32 s9, s9, s29
	s_mul_i32 s46, s8, s9
	s_mul_hi_u32 s48, s8, s47
	s_mul_hi_u32 s29, s8, s9
	s_add_u32 s46, s48, s46
	s_addc_u32 s29, 0, s29
	s_mul_hi_u32 s49, s28, s47
	s_mul_i32 s47, s28, s47
	s_add_u32 s46, s46, s47
	s_mul_hi_u32 s48, s28, s9
	s_addc_u32 s29, s29, s49
	s_addc_u32 s46, s48, 0
	s_mul_i32 s9, s28, s9
	s_add_u32 s9, s29, s9
	s_addc_u32 s29, 0, s46
	s_add_u32 s46, s8, s9
	s_cselect_b64 s[8:9], -1, 0
	s_cmp_lg_u64 s[8:9], 0
	s_addc_u32 s28, s28, s29
	s_mul_i32 s8, s12, s28
	s_mul_hi_u32 s9, s12, s46
	s_add_i32 s8, s9, s8
	s_mul_i32 s13, s13, s46
	s_add_i32 s8, s8, s13
	s_mul_i32 s12, s12, s46
	s_mul_hi_u32 s13, s28, s12
	s_mul_i32 s29, s28, s12
	s_mul_i32 s48, s46, s8
	s_mul_hi_u32 s12, s46, s12
	s_mul_hi_u32 s47, s46, s8
	s_add_u32 s12, s12, s48
	s_addc_u32 s47, 0, s47
	s_add_u32 s12, s12, s29
	s_mul_hi_u32 s9, s28, s8
	s_addc_u32 s12, s47, s13
	s_addc_u32 s9, s9, 0
	s_mul_i32 s8, s28, s8
	s_add_u32 s8, s12, s8
	s_addc_u32 s12, 0, s9
	s_add_u32 s29, s46, s8
	s_cselect_b64 s[8:9], -1, 0
	s_cmp_lg_u64 s[8:9], 0
	s_addc_u32 s28, s28, s12
	s_ashr_i32 s8, s95, 31
	v_readlane_b32 s12, v68, 35
	s_add_u32 s12, s12, s8
	s_mov_b32 s9, s8
	s_addc_u32 s13, s95, s8
	s_xor_b64 s[12:13], s[12:13], s[8:9]
	s_mul_i32 s47, s12, s28
	s_mul_hi_u32 s48, s12, s29
	s_mul_hi_u32 s46, s12, s28
	s_add_u32 s47, s48, s47
	s_addc_u32 s46, 0, s46
	s_mul_hi_u32 s49, s13, s29
	s_mul_i32 s29, s13, s29
	s_add_u32 s29, s47, s29
	s_mul_hi_u32 s48, s13, s28
	s_addc_u32 s29, s46, s49
	s_addc_u32 s46, s48, 0
	s_mul_i32 s28, s13, s28
	s_add_u32 s28, s29, s28
	s_addc_u32 s29, 0, s46
	s_mul_i32 s29, s6, s29
	s_mul_hi_u32 s46, s6, s28
	s_add_i32 s29, s46, s29
	s_mul_i32 s46, s7, s28
	s_add_i32 s48, s29, s46
	s_sub_i32 s46, s13, s48
	s_mul_i32 s28, s6, s28
	s_sub_u32 s12, s12, s28
	s_cselect_b64 s[28:29], -1, 0
	s_cmp_lg_u64 s[28:29], 0
	s_subb_u32 s49, s46, s7
	s_sub_u32 s50, s12, s6
	s_cselect_b64 s[46:47], -1, 0
	s_cmp_lg_u64 s[46:47], 0
	s_subb_u32 s51, s49, 0
	s_cmp_ge_u32 s51, s7
	s_cselect_b32 s52, -1, 0
	s_cmp_ge_u32 s50, s6
	s_cselect_b32 s53, -1, 0
	s_cmp_eq_u32 s51, s7
	s_cselect_b32 s52, s53, s52
	s_cmp_lg_u64 s[46:47], 0
	s_subb_u32 s49, s49, s7
	s_sub_u32 s53, s50, s6
	s_cselect_b64 s[46:47], -1, 0
	s_cmp_lg_u64 s[46:47], 0
	s_subb_u32 s46, s49, 0
	s_cmp_lg_u32 s52, 0
	s_cselect_b32 s47, s53, s50
	s_cselect_b32 s46, s46, s51
	s_cmp_lg_u64 s[28:29], 0
	s_subb_u32 s13, s13, s48
	s_cmp_ge_u32 s13, s7
	s_cselect_b32 s28, -1, 0
	s_cmp_ge_u32 s12, s6
	s_cselect_b32 s6, -1, 0
	s_cmp_eq_u32 s13, s7
	s_cselect_b32 s6, s6, s28
	s_cmp_lg_u32 s6, 0
	s_cselect_b32 s7, s46, s13
	s_cselect_b32 s6, s47, s12
	s_xor_b64 s[6:7], s[6:7], s[8:9]
	s_sub_u32 s6, s6, s8
	s_subb_u32 s7, s7, s8
	s_cbranch_execnz .LBB45_185
.LBB45_184:                             ;   in Loop: Header=BB45_16 Depth=1
	v_cvt_f32_u32_e32 v2, s82
	s_sub_i32 s6, 0, s82
	v_readlane_b32 s8, v68, 35
	v_rcp_iflag_f32_e32 v2, v2
	s_nop 0
	v_mul_f32_e32 v2, 0x4f7ffffe, v2
	v_cvt_u32_f32_e32 v2, v2
	s_nop 0
	v_readfirstlane_b32 s7, v2
	s_mul_i32 s6, s6, s7
	s_mul_hi_u32 s6, s7, s6
	s_add_i32 s7, s7, s6
	s_mul_hi_u32 s6, s8, s7
	s_mul_i32 s6, s6, s82
	s_sub_i32 s6, s8, s6
	s_sub_i32 s7, s6, s82
	s_cmp_ge_u32 s6, s82
	s_cselect_b32 s6, s7, s6
	s_sub_i32 s7, s6, s82
	s_cmp_ge_u32 s6, s82
	s_cselect_b32 s84, s7, s6
	s_mov_b64 s[6:7], s[84:85]
.LBB45_185:                             ;   in Loop: Header=BB45_16 Depth=1
	v_readlane_b32 s8, v68, 35
	s_sub_u32 s28, s8, s6
	s_subb_u32 s29, s95, s7
	v_cmp_gt_i64_e32 vcc, s[28:29], v[0:1]
	s_mov_b64 s[8:9], 0
	s_mov_b64 s[6:7], 0
                                        ; implicit-def: $vgpr6_vgpr7
	s_and_saveexec_b64 s[12:13], vcc
	s_cbranch_execz .LBB45_197
; %bb.186:                              ;   in Loop: Header=BB45_16 Depth=1
	v_mov_b64_e32 v[10:11], v[16:17]
	v_mov_b64_e32 v[12:13], v[0:1]
                                        ; implicit-def: $sgpr46_sgpr47
	s_branch .LBB45_190
.LBB45_187:                             ;   in Loop: Header=BB45_190 Depth=2
	s_or_b64 exec, exec, s[48:49]
	s_waitcnt lgkmcnt(0)
	s_barrier
	ds_read_b128 v[4:7], v19 offset:3072
	s_waitcnt lgkmcnt(0)
	s_barrier
	v_cmp_neq_f64_e32 vcc, 0, v[4:5]
	s_cbranch_vccnz .LBB45_193
; %bb.188:                              ;   in Loop: Header=BB45_190 Depth=2
	v_lshl_add_u64 v[12:13], v[12:13], 0, s[82:83]
	v_cmp_le_i64_e32 vcc, s[28:29], v[12:13]
	v_lshl_add_u64 v[10:11], v[10:11], 0, s[86:87]
	s_mov_b64 s[48:49], 0
	s_orn2_b64 s[50:51], vcc, exec
.LBB45_189:                             ;   in Loop: Header=BB45_190 Depth=2
	s_and_b64 s[50:51], exec, s[50:51]
	s_or_b64 s[6:7], s[50:51], s[6:7]
	s_andn2_b64 s[46:47], s[46:47], exec
	s_and_b64 s[48:49], s[48:49], exec
	s_or_b64 s[46:47], s[46:47], s[48:49]
	s_andn2_b64 exec, exec, s[6:7]
	s_cbranch_execz .LBB45_196
.LBB45_190:                             ;   Parent Loop BB45_16 Depth=1
                                        ; =>  This Inner Loop Header: Depth=2
	v_cmp_gt_i64_e32 vcc, s[56:57], v[12:13]
	s_and_saveexec_b64 s[48:49], vcc
	s_cbranch_execz .LBB45_187
; %bb.191:                              ;   in Loop: Header=BB45_190 Depth=2
	global_load_dwordx2 v[4:5], v[10:11], off
	s_waitcnt vmcnt(0)
	v_ashrrev_i32_e32 v2, 31, v5
	v_or_b32_e32 v6, 0x80000000, v2
	v_xor_b32_e32 v2, v2, v4
	v_xor_b32_e32 v6, v6, v5
	v_cmp_o_f64_e32 vcc, v[4:5], v[4:5]
	s_nop 1
	v_cndmask_b32_e32 v2, -1, v2, vcc
	v_cndmask_b32_e32 v6, -1, v6, vcc
	v_and_b32_e32 v7, v6, v39
	v_and_b32_e32 v6, v2, v38
	v_cmp_eq_u64_e32 vcc, v[6:7], v[30:31]
	s_and_b64 exec, exec, vcc
	s_cbranch_execz .LBB45_187
; %bb.192:                              ;   in Loop: Header=BB45_190 Depth=2
	v_mov_b32_e32 v2, v19
	ds_write_b128 v19, v[2:5] offset:3072
	s_branch .LBB45_187
.LBB45_193:                             ;   in Loop: Header=BB45_190 Depth=2
	s_mov_b64 s[50:51], -1
                                        ; implicit-def: $vgpr12_vgpr13
                                        ; implicit-def: $vgpr10_vgpr11
	s_mov_b64 s[48:49], -1
	s_branch .LBB45_189
.LBB45_194:                             ;   in Loop: Header=BB45_16 Depth=1
                                        ; implicit-def: $sgpr6_sgpr7
	s_andn2_b64 vcc, exec, s[8:9]
	s_cbranch_vccz .LBB45_136
	s_branch .LBB45_137
.LBB45_195:                             ;   in Loop: Header=BB45_16 Depth=1
                                        ; implicit-def: $sgpr8_sgpr9
	s_branch .LBB45_153
.LBB45_196:                             ;   in Loop: Header=BB45_16 Depth=1
	s_or_b64 exec, exec, s[6:7]
	s_and_b64 s[6:7], s[46:47], exec
.LBB45_197:                             ;   in Loop: Header=BB45_16 Depth=1
	s_or_b64 exec, exec, s[12:13]
.LBB45_198:                             ;   in Loop: Header=BB45_16 Depth=1
	s_and_b64 vcc, exec, s[8:9]
	s_cbranch_vccz .LBB45_213
; %bb.199:                              ;   in Loop: Header=BB45_16 Depth=1
	v_readlane_b32 s8, v68, 34
	s_add_u32 s36, s44, s8
	v_readlane_b32 s8, v68, 36
	s_addc_u32 s9, s45, s8
	s_mov_b32 s8, s85
	s_cmp_lg_u64 s[8:9], 0
	s_cbranch_scc0 .LBB45_242
; %bb.200:                              ;   in Loop: Header=BB45_16 Depth=1
	s_add_u32 s12, s82, 0
	s_addc_u32 s13, 0, 0
	s_xor_b64 s[12:13], s[12:13], 0
	v_cvt_f32_u32_e32 v2, s12
	v_cvt_f32_u32_e32 v4, s13
	s_sub_u32 s8, 0, s12
	s_subb_u32 s37, 0, s13
	v_fmac_f32_e32 v2, 0x4f800000, v4
	v_rcp_f32_e32 v2, v2
	s_nop 0
	v_mul_f32_e32 v2, 0x5f7ffffc, v2
	v_mul_f32_e32 v4, 0x2f800000, v2
	v_trunc_f32_e32 v4, v4
	v_fmac_f32_e32 v2, 0xcf800000, v4
	v_cvt_u32_f32_e32 v4, v4
	v_cvt_u32_f32_e32 v2, v2
	v_readfirstlane_b32 s38, v4
	v_readfirstlane_b32 s28, v2
	s_mul_i32 s29, s8, s38
	s_mul_hi_u32 s46, s8, s28
	s_mul_i32 s39, s37, s28
	s_add_i32 s29, s46, s29
	s_mul_i32 s47, s8, s28
	s_add_i32 s29, s29, s39
	s_mul_i32 s46, s28, s29
	s_mul_hi_u32 s48, s28, s47
	s_mul_hi_u32 s39, s28, s29
	s_add_u32 s46, s48, s46
	s_addc_u32 s39, 0, s39
	s_mul_hi_u32 s49, s38, s47
	s_mul_i32 s47, s38, s47
	s_add_u32 s46, s46, s47
	s_mul_hi_u32 s48, s38, s29
	s_addc_u32 s39, s39, s49
	s_addc_u32 s46, s48, 0
	s_mul_i32 s29, s38, s29
	s_add_u32 s29, s39, s29
	s_addc_u32 s39, 0, s46
	s_add_u32 s46, s28, s29
	s_cselect_b64 s[28:29], -1, 0
	s_cmp_lg_u64 s[28:29], 0
	s_addc_u32 s38, s38, s39
	s_mul_i32 s28, s8, s38
	s_mul_hi_u32 s29, s8, s46
	s_add_i32 s28, s29, s28
	s_mul_i32 s37, s37, s46
	s_add_i32 s28, s28, s37
	s_mul_i32 s8, s8, s46
	s_mul_hi_u32 s37, s38, s8
	s_mul_i32 s39, s38, s8
	s_mul_i32 s48, s46, s28
	s_mul_hi_u32 s8, s46, s8
	s_mul_hi_u32 s47, s46, s28
	s_add_u32 s8, s8, s48
	s_addc_u32 s47, 0, s47
	s_add_u32 s8, s8, s39
	s_mul_hi_u32 s29, s38, s28
	s_addc_u32 s8, s47, s37
	s_addc_u32 s29, s29, 0
	s_mul_i32 s28, s38, s28
	s_add_u32 s8, s8, s28
	s_addc_u32 s37, 0, s29
	s_add_u32 s8, s46, s8
	s_cselect_b64 s[28:29], -1, 0
	s_cmp_lg_u64 s[28:29], 0
	s_addc_u32 s37, s38, s37
	s_ashr_i32 s28, s9, 31
	s_add_u32 s38, s36, s28
	s_mov_b32 s29, s28
	s_addc_u32 s39, s9, s28
	s_xor_b64 s[38:39], s[38:39], s[28:29]
	s_mul_i32 s47, s38, s37
	s_mul_hi_u32 s48, s38, s8
	s_mul_hi_u32 s46, s38, s37
	s_add_u32 s47, s48, s47
	s_addc_u32 s46, 0, s46
	s_mul_hi_u32 s49, s39, s8
	s_mul_i32 s8, s39, s8
	s_add_u32 s8, s47, s8
	s_mul_hi_u32 s48, s39, s37
	s_addc_u32 s8, s46, s49
	s_addc_u32 s46, s48, 0
	s_mul_i32 s37, s39, s37
	s_add_u32 s8, s8, s37
	s_addc_u32 s37, 0, s46
	s_mul_i32 s37, s12, s37
	s_mul_hi_u32 s46, s12, s8
	s_add_i32 s37, s46, s37
	s_mul_i32 s46, s13, s8
	s_add_i32 s37, s37, s46
	s_sub_i32 s48, s39, s37
	s_mul_i32 s8, s12, s8
	s_sub_u32 s8, s38, s8
	s_cselect_b64 s[46:47], -1, 0
	s_cmp_lg_u64 s[46:47], 0
	s_subb_u32 s38, s48, s13
	s_sub_u32 s50, s8, s12
	s_cselect_b64 s[48:49], -1, 0
	s_cmp_lg_u64 s[48:49], 0
	s_subb_u32 s51, s38, 0
	s_cmp_ge_u32 s51, s13
	s_cselect_b32 s52, -1, 0
	s_cmp_ge_u32 s50, s12
	s_cselect_b32 s53, -1, 0
	s_cmp_eq_u32 s51, s13
	s_cselect_b32 s52, s53, s52
	s_cmp_lg_u64 s[48:49], 0
	s_subb_u32 s38, s38, s13
	s_sub_u32 s53, s50, s12
	s_cselect_b64 s[48:49], -1, 0
	s_cmp_lg_u64 s[48:49], 0
	s_subb_u32 s38, s38, 0
	s_cmp_lg_u32 s52, 0
	s_cselect_b32 s48, s53, s50
	s_cselect_b32 s38, s38, s51
	s_cmp_lg_u64 s[46:47], 0
	s_subb_u32 s37, s39, s37
	s_cmp_ge_u32 s37, s13
	s_cselect_b32 s39, -1, 0
	s_cmp_ge_u32 s8, s12
	s_cselect_b32 s12, -1, 0
	s_cmp_eq_u32 s37, s13
	s_cselect_b32 s12, s12, s39
	s_cmp_lg_u32 s12, 0
	s_cselect_b32 s13, s38, s37
	s_cselect_b32 s12, s48, s8
	s_xor_b64 s[12:13], s[12:13], s[28:29]
	s_sub_u32 s12, s12, s28
	s_subb_u32 s13, s13, s28
	s_cbranch_execnz .LBB45_202
.LBB45_201:                             ;   in Loop: Header=BB45_16 Depth=1
	v_cvt_f32_u32_e32 v2, s82
	s_sub_i32 s8, 0, s82
	v_rcp_iflag_f32_e32 v2, v2
	s_nop 0
	v_mul_f32_e32 v2, 0x4f7ffffe, v2
	v_cvt_u32_f32_e32 v2, v2
	s_nop 0
	v_readfirstlane_b32 s12, v2
	s_mul_i32 s8, s8, s12
	s_mul_hi_u32 s8, s12, s8
	s_add_i32 s12, s12, s8
	s_mul_hi_u32 s8, s36, s12
	s_mul_i32 s8, s8, s82
	s_sub_i32 s8, s36, s8
	s_sub_i32 s12, s8, s82
	s_cmp_ge_u32 s8, s82
	s_cselect_b32 s8, s12, s8
	s_sub_i32 s12, s8, s82
	s_cmp_ge_u32 s8, s82
	s_cselect_b32 s84, s12, s8
	s_mov_b64 s[12:13], s[84:85]
.LBB45_202:                             ;   in Loop: Header=BB45_16 Depth=1
	s_sub_u32 s12, s36, s12
	s_subb_u32 s13, s9, s13
	v_cmp_gt_i64_e32 vcc, s[12:13], v[0:1]
                                        ; implicit-def: $vgpr6_vgpr7
	s_and_saveexec_b64 s[8:9], vcc
	s_cbranch_execz .LBB45_212
; %bb.203:                              ;   in Loop: Header=BB45_16 Depth=1
	s_mov_b64 s[28:29], 0
	v_mov_b32_e32 v12, v49
	v_mov_b64_e32 v[10:11], v[0:1]
                                        ; implicit-def: $sgpr36_sgpr37
	s_branch .LBB45_207
.LBB45_204:                             ;   in Loop: Header=BB45_207 Depth=2
	s_or_b64 exec, exec, s[38:39]
	s_waitcnt lgkmcnt(0)
	s_barrier
	ds_read_b128 v[4:7], v19 offset:3072
	s_waitcnt lgkmcnt(0)
	s_barrier
	v_cmp_eq_f64_e32 vcc, 0, v[4:5]
	s_cbranch_vccz .LBB45_210
; %bb.205:                              ;   in Loop: Header=BB45_207 Depth=2
	v_lshl_add_u64 v[10:11], v[10:11], 0, s[82:83]
	v_cmp_le_i64_e32 vcc, s[12:13], v[10:11]
	v_add_u32_e32 v12, s90, v12
	s_mov_b64 s[38:39], 0
	s_orn2_b64 s[46:47], vcc, exec
.LBB45_206:                             ;   in Loop: Header=BB45_207 Depth=2
	s_and_b64 s[46:47], exec, s[46:47]
	s_or_b64 s[28:29], s[46:47], s[28:29]
	s_andn2_b64 s[36:37], s[36:37], exec
	s_and_b64 s[38:39], s[38:39], exec
	s_or_b64 s[36:37], s[36:37], s[38:39]
	s_andn2_b64 exec, exec, s[28:29]
	s_cbranch_execz .LBB45_211
.LBB45_207:                             ;   Parent Loop BB45_16 Depth=1
                                        ; =>  This Inner Loop Header: Depth=2
	v_cmp_gt_u64_e32 vcc, s[44:45], v[10:11]
	s_and_saveexec_b64 s[38:39], vcc
	s_cbranch_execz .LBB45_204
; %bb.208:                              ;   in Loop: Header=BB45_207 Depth=2
	ds_read_b64 v[4:5], v12
	s_waitcnt lgkmcnt(0)
	v_ashrrev_i32_e32 v2, 31, v5
	v_or_b32_e32 v6, 0x80000000, v2
	v_xor_b32_e32 v2, v2, v4
	v_xor_b32_e32 v6, v6, v5
	v_cmp_o_f64_e32 vcc, v[4:5], v[4:5]
	s_nop 1
	v_cndmask_b32_e32 v2, -1, v2, vcc
	v_cndmask_b32_e32 v6, -1, v6, vcc
	v_and_b32_e32 v7, v6, v39
	v_and_b32_e32 v6, v2, v38
	v_cmp_eq_u64_e32 vcc, v[6:7], v[30:31]
	s_and_b64 exec, exec, vcc
	s_cbranch_execz .LBB45_204
; %bb.209:                              ;   in Loop: Header=BB45_207 Depth=2
	v_mov_b32_e32 v2, v19
	ds_write_b128 v19, v[2:5] offset:3072
	s_branch .LBB45_204
.LBB45_210:                             ;   in Loop: Header=BB45_207 Depth=2
	s_mov_b64 s[46:47], -1
                                        ; implicit-def: $vgpr10_vgpr11
                                        ; implicit-def: $vgpr12
	s_mov_b64 s[38:39], -1
	s_branch .LBB45_206
.LBB45_211:                             ;   in Loop: Header=BB45_16 Depth=1
	s_or_b64 exec, exec, s[28:29]
	s_andn2_b64 s[6:7], s[6:7], exec
	s_and_b64 s[12:13], s[36:37], exec
	s_or_b64 s[6:7], s[6:7], s[12:13]
.LBB45_212:                             ;   in Loop: Header=BB45_16 Depth=1
	s_or_b64 exec, exec, s[8:9]
	s_mov_b64 s[36:37], 0
	s_mov_b64 s[38:39], -1
.LBB45_213:                             ;   in Loop: Header=BB45_16 Depth=1
	s_orn2_b64 s[6:7], s[6:7], exec
.LBB45_214:                             ;   in Loop: Header=BB45_16 Depth=1
	s_or_b64 exec, exec, s[40:41]
	s_mov_b64 s[8:9], 0
	s_and_saveexec_b64 s[40:41], s[6:7]
	s_cbranch_execz .LBB45_274
; %bb.215:                              ;   in Loop: Header=BB45_16 Depth=1
	s_xor_b64 s[8:9], s[42:43], -1
	v_mov_b32_e32 v18, 1
	s_mov_b64 s[28:29], 0
	v_mov_b64_e32 v[10:11], 1
	s_and_saveexec_b64 s[6:7], s[8:9]
	s_cbranch_execz .LBB45_224
; %bb.216:                              ;   in Loop: Header=BB45_16 Depth=1
	v_cmp_ge_i64_e32 vcc, s[22:23], v[8:9]
	s_and_saveexec_b64 s[8:9], vcc
	s_xor_b64 s[8:9], exec, s[8:9]
	s_cbranch_execz .LBB45_221
; %bb.217:                              ;   in Loop: Header=BB45_16 Depth=1
	ds_read_b64 v[4:5], v19 offset:5120
	s_lshl_b64 s[12:13], 2, s91
	v_and_b32_e32 v2, s25, v31
	v_and_b32_e32 v10, s24, v30
	v_or_b32_e32 v31, s13, v2
	s_waitcnt lgkmcnt(0)
	v_cmp_ne_u64_e32 vcc, 0, v[4:5]
	v_or_b32_e32 v30, s12, v10
	v_or_b32_e32 v39, s15, v39
	;; [unrolled: 1-line block ×3, first 2 shown]
	s_cbranch_vccnz .LBB45_221
; %bb.218:                              ;   in Loop: Header=BB45_16 Depth=1
	s_mov_b64 s[12:13], exec
	v_readlane_b32 s24, v68, 12
	v_readlane_b32 s25, v68, 13
	s_and_b64 s[24:25], s[12:13], s[24:25]
	s_mov_b64 exec, s[24:25]
; %bb.219:                              ;   in Loop: Header=BB45_16 Depth=1
	v_mov_b64_e32 v[4:5], s[22:23]
	ds_write_b64 v19, v[4:5] offset:5128
; %bb.220:                              ;   in Loop: Header=BB45_16 Depth=1
	s_or_b64 exec, exec, s[12:13]
	s_waitcnt lgkmcnt(0)
	s_barrier
.LBB45_221:                             ;   in Loop: Header=BB45_16 Depth=1
	s_or_saveexec_b64 s[8:9], s[8:9]
	s_mov_b64 s[12:13], 0
	v_mov_b32_e32 v18, 8
	s_xor_b64 exec, exec, s[8:9]
; %bb.222:                              ;   in Loop: Header=BB45_16 Depth=1
	v_mov_b32_e32 v2, s23
	v_subrev_co_u32_e32 v8, vcc, s22, v8
	s_mov_b64 s[12:13], exec
	s_nop 0
	v_subb_co_u32_e32 v9, vcc, v9, v2, vcc
	v_mov_b32_e32 v18, 0
; %bb.223:                              ;   in Loop: Header=BB45_16 Depth=1
	s_or_b64 exec, exec, s[8:9]
	s_and_b64 s[28:29], s[12:13], exec
	v_mov_b64_e32 v[10:11], v[8:9]
.LBB45_224:                             ;   in Loop: Header=BB45_16 Depth=1
	s_or_b64 exec, exec, s[6:7]
	s_mov_b64 s[12:13], -1
                                        ; implicit-def: $sgpr8_sgpr9
                                        ; implicit-def: $sgpr6_sgpr7
	s_and_saveexec_b64 s[22:23], s[28:29]
	s_cbranch_execz .LBB45_273
; %bb.225:                              ;   in Loop: Header=BB45_16 Depth=1
	s_cmp_eq_u64 s[2:3], 1
	s_cselect_b64 s[6:7], -1, 0
	v_cmp_eq_u64_e32 vcc, 1, v[10:11]
	s_and_b64 s[24:25], s[6:7], vcc
	s_mov_b64 s[28:29], -1
                                        ; implicit-def: $sgpr8_sgpr9
                                        ; implicit-def: $sgpr6_sgpr7
	s_and_saveexec_b64 s[42:43], s[24:25]
	s_cbranch_execz .LBB45_261
; %bb.226:                              ;   in Loop: Header=BB45_16 Depth=1
	ds_read_b64 v[4:5], v19 offset:5120
	s_waitcnt lgkmcnt(0)
	s_barrier
	v_readfirstlane_b32 s44, v4
	v_readfirstlane_b32 s45, v5
	s_mov_b64 s[6:7], exec
	v_readlane_b32 s8, v68, 24
	v_readlane_b32 s9, v68, 25
	s_and_b64 s[8:9], s[6:7], s[8:9]
	s_mov_b64 exec, s[8:9]
; %bb.227:                              ;   in Loop: Header=BB45_16 Depth=1
	ds_write_b64 v50, v[58:59]
; %bb.228:                              ;   in Loop: Header=BB45_16 Depth=1
	s_or_b64 exec, exec, s[6:7]
	v_cmp_gt_i64_e64 s[12:13], s[44:45], 0
	v_or_b32_e32 v31, s15, v31
	v_or_b32_e32 v30, s14, v30
	;; [unrolled: 1-line block ×4, first 2 shown]
	s_mov_b64 s[6:7], -1
	s_mov_b64 s[8:9], 0
	s_and_b64 vcc, exec, s[12:13]
	s_mov_b64 s[12:13], 0
	s_waitcnt lgkmcnt(0)
	s_barrier
                                        ; implicit-def: $vgpr6_vgpr7
	s_cbranch_vccnz .LBB45_245
; %bb.229:                              ;   in Loop: Header=BB45_16 Depth=1
	s_mov_b32 s94, s85
	s_cmp_lg_u64 s[94:95], 0
	s_cbranch_scc0 .LBB45_280
; %bb.230:                              ;   in Loop: Header=BB45_16 Depth=1
	s_add_u32 s12, s82, 0
	s_addc_u32 s13, 0, 0
	s_xor_b64 s[12:13], s[12:13], 0
	v_cvt_f32_u32_e32 v2, s12
	v_cvt_f32_u32_e32 v4, s13
	s_sub_u32 s46, 0, s12
	s_subb_u32 s47, 0, s13
	v_fmac_f32_e32 v2, 0x4f800000, v4
	v_rcp_f32_e32 v2, v2
	s_nop 0
	v_mul_f32_e32 v2, 0x5f7ffffc, v2
	v_mul_f32_e32 v4, 0x2f800000, v2
	v_trunc_f32_e32 v4, v4
	v_fmac_f32_e32 v2, 0xcf800000, v4
	v_cvt_u32_f32_e32 v4, v4
	v_cvt_u32_f32_e32 v2, v2
	v_readfirstlane_b32 s48, v4
	v_readfirstlane_b32 s28, v2
	s_mul_i32 s29, s46, s48
	s_mul_hi_u32 s50, s46, s28
	s_mul_i32 s49, s47, s28
	s_add_i32 s29, s50, s29
	s_mul_i32 s51, s46, s28
	s_add_i32 s29, s29, s49
	s_mul_i32 s50, s28, s29
	s_mul_hi_u32 s52, s28, s51
	s_mul_hi_u32 s49, s28, s29
	s_add_u32 s50, s52, s50
	s_addc_u32 s49, 0, s49
	s_mul_hi_u32 s53, s48, s51
	s_mul_i32 s51, s48, s51
	s_add_u32 s50, s50, s51
	s_mul_hi_u32 s52, s48, s29
	s_addc_u32 s49, s49, s53
	s_addc_u32 s50, s52, 0
	s_mul_i32 s29, s48, s29
	s_add_u32 s29, s49, s29
	s_addc_u32 s49, 0, s50
	s_add_u32 s50, s28, s29
	s_cselect_b64 s[28:29], -1, 0
	s_cmp_lg_u64 s[28:29], 0
	s_addc_u32 s48, s48, s49
	s_mul_i32 s28, s46, s48
	s_mul_hi_u32 s29, s46, s50
	s_add_i32 s28, s29, s28
	s_mul_i32 s47, s47, s50
	s_add_i32 s28, s28, s47
	s_mul_i32 s46, s46, s50
	s_mul_hi_u32 s47, s48, s46
	s_mul_i32 s49, s48, s46
	s_mul_i32 s52, s50, s28
	s_mul_hi_u32 s46, s50, s46
	s_mul_hi_u32 s51, s50, s28
	s_add_u32 s46, s46, s52
	s_addc_u32 s51, 0, s51
	s_add_u32 s46, s46, s49
	s_mul_hi_u32 s29, s48, s28
	s_addc_u32 s46, s51, s47
	s_addc_u32 s29, s29, 0
	s_mul_i32 s28, s48, s28
	s_add_u32 s28, s46, s28
	s_addc_u32 s46, 0, s29
	s_add_u32 s49, s50, s28
	s_cselect_b64 s[28:29], -1, 0
	s_cmp_lg_u64 s[28:29], 0
	s_addc_u32 s48, s48, s46
	s_ashr_i32 s28, s95, 31
	v_readlane_b32 s46, v68, 35
	s_add_u32 s46, s46, s28
	s_mov_b32 s29, s28
	s_addc_u32 s47, s95, s28
	s_xor_b64 s[46:47], s[46:47], s[28:29]
	s_mul_i32 s51, s46, s48
	s_mul_hi_u32 s52, s46, s49
	s_mul_hi_u32 s50, s46, s48
	s_add_u32 s51, s52, s51
	s_addc_u32 s50, 0, s50
	s_mul_hi_u32 s53, s47, s49
	s_mul_i32 s49, s47, s49
	s_add_u32 s49, s51, s49
	s_mul_hi_u32 s52, s47, s48
	s_addc_u32 s49, s50, s53
	s_addc_u32 s50, s52, 0
	s_mul_i32 s48, s47, s48
	s_add_u32 s48, s49, s48
	s_addc_u32 s49, 0, s50
	s_mul_i32 s49, s12, s49
	s_mul_hi_u32 s50, s12, s48
	s_add_i32 s49, s50, s49
	s_mul_i32 s50, s13, s48
	s_add_i32 s52, s49, s50
	s_sub_i32 s50, s47, s52
	s_mul_i32 s48, s12, s48
	s_sub_u32 s46, s46, s48
	s_cselect_b64 s[48:49], -1, 0
	s_cmp_lg_u64 s[48:49], 0
	s_subb_u32 s53, s50, s13
	s_sub_u32 s54, s46, s12
	s_cselect_b64 s[50:51], -1, 0
	s_cmp_lg_u64 s[50:51], 0
	s_subb_u32 s55, s53, 0
	s_cmp_ge_u32 s55, s13
	s_cselect_b32 s72, -1, 0
	s_cmp_ge_u32 s54, s12
	s_cselect_b32 s73, -1, 0
	s_cmp_eq_u32 s55, s13
	s_cselect_b32 s72, s73, s72
	s_cmp_lg_u64 s[50:51], 0
	s_subb_u32 s53, s53, s13
	s_sub_u32 s73, s54, s12
	s_cselect_b64 s[50:51], -1, 0
	s_cmp_lg_u64 s[50:51], 0
	s_subb_u32 s50, s53, 0
	s_cmp_lg_u32 s72, 0
	s_cselect_b32 s51, s73, s54
	s_cselect_b32 s50, s50, s55
	s_cmp_lg_u64 s[48:49], 0
	s_subb_u32 s47, s47, s52
	s_cmp_ge_u32 s47, s13
	s_cselect_b32 s48, -1, 0
	s_cmp_ge_u32 s46, s12
	s_cselect_b32 s12, -1, 0
	s_cmp_eq_u32 s47, s13
	s_cselect_b32 s12, s12, s48
	s_cmp_lg_u32 s12, 0
	s_cselect_b32 s13, s50, s47
	s_cselect_b32 s12, s51, s46
	s_xor_b64 s[12:13], s[12:13], s[28:29]
	s_sub_u32 s12, s12, s28
	s_subb_u32 s13, s13, s28
	s_cbranch_execnz .LBB45_232
.LBB45_231:                             ;   in Loop: Header=BB45_16 Depth=1
	v_cvt_f32_u32_e32 v2, s82
	s_sub_i32 s12, 0, s82
	v_readlane_b32 s28, v68, 35
	v_rcp_iflag_f32_e32 v2, v2
	s_nop 0
	v_mul_f32_e32 v2, 0x4f7ffffe, v2
	v_cvt_u32_f32_e32 v2, v2
	s_nop 0
	v_readfirstlane_b32 s13, v2
	s_mul_i32 s12, s12, s13
	s_mul_hi_u32 s12, s13, s12
	s_add_i32 s13, s13, s12
	s_mul_hi_u32 s12, s28, s13
	s_mul_i32 s12, s12, s82
	s_sub_i32 s12, s28, s12
	s_sub_i32 s13, s12, s82
	s_cmp_ge_u32 s12, s82
	s_cselect_b32 s12, s13, s12
	s_sub_i32 s13, s12, s82
	s_cmp_ge_u32 s12, s82
	s_cselect_b32 s84, s13, s12
	s_mov_b64 s[12:13], s[84:85]
.LBB45_232:                             ;   in Loop: Header=BB45_16 Depth=1
	v_readlane_b32 s28, v68, 35
	s_sub_u32 s48, s28, s12
	s_subb_u32 s49, s95, s13
	v_cmp_gt_i64_e32 vcc, s[48:49], v[0:1]
	s_mov_b64 s[28:29], 0
	s_mov_b64 s[12:13], 0
                                        ; implicit-def: $vgpr6_vgpr7
	s_and_saveexec_b64 s[46:47], vcc
	s_cbranch_execz .LBB45_244
; %bb.233:                              ;   in Loop: Header=BB45_16 Depth=1
	v_mov_b64_e32 v[8:9], v[16:17]
	v_mov_b64_e32 v[12:13], v[0:1]
                                        ; implicit-def: $sgpr50_sgpr51
	s_branch .LBB45_237
.LBB45_234:                             ;   in Loop: Header=BB45_237 Depth=2
	s_or_b64 exec, exec, s[52:53]
	s_waitcnt lgkmcnt(0)
	s_barrier
	ds_read_b128 v[4:7], v19 offset:3072
	s_waitcnt lgkmcnt(0)
	s_barrier
	v_cmp_neq_f64_e32 vcc, 0, v[4:5]
	s_cbranch_vccnz .LBB45_240
; %bb.235:                              ;   in Loop: Header=BB45_237 Depth=2
	v_lshl_add_u64 v[12:13], v[12:13], 0, s[82:83]
	v_cmp_le_i64_e32 vcc, s[48:49], v[12:13]
	v_lshl_add_u64 v[8:9], v[8:9], 0, s[86:87]
	s_mov_b64 s[52:53], 0
	s_orn2_b64 s[54:55], vcc, exec
.LBB45_236:                             ;   in Loop: Header=BB45_237 Depth=2
	s_and_b64 s[54:55], exec, s[54:55]
	s_or_b64 s[12:13], s[54:55], s[12:13]
	s_andn2_b64 s[50:51], s[50:51], exec
	s_and_b64 s[52:53], s[52:53], exec
	s_or_b64 s[50:51], s[50:51], s[52:53]
	s_andn2_b64 exec, exec, s[12:13]
	s_cbranch_execz .LBB45_243
.LBB45_237:                             ;   Parent Loop BB45_16 Depth=1
                                        ; =>  This Inner Loop Header: Depth=2
	v_cmp_gt_i64_e32 vcc, s[56:57], v[12:13]
	s_and_saveexec_b64 s[52:53], vcc
	s_cbranch_execz .LBB45_234
; %bb.238:                              ;   in Loop: Header=BB45_237 Depth=2
	global_load_dwordx2 v[4:5], v[8:9], off
	s_waitcnt vmcnt(0)
	v_ashrrev_i32_e32 v2, 31, v5
	v_or_b32_e32 v6, 0x80000000, v2
	v_xor_b32_e32 v2, v2, v4
	v_xor_b32_e32 v6, v6, v5
	v_cmp_o_f64_e32 vcc, v[4:5], v[4:5]
	s_nop 1
	v_cndmask_b32_e32 v2, -1, v2, vcc
	v_cndmask_b32_e32 v6, -1, v6, vcc
	v_and_b32_e32 v7, v6, v39
	v_and_b32_e32 v6, v2, v38
	v_cmp_eq_u64_e32 vcc, v[6:7], v[30:31]
	s_and_b64 exec, exec, vcc
	s_cbranch_execz .LBB45_234
; %bb.239:                              ;   in Loop: Header=BB45_237 Depth=2
	v_mov_b32_e32 v2, v19
	ds_write_b128 v19, v[2:5] offset:3072
	s_branch .LBB45_234
.LBB45_240:                             ;   in Loop: Header=BB45_237 Depth=2
	s_mov_b64 s[54:55], -1
                                        ; implicit-def: $vgpr12_vgpr13
                                        ; implicit-def: $vgpr8_vgpr9
	s_mov_b64 s[52:53], -1
	s_branch .LBB45_236
.LBB45_241:                             ;   in Loop: Header=BB45_16 Depth=1
                                        ; implicit-def: $sgpr6_sgpr7
	s_andn2_b64 vcc, exec, s[8:9]
	s_cbranch_vccz .LBB45_184
	s_branch .LBB45_185
.LBB45_242:                             ;   in Loop: Header=BB45_16 Depth=1
                                        ; implicit-def: $sgpr12_sgpr13
	s_branch .LBB45_201
.LBB45_243:                             ;   in Loop: Header=BB45_16 Depth=1
	s_or_b64 exec, exec, s[12:13]
	s_and_b64 s[12:13], s[50:51], exec
.LBB45_244:                             ;   in Loop: Header=BB45_16 Depth=1
	s_or_b64 exec, exec, s[46:47]
.LBB45_245:                             ;   in Loop: Header=BB45_16 Depth=1
	s_and_b64 vcc, exec, s[28:29]
	s_cbranch_vccz .LBB45_260
; %bb.246:                              ;   in Loop: Header=BB45_16 Depth=1
	v_readlane_b32 s6, v68, 34
	s_add_u32 s46, s44, s6
	v_readlane_b32 s6, v68, 36
	s_addc_u32 s7, s45, s6
	s_mov_b32 s6, s85
	s_cmp_lg_u64 s[6:7], 0
	s_cbranch_scc0 .LBB45_281
; %bb.247:                              ;   in Loop: Header=BB45_16 Depth=1
	s_add_u32 s8, s82, 0
	s_addc_u32 s9, 0, 0
	s_xor_b64 s[8:9], s[8:9], 0
	v_cvt_f32_u32_e32 v2, s8
	v_cvt_f32_u32_e32 v4, s9
	s_sub_u32 s6, 0, s8
	s_subb_u32 s47, 0, s9
	v_fmac_f32_e32 v2, 0x4f800000, v4
	v_rcp_f32_e32 v2, v2
	s_nop 0
	v_mul_f32_e32 v2, 0x5f7ffffc, v2
	v_mul_f32_e32 v4, 0x2f800000, v2
	v_trunc_f32_e32 v4, v4
	v_fmac_f32_e32 v2, 0xcf800000, v4
	v_cvt_u32_f32_e32 v4, v4
	v_cvt_u32_f32_e32 v2, v2
	v_readfirstlane_b32 s48, v4
	v_readfirstlane_b32 s28, v2
	s_mul_i32 s29, s6, s48
	s_mul_hi_u32 s50, s6, s28
	s_mul_i32 s49, s47, s28
	s_add_i32 s29, s50, s29
	s_mul_i32 s51, s6, s28
	s_add_i32 s29, s29, s49
	s_mul_i32 s50, s28, s29
	s_mul_hi_u32 s52, s28, s51
	s_mul_hi_u32 s49, s28, s29
	s_add_u32 s50, s52, s50
	s_addc_u32 s49, 0, s49
	s_mul_hi_u32 s53, s48, s51
	s_mul_i32 s51, s48, s51
	s_add_u32 s50, s50, s51
	s_mul_hi_u32 s52, s48, s29
	s_addc_u32 s49, s49, s53
	s_addc_u32 s50, s52, 0
	s_mul_i32 s29, s48, s29
	s_add_u32 s29, s49, s29
	s_addc_u32 s49, 0, s50
	s_add_u32 s50, s28, s29
	s_cselect_b64 s[28:29], -1, 0
	s_cmp_lg_u64 s[28:29], 0
	s_addc_u32 s48, s48, s49
	s_mul_i32 s28, s6, s48
	s_mul_hi_u32 s29, s6, s50
	s_add_i32 s28, s29, s28
	s_mul_i32 s47, s47, s50
	s_add_i32 s28, s28, s47
	s_mul_i32 s6, s6, s50
	s_mul_hi_u32 s47, s48, s6
	s_mul_i32 s49, s48, s6
	s_mul_i32 s52, s50, s28
	s_mul_hi_u32 s6, s50, s6
	s_mul_hi_u32 s51, s50, s28
	s_add_u32 s6, s6, s52
	s_addc_u32 s51, 0, s51
	s_add_u32 s6, s6, s49
	s_mul_hi_u32 s29, s48, s28
	s_addc_u32 s6, s51, s47
	s_addc_u32 s29, s29, 0
	s_mul_i32 s28, s48, s28
	s_add_u32 s6, s6, s28
	s_addc_u32 s47, 0, s29
	s_add_u32 s6, s50, s6
	s_cselect_b64 s[28:29], -1, 0
	s_cmp_lg_u64 s[28:29], 0
	s_addc_u32 s47, s48, s47
	s_ashr_i32 s28, s7, 31
	s_add_u32 s48, s46, s28
	s_mov_b32 s29, s28
	s_addc_u32 s49, s7, s28
	s_xor_b64 s[48:49], s[48:49], s[28:29]
	s_mul_i32 s51, s48, s47
	s_mul_hi_u32 s52, s48, s6
	s_mul_hi_u32 s50, s48, s47
	s_add_u32 s51, s52, s51
	s_addc_u32 s50, 0, s50
	s_mul_hi_u32 s53, s49, s6
	s_mul_i32 s6, s49, s6
	s_add_u32 s6, s51, s6
	s_mul_hi_u32 s52, s49, s47
	s_addc_u32 s6, s50, s53
	s_addc_u32 s50, s52, 0
	s_mul_i32 s47, s49, s47
	s_add_u32 s6, s6, s47
	s_addc_u32 s47, 0, s50
	s_mul_i32 s47, s8, s47
	s_mul_hi_u32 s50, s8, s6
	s_add_i32 s47, s50, s47
	s_mul_i32 s50, s9, s6
	s_add_i32 s47, s47, s50
	s_sub_i32 s52, s49, s47
	s_mul_i32 s6, s8, s6
	s_sub_u32 s6, s48, s6
	s_cselect_b64 s[50:51], -1, 0
	s_cmp_lg_u64 s[50:51], 0
	s_subb_u32 s48, s52, s9
	s_sub_u32 s54, s6, s8
	s_cselect_b64 s[52:53], -1, 0
	s_cmp_lg_u64 s[52:53], 0
	s_subb_u32 s55, s48, 0
	s_cmp_ge_u32 s55, s9
	s_cselect_b32 s72, -1, 0
	s_cmp_ge_u32 s54, s8
	s_cselect_b32 s73, -1, 0
	s_cmp_eq_u32 s55, s9
	s_cselect_b32 s72, s73, s72
	s_cmp_lg_u64 s[52:53], 0
	s_subb_u32 s48, s48, s9
	s_sub_u32 s73, s54, s8
	s_cselect_b64 s[52:53], -1, 0
	s_cmp_lg_u64 s[52:53], 0
	s_subb_u32 s48, s48, 0
	s_cmp_lg_u32 s72, 0
	s_cselect_b32 s52, s73, s54
	s_cselect_b32 s48, s48, s55
	s_cmp_lg_u64 s[50:51], 0
	s_subb_u32 s47, s49, s47
	s_cmp_ge_u32 s47, s9
	s_cselect_b32 s49, -1, 0
	s_cmp_ge_u32 s6, s8
	s_cselect_b32 s8, -1, 0
	s_cmp_eq_u32 s47, s9
	s_cselect_b32 s8, s8, s49
	s_cmp_lg_u32 s8, 0
	s_cselect_b32 s9, s48, s47
	s_cselect_b32 s8, s52, s6
	s_xor_b64 s[8:9], s[8:9], s[28:29]
	s_sub_u32 s8, s8, s28
	s_subb_u32 s9, s9, s28
	s_cbranch_execnz .LBB45_249
.LBB45_248:                             ;   in Loop: Header=BB45_16 Depth=1
	v_cvt_f32_u32_e32 v2, s82
	s_sub_i32 s6, 0, s82
	v_rcp_iflag_f32_e32 v2, v2
	s_nop 0
	v_mul_f32_e32 v2, 0x4f7ffffe, v2
	v_cvt_u32_f32_e32 v2, v2
	s_nop 0
	v_readfirstlane_b32 s8, v2
	s_mul_i32 s6, s6, s8
	s_mul_hi_u32 s6, s8, s6
	s_add_i32 s8, s8, s6
	s_mul_hi_u32 s6, s46, s8
	s_mul_i32 s6, s6, s82
	s_sub_i32 s6, s46, s6
	s_sub_i32 s8, s6, s82
	s_cmp_ge_u32 s6, s82
	s_cselect_b32 s6, s8, s6
	s_sub_i32 s8, s6, s82
	s_cmp_ge_u32 s6, s82
	s_cselect_b32 s84, s8, s6
	s_mov_b64 s[8:9], s[84:85]
.LBB45_249:                             ;   in Loop: Header=BB45_16 Depth=1
	s_sub_u32 s8, s46, s8
	s_subb_u32 s9, s7, s9
	v_cmp_gt_i64_e32 vcc, s[8:9], v[0:1]
                                        ; implicit-def: $vgpr6_vgpr7
	s_and_saveexec_b64 s[6:7], vcc
	s_cbranch_execz .LBB45_259
; %bb.250:                              ;   in Loop: Header=BB45_16 Depth=1
	s_mov_b64 s[28:29], 0
	v_mov_b32_e32 v12, v49
	v_mov_b64_e32 v[8:9], v[0:1]
                                        ; implicit-def: $sgpr46_sgpr47
	s_branch .LBB45_254
.LBB45_251:                             ;   in Loop: Header=BB45_254 Depth=2
	s_or_b64 exec, exec, s[48:49]
	s_waitcnt lgkmcnt(0)
	s_barrier
	ds_read_b128 v[4:7], v19 offset:3072
	s_waitcnt lgkmcnt(0)
	s_barrier
	v_cmp_eq_f64_e32 vcc, 0, v[4:5]
	s_cbranch_vccz .LBB45_257
; %bb.252:                              ;   in Loop: Header=BB45_254 Depth=2
	v_lshl_add_u64 v[8:9], v[8:9], 0, s[82:83]
	v_cmp_le_i64_e32 vcc, s[8:9], v[8:9]
	v_add_u32_e32 v12, s90, v12
	s_mov_b64 s[48:49], 0
	s_orn2_b64 s[50:51], vcc, exec
.LBB45_253:                             ;   in Loop: Header=BB45_254 Depth=2
	s_and_b64 s[50:51], exec, s[50:51]
	s_or_b64 s[28:29], s[50:51], s[28:29]
	s_andn2_b64 s[46:47], s[46:47], exec
	s_and_b64 s[48:49], s[48:49], exec
	s_or_b64 s[46:47], s[46:47], s[48:49]
	s_andn2_b64 exec, exec, s[28:29]
	s_cbranch_execz .LBB45_258
.LBB45_254:                             ;   Parent Loop BB45_16 Depth=1
                                        ; =>  This Inner Loop Header: Depth=2
	v_cmp_gt_u64_e32 vcc, s[44:45], v[8:9]
	s_and_saveexec_b64 s[48:49], vcc
	s_cbranch_execz .LBB45_251
; %bb.255:                              ;   in Loop: Header=BB45_254 Depth=2
	ds_read_b64 v[4:5], v12
	s_waitcnt lgkmcnt(0)
	v_ashrrev_i32_e32 v2, 31, v5
	v_or_b32_e32 v6, 0x80000000, v2
	v_xor_b32_e32 v2, v2, v4
	v_xor_b32_e32 v6, v6, v5
	v_cmp_o_f64_e32 vcc, v[4:5], v[4:5]
	s_nop 1
	v_cndmask_b32_e32 v2, -1, v2, vcc
	v_cndmask_b32_e32 v6, -1, v6, vcc
	v_and_b32_e32 v7, v6, v39
	v_and_b32_e32 v6, v2, v38
	v_cmp_eq_u64_e32 vcc, v[6:7], v[30:31]
	s_and_b64 exec, exec, vcc
	s_cbranch_execz .LBB45_251
; %bb.256:                              ;   in Loop: Header=BB45_254 Depth=2
	v_mov_b32_e32 v2, v19
	ds_write_b128 v19, v[2:5] offset:3072
	s_branch .LBB45_251
.LBB45_257:                             ;   in Loop: Header=BB45_254 Depth=2
	s_mov_b64 s[50:51], -1
                                        ; implicit-def: $vgpr8_vgpr9
                                        ; implicit-def: $vgpr12
	s_mov_b64 s[48:49], -1
	s_branch .LBB45_253
.LBB45_258:                             ;   in Loop: Header=BB45_16 Depth=1
	s_or_b64 exec, exec, s[28:29]
	s_andn2_b64 s[8:9], s[12:13], exec
	s_and_b64 s[12:13], s[46:47], exec
	s_or_b64 s[12:13], s[8:9], s[12:13]
.LBB45_259:                             ;   in Loop: Header=BB45_16 Depth=1
	s_or_b64 exec, exec, s[6:7]
	s_mov_b64 s[6:7], 0
	s_mov_b64 s[8:9], -1
.LBB45_260:                             ;   in Loop: Header=BB45_16 Depth=1
	s_orn2_b64 s[28:29], s[12:13], exec
.LBB45_261:                             ;   in Loop: Header=BB45_16 Depth=1
	s_or_b64 exec, exec, s[42:43]
	s_mov_b64 s[42:43], 0
	s_and_saveexec_b64 s[12:13], s[28:29]
	s_cbranch_execz .LBB45_272
; %bb.262:                              ;   in Loop: Header=BB45_16 Depth=1
	s_xor_b64 s[28:29], s[24:25], -1
	v_mov_b64_e32 v[4:5], 1
	v_mov_b32_e32 v18, 1
	s_and_saveexec_b64 s[24:25], s[28:29]
	s_cbranch_execz .LBB45_271
; %bb.263:                              ;   in Loop: Header=BB45_16 Depth=1
	v_cmp_ge_i64_e32 vcc, s[2:3], v[10:11]
	s_and_saveexec_b64 s[28:29], vcc
	s_xor_b64 s[28:29], exec, s[28:29]
	s_cbranch_execz .LBB45_268
; %bb.264:                              ;   in Loop: Header=BB45_16 Depth=1
	ds_read_b64 v[4:5], v19 offset:5120
	v_or_b32_e32 v31, s15, v31
	v_or_b32_e32 v30, s14, v30
	;; [unrolled: 1-line block ×4, first 2 shown]
	s_waitcnt lgkmcnt(0)
	v_cmp_ne_u64_e32 vcc, 0, v[4:5]
	s_cbranch_vccnz .LBB45_268
; %bb.265:                              ;   in Loop: Header=BB45_16 Depth=1
	s_mov_b64 s[14:15], exec
	v_readlane_b32 s42, v68, 12
	v_readlane_b32 s43, v68, 13
	s_and_b64 s[42:43], s[14:15], s[42:43]
	s_mov_b64 exec, s[42:43]
; %bb.266:                              ;   in Loop: Header=BB45_16 Depth=1
	v_mov_b64_e32 v[4:5], s[2:3]
	ds_write_b64 v19, v[4:5] offset:5128
; %bb.267:                              ;   in Loop: Header=BB45_16 Depth=1
	s_or_b64 exec, exec, s[14:15]
	s_waitcnt lgkmcnt(0)
	s_barrier
.LBB45_268:                             ;   in Loop: Header=BB45_16 Depth=1
	s_andn2_saveexec_b64 s[14:15], s[28:29]
; %bb.269:                              ;   in Loop: Header=BB45_16 Depth=1
	v_mov_b32_e32 v2, s3
	v_subrev_co_u32_e32 v10, vcc, s2, v10
	s_nop 1
	v_subb_co_u32_e32 v11, vcc, v11, v2, vcc
; %bb.270:                              ;   in Loop: Header=BB45_16 Depth=1
	s_or_b64 exec, exec, s[14:15]
	v_mov_b32_e32 v18, 8
	v_mov_b64_e32 v[4:5], v[10:11]
.LBB45_271:                             ;   in Loop: Header=BB45_16 Depth=1
	s_or_b64 exec, exec, s[24:25]
	s_mov_b64 s[42:43], exec
	v_mov_b64_e32 v[10:11], v[4:5]
.LBB45_272:                             ;   in Loop: Header=BB45_16 Depth=1
	s_or_b64 exec, exec, s[12:13]
	s_orn2_b64 s[12:13], s[42:43], exec
.LBB45_273:                             ;   in Loop: Header=BB45_16 Depth=1
	s_or_b64 exec, exec, s[22:23]
	s_andn2_b64 s[2:3], s[38:39], exec
	s_and_b64 s[8:9], s[8:9], exec
	s_or_b64 s[38:39], s[2:3], s[8:9]
	s_andn2_b64 s[2:3], s[36:37], exec
	s_and_b64 s[6:7], s[6:7], exec
	s_or_b64 s[36:37], s[2:3], s[6:7]
	s_and_b64 s[8:9], s[12:13], exec
	v_mov_b64_e32 v[8:9], v[10:11]
.LBB45_274:                             ;   in Loop: Header=BB45_16 Depth=1
	s_or_b64 exec, exec, s[40:41]
	s_orn2_b64 s[6:7], s[8:9], exec
.LBB45_275:                             ;   in Loop: Header=BB45_16 Depth=1
	s_or_b64 exec, exec, s[34:35]
	s_andn2_b64 s[2:3], s[26:27], exec
	s_and_b64 s[8:9], s[38:39], exec
	s_or_b64 s[26:27], s[2:3], s[8:9]
	s_andn2_b64 s[0:1], s[0:1], exec
	s_and_b64 s[2:3], s[36:37], exec
	s_or_b64 s[0:1], s[0:1], s[2:3]
	s_and_b64 s[8:9], s[6:7], exec
	v_mov_b64_e32 v[12:13], v[8:9]
.LBB45_276:                             ;   in Loop: Header=BB45_16 Depth=1
	s_or_b64 exec, exec, s[30:31]
	s_orn2_b64 s[6:7], s[8:9], exec
.LBB45_277:                             ;   in Loop: Header=BB45_16 Depth=1
	s_or_b64 exec, exec, s[20:21]
	s_mov_b64 s[8:9], 0
	s_and_saveexec_b64 s[2:3], s[6:7]
	s_xor_b64 s[2:3], exec, s[2:3]
	s_cbranch_execz .LBB45_14
; %bb.278:                              ;   in Loop: Header=BB45_16 Depth=1
	v_and_b32_e32 v2, 7, v18
	v_cmp_eq_u32_e32 vcc, 0, v2
	s_mov_b64 s[6:7], -1
	s_mov_b64 s[8:9], -1
	s_and_saveexec_b64 s[12:13], vcc
	s_cbranch_execz .LBB45_13
; %bb.279:                              ;   in Loop: Header=BB45_16 Depth=1
	s_xor_b32 s96, s96, 1
	s_add_i32 s14, s91, -2
	s_cmp_eq_u32 s91, 0
	s_cselect_b64 s[6:7], -1, 0
	s_xor_b64 s[8:9], exec, -1
	s_orn2_b64 s[6:7], s[6:7], exec
	s_mov_b32 s91, s14
	s_branch .LBB45_13
.LBB45_280:                             ;   in Loop: Header=BB45_16 Depth=1
                                        ; implicit-def: $sgpr12_sgpr13
	s_andn2_b64 vcc, exec, s[28:29]
	s_cbranch_vccz .LBB45_231
	s_branch .LBB45_232
.LBB45_281:                             ;   in Loop: Header=BB45_16 Depth=1
                                        ; implicit-def: $sgpr8_sgpr9
	s_branch .LBB45_248
.LBB45_282:
	s_or_b64 exec, exec, s[68:69]
	s_xor_b64 s[4:5], s[74:75], -1
	s_xor_b64 s[2:3], s[58:59], -1
	;; [unrolled: 1-line block ×3, first 2 shown]
	s_mov_b64 s[0:1], 0
	s_and_saveexec_b64 s[8:9], s[2:3]
	s_xor_b64 s[2:3], exec, s[8:9]
	s_cbranch_execnz .LBB45_287
; %bb.283:
	s_andn2_saveexec_b64 s[2:3], s[2:3]
	s_cbranch_execnz .LBB45_312
.LBB45_284:
	s_or_b64 exec, exec, s[2:3]
	s_and_saveexec_b64 s[2:3], s[0:1]
.LBB45_285:
	; divergent unreachable
.LBB45_286:
	s_endpgm
.LBB45_287:
	s_and_saveexec_b64 s[0:1], s[4:5]
	s_xor_b64 s[4:5], exec, s[0:1]
	s_cbranch_execz .LBB45_310
; %bb.288:
	s_and_saveexec_b64 s[0:1], s[6:7]
	s_xor_b64 s[0:1], exec, s[0:1]
; %bb.289:
	v_lshrrev_b32_e32 v2, 31, v31
	v_mov_b32_e32 v3, 0
	v_lshl_add_u64 v[2:3], v[2:3], 0, -1
	v_or_b32_e32 v3, 0x80000000, v3
	v_xor_b32_e32 v7, v3, v31
	v_xor_b32_e32 v6, v2, v30
; %bb.290:
	s_or_b64 exec, exec, s[0:1]
	s_mov_b64 s[0:1], exec
	v_readlane_b32 s6, v68, 12
	v_readlane_b32 s7, v68, 13
	;; [unrolled: 1-line block ×3, first 2 shown]
	s_and_b64 s[6:7], s[0:1], s[6:7]
	v_readlane_b32 s26, v68, 22
	v_readlane_b32 s29, v68, 7
	;; [unrolled: 1-line block ×3, first 2 shown]
	s_mov_b64 exec, s[6:7]
; %bb.291:
	v_mov_b32_e32 v2, 0
	v_mov_b32_e32 v3, s56
	ds_write_b32 v2, v3 offset:5140
; %bb.292:
	s_or_b64 exec, exec, s[0:1]
	s_waitcnt lgkmcnt(0)
	s_barrier
	s_mov_b64 s[6:7], exec
	v_readlane_b32 s0, v68, 30
	v_readlane_b32 s1, v68, 31
	s_and_b64 s[0:1], s[6:7], s[0:1]
	s_mov_b64 exec, s[0:1]
	s_cbranch_execz .LBB45_307
; %bb.293:
	v_mov_b32_e32 v2, 0
	ds_read_b32 v4, v2 offset:5140
	v_cmp_u_f64_e32 vcc, v[6:7], v[6:7]
	s_mov_b64 s[8:9], 0
	s_xor_b64 s[10:11], vcc, -1
                                        ; implicit-def: $sgpr12_sgpr13
                                        ; implicit-def: $sgpr14_sgpr15
                                        ; implicit-def: $sgpr16_sgpr17
	s_waitcnt lgkmcnt(0)
	v_ashrrev_i32_e32 v5, 31, v4
	s_branch .LBB45_296
.LBB45_294:                             ;   in Loop: Header=BB45_296 Depth=1
	s_or_b64 exec, exec, s[22:23]
	s_andn2_b64 s[16:17], s[16:17], exec
	s_and_b64 s[0:1], s[0:1], exec
	s_or_b64 s[16:17], s[16:17], s[0:1]
	s_andn2_b64 s[0:1], s[14:15], exec
	s_and_b64 s[14:15], s[20:21], exec
	s_or_b64 s[14:15], s[0:1], s[14:15]
.LBB45_295:                             ;   in Loop: Header=BB45_296 Depth=1
	s_or_b64 exec, exec, s[18:19]
	s_and_b64 s[0:1], exec, s[14:15]
	s_or_b64 s[8:9], s[0:1], s[8:9]
	s_andn2_b64 s[0:1], s[12:13], exec
	s_and_b64 s[12:13], s[16:17], exec
	s_or_b64 s[12:13], s[0:1], s[12:13]
	s_andn2_b64 exec, exec, s[8:9]
	s_cbranch_execz .LBB45_302
.LBB45_296:                             ; =>This Inner Loop Header: Depth=1
	v_mov_b64_e32 v[2:3], v[0:1]
	v_cmp_lt_i64_e32 vcc, v[2:3], v[4:5]
	s_or_b64 s[16:17], s[16:17], exec
	s_or_b64 s[14:15], s[14:15], exec
                                        ; implicit-def: $vgpr0_vgpr1
	s_and_saveexec_b64 s[18:19], vcc
	s_cbranch_execz .LBB45_295
; %bb.297:                              ;   in Loop: Header=BB45_296 Depth=1
	global_load_dwordx2 v[0:1], v[16:17], off
	s_mov_b64 s[20:21], -1
	s_waitcnt vmcnt(0)
	v_cmp_o_f64_e64 s[0:1], v[0:1], v[0:1]
	v_cmp_neq_f64_e32 vcc, v[0:1], v[6:7]
	s_or_b64 s[0:1], s[0:1], s[10:11]
	s_and_b64 s[24:25], vcc, s[0:1]
	s_mov_b64 s[0:1], 0
                                        ; implicit-def: $vgpr0_vgpr1
	s_and_saveexec_b64 s[22:23], s[24:25]
	s_cbranch_execz .LBB45_294
; %bb.298:                              ;   in Loop: Header=BB45_296 Depth=1
	v_lshl_add_u64 v[0:1], v[2:3], 0, s[82:83]
	v_cmp_le_i64_e32 vcc, s[56:57], v[0:1]
	s_mov_b64 s[0:1], exec
	v_lshl_add_u64 v[16:17], v[16:17], 0, s[86:87]
	s_orn2_b64 s[20:21], vcc, exec
	s_branch .LBB45_294
.LBB45_299:
                                        ; implicit-def: $sgpr12_sgpr13
	s_branch .LBB45_3
.LBB45_300:
                                        ; implicit-def: $sgpr4_sgpr5
                                        ; kill: killed $sgpr4_sgpr5
	s_branch .LBB45_6
.LBB45_301:
                                        ; implicit-def: $sgpr6_sgpr7
                                        ; kill: killed $sgpr6_sgpr7
	s_load_dwordx2 s[16:17], s[0:1], 0x0
	s_branch .LBB45_9
.LBB45_302:
	s_or_b64 exec, exec, s[8:9]
	s_xor_b64 s[0:1], s[12:13], -1
	s_and_saveexec_b64 s[8:9], s[0:1]
	s_xor_b64 s[8:9], exec, s[8:9]
	s_cbranch_execz .LBB45_307
; %bb.303:
	s_mov_b64 s[0:1], exec
	s_brev_b32 s8, -2
.LBB45_304:                             ; =>This Inner Loop Header: Depth=1
	s_ff1_i32_b64 s9, s[0:1]
	v_readlane_b32 s12, v2, s9
	s_lshl_b64 s[10:11], 1, s9
	s_min_i32 s8, s8, s12
	s_andn2_b64 s[0:1], s[0:1], s[10:11]
	s_cmp_lg_u64 s[0:1], 0
	s_cbranch_scc1 .LBB45_304
; %bb.305:
	v_mbcnt_lo_u32_b32 v0, exec_lo, 0
	v_mbcnt_hi_u32_b32 v0, exec_hi, v0
	v_cmp_eq_u32_e32 vcc, 0, v0
	s_and_saveexec_b64 s[0:1], vcc
	s_xor_b64 s[0:1], exec, s[0:1]
; %bb.306:
	v_mov_b32_e32 v0, 0
	v_mov_b32_e32 v1, s8
	ds_min_i32 v0, v1 offset:5140
.LBB45_307:
	s_or_b64 exec, exec, s[6:7]
	s_waitcnt lgkmcnt(0)
	s_barrier
	s_mov_b64 s[0:1], exec
	v_readlane_b32 s6, v68, 12
	v_readlane_b32 s7, v68, 13
	s_and_b64 s[6:7], s[0:1], s[6:7]
	s_mov_b64 exec, s[6:7]
	s_cbranch_execz .LBB45_309
; %bb.308:
	v_readlane_b32 s8, v68, 0
	v_readlane_b32 s9, v68, 1
	;; [unrolled: 1-line block ×4, first 2 shown]
	s_mul_i32 s6, s10, s9
	s_mul_hi_u32 s7, s10, s8
	s_add_i32 s6, s7, s6
	s_mul_i32 s7, s11, s8
	s_add_i32 s6, s6, s7
	s_mul_i32 s7, s10, s8
	v_readlane_b32 s12, v68, 18
	s_sub_u32 s8, s26, s7
	v_readlane_b32 s14, v68, 20
	v_readlane_b32 s15, v68, 21
	s_subb_u32 s6, 0, s6
	s_mul_i32 s7, s8, s15
	s_mul_hi_u32 s9, s8, s14
	v_readlane_b32 s13, v68, 19
	s_add_i32 s7, s9, s7
	s_mul_i32 s6, s6, s14
	s_add_i32 s7, s7, s6
	s_mul_i32 s6, s8, s14
	s_mul_i32 s8, s10, s13
	s_mul_hi_u32 s9, s10, s12
	s_add_i32 s8, s9, s8
	s_mul_i32 s9, s11, s12
	v_readlane_b32 s14, v68, 4
	s_add_i32 s9, s8, s9
	s_mul_i32 s8, s10, s12
	v_readlane_b32 s15, v68, 5
	s_mul_i32 s10, s14, s29
	s_mul_hi_u32 s11, s14, s28
	s_add_i32 s10, s11, s10
	s_mul_i32 s11, s15, s28
	s_add_i32 s10, s10, s11
	s_mul_i32 s11, s14, s28
	v_readlane_b32 s16, v68, 14
	s_sub_u32 s12, s26, s11
	v_readlane_b32 s18, v68, 16
	v_readlane_b32 s19, v68, 17
	s_subb_u32 s10, 0, s10
	s_mul_i32 s11, s12, s19
	s_mul_hi_u32 s13, s12, s18
	v_readlane_b32 s17, v68, 15
	s_add_i32 s11, s13, s11
	s_mul_i32 s10, s10, s18
	s_add_i32 s11, s11, s10
	s_mul_i32 s10, s12, s18
	s_mul_i32 s12, s14, s17
	s_mul_hi_u32 s13, s14, s16
	s_add_i32 s12, s13, s12
	s_mul_i32 s13, s15, s16
	s_add_i32 s13, s12, s13
	s_mul_i32 s12, s14, s16
	s_lshl_b64 s[8:9], s[8:9], 3
	v_readlane_b32 s14, v68, 10
	v_readlane_b32 s15, v68, 11
	s_add_u32 s8, s14, s8
	s_addc_u32 s9, s15, s9
	s_lshl_b64 s[6:7], s[6:7], 3
	v_mov_b32_e32 v2, 0
	s_add_u32 s6, s8, s6
	ds_read_b32 v0, v2 offset:5140
	s_addc_u32 s7, s9, s7
	s_lshl_b64 s[8:9], s[12:13], 3
	v_readlane_b32 s12, v68, 8
	v_readlane_b32 s13, v68, 9
	s_add_u32 s12, s12, s8
	s_addc_u32 s13, s13, s9
	s_lshl_b64 s[8:9], s[10:11], 3
	s_add_u32 s8, s12, s8
	s_addc_u32 s9, s13, s9
	s_waitcnt lgkmcnt(0)
	v_ashrrev_i32_e32 v1, 31, v0
	global_store_dwordx2 v2, v[0:1], s[8:9]
	global_store_dwordx2 v2, v[6:7], s[6:7]
.LBB45_309:
	s_or_b64 exec, exec, s[0:1]
.LBB45_310:
	s_or_saveexec_b64 s[0:1], s[4:5]
	s_mov_b64 s[4:5], 0
	s_xor_b64 exec, exec, s[0:1]
	s_cbranch_execnz .LBB45_313
.LBB45_311:
	s_or_b64 exec, exec, s[0:1]
	s_and_b64 s[0:1], s[4:5], exec
	s_andn2_saveexec_b64 s[2:3], s[2:3]
	s_cbranch_execz .LBB45_284
.LBB45_312:
	s_or_b64 s[0:1], s[0:1], exec
	s_trap 2
	s_or_b64 exec, exec, s[2:3]
	s_and_saveexec_b64 s[2:3], s[0:1]
	s_cbranch_execnz .LBB45_285
	s_branch .LBB45_286
.LBB45_313:
	s_mov_b64 s[4:5], exec
	s_trap 2
	s_branch .LBB45_311
	.section	.rodata,"a",@progbits
	.p2align	6, 0x0
	.amdhsa_kernel _ZN2at6native12_GLOBAL__N_114gatherKthValueIdlLi2EEEvNS_4cuda6detail10TensorInfoIKT_T0_EES8_S8_S8_S8_NS5_IS6_S8_EENS5_IlS8_EE
		.amdhsa_group_segment_fixed_size 5144
		.amdhsa_private_segment_fixed_size 0
		.amdhsa_kernarg_size 1536
		.amdhsa_user_sgpr_count 2
		.amdhsa_user_sgpr_dispatch_ptr 0
		.amdhsa_user_sgpr_queue_ptr 0
		.amdhsa_user_sgpr_kernarg_segment_ptr 1
		.amdhsa_user_sgpr_dispatch_id 0
		.amdhsa_user_sgpr_kernarg_preload_length 0
		.amdhsa_user_sgpr_kernarg_preload_offset 0
		.amdhsa_user_sgpr_private_segment_size 0
		.amdhsa_uses_dynamic_stack 0
		.amdhsa_enable_private_segment 0
		.amdhsa_system_sgpr_workgroup_id_x 1
		.amdhsa_system_sgpr_workgroup_id_y 1
		.amdhsa_system_sgpr_workgroup_id_z 1
		.amdhsa_system_sgpr_workgroup_info 0
		.amdhsa_system_vgpr_workitem_id 0
		.amdhsa_next_free_vgpr 69
		.amdhsa_next_free_sgpr 100
		.amdhsa_accum_offset 72
		.amdhsa_reserve_vcc 1
		.amdhsa_float_round_mode_32 0
		.amdhsa_float_round_mode_16_64 0
		.amdhsa_float_denorm_mode_32 3
		.amdhsa_float_denorm_mode_16_64 3
		.amdhsa_dx10_clamp 1
		.amdhsa_ieee_mode 1
		.amdhsa_fp16_overflow 0
		.amdhsa_tg_split 0
		.amdhsa_exception_fp_ieee_invalid_op 0
		.amdhsa_exception_fp_denorm_src 0
		.amdhsa_exception_fp_ieee_div_zero 0
		.amdhsa_exception_fp_ieee_overflow 0
		.amdhsa_exception_fp_ieee_underflow 0
		.amdhsa_exception_fp_ieee_inexact 0
		.amdhsa_exception_int_div_zero 0
	.end_amdhsa_kernel
	.section	.text._ZN2at6native12_GLOBAL__N_114gatherKthValueIdlLi2EEEvNS_4cuda6detail10TensorInfoIKT_T0_EES8_S8_S8_S8_NS5_IS6_S8_EENS5_IlS8_EE,"axG",@progbits,_ZN2at6native12_GLOBAL__N_114gatherKthValueIdlLi2EEEvNS_4cuda6detail10TensorInfoIKT_T0_EES8_S8_S8_S8_NS5_IS6_S8_EENS5_IlS8_EE,comdat
.Lfunc_end45:
	.size	_ZN2at6native12_GLOBAL__N_114gatherKthValueIdlLi2EEEvNS_4cuda6detail10TensorInfoIKT_T0_EES8_S8_S8_S8_NS5_IS6_S8_EENS5_IlS8_EE, .Lfunc_end45-_ZN2at6native12_GLOBAL__N_114gatherKthValueIdlLi2EEEvNS_4cuda6detail10TensorInfoIKT_T0_EES8_S8_S8_S8_NS5_IS6_S8_EENS5_IlS8_EE
                                        ; -- End function
	.set _ZN2at6native12_GLOBAL__N_114gatherKthValueIdlLi2EEEvNS_4cuda6detail10TensorInfoIKT_T0_EES8_S8_S8_S8_NS5_IS6_S8_EENS5_IlS8_EE.num_vgpr, 69
	.set _ZN2at6native12_GLOBAL__N_114gatherKthValueIdlLi2EEEvNS_4cuda6detail10TensorInfoIKT_T0_EES8_S8_S8_S8_NS5_IS6_S8_EENS5_IlS8_EE.num_agpr, 0
	.set _ZN2at6native12_GLOBAL__N_114gatherKthValueIdlLi2EEEvNS_4cuda6detail10TensorInfoIKT_T0_EES8_S8_S8_S8_NS5_IS6_S8_EENS5_IlS8_EE.numbered_sgpr, 100
	.set _ZN2at6native12_GLOBAL__N_114gatherKthValueIdlLi2EEEvNS_4cuda6detail10TensorInfoIKT_T0_EES8_S8_S8_S8_NS5_IS6_S8_EENS5_IlS8_EE.num_named_barrier, 0
	.set _ZN2at6native12_GLOBAL__N_114gatherKthValueIdlLi2EEEvNS_4cuda6detail10TensorInfoIKT_T0_EES8_S8_S8_S8_NS5_IS6_S8_EENS5_IlS8_EE.private_seg_size, 0
	.set _ZN2at6native12_GLOBAL__N_114gatherKthValueIdlLi2EEEvNS_4cuda6detail10TensorInfoIKT_T0_EES8_S8_S8_S8_NS5_IS6_S8_EENS5_IlS8_EE.uses_vcc, 1
	.set _ZN2at6native12_GLOBAL__N_114gatherKthValueIdlLi2EEEvNS_4cuda6detail10TensorInfoIKT_T0_EES8_S8_S8_S8_NS5_IS6_S8_EENS5_IlS8_EE.uses_flat_scratch, 0
	.set _ZN2at6native12_GLOBAL__N_114gatherKthValueIdlLi2EEEvNS_4cuda6detail10TensorInfoIKT_T0_EES8_S8_S8_S8_NS5_IS6_S8_EENS5_IlS8_EE.has_dyn_sized_stack, 0
	.set _ZN2at6native12_GLOBAL__N_114gatherKthValueIdlLi2EEEvNS_4cuda6detail10TensorInfoIKT_T0_EES8_S8_S8_S8_NS5_IS6_S8_EENS5_IlS8_EE.has_recursion, 0
	.set _ZN2at6native12_GLOBAL__N_114gatherKthValueIdlLi2EEEvNS_4cuda6detail10TensorInfoIKT_T0_EES8_S8_S8_S8_NS5_IS6_S8_EENS5_IlS8_EE.has_indirect_call, 0
	.section	.AMDGPU.csdata,"",@progbits
; Kernel info:
; codeLenInByte = 19052
; TotalNumSgprs: 106
; NumVgprs: 69
; NumAgprs: 0
; TotalNumVgprs: 69
; ScratchSize: 0
; MemoryBound: 0
; FloatMode: 240
; IeeeMode: 1
; LDSByteSize: 5144 bytes/workgroup (compile time only)
; SGPRBlocks: 13
; VGPRBlocks: 8
; NumSGPRsForWavesPerEU: 106
; NumVGPRsForWavesPerEU: 69
; AccumOffset: 72
; Occupancy: 7
; WaveLimiterHint : 1
; COMPUTE_PGM_RSRC2:SCRATCH_EN: 0
; COMPUTE_PGM_RSRC2:USER_SGPR: 2
; COMPUTE_PGM_RSRC2:TRAP_HANDLER: 0
; COMPUTE_PGM_RSRC2:TGID_X_EN: 1
; COMPUTE_PGM_RSRC2:TGID_Y_EN: 1
; COMPUTE_PGM_RSRC2:TGID_Z_EN: 1
; COMPUTE_PGM_RSRC2:TIDIG_COMP_CNT: 0
; COMPUTE_PGM_RSRC3_GFX90A:ACCUM_OFFSET: 17
; COMPUTE_PGM_RSRC3_GFX90A:TG_SPLIT: 0
	.section	.text._ZN2at6native12_GLOBAL__N_114gatherKthValueIdlLi3EEEvNS_4cuda6detail10TensorInfoIKT_T0_EES8_S8_S8_S8_NS5_IS6_S8_EENS5_IlS8_EE,"axG",@progbits,_ZN2at6native12_GLOBAL__N_114gatherKthValueIdlLi3EEEvNS_4cuda6detail10TensorInfoIKT_T0_EES8_S8_S8_S8_NS5_IS6_S8_EENS5_IlS8_EE,comdat
	.globl	_ZN2at6native12_GLOBAL__N_114gatherKthValueIdlLi3EEEvNS_4cuda6detail10TensorInfoIKT_T0_EES8_S8_S8_S8_NS5_IS6_S8_EENS5_IlS8_EE ; -- Begin function _ZN2at6native12_GLOBAL__N_114gatherKthValueIdlLi3EEEvNS_4cuda6detail10TensorInfoIKT_T0_EES8_S8_S8_S8_NS5_IS6_S8_EENS5_IlS8_EE
	.p2align	8
	.type	_ZN2at6native12_GLOBAL__N_114gatherKthValueIdlLi3EEEvNS_4cuda6detail10TensorInfoIKT_T0_EES8_S8_S8_S8_NS5_IS6_S8_EENS5_IlS8_EE,@function
_ZN2at6native12_GLOBAL__N_114gatherKthValueIdlLi3EEEvNS_4cuda6detail10TensorInfoIKT_T0_EES8_S8_S8_S8_NS5_IS6_S8_EENS5_IlS8_EE: ; @_ZN2at6native12_GLOBAL__N_114gatherKthValueIdlLi3EEEvNS_4cuda6detail10TensorInfoIKT_T0_EES8_S8_S8_S8_NS5_IS6_S8_EENS5_IlS8_EE
; %bb.0:
	s_load_dwordx2 s[14:15], s[0:1], 0x500
	s_load_dwordx8 s[56:63], s[0:1], 0x1a0
	s_add_u32 s12, s0, 0x500
	s_addc_u32 s13, s1, 0
	s_mov_b32 s43, 0
	s_waitcnt lgkmcnt(0)
	s_mul_i32 s4, s15, s4
	s_add_i32 s3, s4, s3
	s_mul_i32 s3, s3, s14
	s_add_i32 s42, s3, s2
	v_mov_b64_e32 v[2:3], s[42:43]
	v_cmp_le_i64_e32 vcc, s[60:61], v[2:3]
	s_cbranch_vccnz .LBB46_302
; %bb.1:
	s_load_dwordx4 s[4:7], s[0:1], 0x10
	s_mov_b32 s8, s43
	s_waitcnt lgkmcnt(0)
	s_mov_b32 s9, s7
	s_cmp_lg_u64 s[8:9], 0
	s_cbranch_scc0 .LBB46_18
; %bb.2:
	s_ashr_i32 s8, s7, 31
	s_add_u32 s10, s6, s8
	s_mov_b32 s9, s8
	s_addc_u32 s11, s7, s8
	s_xor_b64 s[16:17], s[10:11], s[8:9]
	v_cvt_f32_u32_e32 v1, s16
	v_cvt_f32_u32_e32 v2, s17
	s_sub_u32 s3, 0, s16
	s_subb_u32 s15, 0, s17
	v_fmamk_f32 v1, v2, 0x4f800000, v1
	v_rcp_f32_e32 v1, v1
	s_nop 0
	v_mul_f32_e32 v1, 0x5f7ffffc, v1
	v_mul_f32_e32 v2, 0x2f800000, v1
	v_trunc_f32_e32 v2, v2
	v_fmamk_f32 v1, v2, 0xcf800000, v1
	v_cvt_u32_f32_e32 v2, v2
	v_cvt_u32_f32_e32 v1, v1
	v_readfirstlane_b32 s20, v2
	v_readfirstlane_b32 s18, v1
	s_mul_i32 s19, s3, s20
	s_mul_hi_u32 s22, s3, s18
	s_mul_i32 s21, s15, s18
	s_add_i32 s19, s22, s19
	s_add_i32 s19, s19, s21
	s_mul_i32 s23, s3, s18
	s_mul_i32 s22, s18, s19
	s_mul_hi_u32 s24, s18, s23
	s_mul_hi_u32 s21, s18, s19
	s_add_u32 s22, s24, s22
	s_addc_u32 s21, 0, s21
	s_mul_hi_u32 s25, s20, s23
	s_mul_i32 s23, s20, s23
	s_add_u32 s22, s22, s23
	s_mul_hi_u32 s24, s20, s19
	s_addc_u32 s21, s21, s25
	s_addc_u32 s22, s24, 0
	s_mul_i32 s19, s20, s19
	s_add_u32 s19, s21, s19
	s_addc_u32 s21, 0, s22
	s_add_u32 s22, s18, s19
	s_cselect_b64 s[18:19], -1, 0
	s_cmp_lg_u64 s[18:19], 0
	s_addc_u32 s20, s20, s21
	s_mul_i32 s18, s3, s20
	s_mul_hi_u32 s19, s3, s22
	s_add_i32 s18, s19, s18
	s_mul_i32 s15, s15, s22
	s_add_i32 s18, s18, s15
	s_mul_i32 s3, s3, s22
	s_mul_hi_u32 s19, s20, s3
	s_mul_i32 s21, s20, s3
	s_mul_i32 s24, s22, s18
	s_mul_hi_u32 s3, s22, s3
	s_mul_hi_u32 s23, s22, s18
	s_add_u32 s3, s3, s24
	s_addc_u32 s23, 0, s23
	s_add_u32 s3, s3, s21
	s_mul_hi_u32 s15, s20, s18
	s_addc_u32 s3, s23, s19
	s_addc_u32 s15, s15, 0
	s_mul_i32 s18, s20, s18
	s_add_u32 s3, s3, s18
	s_addc_u32 s15, 0, s15
	s_add_u32 s3, s22, s3
	s_cselect_b64 s[18:19], -1, 0
	s_cmp_lg_u64 s[18:19], 0
	s_addc_u32 s15, s20, s15
	s_add_u32 s18, s42, 0
	s_addc_u32 s19, 0, 0
	s_xor_b64 s[18:19], s[18:19], 0
	s_mul_i32 s21, s18, s15
	s_mul_hi_u32 s22, s18, s3
	s_mul_hi_u32 s20, s18, s15
	s_add_u32 s21, s22, s21
	s_addc_u32 s20, 0, s20
	s_mul_hi_u32 s23, s19, s3
	s_mul_i32 s3, s19, s3
	s_add_u32 s3, s21, s3
	s_mul_hi_u32 s22, s19, s15
	s_addc_u32 s3, s20, s23
	s_addc_u32 s20, s22, 0
	s_mul_i32 s15, s19, s15
	s_add_u32 s3, s3, s15
	s_addc_u32 s15, 0, s20
	s_mul_i32 s20, s16, s15
	s_mul_hi_u32 s21, s16, s3
	s_add_i32 s20, s21, s20
	s_mul_i32 s21, s17, s3
	s_add_i32 s24, s20, s21
	s_sub_i32 s22, s19, s24
	s_mul_i32 s20, s16, s3
	s_sub_u32 s18, s18, s20
	s_cselect_b64 s[20:21], -1, 0
	s_cmp_lg_u64 s[20:21], 0
	s_subb_u32 s25, s22, s17
	s_sub_u32 s26, s18, s16
	s_cselect_b64 s[22:23], -1, 0
	s_cmp_lg_u64 s[22:23], 0
	s_subb_u32 s22, s25, 0
	s_cmp_ge_u32 s22, s17
	s_cselect_b32 s23, -1, 0
	s_cmp_ge_u32 s26, s16
	s_cselect_b32 s25, -1, 0
	s_cmp_eq_u32 s22, s17
	s_cselect_b32 s22, s25, s23
	s_add_u32 s23, s3, 1
	s_addc_u32 s25, s15, 0
	s_add_u32 s26, s3, 2
	s_addc_u32 s27, s15, 0
	s_cmp_lg_u32 s22, 0
	s_cselect_b32 s22, s26, s23
	s_cselect_b32 s23, s27, s25
	s_cmp_lg_u64 s[20:21], 0
	s_subb_u32 s19, s19, s24
	s_cmp_ge_u32 s19, s17
	s_cselect_b32 s20, -1, 0
	s_cmp_ge_u32 s18, s16
	s_cselect_b32 s16, -1, 0
	s_cmp_eq_u32 s19, s17
	s_cselect_b32 s16, s16, s20
	s_cmp_lg_u32 s16, 0
	s_cselect_b32 s17, s23, s15
	s_cselect_b32 s16, s22, s3
	s_xor_b64 s[8:9], 0, s[8:9]
	s_xor_b64 s[16:17], s[16:17], s[8:9]
	s_sub_u32 s16, s16, s8
	s_subb_u32 s17, s17, s9
	s_cbranch_execnz .LBB46_4
.LBB46_3:
	v_cvt_f32_u32_e32 v1, s6
	s_sub_i32 s3, 0, s6
	s_mov_b32 s17, 0
	v_rcp_iflag_f32_e32 v1, v1
	s_nop 0
	v_mul_f32_e32 v1, 0x4f7ffffe, v1
	v_cvt_u32_f32_e32 v1, v1
	s_nop 0
	v_readfirstlane_b32 s8, v1
	s_mul_i32 s3, s3, s8
	s_mul_hi_u32 s3, s8, s3
	s_add_i32 s8, s8, s3
	s_mul_hi_u32 s3, s42, s8
	s_mul_i32 s9, s3, s6
	s_sub_i32 s9, s42, s9
	s_add_i32 s8, s3, 1
	s_sub_i32 s10, s9, s6
	s_cmp_ge_u32 s9, s6
	s_cselect_b32 s3, s8, s3
	s_cselect_b32 s9, s10, s9
	s_add_i32 s8, s3, 1
	s_cmp_ge_u32 s9, s6
	s_cselect_b32 s16, s8, s3
.LBB46_4:
	s_or_b64 s[8:9], s[16:17], s[4:5]
	s_mov_b32 s8, 0
	s_cmp_lg_u64 s[8:9], 0
	s_cbranch_scc0 .LBB46_19
; %bb.5:
	s_ashr_i32 s10, s5, 31
	s_add_u32 s8, s4, s10
	s_mov_b32 s11, s10
	s_addc_u32 s9, s5, s10
	s_xor_b64 s[18:19], s[8:9], s[10:11]
	v_cvt_f32_u32_e32 v1, s18
	v_cvt_f32_u32_e32 v2, s19
	s_sub_u32 s3, 0, s18
	s_subb_u32 s15, 0, s19
	v_fmamk_f32 v1, v2, 0x4f800000, v1
	v_rcp_f32_e32 v1, v1
	s_nop 0
	v_mul_f32_e32 v1, 0x5f7ffffc, v1
	v_mul_f32_e32 v2, 0x2f800000, v1
	v_trunc_f32_e32 v2, v2
	v_fmamk_f32 v1, v2, 0xcf800000, v1
	v_cvt_u32_f32_e32 v2, v2
	v_cvt_u32_f32_e32 v1, v1
	v_readfirstlane_b32 s22, v2
	v_readfirstlane_b32 s20, v1
	s_mul_i32 s21, s3, s22
	s_mul_hi_u32 s24, s3, s20
	s_mul_i32 s23, s15, s20
	s_add_i32 s21, s24, s21
	s_add_i32 s21, s21, s23
	s_mul_i32 s25, s3, s20
	s_mul_i32 s24, s20, s21
	s_mul_hi_u32 s26, s20, s25
	s_mul_hi_u32 s23, s20, s21
	s_add_u32 s24, s26, s24
	s_addc_u32 s23, 0, s23
	s_mul_hi_u32 s27, s22, s25
	s_mul_i32 s25, s22, s25
	s_add_u32 s24, s24, s25
	s_mul_hi_u32 s26, s22, s21
	s_addc_u32 s23, s23, s27
	s_addc_u32 s24, s26, 0
	s_mul_i32 s21, s22, s21
	s_add_u32 s21, s23, s21
	s_addc_u32 s23, 0, s24
	s_add_u32 s24, s20, s21
	s_cselect_b64 s[20:21], -1, 0
	s_cmp_lg_u64 s[20:21], 0
	s_addc_u32 s22, s22, s23
	s_mul_i32 s20, s3, s22
	s_mul_hi_u32 s21, s3, s24
	s_add_i32 s20, s21, s20
	s_mul_i32 s15, s15, s24
	s_add_i32 s20, s20, s15
	s_mul_i32 s3, s3, s24
	s_mul_hi_u32 s21, s22, s3
	s_mul_i32 s23, s22, s3
	s_mul_i32 s26, s24, s20
	s_mul_hi_u32 s3, s24, s3
	s_mul_hi_u32 s25, s24, s20
	s_add_u32 s3, s3, s26
	s_addc_u32 s25, 0, s25
	s_add_u32 s3, s3, s23
	s_mul_hi_u32 s15, s22, s20
	s_addc_u32 s3, s25, s21
	s_addc_u32 s15, s15, 0
	s_mul_i32 s20, s22, s20
	s_add_u32 s3, s3, s20
	s_addc_u32 s15, 0, s15
	s_add_u32 s3, s24, s3
	s_cselect_b64 s[20:21], -1, 0
	s_cmp_lg_u64 s[20:21], 0
	s_addc_u32 s15, s22, s15
	s_ashr_i32 s20, s17, 31
	s_add_u32 s22, s16, s20
	s_mov_b32 s21, s20
	s_addc_u32 s23, s17, s20
	s_xor_b64 s[22:23], s[22:23], s[20:21]
	s_mul_i32 s25, s22, s15
	s_mul_hi_u32 s26, s22, s3
	s_mul_hi_u32 s24, s22, s15
	s_add_u32 s25, s26, s25
	s_addc_u32 s24, 0, s24
	s_mul_hi_u32 s27, s23, s3
	s_mul_i32 s3, s23, s3
	s_add_u32 s3, s25, s3
	s_mul_hi_u32 s26, s23, s15
	s_addc_u32 s3, s24, s27
	s_addc_u32 s24, s26, 0
	s_mul_i32 s15, s23, s15
	s_add_u32 s3, s3, s15
	s_addc_u32 s15, 0, s24
	s_mul_i32 s24, s18, s15
	s_mul_hi_u32 s25, s18, s3
	s_add_i32 s24, s25, s24
	s_mul_i32 s25, s19, s3
	s_add_i32 s28, s24, s25
	s_sub_i32 s26, s23, s28
	s_mul_i32 s24, s18, s3
	s_sub_u32 s22, s22, s24
	s_cselect_b64 s[24:25], -1, 0
	s_cmp_lg_u64 s[24:25], 0
	s_subb_u32 s29, s26, s19
	s_sub_u32 s30, s22, s18
	s_cselect_b64 s[26:27], -1, 0
	s_cmp_lg_u64 s[26:27], 0
	s_subb_u32 s26, s29, 0
	s_cmp_ge_u32 s26, s19
	s_cselect_b32 s27, -1, 0
	s_cmp_ge_u32 s30, s18
	s_cselect_b32 s29, -1, 0
	s_cmp_eq_u32 s26, s19
	s_cselect_b32 s26, s29, s27
	s_add_u32 s27, s3, 1
	s_addc_u32 s29, s15, 0
	s_add_u32 s30, s3, 2
	s_addc_u32 s31, s15, 0
	s_cmp_lg_u32 s26, 0
	s_cselect_b32 s26, s30, s27
	s_cselect_b32 s27, s31, s29
	s_cmp_lg_u64 s[24:25], 0
	s_subb_u32 s23, s23, s28
	s_cmp_ge_u32 s23, s19
	s_cselect_b32 s24, -1, 0
	s_cmp_ge_u32 s22, s18
	s_cselect_b32 s18, -1, 0
	s_cmp_eq_u32 s23, s19
	s_cselect_b32 s18, s18, s24
	s_cmp_lg_u32 s18, 0
	s_cselect_b32 s19, s27, s15
	s_cselect_b32 s18, s26, s3
	s_xor_b64 s[10:11], s[20:21], s[10:11]
	s_xor_b64 s[18:19], s[18:19], s[10:11]
	s_sub_u32 s18, s18, s10
	s_subb_u32 s19, s19, s11
	s_load_dwordx4 s[24:27], s[0:1], 0x1d0
	s_cbranch_execnz .LBB46_7
.LBB46_6:
	v_cvt_f32_u32_e32 v1, s4
	s_sub_i32 s3, 0, s4
	s_mov_b32 s19, 0
	v_rcp_iflag_f32_e32 v1, v1
	s_nop 0
	v_mul_f32_e32 v1, 0x4f7ffffe, v1
	v_cvt_u32_f32_e32 v1, v1
	s_nop 0
	v_readfirstlane_b32 s8, v1
	s_mul_i32 s3, s3, s8
	s_mul_hi_u32 s3, s8, s3
	s_add_i32 s8, s8, s3
	s_mul_hi_u32 s3, s16, s8
	s_mul_i32 s9, s3, s4
	s_sub_i32 s9, s16, s9
	s_add_i32 s8, s3, 1
	s_sub_i32 s10, s9, s4
	s_cmp_ge_u32 s9, s4
	s_cselect_b32 s3, s8, s3
	s_cselect_b32 s9, s10, s9
	s_add_i32 s8, s3, 1
	s_cmp_ge_u32 s9, s4
	s_cselect_b32 s18, s8, s3
.LBB46_7:
                                        ; implicit-def: $vgpr68 : SGPR spill to VGPR lane
	s_waitcnt lgkmcnt(0)
	s_mov_b32 s9, s27
	v_writelane_b32 v68, s24, 0
	s_mov_b32 s8, 0
	s_cmp_lg_u64 s[8:9], 0
	v_writelane_b32 v68, s25, 1
	v_writelane_b32 v68, s26, 2
	;; [unrolled: 1-line block ×3, first 2 shown]
	s_cbranch_scc0 .LBB46_20
; %bb.8:
	s_ashr_i32 s8, s27, 31
	s_add_u32 s10, s26, s8
	s_mov_b32 s9, s8
	s_addc_u32 s11, s27, s8
	s_xor_b64 s[20:21], s[10:11], s[8:9]
	v_cvt_f32_u32_e32 v1, s20
	v_cvt_f32_u32_e32 v2, s21
	s_sub_u32 s3, 0, s20
	s_subb_u32 s15, 0, s21
	v_fmamk_f32 v1, v2, 0x4f800000, v1
	v_rcp_f32_e32 v1, v1
	s_nop 0
	v_mul_f32_e32 v1, 0x5f7ffffc, v1
	v_mul_f32_e32 v2, 0x2f800000, v1
	v_trunc_f32_e32 v2, v2
	v_fmamk_f32 v1, v2, 0xcf800000, v1
	v_cvt_u32_f32_e32 v2, v2
	v_cvt_u32_f32_e32 v1, v1
	v_readfirstlane_b32 s24, v2
	v_readfirstlane_b32 s22, v1
	s_mul_i32 s23, s3, s24
	s_mul_hi_u32 s26, s3, s22
	s_mul_i32 s25, s15, s22
	s_add_i32 s23, s26, s23
	s_add_i32 s23, s23, s25
	s_mul_i32 s27, s3, s22
	s_mul_i32 s26, s22, s23
	s_mul_hi_u32 s28, s22, s27
	s_mul_hi_u32 s25, s22, s23
	s_add_u32 s26, s28, s26
	s_addc_u32 s25, 0, s25
	s_mul_hi_u32 s29, s24, s27
	s_mul_i32 s27, s24, s27
	s_add_u32 s26, s26, s27
	s_mul_hi_u32 s28, s24, s23
	s_addc_u32 s25, s25, s29
	s_addc_u32 s26, s28, 0
	s_mul_i32 s23, s24, s23
	s_add_u32 s23, s25, s23
	s_addc_u32 s25, 0, s26
	s_add_u32 s26, s22, s23
	s_cselect_b64 s[22:23], -1, 0
	s_cmp_lg_u64 s[22:23], 0
	s_addc_u32 s24, s24, s25
	s_mul_i32 s22, s3, s24
	s_mul_hi_u32 s23, s3, s26
	s_add_i32 s22, s23, s22
	s_mul_i32 s15, s15, s26
	s_add_i32 s22, s22, s15
	s_mul_i32 s3, s3, s26
	s_mul_hi_u32 s23, s24, s3
	s_mul_i32 s25, s24, s3
	s_mul_i32 s28, s26, s22
	s_mul_hi_u32 s3, s26, s3
	s_mul_hi_u32 s27, s26, s22
	s_add_u32 s3, s3, s28
	s_addc_u32 s27, 0, s27
	s_add_u32 s3, s3, s25
	s_mul_hi_u32 s15, s24, s22
	s_addc_u32 s3, s27, s23
	s_addc_u32 s15, s15, 0
	s_mul_i32 s22, s24, s22
	s_add_u32 s3, s3, s22
	s_addc_u32 s15, 0, s15
	s_add_u32 s3, s26, s3
	s_cselect_b64 s[22:23], -1, 0
	s_cmp_lg_u64 s[22:23], 0
	s_addc_u32 s15, s24, s15
	s_add_u32 s22, s42, 0
	s_addc_u32 s23, 0, 0
	s_xor_b64 s[22:23], s[22:23], 0
	s_mul_i32 s25, s22, s15
	s_mul_hi_u32 s26, s22, s3
	s_mul_hi_u32 s24, s22, s15
	s_add_u32 s25, s26, s25
	s_addc_u32 s24, 0, s24
	s_mul_hi_u32 s27, s23, s3
	s_mul_i32 s3, s23, s3
	s_add_u32 s3, s25, s3
	s_mul_hi_u32 s26, s23, s15
	s_addc_u32 s3, s24, s27
	s_addc_u32 s24, s26, 0
	s_mul_i32 s15, s23, s15
	s_add_u32 s3, s3, s15
	s_addc_u32 s15, 0, s24
	s_mul_i32 s24, s20, s15
	s_mul_hi_u32 s25, s20, s3
	s_add_i32 s24, s25, s24
	s_mul_i32 s25, s21, s3
	s_add_i32 s28, s24, s25
	s_sub_i32 s26, s23, s28
	s_mul_i32 s24, s20, s3
	s_sub_u32 s22, s22, s24
	s_cselect_b64 s[24:25], -1, 0
	s_cmp_lg_u64 s[24:25], 0
	s_subb_u32 s29, s26, s21
	s_sub_u32 s30, s22, s20
	s_cselect_b64 s[26:27], -1, 0
	s_cmp_lg_u64 s[26:27], 0
	s_subb_u32 s26, s29, 0
	s_cmp_ge_u32 s26, s21
	s_cselect_b32 s27, -1, 0
	s_cmp_ge_u32 s30, s20
	s_cselect_b32 s29, -1, 0
	s_cmp_eq_u32 s26, s21
	s_cselect_b32 s26, s29, s27
	s_add_u32 s27, s3, 1
	s_addc_u32 s29, s15, 0
	s_add_u32 s30, s3, 2
	s_addc_u32 s31, s15, 0
	s_cmp_lg_u32 s26, 0
	s_cselect_b32 s26, s30, s27
	s_cselect_b32 s27, s31, s29
	s_cmp_lg_u64 s[24:25], 0
	s_subb_u32 s23, s23, s28
	s_cmp_ge_u32 s23, s21
	s_cselect_b32 s24, -1, 0
	s_cmp_ge_u32 s22, s20
	s_cselect_b32 s20, -1, 0
	s_cmp_eq_u32 s23, s21
	s_cselect_b32 s20, s20, s24
	s_cmp_lg_u32 s20, 0
	s_cselect_b32 s21, s27, s15
	s_cselect_b32 s20, s26, s3
	s_load_dwordx4 s[24:27], s[0:1], 0x1d0
	s_xor_b64 s[8:9], 0, s[8:9]
	s_xor_b64 s[20:21], s[20:21], s[8:9]
	s_sub_u32 s30, s20, s8
	s_subb_u32 s31, s21, s9
	s_cbranch_execnz .LBB46_10
.LBB46_9:
	s_waitcnt lgkmcnt(0)
	v_cvt_f32_u32_e32 v1, s26
	s_sub_i32 s3, 0, s26
	s_mov_b32 s31, 0
	v_rcp_iflag_f32_e32 v1, v1
	s_nop 0
	v_mul_f32_e32 v1, 0x4f7ffffe, v1
	v_cvt_u32_f32_e32 v1, v1
	s_nop 0
	v_readfirstlane_b32 s8, v1
	s_mul_i32 s3, s3, s8
	s_mul_hi_u32 s3, s8, s3
	s_add_i32 s8, s8, s3
	s_mul_hi_u32 s3, s42, s8
	s_mul_i32 s9, s3, s26
	s_sub_i32 s9, s42, s9
	s_add_i32 s8, s3, 1
	s_sub_i32 s10, s9, s26
	s_cmp_ge_u32 s9, s26
	s_cselect_b32 s3, s8, s3
	s_cselect_b32 s9, s10, s9
	s_add_i32 s8, s3, 1
	s_cmp_ge_u32 s9, s26
	s_cselect_b32 s30, s8, s3
.LBB46_10:
	s_waitcnt lgkmcnt(0)
	s_or_b64 s[8:9], s[30:31], s[24:25]
	s_mov_b32 s8, 0
	s_cmp_lg_u64 s[8:9], 0
	v_writelane_b32 v68, s30, 4
	s_nop 1
	v_writelane_b32 v68, s31, 5
	s_cbranch_scc0 .LBB46_21
; %bb.11:
	s_ashr_i32 s10, s25, 31
	s_add_u32 s8, s24, s10
	s_mov_b32 s11, s10
	s_addc_u32 s9, s25, s10
	s_xor_b64 s[20:21], s[8:9], s[10:11]
	v_cvt_f32_u32_e32 v1, s20
	v_cvt_f32_u32_e32 v2, s21
	s_sub_u32 s3, 0, s20
	s_subb_u32 s15, 0, s21
	v_fmamk_f32 v1, v2, 0x4f800000, v1
	v_rcp_f32_e32 v1, v1
	s_nop 0
	v_mul_f32_e32 v1, 0x5f7ffffc, v1
	v_mul_f32_e32 v2, 0x2f800000, v1
	v_trunc_f32_e32 v2, v2
	v_fmamk_f32 v1, v2, 0xcf800000, v1
	v_cvt_u32_f32_e32 v2, v2
	v_cvt_u32_f32_e32 v1, v1
	v_readfirstlane_b32 s24, v2
	v_readfirstlane_b32 s22, v1
	s_mul_i32 s23, s3, s24
	s_mul_hi_u32 s26, s3, s22
	s_mul_i32 s25, s15, s22
	s_add_i32 s23, s26, s23
	s_add_i32 s23, s23, s25
	s_mul_i32 s27, s3, s22
	s_mul_i32 s26, s22, s23
	s_mul_hi_u32 s28, s22, s27
	s_mul_hi_u32 s25, s22, s23
	s_add_u32 s26, s28, s26
	s_addc_u32 s25, 0, s25
	s_mul_hi_u32 s29, s24, s27
	s_mul_i32 s27, s24, s27
	s_add_u32 s26, s26, s27
	s_mul_hi_u32 s28, s24, s23
	s_addc_u32 s25, s25, s29
	s_addc_u32 s26, s28, 0
	s_mul_i32 s23, s24, s23
	s_add_u32 s23, s25, s23
	s_addc_u32 s25, 0, s26
	s_add_u32 s26, s22, s23
	s_cselect_b64 s[22:23], -1, 0
	s_cmp_lg_u64 s[22:23], 0
	s_addc_u32 s24, s24, s25
	s_mul_i32 s22, s3, s24
	s_mul_hi_u32 s23, s3, s26
	s_add_i32 s22, s23, s22
	s_mul_i32 s15, s15, s26
	s_add_i32 s22, s22, s15
	s_mul_i32 s3, s3, s26
	s_mul_hi_u32 s23, s24, s3
	s_mul_i32 s25, s24, s3
	s_mul_i32 s28, s26, s22
	s_mul_hi_u32 s3, s26, s3
	s_mul_hi_u32 s27, s26, s22
	s_add_u32 s3, s3, s28
	s_addc_u32 s27, 0, s27
	s_add_u32 s3, s3, s25
	s_mul_hi_u32 s15, s24, s22
	s_addc_u32 s3, s27, s23
	s_addc_u32 s15, s15, 0
	s_mul_i32 s22, s24, s22
	s_add_u32 s3, s3, s22
	s_addc_u32 s15, 0, s15
	s_add_u32 s3, s26, s3
	s_cselect_b64 s[22:23], -1, 0
	s_cmp_lg_u64 s[22:23], 0
	s_addc_u32 s15, s24, s15
	s_ashr_i32 s22, s31, 31
	s_add_u32 s24, s30, s22
	s_mov_b32 s23, s22
	s_addc_u32 s25, s31, s22
	s_xor_b64 s[24:25], s[24:25], s[22:23]
	s_mul_i32 s27, s24, s15
	s_mul_hi_u32 s28, s24, s3
	s_mul_hi_u32 s26, s24, s15
	s_add_u32 s27, s28, s27
	s_addc_u32 s26, 0, s26
	s_mul_hi_u32 s29, s25, s3
	s_mul_i32 s3, s25, s3
	s_add_u32 s3, s27, s3
	s_mul_hi_u32 s28, s25, s15
	s_addc_u32 s3, s26, s29
	s_addc_u32 s26, s28, 0
	s_mul_i32 s15, s25, s15
	s_add_u32 s3, s3, s15
	s_addc_u32 s15, 0, s26
	s_mul_i32 s26, s20, s15
	s_mul_hi_u32 s27, s20, s3
	s_add_i32 s26, s27, s26
	s_mul_i32 s27, s21, s3
	s_add_i32 s30, s26, s27
	s_sub_i32 s28, s25, s30
	s_mul_i32 s26, s20, s3
	s_sub_u32 s24, s24, s26
	s_cselect_b64 s[26:27], -1, 0
	s_cmp_lg_u64 s[26:27], 0
	s_subb_u32 s31, s28, s21
	s_sub_u32 s33, s24, s20
	s_cselect_b64 s[28:29], -1, 0
	s_cmp_lg_u64 s[28:29], 0
	s_subb_u32 s28, s31, 0
	s_cmp_ge_u32 s28, s21
	s_cselect_b32 s29, -1, 0
	s_cmp_ge_u32 s33, s20
	s_cselect_b32 s31, -1, 0
	s_cmp_eq_u32 s28, s21
	s_cselect_b32 s28, s31, s29
	s_add_u32 s29, s3, 1
	s_addc_u32 s31, s15, 0
	s_add_u32 s33, s3, 2
	s_addc_u32 s34, s15, 0
	s_cmp_lg_u32 s28, 0
	s_cselect_b32 s28, s33, s29
	s_cselect_b32 s29, s34, s31
	s_cmp_lg_u64 s[26:27], 0
	s_subb_u32 s25, s25, s30
	s_cmp_ge_u32 s25, s21
	s_cselect_b32 s26, -1, 0
	s_cmp_ge_u32 s24, s20
	s_cselect_b32 s20, -1, 0
	s_cmp_eq_u32 s25, s21
	s_cselect_b32 s20, s20, s26
	s_load_dwordx4 s[24:27], s[0:1], 0x1d0
	s_cmp_lg_u32 s20, 0
	s_cselect_b32 s21, s29, s15
	s_cselect_b32 s20, s28, s3
	s_xor_b64 s[10:11], s[22:23], s[10:11]
	s_xor_b64 s[20:21], s[20:21], s[10:11]
	s_sub_u32 s20, s20, s10
	s_subb_u32 s21, s21, s11
	s_load_dwordx4 s[44:47], s[0:1], 0x370
	s_cbranch_execnz .LBB46_13
.LBB46_12:
	s_waitcnt lgkmcnt(0)
	v_cvt_f32_u32_e32 v1, s24
	s_sub_i32 s3, 0, s24
	v_readlane_b32 s10, v68, 4
	s_mov_b32 s21, 0
	v_rcp_iflag_f32_e32 v1, v1
	v_readlane_b32 s11, v68, 5
	v_mul_f32_e32 v1, 0x4f7ffffe, v1
	v_cvt_u32_f32_e32 v1, v1
	s_nop 0
	v_readfirstlane_b32 s8, v1
	s_mul_i32 s3, s3, s8
	s_mul_hi_u32 s3, s8, s3
	s_add_i32 s8, s8, s3
	s_mul_hi_u32 s3, s10, s8
	s_mul_i32 s9, s3, s24
	s_sub_i32 s9, s10, s9
	s_add_i32 s8, s3, 1
	s_sub_i32 s10, s9, s24
	s_cmp_ge_u32 s9, s24
	s_cselect_b32 s3, s8, s3
	s_cselect_b32 s9, s10, s9
	s_add_i32 s8, s3, 1
	s_cmp_ge_u32 s9, s24
	s_cselect_b32 s20, s8, s3
.LBB46_13:
	s_mov_b32 s8, 0
	s_waitcnt lgkmcnt(0)
	s_mov_b32 s9, s47
	v_writelane_b32 v68, s20, 6
	s_cmp_lg_u64 s[8:9], 0
	s_nop 0
	v_writelane_b32 v68, s21, 7
	s_cbranch_scc0 .LBB46_22
; %bb.14:
	s_ashr_i32 s8, s47, 31
	s_add_u32 s10, s46, s8
	s_mov_b32 s9, s8
	s_addc_u32 s11, s47, s8
	s_xor_b64 s[20:21], s[10:11], s[8:9]
	v_cvt_f32_u32_e32 v1, s20
	v_cvt_f32_u32_e32 v2, s21
	s_sub_u32 s3, 0, s20
	s_subb_u32 s15, 0, s21
	v_fmamk_f32 v1, v2, 0x4f800000, v1
	v_rcp_f32_e32 v1, v1
	s_nop 0
	v_mul_f32_e32 v1, 0x5f7ffffc, v1
	v_mul_f32_e32 v2, 0x2f800000, v1
	v_trunc_f32_e32 v2, v2
	v_fmamk_f32 v1, v2, 0xcf800000, v1
	v_cvt_u32_f32_e32 v2, v2
	v_cvt_u32_f32_e32 v1, v1
	v_readfirstlane_b32 s24, v2
	v_readfirstlane_b32 s22, v1
	s_mul_i32 s23, s3, s24
	s_mul_hi_u32 s26, s3, s22
	s_mul_i32 s25, s15, s22
	s_add_i32 s23, s26, s23
	s_add_i32 s23, s23, s25
	s_mul_i32 s27, s3, s22
	s_mul_i32 s26, s22, s23
	s_mul_hi_u32 s28, s22, s27
	s_mul_hi_u32 s25, s22, s23
	s_add_u32 s26, s28, s26
	s_addc_u32 s25, 0, s25
	s_mul_hi_u32 s29, s24, s27
	s_mul_i32 s27, s24, s27
	s_add_u32 s26, s26, s27
	s_mul_hi_u32 s28, s24, s23
	s_addc_u32 s25, s25, s29
	s_addc_u32 s26, s28, 0
	s_mul_i32 s23, s24, s23
	s_add_u32 s23, s25, s23
	s_addc_u32 s25, 0, s26
	s_add_u32 s26, s22, s23
	s_cselect_b64 s[22:23], -1, 0
	s_cmp_lg_u64 s[22:23], 0
	s_addc_u32 s24, s24, s25
	s_mul_i32 s22, s3, s24
	s_mul_hi_u32 s23, s3, s26
	s_add_i32 s22, s23, s22
	s_mul_i32 s15, s15, s26
	s_add_i32 s22, s22, s15
	s_mul_i32 s3, s3, s26
	s_mul_hi_u32 s23, s24, s3
	s_mul_i32 s25, s24, s3
	s_mul_i32 s28, s26, s22
	s_mul_hi_u32 s3, s26, s3
	s_mul_hi_u32 s27, s26, s22
	s_add_u32 s3, s3, s28
	s_addc_u32 s27, 0, s27
	s_add_u32 s3, s3, s25
	s_mul_hi_u32 s15, s24, s22
	s_addc_u32 s3, s27, s23
	s_addc_u32 s15, s15, 0
	s_mul_i32 s22, s24, s22
	s_add_u32 s3, s3, s22
	s_addc_u32 s15, 0, s15
	s_add_u32 s3, s26, s3
	s_cselect_b64 s[22:23], -1, 0
	s_cmp_lg_u64 s[22:23], 0
	s_addc_u32 s15, s24, s15
	s_add_u32 s22, s42, 0
	s_addc_u32 s23, 0, 0
	s_xor_b64 s[22:23], s[22:23], 0
	s_mul_i32 s25, s22, s15
	s_mul_hi_u32 s26, s22, s3
	s_mul_hi_u32 s24, s22, s15
	s_add_u32 s25, s26, s25
	s_addc_u32 s24, 0, s24
	s_mul_hi_u32 s27, s23, s3
	s_mul_i32 s3, s23, s3
	s_add_u32 s3, s25, s3
	s_mul_hi_u32 s26, s23, s15
	s_addc_u32 s3, s24, s27
	s_addc_u32 s24, s26, 0
	s_mul_i32 s15, s23, s15
	s_add_u32 s3, s3, s15
	s_addc_u32 s15, 0, s24
	s_mul_i32 s24, s20, s15
	s_mul_hi_u32 s25, s20, s3
	s_add_i32 s24, s25, s24
	s_mul_i32 s25, s21, s3
	s_add_i32 s28, s24, s25
	s_sub_i32 s26, s23, s28
	s_mul_i32 s24, s20, s3
	s_sub_u32 s22, s22, s24
	s_cselect_b64 s[24:25], -1, 0
	s_cmp_lg_u64 s[24:25], 0
	s_subb_u32 s29, s26, s21
	s_sub_u32 s30, s22, s20
	s_cselect_b64 s[26:27], -1, 0
	s_cmp_lg_u64 s[26:27], 0
	s_subb_u32 s26, s29, 0
	s_cmp_ge_u32 s26, s21
	s_cselect_b32 s27, -1, 0
	s_cmp_ge_u32 s30, s20
	s_cselect_b32 s29, -1, 0
	s_cmp_eq_u32 s26, s21
	s_cselect_b32 s26, s29, s27
	s_add_u32 s27, s3, 1
	s_addc_u32 s29, s15, 0
	s_add_u32 s30, s3, 2
	s_addc_u32 s31, s15, 0
	s_cmp_lg_u32 s26, 0
	s_cselect_b32 s26, s30, s27
	s_cselect_b32 s27, s31, s29
	s_cmp_lg_u64 s[24:25], 0
	s_subb_u32 s23, s23, s28
	s_cmp_ge_u32 s23, s21
	s_cselect_b32 s24, -1, 0
	s_cmp_ge_u32 s22, s20
	s_cselect_b32 s20, -1, 0
	s_cmp_eq_u32 s23, s21
	s_cselect_b32 s20, s20, s24
	s_cmp_lg_u32 s20, 0
	s_cselect_b32 s21, s27, s15
	s_cselect_b32 s20, s26, s3
	s_xor_b64 s[8:9], 0, s[8:9]
	s_xor_b64 s[20:21], s[20:21], s[8:9]
	s_sub_u32 s48, s20, s8
	s_subb_u32 s49, s21, s9
	s_cbranch_execnz .LBB46_16
.LBB46_15:
	v_cvt_f32_u32_e32 v1, s46
	s_sub_i32 s3, 0, s46
	s_mov_b32 s49, 0
	v_rcp_iflag_f32_e32 v1, v1
	s_nop 0
	v_mul_f32_e32 v1, 0x4f7ffffe, v1
	v_cvt_u32_f32_e32 v1, v1
	s_nop 0
	v_readfirstlane_b32 s8, v1
	s_mul_i32 s3, s3, s8
	s_mul_hi_u32 s3, s8, s3
	s_add_i32 s8, s8, s3
	s_mul_hi_u32 s3, s42, s8
	s_mul_i32 s9, s3, s46
	s_sub_i32 s9, s42, s9
	s_add_i32 s8, s3, 1
	s_sub_i32 s10, s9, s46
	s_cmp_ge_u32 s9, s46
	s_cselect_b32 s3, s8, s3
	s_cselect_b32 s9, s10, s9
	s_add_i32 s8, s3, 1
	s_cmp_ge_u32 s9, s46
	s_cselect_b32 s48, s8, s3
.LBB46_16:
	s_load_dwordx2 s[20:21], s[0:1], 0xe0
	s_load_dwordx4 s[8:11], s[0:1], 0xd0
	s_or_b64 s[22:23], s[48:49], s[44:45]
	s_mov_b32 s22, 0
	s_cmp_lg_u64 s[22:23], 0
	s_cbranch_scc0 .LBB46_23
; %bb.17:
	s_ashr_i32 s22, s45, 31
	s_add_u32 s24, s44, s22
	s_mov_b32 s23, s22
	s_addc_u32 s25, s45, s22
	s_xor_b64 s[26:27], s[24:25], s[22:23]
	v_cvt_f32_u32_e32 v1, s26
	v_cvt_f32_u32_e32 v2, s27
	s_sub_u32 s3, 0, s26
	s_subb_u32 s15, 0, s27
	s_mov_b64 s[24:25], 0
	v_fmamk_f32 v1, v2, 0x4f800000, v1
	v_rcp_f32_e32 v1, v1
	s_nop 0
	v_mul_f32_e32 v1, 0x5f7ffffc, v1
	v_mul_f32_e32 v2, 0x2f800000, v1
	v_trunc_f32_e32 v2, v2
	v_fmamk_f32 v1, v2, 0xcf800000, v1
	v_cvt_u32_f32_e32 v2, v2
	v_cvt_u32_f32_e32 v1, v1
	v_readfirstlane_b32 s30, v2
	v_readfirstlane_b32 s28, v1
	s_mul_i32 s29, s3, s30
	s_mul_hi_u32 s33, s3, s28
	s_mul_i32 s31, s15, s28
	s_add_i32 s29, s33, s29
	s_add_i32 s29, s29, s31
	s_mul_i32 s34, s3, s28
	s_mul_i32 s33, s28, s29
	s_mul_hi_u32 s35, s28, s34
	s_mul_hi_u32 s31, s28, s29
	s_add_u32 s33, s35, s33
	s_addc_u32 s31, 0, s31
	s_mul_hi_u32 s36, s30, s34
	s_mul_i32 s34, s30, s34
	s_add_u32 s33, s33, s34
	s_mul_hi_u32 s35, s30, s29
	s_addc_u32 s31, s31, s36
	s_addc_u32 s33, s35, 0
	s_mul_i32 s29, s30, s29
	s_add_u32 s29, s31, s29
	s_addc_u32 s31, 0, s33
	s_add_u32 s33, s28, s29
	s_cselect_b64 s[28:29], -1, 0
	s_cmp_lg_u64 s[28:29], 0
	s_addc_u32 s30, s30, s31
	s_mul_i32 s28, s3, s30
	s_mul_hi_u32 s29, s3, s33
	s_add_i32 s28, s29, s28
	s_mul_i32 s15, s15, s33
	s_add_i32 s28, s28, s15
	s_mul_i32 s3, s3, s33
	s_mul_hi_u32 s29, s30, s3
	s_mul_i32 s31, s30, s3
	s_mul_i32 s35, s33, s28
	s_mul_hi_u32 s3, s33, s3
	s_mul_hi_u32 s34, s33, s28
	s_add_u32 s3, s3, s35
	s_addc_u32 s34, 0, s34
	s_add_u32 s3, s3, s31
	s_mul_hi_u32 s15, s30, s28
	s_addc_u32 s3, s34, s29
	s_addc_u32 s15, s15, 0
	s_mul_i32 s28, s30, s28
	s_add_u32 s3, s3, s28
	s_addc_u32 s15, 0, s15
	s_add_u32 s3, s33, s3
	s_cselect_b64 s[28:29], -1, 0
	s_cmp_lg_u64 s[28:29], 0
	s_addc_u32 s15, s30, s15
	s_ashr_i32 s28, s49, 31
	s_add_u32 s30, s48, s28
	s_mov_b32 s29, s28
	s_addc_u32 s31, s49, s28
	s_xor_b64 s[30:31], s[30:31], s[28:29]
	s_mul_i32 s34, s30, s15
	s_mul_hi_u32 s35, s30, s3
	s_mul_hi_u32 s33, s30, s15
	s_add_u32 s34, s35, s34
	s_addc_u32 s33, 0, s33
	s_mul_hi_u32 s36, s31, s3
	s_mul_i32 s3, s31, s3
	s_add_u32 s3, s34, s3
	s_mul_hi_u32 s35, s31, s15
	s_addc_u32 s3, s33, s36
	s_addc_u32 s33, s35, 0
	s_mul_i32 s15, s31, s15
	s_add_u32 s3, s3, s15
	s_addc_u32 s15, 0, s33
	s_mul_i32 s33, s26, s15
	s_mul_hi_u32 s34, s26, s3
	s_add_i32 s33, s34, s33
	s_mul_i32 s34, s27, s3
	s_add_i32 s33, s33, s34
	s_sub_i32 s36, s31, s33
	s_mul_i32 s34, s26, s3
	s_sub_u32 s30, s30, s34
	s_cselect_b64 s[34:35], -1, 0
	s_cmp_lg_u64 s[34:35], 0
	s_subb_u32 s38, s36, s27
	s_sub_u32 s39, s30, s26
	s_cselect_b64 s[36:37], -1, 0
	s_cmp_lg_u64 s[36:37], 0
	s_subb_u32 s36, s38, 0
	s_cmp_ge_u32 s36, s27
	s_cselect_b32 s37, -1, 0
	s_cmp_ge_u32 s39, s26
	s_cselect_b32 s38, -1, 0
	s_cmp_eq_u32 s36, s27
	s_cselect_b32 s36, s38, s37
	s_add_u32 s37, s3, 1
	s_addc_u32 s38, s15, 0
	s_add_u32 s39, s3, 2
	s_addc_u32 s40, s15, 0
	s_cmp_lg_u32 s36, 0
	s_cselect_b32 s36, s39, s37
	s_cselect_b32 s37, s40, s38
	s_cmp_lg_u64 s[34:35], 0
	s_subb_u32 s31, s31, s33
	s_cmp_ge_u32 s31, s27
	s_cselect_b32 s33, -1, 0
	s_cmp_ge_u32 s30, s26
	s_cselect_b32 s26, -1, 0
	s_cmp_eq_u32 s31, s27
	s_cselect_b32 s26, s26, s33
	s_cmp_lg_u32 s26, 0
	s_cselect_b32 s27, s37, s15
	s_cselect_b32 s26, s36, s3
	s_xor_b64 s[22:23], s[28:29], s[22:23]
	s_xor_b64 s[26:27], s[26:27], s[22:23]
	s_sub_u32 s22, s26, s22
	s_subb_u32 s23, s27, s23
	v_writelane_b32 v68, s22, 20
	s_nop 1
	v_writelane_b32 v68, s23, 21
	s_branch .LBB46_24
.LBB46_18:
                                        ; implicit-def: $sgpr16_sgpr17
	s_branch .LBB46_3
.LBB46_19:
                                        ; implicit-def: $sgpr18_sgpr19
	s_load_dwordx4 s[24:27], s[0:1], 0x1d0
	s_branch .LBB46_6
.LBB46_20:
                                        ; implicit-def: $sgpr30_sgpr31
	s_branch .LBB46_9
.LBB46_21:
                                        ; implicit-def: $sgpr20_sgpr21
	s_load_dwordx4 s[44:47], s[0:1], 0x370
	s_branch .LBB46_12
.LBB46_22:
                                        ; implicit-def: $sgpr48_sgpr49
	s_branch .LBB46_15
.LBB46_23:
	s_mov_b64 s[24:25], -1
                                        ; implicit-def: $sgpr22_sgpr23
                                        ; kill: killed $sgpr22_sgpr23
.LBB46_24:
	s_load_dwordx2 s[22:23], s[0:1], 0x440
	s_load_dwordx4 s[28:31], s[0:1], 0x430
	s_andn2_b64 vcc, exec, s[24:25]
	s_waitcnt lgkmcnt(0)
	v_writelane_b32 v68, s22, 8
	s_nop 1
	v_writelane_b32 v68, s23, 9
	s_load_dwordx2 s[22:23], s[0:1], 0x2a0
	v_writelane_b32 v68, s28, 10
	s_nop 1
	v_writelane_b32 v68, s29, 11
	v_writelane_b32 v68, s30, 12
	v_writelane_b32 v68, s31, 13
	s_load_dwordx4 s[28:31], s[0:1], 0x290
	s_waitcnt lgkmcnt(0)
	v_writelane_b32 v68, s22, 14
	s_nop 1
	v_writelane_b32 v68, s23, 15
	s_load_dwordx2 s[22:23], s[0:1], 0x0
	v_writelane_b32 v68, s28, 16
	s_nop 1
	v_writelane_b32 v68, s29, 17
	v_writelane_b32 v68, s30, 18
	;; [unrolled: 1-line block ×3, first 2 shown]
	s_cbranch_vccnz .LBB46_26
; %bb.25:
	v_cvt_f32_u32_e32 v1, s44
	s_sub_i32 s3, 0, s44
	s_mov_b32 s27, 0
	v_rcp_iflag_f32_e32 v1, v1
	s_nop 0
	v_mul_f32_e32 v1, 0x4f7ffffe, v1
	v_cvt_u32_f32_e32 v1, v1
	s_nop 0
	v_readfirstlane_b32 s15, v1
	s_mul_i32 s3, s3, s15
	s_mul_hi_u32 s3, s15, s3
	s_add_i32 s15, s15, s3
	s_mul_hi_u32 s3, s48, s15
	s_mul_i32 s24, s3, s44
	s_sub_i32 s24, s48, s24
	s_add_i32 s15, s3, 1
	s_sub_i32 s25, s24, s44
	s_cmp_ge_u32 s24, s44
	s_cselect_b32 s3, s15, s3
	s_cselect_b32 s24, s25, s24
	s_add_i32 s15, s3, 1
	s_cmp_ge_u32 s24, s44
	s_cselect_b32 s26, s15, s3
	v_writelane_b32 v68, s26, 20
	s_nop 1
	v_writelane_b32 v68, s27, 21
.LBB46_26:
	v_writelane_b32 v68, s48, 22
	s_load_dwordx2 s[24:25], s[0:1], 0x360
	s_mov_b32 s97, 0
	v_writelane_b32 v68, s49, 23
	v_writelane_b32 v68, s44, 24
	s_load_dwordx2 s[0:1], s[0:1], 0x1c0
	s_nop 0
	v_writelane_b32 v68, s45, 25
	v_writelane_b32 v68, s46, 26
	v_writelane_b32 v68, s47, 27
	s_waitcnt lgkmcnt(0)
	v_writelane_b32 v68, s24, 28
	s_nop 1
	v_writelane_b32 v68, s25, 29
	v_writelane_b32 v68, s0, 30
	v_cmp_eq_u32_e64 s[24:25], 0, v0
	s_nop 0
	v_writelane_b32 v68, s1, 31
	s_mov_b64 s[0:1], exec
	v_writelane_b32 v68, s24, 32
	s_nop 1
	v_writelane_b32 v68, s25, 33
	s_and_b64 s[24:25], s[0:1], s[24:25]
	s_mov_b64 exec, s[24:25]
	s_cbranch_execz .LBB46_28
; %bb.27:
	v_mov_b32_e32 v2, 0
	v_mov_b32_e32 v4, s56
	;; [unrolled: 1-line block ×4, first 2 shown]
	ds_write_b32 v2, v2 offset:5136
	ds_write_b128 v2, v[2:5] offset:5120
.LBB46_28:
	s_or_b64 exec, exec, s[0:1]
	s_mul_i32 s0, s18, s5
	s_mul_hi_u32 s1, s18, s4
	s_add_i32 s0, s1, s0
	s_mul_i32 s1, s19, s4
	s_add_i32 s0, s0, s1
	s_mul_i32 s1, s18, s4
	s_sub_u32 s3, s16, s1
	s_subb_u32 s0, s17, s0
	s_mul_i32 s1, s3, s11
	s_mul_hi_u32 s4, s3, s10
	s_add_i32 s1, s4, s1
	s_mul_i32 s0, s0, s10
	s_add_i32 s1, s1, s0
	s_mul_i32 s0, s3, s10
	s_mul_i32 s3, s18, s9
	s_mul_hi_u32 s4, s18, s8
	s_add_i32 s3, s4, s3
	s_mul_i32 s4, s19, s8
	s_add_i32 s5, s3, s4
	s_mul_i32 s3, s16, s7
	s_mul_hi_u32 s7, s16, s6
	s_add_i32 s3, s7, s3
	s_mul_i32 s7, s17, s6
	s_mul_i32 s4, s18, s8
	s_add_i32 s3, s3, s7
	s_mul_i32 s6, s16, s6
	s_mov_b32 s8, s42
	v_writelane_b32 v68, s8, 34
	s_sub_u32 s6, s42, s6
	s_subb_u32 s3, 0, s3
	v_writelane_b32 v68, s9, 35
	s_mul_i32 s7, s6, s21
	s_mul_hi_u32 s8, s6, s20
	s_add_i32 s7, s8, s7
	s_mul_i32 s3, s3, s20
	s_add_i32 s7, s7, s3
	s_lshl_b64 s[8:9], s[4:5], 3
	s_add_u32 s3, s22, s8
	s_addc_u32 s4, s23, s9
	s_lshl_b64 s[0:1], s[0:1], 3
	s_mul_i32 s6, s6, s20
	s_add_u32 s3, s3, s0
	v_mbcnt_lo_u32_b32 v1, -1, 0
	s_addc_u32 s4, s4, s1
	s_lshl_b64 s[10:11], s[6:7], 3
	v_mbcnt_hi_u32_b32 v48, -1, v1
	s_add_u32 s88, s3, s10
	v_cmp_gt_u32_e32 vcc, 64, v0
	v_cmp_gt_i32_e64 s[6:7], 4, v48
	s_addc_u32 s89, s4, s11
	s_and_b64 s[80:81], vcc, s[6:7]
	v_cmp_gt_u32_e64 s[6:7], 2, v0
	v_mov_b64_e32 v[2:3], 0x180
	v_mov_b32_e32 v19, 0
	v_writelane_b32 v68, s6, 36
	v_mov_b32_e32 v1, v19
	s_waitcnt lgkmcnt(0)
	v_writelane_b32 v68, s7, 37
	v_cmp_gt_i64_e64 s[6:7], s[56:57], v[2:3]
	s_barrier
	s_nop 0
	v_writelane_b32 v68, s6, 38
	s_load_dword s3, s[12:13], 0xc
	v_lshlrev_b32_e32 v6, 2, v48
	v_writelane_b32 v68, s7, 39
	v_cmp_gt_u64_e64 s[6:7], s[56:57], v[0:1]
	v_and_b32_e32 v51, 0x100, v6
	s_waitcnt lgkmcnt(0)
	s_and_b32 s94, s3, 0xffff
	v_writelane_b32 v68, s6, 40
	s_bfe_u32 s3, s3, 0xa0006
	s_cmp_gt_u32 s94, 63
	v_writelane_b32 v68, s7, 41
	v_mad_u64_u32 v[2:3], s[6:7], s62, v0, 0
	v_mov_b32_e32 v4, v3
	v_mad_u64_u32 v[4:5], s[6:7], s63, v0, v[4:5]
	v_cmp_gt_i64_e64 s[6:7], s[56:57], v[0:1]
	v_lshlrev_b64 v[6:7], v48, -1
	v_lshlrev_b32_e32 v53, 5, v0
	v_writelane_b32 v68, s6, 42
	v_not_b32_e32 v25, v7
	v_not_b32_e32 v24, v6
	v_writelane_b32 v68, s7, 43
	s_cselect_b64 s[6:7], -1, 0
	v_writelane_b32 v68, s6, 44
	v_lshrrev_b32_e32 v6, 1, v0
	v_or_b32_e32 v7, 24, v53
	v_writelane_b32 v68, s7, 45
	s_add_u32 s6, s94, -1
	s_addc_u32 s7, 0, -1
	s_add_u32 s73, s6, s56
	s_addc_u32 s79, s7, s57
	s_cmp_lt_u32 s2, s14
	s_cselect_b32 s2, 12, 18
	s_add_u32 s50, s12, s2
	s_addc_u32 s51, s13, 0
	s_add_i32 s2, s3, -1
	v_writelane_b32 v68, s6, 46
	s_bfe_u32 s6, s94, 0x30006
	s_and_b32 s2, s2, 0xffff
	s_cmp_gt_u32 s2, 6
	v_writelane_b32 v68, s7, 47
	s_cselect_b64 s[12:13], -1, 0
	v_writelane_b32 v68, s12, 48
	s_and_b32 s33, s3, 0x3f8
	s_cmp_lg_u32 s6, 0
	v_writelane_b32 v68, s13, 49
	v_writelane_b32 v68, s6, 50
	s_cselect_b64 s[2:3], -1, 0
	v_writelane_b32 v68, s2, 51
	v_and_b32_e32 v6, 0x1e0, v6
	v_or_b32_e32 v52, 0xc00, v6
	v_writelane_b32 v68, s3, 52
	s_add_u32 s2, s8, s10
	s_addc_u32 s3, s9, s11
	s_add_u32 s0, s2, s0
	s_addc_u32 s1, s3, s1
	;; [unrolled: 2-line block ×3, first 2 shown]
	s_lshl_b64 s[0:1], s[62:63], 3
	v_writelane_b32 v68, s0, 53
	v_cmp_eq_u32_e64 s[4:5], 0, v48
	v_mov_b32_e32 v3, v4
	v_writelane_b32 v68, s1, 54
	v_mad_u64_u32 v[26:27], s[0:1], s62, v7, 0
	v_mov_b32_e32 v6, v27
	v_mad_u64_u32 v[6:7], s[0:1], s63, v7, v[6:7]
	v_or_b32_e32 v7, 16, v53
	v_mad_u64_u32 v[28:29], s[0:1], s62, v7, 0
	v_mov_b32_e32 v27, v6
	v_mov_b32_e32 v6, v29
	v_mad_u64_u32 v[6:7], s[0:1], s63, v7, v[6:7]
	v_or_b32_e32 v7, 8, v53
	v_mad_u64_u32 v[32:33], s[0:1], s62, v7, 0
	v_writelane_b32 v68, s2, 55
	v_mov_b32_e32 v29, v6
	v_mov_b32_e32 v6, v33
	v_writelane_b32 v68, s3, 56
	v_mad_u64_u32 v[6:7], s[0:1], s63, v7, v[6:7]
	v_writelane_b32 v68, s4, 57
	s_mul_i32 s0, s63, s94
	s_mul_hi_u32 s1, s62, s94
	v_writelane_b32 v68, s5, 58
	s_add_i32 s1, s1, s0
	s_mul_i32 s0, s62, s94
	v_writelane_b32 v68, s50, 59
	v_lshlrev_b32_e32 v49, 3, v0
	v_lshlrev_b64 v[4:5], 3, v[2:3]
	v_lshlrev_b64 v[34:35], 5, v[2:3]
	v_mov_b32_e32 v2, 0xc00
	s_lshl_b64 s[70:71], s[0:1], 3
	v_writelane_b32 v68, s51, 60
	v_add_u32_e32 v50, 0xc00, v49
	v_lshl_add_u64 v[20:21], s[88:89], 0, v[4:5]
	v_lshlrev_b32_e32 v22, 2, v0
	v_mov_b32_e32 v23, v19
	s_mov_b32 s95, s97
	s_lshl_b64 s[84:85], s[62:63], 5
	v_mov_b32_e32 v33, v6
	v_lshl_add_u64 v[36:37], s[56:57], 0, v[0:1]
	v_lshl_or_b32 v54, v48, 3, v2
	v_lshl_add_u64 v[16:17], s[2:3], 0, v[4:5]
	s_lshl_b32 s90, s94, 3
	s_mov_b32 s91, 62
	v_mov_b64_e32 v[6:7], 0
	s_mov_b64 s[10:11], 0
	v_mov_b64_e32 v[40:41], s[58:59]
	v_mov_b64_e32 v[30:31], 0
	;; [unrolled: 1-line block ×4, first 2 shown]
	v_mov_b32_e32 v3, 0x3ff00000
	v_mov_b32_e32 v58, v19
	;; [unrolled: 1-line block ×3, first 2 shown]
	s_mov_b32 s98, 0
	v_writelane_b32 v68, s70, 61
                                        ; implicit-def: $sgpr58_sgpr59
                                        ; implicit-def: $sgpr82_sgpr83
                                        ; implicit-def: $sgpr60_sgpr61
                                        ; implicit-def: $sgpr76_sgpr77
                                        ; implicit-def: $sgpr28_sgpr29
                                        ; implicit-def: $sgpr74_sgpr75
	s_nop 1
	v_writelane_b32 v68, s71, 62
	s_branch .LBB46_32
.LBB46_29:                              ;   in Loop: Header=BB46_32 Depth=1
	s_or_b64 exec, exec, s[12:13]
	s_and_b64 s[6:7], s[6:7], exec
	s_andn2_b64 s[26:27], s[26:27], exec
	s_andn2_b64 s[2:3], s[2:3], exec
	s_orn2_b64 s[18:19], s[8:9], exec
.LBB46_30:                              ;   in Loop: Header=BB46_32 Depth=1
	s_or_b64 exec, exec, s[0:1]
	s_andn2_b64 s[0:1], s[74:75], exec
	s_and_b64 s[6:7], s[6:7], exec
	s_or_b64 s[74:75], s[0:1], s[6:7]
	s_andn2_b64 s[0:1], s[28:29], exec
	s_and_b64 s[6:7], s[26:27], exec
	s_or_b64 s[28:29], s[0:1], s[6:7]
	;; [unrolled: 3-line block ×3, first 2 shown]
	s_orn2_b64 s[2:3], s[18:19], exec
.LBB46_31:                              ;   in Loop: Header=BB46_32 Depth=1
	s_or_b64 exec, exec, s[16:17]
	s_and_b64 s[0:1], exec, s[2:3]
	s_or_b64 s[10:11], s[0:1], s[10:11]
	s_andn2_b64 s[0:1], s[60:61], exec
	s_and_b64 s[2:3], s[74:75], exec
	s_or_b64 s[60:61], s[0:1], s[2:3]
	s_andn2_b64 s[0:1], s[82:83], exec
	s_and_b64 s[2:3], s[28:29], exec
	;; [unrolled: 3-line block ×3, first 2 shown]
	s_or_b64 s[58:59], s[0:1], s[2:3]
	v_mov_b64_e32 v[40:41], v[12:13]
	s_andn2_b64 exec, exec, s[10:11]
	s_cbranch_execz .LBB46_298
.LBB46_32:                              ; =>This Loop Header: Depth=1
                                        ;     Child Loop BB46_38 Depth 2
                                        ;     Child Loop BB46_51 Depth 2
	;; [unrolled: 1-line block ×16, first 2 shown]
	ds_read_b128 v[8:11], v19 offset:5120
	s_waitcnt lgkmcnt(0)
	v_readfirstlane_b32 s65, v9
	v_readfirstlane_b32 s64, v8
	s_nop 1
	v_cmp_gt_i64_e64 s[0:1], s[64:65], 0
	s_and_b64 vcc, exec, s[0:1]
	s_cbranch_vccnz .LBB46_59
; %bb.33:                               ;   in Loop: Header=BB46_32 Depth=1
	v_readlane_b32 s0, v68, 38
	v_readlane_b32 s1, v68, 39
	s_and_b64 vcc, exec, s[0:1]
	s_cbranch_vccz .LBB46_46
; %bb.34:                               ;   in Loop: Header=BB46_32 Depth=1
	s_mov_b64 s[0:1], 0x181
	v_cmp_gt_i64_e32 vcc, s[0:1], v[10:11]
	s_mov_b64 s[0:1], 0
	s_mov_b64 s[2:3], 0
	s_cbranch_vccz .LBB46_47
; %bb.35:                               ;   in Loop: Header=BB46_32 Depth=1
	s_mov_b64 s[6:7], exec
	v_readlane_b32 s2, v68, 40
	v_readlane_b32 s3, v68, 41
	s_and_b64 s[2:3], s[6:7], s[2:3]
	s_mov_b64 exec, s[2:3]
	s_cbranch_execz .LBB46_93
; %bb.36:                               ;   in Loop: Header=BB46_32 Depth=1
	global_load_ushort v2, v19, s[50:51]
	global_load_dwordx2 v[4:5], v[20:21], off
	v_readlane_b32 s2, v68, 55
	v_readlane_b32 s3, v68, 56
	;; [unrolled: 1-line block ×4, first 2 shown]
	v_mov_b64_e32 v[8:9], s[2:3]
	s_mov_b64 s[8:9], 0
	s_waitcnt vmcnt(1)
	v_readfirstlane_b32 s2, v2
	s_and_b32 s2, 0xffff, s2
	s_nop 0
	v_add_u32_e32 v10, s2, v0
	s_mul_i32 s12, s17, s2
	s_mul_hi_u32 s13, s16, s2
	s_mul_i32 s14, s16, s2
	v_mad_u64_u32 v[8:9], s[2:3], s16, v10, v[8:9]
	v_and_b32_e32 v18, 0xffff, v2
	v_mov_b32_e32 v2, v9
	v_mad_u64_u32 v[10:11], s[2:3], s17, v10, v[2:3]
	s_add_i32 s15, s13, s12
	v_mov_b32_e32 v9, v10
	v_mov_b64_e32 v[10:11], v[0:1]
	s_branch .LBB46_38
.LBB46_37:                              ;   in Loop: Header=BB46_38 Depth=2
	s_or_b64 exec, exec, s[2:3]
	v_lshl_add_u64 v[8:9], v[8:9], 0, s[14:15]
	v_mov_b64_e32 v[4:5], v[12:13]
	s_andn2_b64 exec, exec, s[8:9]
	s_cbranch_execz .LBB46_93
.LBB46_38:                              ;   Parent Loop BB46_32 Depth=1
                                        ; =>  This Inner Loop Header: Depth=2
	v_lshl_add_u64 v[10:11], v[10:11], 0, v[18:19]
	v_cmp_gt_i64_e64 s[2:3], s[56:57], v[10:11]
	v_cmp_le_i64_e32 vcc, s[56:57], v[10:11]
	v_mov_b64_e32 v[12:13], 0
	s_and_saveexec_b64 s[12:13], s[2:3]
	s_cbranch_execz .LBB46_40
; %bb.39:                               ;   in Loop: Header=BB46_38 Depth=2
	global_load_dwordx2 v[12:13], v[8:9], off
.LBB46_40:                              ;   in Loop: Header=BB46_38 Depth=2
	s_or_b64 exec, exec, s[12:13]
	s_waitcnt vmcnt(0) lgkmcnt(0)
	v_ashrrev_i32_e32 v2, 31, v5
	v_or_b32_e32 v14, 0x80000000, v2
	v_xor_b32_e32 v14, v14, v5
	v_xor_b32_e32 v2, v2, v4
	v_cmp_o_f64_e64 s[2:3], v[4:5], v[4:5]
	s_nop 1
	v_cndmask_b32_e64 v14, -1, v14, s[2:3]
	v_cndmask_b32_e64 v2, -1, v2, s[2:3]
	v_and_b32_e32 v15, v14, v39
	v_and_b32_e32 v14, v2, v38
	v_cmp_eq_u64_e64 s[12:13], v[14:15], v[30:31]
	s_cmp_lg_u64 s[12:13], 0
	s_cselect_b64 s[2:3], -1, 0
	s_and_b64 s[2:3], s[4:5], s[2:3]
	v_mov_b32_e32 v2, 0
	s_and_saveexec_b64 s[16:17], s[2:3]
	s_cbranch_execz .LBB46_44
; %bb.41:                               ;   in Loop: Header=BB46_38 Depth=2
	s_mov_b64 s[20:21], exec
	v_mbcnt_lo_u32_b32 v2, s20, 0
	v_mbcnt_hi_u32_b32 v2, s21, v2
	s_bcnt1_i32_b64 s22, s[12:13]
	v_cmp_eq_u32_e64 s[2:3], 0, v2
                                        ; implicit-def: $vgpr14
	s_and_saveexec_b64 s[18:19], s[2:3]
; %bb.42:                               ;   in Loop: Header=BB46_38 Depth=2
	s_bcnt1_i32_b64 s2, s[20:21]
	s_mul_i32 s2, s22, s2
	v_mov_b32_e32 v14, s2
	ds_add_rtn_u32 v14, v19, v14 offset:5136
; %bb.43:                               ;   in Loop: Header=BB46_38 Depth=2
	s_or_b64 exec, exec, s[18:19]
	s_waitcnt lgkmcnt(0)
	v_readfirstlane_b32 s2, v14
	s_nop 1
	v_mov_b32_e32 v14, s2
	v_mad_u32_u24 v2, s22, v2, v14
.LBB46_44:                              ;   in Loop: Header=BB46_38 Depth=2
	s_or_b64 exec, exec, s[16:17]
	ds_bpermute_b32 v2, v51, v2
	s_and_b64 s[2:3], exec, vcc
	s_or_b64 s[8:9], s[2:3], s[8:9]
	s_and_saveexec_b64 s[2:3], s[12:13]
	s_cbranch_execz .LBB46_37
; %bb.45:                               ;   in Loop: Header=BB46_38 Depth=2
	v_and_b32_e32 v15, s12, v24
	v_and_b32_e32 v14, s13, v25
	v_bcnt_u32_b32 v15, v15, 0
	v_bcnt_u32_b32 v14, v14, v15
	v_lshlrev_b32_e32 v14, 3, v14
	s_waitcnt lgkmcnt(0)
	v_lshl_add_u32 v2, v2, 3, v14
	ds_write_b64 v2, v[4:5]
	s_branch .LBB46_37
.LBB46_46:                              ;   in Loop: Header=BB46_32 Depth=1
	s_mov_b64 s[0:1], -1
	s_mov_b64 s[2:3], 0
.LBB46_47:                              ;   in Loop: Header=BB46_32 Depth=1
	s_and_b64 vcc, exec, s[0:1]
	s_cbranch_vccz .LBB46_57
.LBB46_48:                              ;   in Loop: Header=BB46_32 Depth=1
	s_mov_b64 s[0:1], exec
	v_readlane_b32 s2, v68, 42
	v_readlane_b32 s3, v68, 43
	s_and_b64 s[2:3], s[0:1], s[2:3]
	s_mov_b64 exec, s[2:3]
	s_cbranch_execz .LBB46_54
; %bb.49:                               ;   in Loop: Header=BB46_32 Depth=1
	global_load_ushort v2, v19, s[50:51]
	global_load_dwordx2 v[4:5], v[20:21], off
	s_waitcnt vmcnt(1)
	v_add_u32_sdwa v18, v2, v0 dst_sel:DWORD dst_unused:UNUSED_PAD src0_sel:WORD_0 src1_sel:DWORD
	v_readfirstlane_b32 s6, v2
	v_cmp_gt_i64_e32 vcc, s[56:57], v[18:19]
	v_mov_b32_e32 v2, v0
	s_and_saveexec_b64 s[2:3], vcc
	s_cbranch_execz .LBB46_53
; %bb.50:                               ;   in Loop: Header=BB46_32 Depth=1
	s_and_b32 s96, s6, 0xffff
	v_readlane_b32 s6, v68, 55
	v_readlane_b32 s7, v68, 56
	;; [unrolled: 1-line block ×4, first 2 shown]
	v_mov_b64_e32 v[8:9], s[6:7]
	v_mad_u64_u32 v[8:9], s[6:7], s8, v18, v[8:9]
	v_mov_b32_e32 v2, v9
	v_mad_u64_u32 v[10:11], s[6:7], s9, v18, v[2:3]
	s_mul_i32 s6, s9, s96
	s_mul_hi_u32 s7, s8, s96
	v_mov_b32_e32 v9, v10
	s_add_i32 s7, s7, s6
	s_mul_i32 s6, s8, s96
	s_mov_b64 s[8:9], 0
	v_mov_b64_e32 v[12:13], v[18:19]
	v_mov_b64_e32 v[14:15], v[0:1]
.LBB46_51:                              ;   Parent Loop BB46_32 Depth=1
                                        ; =>  This Inner Loop Header: Depth=2
	global_load_dwordx2 v[10:11], v[8:9], off
	v_mov_b64_e32 v[42:43], v[12:13]
	v_lshl_add_u64 v[12:13], v[42:43], 0, s[96:97]
	v_lshlrev_b32_e32 v2, 3, v14
	v_cmp_le_i64_e32 vcc, s[56:57], v[12:13]
	v_lshl_add_u64 v[8:9], v[8:9], 0, s[6:7]
	s_waitcnt vmcnt(1)
	ds_write_b64 v2, v[4:5]
	v_mov_b64_e32 v[14:15], v[42:43]
	s_or_b64 s[8:9], vcc, s[8:9]
	s_waitcnt vmcnt(0)
	v_mov_b64_e32 v[4:5], v[10:11]
	s_andn2_b64 exec, exec, s[8:9]
	s_cbranch_execnz .LBB46_51
; %bb.52:                               ;   in Loop: Header=BB46_32 Depth=1
	s_or_b64 exec, exec, s[8:9]
	v_subrev_u32_e32 v2, s96, v12
	v_mov_b64_e32 v[4:5], v[10:11]
.LBB46_53:                              ;   in Loop: Header=BB46_32 Depth=1
	s_or_b64 exec, exec, s[2:3]
	v_lshlrev_b32_e32 v2, 3, v2
	s_waitcnt vmcnt(0)
	ds_write_b64 v2, v[4:5]
.LBB46_54:                              ;   in Loop: Header=BB46_32 Depth=1
	s_or_b64 exec, exec, s[0:1]
	s_waitcnt lgkmcnt(0)
	s_barrier
	s_mov_b64 s[0:1], exec
	v_readlane_b32 s2, v68, 32
	v_readlane_b32 s3, v68, 33
	s_and_b64 s[2:3], s[0:1], s[2:3]
	s_mov_b64 exec, s[2:3]
; %bb.55:                               ;   in Loop: Header=BB46_32 Depth=1
	ds_write_b64 v19, v[56:57] offset:5120
; %bb.56:                               ;   in Loop: Header=BB46_32 Depth=1
	s_or_b64 exec, exec, s[0:1]
	s_mov_b64 s[2:3], -1
	s_waitcnt lgkmcnt(0)
	s_barrier
.LBB46_57:                              ;   in Loop: Header=BB46_32 Depth=1
	s_and_b64 vcc, exec, s[2:3]
	s_cbranch_vccz .LBB46_59
; %bb.58:                               ;   in Loop: Header=BB46_32 Depth=1
	ds_read_b64 v[4:5], v19 offset:5120
	s_waitcnt lgkmcnt(0)
	v_readfirstlane_b32 s64, v4
.LBB46_59:                              ;   in Loop: Header=BB46_32 Depth=1
	s_cmp_lt_i32 s64, 1
	s_mov_b64 s[0:1], -1
                                        ; implicit-def: $vgpr8_vgpr9
                                        ; implicit-def: $vgpr12_vgpr13
	s_cbranch_scc1 .LBB46_69
; %bb.60:                               ;   in Loop: Header=BB46_32 Depth=1
	s_and_b64 vcc, exec, s[0:1]
	s_cbranch_vccnz .LBB46_83
.LBB46_61:                              ;   in Loop: Header=BB46_32 Depth=1
	s_lshl_b32 s2, s98, 6
	s_and_saveexec_b64 s[0:1], s[4:5]
	s_cbranch_execz .LBB46_63
.LBB46_62:                              ;   in Loop: Header=BB46_32 Depth=1
	v_lshl_add_u32 v2, s2, 3, v52
	ds_write_b128 v2, v[8:11]
	ds_write_b128 v2, v[12:15] offset:16
.LBB46_63:                              ;   in Loop: Header=BB46_32 Depth=1
	s_or_b64 exec, exec, s[0:1]
	s_waitcnt lgkmcnt(0)
	s_barrier
	s_and_saveexec_b64 s[0:1], s[80:81]
	s_cbranch_execz .LBB46_101
; %bb.64:                               ;   in Loop: Header=BB46_32 Depth=1
	v_readlane_b32 s6, v68, 44
	v_readlane_b32 s7, v68, 45
	s_andn2_b64 vcc, exec, s[6:7]
	v_mov_b64_e32 v[4:5], 0
	s_cbranch_vccnz .LBB46_100
; %bb.65:                               ;   in Loop: Header=BB46_32 Depth=1
	v_readlane_b32 s6, v68, 48
	v_readlane_b32 s7, v68, 49
	s_andn2_b64 vcc, exec, s[6:7]
	s_cbranch_vccnz .LBB46_96
; %bb.66:                               ;   in Loop: Header=BB46_32 Depth=1
	v_lshl_add_u32 v2, s98, 9, v54
	v_mov_b64_e32 v[4:5], 0
	s_mov_b32 s3, 0
.LBB46_67:                              ;   Parent Loop BB46_32 Depth=1
                                        ; =>  This Inner Loop Header: Depth=2
	ds_read2_b64 v[8:11], v2 offset1:4
	ds_read2_b64 v[12:15], v2 offset0:8 offset1:12
	ds_read2_b64 v[42:45], v2 offset0:16 offset1:20
	;; [unrolled: 1-line block ×3, first 2 shown]
	s_add_i32 s3, s3, 8
	s_waitcnt lgkmcnt(3)
	v_lshl_add_u64 v[4:5], v[8:9], 0, v[4:5]
	v_lshl_add_u64 v[4:5], v[10:11], 0, v[4:5]
	s_waitcnt lgkmcnt(2)
	v_lshl_add_u64 v[4:5], v[12:13], 0, v[4:5]
	v_lshl_add_u64 v[4:5], v[14:15], 0, v[4:5]
	;; [unrolled: 3-line block ×3, first 2 shown]
	s_waitcnt lgkmcnt(0)
	v_lshl_add_u64 v[4:5], v[60:61], 0, v[4:5]
	v_add_u32_e32 v2, 0x100, v2
	s_cmp_eq_u32 s33, s3
	v_lshl_add_u64 v[4:5], v[62:63], 0, v[4:5]
	s_cbranch_scc0 .LBB46_67
; %bb.68:                               ;   in Loop: Header=BB46_32 Depth=1
	s_mov_b32 s3, s33
	s_branch .LBB46_97
.LBB46_69:                              ;   in Loop: Header=BB46_32 Depth=1
	global_load_ushort v2, v19, s[50:51]
	s_mov_b32 s0, s97
	s_waitcnt vmcnt(0)
	v_readfirstlane_b32 s1, v2
	s_and_b32 s66, s1, 0xffff
	s_lshl_b32 s96, s66, 2
	s_mov_b32 s1, s57
	s_cmp_lg_u64 s[0:1], 0
	s_cbranch_scc0 .LBB46_92
; %bb.70:                               ;   in Loop: Header=BB46_32 Depth=1
	s_add_u32 s0, s96, 0
	s_addc_u32 s1, 0, 0
	s_xor_b64 s[0:1], s[0:1], 0
	v_cvt_f32_u32_e32 v2, s0
	v_cvt_f32_u32_e32 v4, s1
	s_sub_u32 s6, 0, s0
	s_subb_u32 s7, 0, s1
	v_fmac_f32_e32 v2, 0x4f800000, v4
	v_rcp_f32_e32 v2, v2
	s_nop 0
	v_mul_f32_e32 v2, 0x5f7ffffc, v2
	v_mul_f32_e32 v4, 0x2f800000, v2
	v_trunc_f32_e32 v4, v4
	v_fmac_f32_e32 v2, 0xcf800000, v4
	v_cvt_u32_f32_e32 v4, v4
	v_cvt_u32_f32_e32 v2, v2
	v_readfirstlane_b32 s8, v4
	v_readfirstlane_b32 s2, v2
	s_mul_i32 s3, s6, s8
	s_mul_hi_u32 s12, s6, s2
	s_mul_i32 s9, s7, s2
	s_add_i32 s3, s12, s3
	s_mul_i32 s13, s6, s2
	s_add_i32 s3, s3, s9
	s_mul_i32 s12, s2, s3
	s_mul_hi_u32 s14, s2, s13
	s_mul_hi_u32 s9, s2, s3
	s_add_u32 s12, s14, s12
	s_addc_u32 s9, 0, s9
	s_mul_hi_u32 s15, s8, s13
	s_mul_i32 s13, s8, s13
	s_add_u32 s12, s12, s13
	s_mul_hi_u32 s14, s8, s3
	s_addc_u32 s9, s9, s15
	s_addc_u32 s12, s14, 0
	s_mul_i32 s3, s8, s3
	s_add_u32 s3, s9, s3
	s_addc_u32 s9, 0, s12
	s_add_u32 s12, s2, s3
	s_cselect_b64 s[2:3], -1, 0
	s_cmp_lg_u64 s[2:3], 0
	s_addc_u32 s8, s8, s9
	s_mul_i32 s2, s6, s8
	s_mul_hi_u32 s3, s6, s12
	s_add_i32 s2, s3, s2
	s_mul_i32 s7, s7, s12
	s_add_i32 s2, s2, s7
	s_mul_i32 s6, s6, s12
	s_mul_hi_u32 s7, s8, s6
	s_mul_i32 s9, s8, s6
	s_mul_i32 s14, s12, s2
	s_mul_hi_u32 s6, s12, s6
	s_mul_hi_u32 s13, s12, s2
	s_add_u32 s6, s6, s14
	s_addc_u32 s13, 0, s13
	s_add_u32 s6, s6, s9
	s_mul_hi_u32 s3, s8, s2
	s_addc_u32 s6, s13, s7
	s_addc_u32 s3, s3, 0
	s_mul_i32 s2, s8, s2
	s_add_u32 s2, s6, s2
	s_addc_u32 s6, 0, s3
	s_add_u32 s9, s12, s2
	s_cselect_b64 s[2:3], -1, 0
	s_cmp_lg_u64 s[2:3], 0
	s_addc_u32 s8, s8, s6
	s_ashr_i32 s2, s57, 31
	s_add_u32 s6, s56, s2
	s_mov_b32 s3, s2
	s_addc_u32 s7, s57, s2
	s_xor_b64 s[6:7], s[6:7], s[2:3]
	s_mul_i32 s13, s6, s8
	s_mul_hi_u32 s14, s6, s9
	s_mul_hi_u32 s12, s6, s8
	s_add_u32 s13, s14, s13
	s_addc_u32 s12, 0, s12
	s_mul_hi_u32 s15, s7, s9
	s_mul_i32 s9, s7, s9
	s_add_u32 s9, s13, s9
	s_mul_hi_u32 s14, s7, s8
	s_addc_u32 s9, s12, s15
	s_addc_u32 s12, s14, 0
	s_mul_i32 s8, s7, s8
	s_add_u32 s8, s9, s8
	s_addc_u32 s9, 0, s12
	s_mul_i32 s9, s0, s9
	s_mul_hi_u32 s12, s0, s8
	s_add_i32 s9, s12, s9
	s_mul_i32 s12, s1, s8
	s_add_i32 s14, s9, s12
	s_sub_i32 s12, s7, s14
	s_mul_i32 s8, s0, s8
	s_sub_u32 s6, s6, s8
	s_cselect_b64 s[8:9], -1, 0
	s_cmp_lg_u64 s[8:9], 0
	s_subb_u32 s15, s12, s1
	s_sub_u32 s16, s6, s0
	s_cselect_b64 s[12:13], -1, 0
	s_cmp_lg_u64 s[12:13], 0
	s_subb_u32 s17, s15, 0
	s_cmp_ge_u32 s17, s1
	s_cselect_b32 s18, -1, 0
	s_cmp_ge_u32 s16, s0
	s_cselect_b32 s19, -1, 0
	s_cmp_eq_u32 s17, s1
	s_cselect_b32 s18, s19, s18
	s_cmp_lg_u64 s[12:13], 0
	s_subb_u32 s15, s15, s1
	s_sub_u32 s19, s16, s0
	s_cselect_b64 s[12:13], -1, 0
	s_cmp_lg_u64 s[12:13], 0
	s_subb_u32 s12, s15, 0
	s_cmp_lg_u32 s18, 0
	s_cselect_b32 s13, s19, s16
	s_cselect_b32 s12, s12, s17
	s_cmp_lg_u64 s[8:9], 0
	s_subb_u32 s7, s7, s14
	s_cmp_ge_u32 s7, s1
	s_cselect_b32 s8, -1, 0
	s_cmp_ge_u32 s6, s0
	s_cselect_b32 s0, -1, 0
	s_cmp_eq_u32 s7, s1
	s_cselect_b32 s0, s0, s8
	s_cmp_lg_u32 s0, 0
	s_cselect_b32 s1, s12, s7
	s_cselect_b32 s0, s13, s6
	s_xor_b64 s[0:1], s[0:1], s[2:3]
	s_sub_u32 s68, s0, s2
	s_subb_u32 s69, s1, s2
	s_cbranch_execnz .LBB46_72
.LBB46_71:                              ;   in Loop: Header=BB46_32 Depth=1
	v_cvt_f32_u32_e32 v2, s96
	s_sub_i32 s0, 0, s96
	s_mov_b32 s69, s97
	v_rcp_iflag_f32_e32 v2, v2
	s_nop 0
	v_mul_f32_e32 v2, 0x4f7ffffe, v2
	v_cvt_u32_f32_e32 v2, v2
	s_nop 0
	v_readfirstlane_b32 s1, v2
	s_mul_i32 s0, s0, s1
	s_mul_hi_u32 s0, s1, s0
	s_add_i32 s1, s1, s0
	s_mul_hi_u32 s0, s56, s1
	s_mul_i32 s0, s0, s96
	s_sub_i32 s0, s56, s0
	s_sub_i32 s1, s0, s96
	s_cmp_ge_u32 s0, s96
	s_cselect_b32 s0, s1, s0
	s_sub_i32 s1, s0, s96
	s_cmp_ge_u32 s0, s96
	s_cselect_b32 s68, s1, s0
.LBB46_72:                              ;   in Loop: Header=BB46_32 Depth=1
	s_sub_u32 s70, s56, s68
	s_subb_u32 s71, s57, s69
	s_mov_b32 s67, s97
	v_cmp_gt_i64_e32 vcc, s[70:71], v[22:23]
	v_mov_b64_e32 v[8:9], 0
	v_mov_b64_e32 v[10:11], 0
	;; [unrolled: 1-line block ×4, first 2 shown]
	s_and_saveexec_b64 s[54:55], vcc
	s_cbranch_execz .LBB46_76
; %bb.73:                               ;   in Loop: Header=BB46_32 Depth=1
	s_mul_i32 s0, s85, s66
	s_mul_hi_u32 s1, s84, s66
	s_mov_b32 s5, s79
	s_mov_b32 s72, s73
	s_add_i32 s65, s1, s0
	s_mov_b64 s[0:1], 0
	s_mov_b64 s[92:93], s[88:89]
	;; [unrolled: 1-line block ×6, first 2 shown]
	v_mov_b64_e32 v[4:5], v[22:23]
.LBB46_74:                              ;   Parent Loop BB46_32 Depth=1
                                        ; =>  This Inner Loop Header: Depth=2
	v_lshl_add_u64 v[8:9], s[88:89], 0, v[34:35]
	v_lshl_add_u64 v[10:11], s[88:89], 0, v[32:33]
	;; [unrolled: 1-line block ×4, first 2 shown]
	global_load_dwordx2 v[8:9], v[8:9], off
	s_nop 0
	global_load_dwordx2 v[10:11], v[10:11], off
	s_nop 0
	;; [unrolled: 2-line block ×3, first 2 shown]
	global_load_dwordx2 v[14:15], v[14:15], off
	v_mov_b32_e32 v43, v19
	v_mov_b32_e32 v45, v19
	;; [unrolled: 1-line block ×3, first 2 shown]
	s_mul_i32 s73, s84, s66
	v_lshl_add_u64 v[4:5], v[4:5], 0, s[96:97]
	v_cmp_le_i64_e32 vcc, s[70:71], v[4:5]
	s_waitcnt vmcnt(3)
	v_ashrrev_i32_e32 v2, 31, v9
	s_waitcnt vmcnt(2)
	v_ashrrev_i32_e32 v18, 31, v11
	v_xor_b32_e32 v46, v18, v10
	v_cmp_o_f64_e64 s[2:3], v[10:11], v[10:11]
	v_xor_b32_e32 v10, v2, v8
	v_or_b32_e32 v2, 0x80000000, v2
	s_waitcnt vmcnt(1)
	v_ashrrev_i32_e32 v42, 31, v13
	s_waitcnt vmcnt(0)
	v_ashrrev_i32_e32 v44, 31, v15
	v_cmp_o_f64_e64 s[16:17], v[8:9], v[8:9]
	v_or_b32_e32 v8, 0x80000000, v18
	v_xor_b32_e32 v2, v2, v9
	v_xor_b32_e32 v55, v42, v12
	v_cmp_o_f64_e64 s[12:13], v[12:13], v[12:13]
	v_xor_b32_e32 v60, v44, v14
	v_cmp_o_f64_e64 s[14:15], v[14:15], v[14:15]
	v_or_b32_e32 v12, 0x80000000, v42
	v_or_b32_e32 v14, 0x80000000, v44
	v_xor_b32_e32 v11, v8, v11
	v_cndmask_b32_e64 v8, -1, v10, s[16:17]
	v_cndmask_b32_e64 v9, -1, v2, s[16:17]
	v_xor_b32_e32 v13, v12, v13
	v_xor_b32_e32 v15, v14, v15
	v_cndmask_b32_e64 v10, -1, v46, s[2:3]
	v_cndmask_b32_e64 v14, -1, v60, s[14:15]
	;; [unrolled: 1-line block ×3, first 2 shown]
	v_and_b32_e32 v60, v8, v38
	v_and_b32_e32 v61, v9, v39
	v_lshrrev_b64 v[8:9], s91, v[8:9]
	v_cndmask_b32_e64 v12, -1, v55, s[12:13]
	v_cndmask_b32_e64 v13, -1, v13, s[12:13]
	v_and_b32_e32 v62, v10, v38
	v_and_b32_e32 v63, v11, v39
	v_lshrrev_b64 v[10:11], s91, v[10:11]
	v_and_b32_e32 v18, 3, v8
	v_cndmask_b32_e64 v15, -1, v15, s[14:15]
	v_and_b32_e32 v64, v12, v38
	v_and_b32_e32 v65, v13, v39
	v_lshrrev_b64 v[12:13], s91, v[12:13]
	v_cmp_eq_u64_e64 s[2:3], v[60:61], v[30:31]
	v_and_b32_e32 v42, 3, v10
	v_cmp_eq_u64_e64 s[18:19], 0, v[18:19]
	v_and_b32_e32 v66, v14, v38
	v_and_b32_e32 v67, v15, v39
	v_lshrrev_b64 v[14:15], s91, v[14:15]
	v_cmp_eq_u64_e64 s[14:15], v[62:63], v[30:31]
	v_and_b32_e32 v44, 3, v12
	v_cmp_eq_u64_e64 s[20:21], 0, v[42:43]
	s_and_b64 s[18:19], s[2:3], s[18:19]
	v_cmp_eq_u64_e64 s[16:17], v[64:65], v[30:31]
	v_and_b32_e32 v46, 3, v14
	v_cmp_eq_u64_e64 s[22:23], 0, v[44:45]
	v_cndmask_b32_e64 v2, 0, 1, s[18:19]
	s_and_b64 s[18:19], s[14:15], s[20:21]
	v_cmp_eq_u64_e64 s[12:13], v[66:67], v[30:31]
	v_cmp_eq_u64_e64 s[24:25], 0, v[46:47]
	v_cndmask_b32_e64 v8, 0, 1, s[18:19]
	s_and_b64 s[18:19], s[16:17], s[22:23]
	v_cndmask_b32_e64 v9, 0, 1, s[18:19]
	s_and_b64 s[18:19], s[12:13], s[24:25]
	v_cndmask_b32_e64 v10, 0, 1, s[18:19]
	v_cmp_ne_u32_e64 s[18:19], 0, v2
	v_cmp_ne_u32_e64 s[20:21], 0, v8
	v_cmp_ne_u32_e64 s[22:23], 0, v9
	v_cmp_ne_u32_e64 s[24:25], 0, v10
	s_bcnt1_i32_b64 s18, s[18:19]
	s_bcnt1_i32_b64 s19, s[20:21]
	s_bcnt1_i32_b64 s20, s[22:23]
	s_bcnt1_i32_b64 s21, s[24:25]
	s_add_u32 s6, s18, s6
	s_addc_u32 s7, 0, s7
	s_add_u32 s6, s6, s19
	s_addc_u32 s7, s7, 0
	s_add_u32 s6, s6, s20
	s_addc_u32 s7, s7, 0
	v_cmp_eq_u64_e64 s[26:27], 1, v[18:19]
	s_add_u32 s6, s6, s21
	v_cmp_eq_u64_e64 s[30:31], 1, v[42:43]
	s_addc_u32 s7, s7, 0
	s_and_b64 s[18:19], s[2:3], s[26:27]
	v_cmp_eq_u64_e64 s[34:35], 1, v[44:45]
	v_cndmask_b32_e64 v2, 0, 1, s[18:19]
	s_and_b64 s[18:19], s[14:15], s[30:31]
	v_cmp_eq_u64_e64 s[36:37], 1, v[46:47]
	v_cndmask_b32_e64 v10, 0, 1, s[18:19]
	s_and_b64 s[18:19], s[16:17], s[34:35]
	v_cndmask_b32_e64 v11, 0, 1, s[18:19]
	s_and_b64 s[18:19], s[12:13], s[36:37]
	v_cndmask_b32_e64 v12, 0, 1, s[18:19]
	v_cmp_ne_u32_e64 s[18:19], 0, v2
	v_cmp_ne_u32_e64 s[20:21], 0, v10
	v_cmp_ne_u32_e64 s[22:23], 0, v11
	v_cmp_ne_u32_e64 s[24:25], 0, v12
	s_bcnt1_i32_b64 s18, s[18:19]
	s_bcnt1_i32_b64 s19, s[20:21]
	s_bcnt1_i32_b64 s20, s[22:23]
	s_bcnt1_i32_b64 s21, s[24:25]
	s_add_u32 s18, s18, s78
	s_addc_u32 s22, 0, s79
	s_add_u32 s18, s18, s19
	s_addc_u32 s19, s22, 0
	s_add_u32 s18, s18, s20
	s_addc_u32 s19, s19, 0
	v_cmp_eq_u64_e64 s[38:39], 2, v[18:19]
	s_add_u32 s78, s18, s21
	v_cmp_eq_u64_e64 s[40:41], 2, v[42:43]
	s_addc_u32 s79, s19, 0
	s_and_b64 s[18:19], s[2:3], s[38:39]
	v_cmp_eq_u64_e64 s[42:43], 2, v[44:45]
	v_cndmask_b32_e64 v2, 0, 1, s[18:19]
	s_and_b64 s[18:19], s[14:15], s[40:41]
	;; [unrolled: 28-line block ×3, first 2 shown]
	v_cmp_eq_u64_e64 s[52:53], 3, v[46:47]
	v_cndmask_b32_e64 v14, 0, 1, s[2:3]
	s_and_b64 s[2:3], s[16:17], s[50:51]
	v_cndmask_b32_e64 v15, 0, 1, s[2:3]
	s_and_b64 s[2:3], s[12:13], s[52:53]
	v_cndmask_b32_e64 v18, 0, 1, s[2:3]
	v_cmp_ne_u32_e64 s[2:3], 0, v2
	v_cmp_ne_u32_e64 s[12:13], 0, v14
	;; [unrolled: 1-line block ×4, first 2 shown]
	s_bcnt1_i32_b64 s2, s[2:3]
	s_bcnt1_i32_b64 s3, s[12:13]
	;; [unrolled: 1-line block ×4, first 2 shown]
	s_add_u32 s2, s2, s8
	s_addc_u32 s8, 0, s9
	s_add_u32 s2, s2, s3
	s_addc_u32 s3, s8, 0
	;; [unrolled: 2-line block ×5, first 2 shown]
	v_mov_b64_e32 v[8:9], s[6:7]
	v_mov_b64_e32 v[10:11], s[78:79]
	;; [unrolled: 1-line block ×3, first 2 shown]
	s_or_b64 s[0:1], vcc, s[0:1]
	v_mov_b64_e32 v[14:15], s[8:9]
	s_andn2_b64 exec, exec, s[0:1]
	s_cbranch_execnz .LBB46_74
; %bb.75:                               ;   in Loop: Header=BB46_32 Depth=1
	s_or_b64 exec, exec, s[0:1]
	s_mov_b32 s79, s5
	v_readlane_b32 s4, v68, 57
	v_readlane_b32 s50, v68, 59
	s_mov_b64 s[88:89], s[92:93]
	s_mov_b32 s73, s72
	v_readlane_b32 s5, v68, 58
	v_readlane_b32 s51, v68, 60
.LBB46_76:                              ;   in Loop: Header=BB46_32 Depth=1
	s_or_b64 exec, exec, s[54:55]
	v_lshl_add_u64 v[4:5], s[70:71], 0, v[0:1]
	v_cmp_gt_i64_e32 vcc, s[56:57], v[4:5]
	s_and_saveexec_b64 s[0:1], vcc
	v_readlane_b32 s70, v68, 61
	v_readlane_b32 s71, v68, 62
	s_cbranch_execz .LBB46_82
; %bb.77:                               ;   in Loop: Header=BB46_32 Depth=1
	v_mul_lo_u32 v2, v5, s62
	v_mul_lo_u32 v18, v4, s63
	v_mad_u64_u32 v[42:43], s[2:3], v4, s62, 0
	v_add3_u32 v43, v43, v18, v2
	v_lshl_add_u64 v[42:43], v[42:43], 3, s[88:89]
	global_load_dwordx2 v[44:45], v[42:43], off
	v_lshl_add_u64 v[42:43], v[36:37], 0, s[66:67]
	v_readlane_b32 s2, v68, 55
	v_mov_b32_e32 v2, s69
	v_subrev_co_u32_e32 v18, vcc, s68, v42
	v_readlane_b32 s3, v68, 56
	s_nop 0
	v_subb_co_u32_e32 v2, vcc, v43, v2, vcc
	v_readlane_b32 s6, v68, 53
	v_mov_b64_e32 v[42:43], s[2:3]
	v_readlane_b32 s7, v68, 54
	v_mad_u64_u32 v[42:43], s[2:3], s6, v18, v[42:43]
	v_mul_lo_u32 v2, s6, v2
	v_mul_lo_u32 v46, s7, v18
	s_mul_i32 s2, s7, s66
	s_mul_hi_u32 s3, s6, s66
	v_add3_u32 v43, v46, v43, v2
	s_add_i32 s7, s3, s2
	s_mul_i32 s6, s6, s66
	s_mov_b64 s[8:9], 0
	s_branch .LBB46_79
.LBB46_78:                              ;   in Loop: Header=BB46_79 Depth=2
	s_or_b64 exec, exec, s[12:13]
	s_waitcnt vmcnt(0)
	v_ashrrev_i32_e32 v2, 31, v45
	v_or_b32_e32 v18, 0x80000000, v2
	s_and_b64 s[2:3], exec, vcc
	v_xor_b32_e32 v18, v18, v45
	v_xor_b32_e32 v2, v2, v44
	v_cmp_o_f64_e32 vcc, v[44:45], v[44:45]
	s_or_b64 s[8:9], s[2:3], s[8:9]
	v_lshl_add_u64 v[42:43], v[42:43], 0, s[6:7]
	v_cndmask_b32_e32 v45, -1, v18, vcc
	v_cndmask_b32_e32 v44, -1, v2, vcc
	v_and_b32_e32 v61, v45, v39
	v_and_b32_e32 v60, v44, v38
	v_lshrrev_b64 v[44:45], s91, v[44:45]
	v_and_b32_e32 v18, 3, v44
	v_cmp_eq_u64_e32 vcc, v[60:61], v[30:31]
	v_cmp_eq_u64_e64 s[2:3], 0, v[18:19]
	s_and_b64 s[2:3], vcc, s[2:3]
	v_mov_b64_e32 v[44:45], v[46:47]
	v_cndmask_b32_e64 v2, 0, 1, s[2:3]
	v_cmp_ne_u32_e64 s[2:3], 0, v2
	s_bcnt1_i32_b64 s96, s[2:3]
	v_cmp_eq_u64_e64 s[2:3], 1, v[18:19]
	s_and_b64 s[2:3], vcc, s[2:3]
	v_lshl_add_u64 v[8:9], s[96:97], 0, v[8:9]
	v_cndmask_b32_e64 v2, 0, 1, s[2:3]
	v_cmp_ne_u32_e64 s[2:3], 0, v2
	s_bcnt1_i32_b64 s96, s[2:3]
	v_cmp_eq_u64_e64 s[2:3], 2, v[18:19]
	s_and_b64 s[2:3], vcc, s[2:3]
	v_lshl_add_u64 v[10:11], s[96:97], 0, v[10:11]
	;; [unrolled: 6-line block ×3, first 2 shown]
	v_cndmask_b32_e64 v2, 0, 1, s[2:3]
	v_cmp_ne_u32_e32 vcc, 0, v2
	s_bcnt1_i32_b64 s96, vcc
	v_lshl_add_u64 v[14:15], s[96:97], 0, v[14:15]
	s_andn2_b64 exec, exec, s[8:9]
	s_cbranch_execz .LBB46_81
.LBB46_79:                              ;   Parent Loop BB46_32 Depth=1
                                        ; =>  This Inner Loop Header: Depth=2
	v_lshl_add_u64 v[4:5], v[4:5], 0, s[66:67]
	v_cmp_gt_i64_e64 s[2:3], s[56:57], v[4:5]
	v_cmp_le_i64_e32 vcc, s[56:57], v[4:5]
	v_mov_b64_e32 v[46:47], 0
	s_and_saveexec_b64 s[12:13], s[2:3]
	s_cbranch_execz .LBB46_78
; %bb.80:                               ;   in Loop: Header=BB46_79 Depth=2
	global_load_dwordx2 v[46:47], v[42:43], off
	s_branch .LBB46_78
.LBB46_81:                              ;   in Loop: Header=BB46_32 Depth=1
	s_or_b64 exec, exec, s[8:9]
.LBB46_82:                              ;   in Loop: Header=BB46_32 Depth=1
	s_or_b64 exec, exec, s[0:1]
	s_branch .LBB46_61
.LBB46_83:                              ;   in Loop: Header=BB46_32 Depth=1
	global_load_ushort v2, v19, s[50:51]
	v_mov_b64_e32 v[8:9], 0
	v_mov_b64_e32 v[10:11], 0
	;; [unrolled: 1-line block ×4, first 2 shown]
	s_waitcnt vmcnt(0)
	v_readfirstlane_b32 s0, v2
	s_and_b32 s65, 0xffff, s0
	s_lshl_b32 s96, s65, 2
	v_cvt_f32_u32_e32 v4, s96
	s_sub_i32 s0, 0, s96
	v_rcp_iflag_f32_e32 v4, v4
	s_nop 0
	v_mul_f32_e32 v4, 0x4f7ffffe, v4
	v_cvt_u32_f32_e32 v4, v4
	s_nop 0
	v_readfirstlane_b32 s1, v4
	s_mul_i32 s0, s0, s1
	s_mul_hi_u32 s0, s1, s0
	s_add_i32 s1, s1, s0
	s_mul_hi_u32 s0, s64, s1
	s_mul_i32 s1, s0, s96
	s_sub_i32 s1, s64, s1
	s_add_i32 s2, s0, 1
	s_sub_i32 s3, s1, s96
	s_cmp_ge_u32 s1, s96
	s_cselect_b32 s0, s2, s0
	s_cselect_b32 s1, s3, s1
	s_add_i32 s2, s0, 1
	s_cmp_ge_u32 s1, s96
	s_cselect_b32 s0, s2, s0
	s_mul_hi_u32 s1, s65, s0
	s_mul_i32 s0, s65, s0
	s_lshl_b64 s[6:7], s[0:1], 2
	v_cmp_gt_u64_e32 vcc, s[6:7], v[22:23]
	s_and_saveexec_b64 s[8:9], vcc
	s_cbranch_execz .LBB46_87
; %bb.84:                               ;   in Loop: Header=BB46_32 Depth=1
	s_mov_b32 s5, s79
	s_lshl_b32 s1, s65, 5
	s_mov_b64 s[54:55], 0
	v_mov_b32_e32 v55, v53
	s_mov_b64 s[66:67], 0
	s_mov_b64 s[68:69], 0
	;; [unrolled: 1-line block ×4, first 2 shown]
	v_mov_b64_e32 v[4:5], v[22:23]
.LBB46_85:                              ;   Parent Loop BB46_32 Depth=1
                                        ; =>  This Inner Loop Header: Depth=2
	ds_read_b128 v[12:15], v55
	ds_read_b128 v[8:11], v55 offset:16
	v_mov_b32_e32 v43, v19
	v_mov_b32_e32 v45, v19
	;; [unrolled: 1-line block ×3, first 2 shown]
	s_waitcnt lgkmcnt(1)
	v_ashrrev_i32_e32 v18, 31, v13
	s_waitcnt lgkmcnt(0)
	v_ashrrev_i32_e32 v46, 31, v11
	v_ashrrev_i32_e32 v42, 31, v15
	;; [unrolled: 1-line block ×3, first 2 shown]
	v_xor_b32_e32 v61, v46, v10
	v_cmp_o_f64_e64 s[14:15], v[10:11], v[10:11]
	v_or_b32_e32 v10, 0x80000000, v18
	v_xor_b32_e32 v60, v42, v14
	v_cmp_o_f64_e64 s[2:3], v[14:15], v[14:15]
	v_xor_b32_e32 v14, v44, v8
	v_cmp_o_f64_e64 s[12:13], v[8:9], v[8:9]
	;; [unrolled: 2-line block ×3, first 2 shown]
	v_or_b32_e32 v12, 0x80000000, v42
	v_or_b32_e32 v18, 0x80000000, v44
	v_xor_b32_e32 v13, v10, v13
	v_or_b32_e32 v42, 0x80000000, v46
	v_xor_b32_e32 v15, v12, v15
	v_xor_b32_e32 v18, v18, v9
	v_cndmask_b32_e64 v8, -1, v8, s[16:17]
	v_cndmask_b32_e64 v9, -1, v13, s[16:17]
	v_xor_b32_e32 v42, v42, v11
	v_cndmask_b32_e64 v10, -1, v60, s[2:3]
	v_cndmask_b32_e64 v12, -1, v14, s[12:13]
	;; [unrolled: 1-line block ×4, first 2 shown]
	v_and_b32_e32 v60, v8, v38
	v_and_b32_e32 v61, v9, v39
	v_lshrrev_b64 v[8:9], s91, v[8:9]
	v_cndmask_b32_e64 v13, -1, v18, s[12:13]
	v_and_b32_e32 v62, v10, v38
	v_and_b32_e32 v63, v11, v39
	v_lshrrev_b64 v[10:11], s91, v[10:11]
	v_and_b32_e32 v18, 3, v8
	v_cndmask_b32_e64 v15, -1, v42, s[14:15]
	v_and_b32_e32 v64, v12, v38
	v_and_b32_e32 v65, v13, v39
	v_lshrrev_b64 v[12:13], s91, v[12:13]
	v_cmp_eq_u64_e64 s[18:19], v[60:61], v[30:31]
	v_and_b32_e32 v42, 3, v10
	v_cmp_eq_u64_e64 s[2:3], 0, v[18:19]
	v_and_b32_e32 v66, v14, v38
	v_and_b32_e32 v67, v15, v39
	v_lshrrev_b64 v[14:15], s91, v[14:15]
	v_cmp_eq_u64_e64 s[16:17], v[62:63], v[30:31]
	v_and_b32_e32 v44, 3, v12
	v_cmp_eq_u64_e64 s[30:31], 0, v[42:43]
	s_and_b64 s[2:3], s[18:19], s[2:3]
	v_cmp_eq_u64_e64 s[14:15], v[64:65], v[30:31]
	v_and_b32_e32 v46, 3, v14
	v_cmp_eq_u64_e64 s[34:35], 0, v[44:45]
	v_cndmask_b32_e64 v8, 0, 1, s[2:3]
	s_and_b64 s[2:3], s[16:17], s[30:31]
	v_cmp_eq_u64_e64 s[12:13], v[66:67], v[30:31]
	v_cmp_eq_u64_e64 s[36:37], 0, v[46:47]
	v_cndmask_b32_e64 v9, 0, 1, s[2:3]
	s_and_b64 s[2:3], s[14:15], s[34:35]
	v_cndmask_b32_e64 v10, 0, 1, s[2:3]
	s_and_b64 s[2:3], s[12:13], s[36:37]
	v_cndmask_b32_e64 v11, 0, 1, s[2:3]
	v_cmp_ne_u32_e64 s[2:3], 0, v8
	v_cmp_ne_u32_e64 s[30:31], 0, v9
	v_cmp_ne_u32_e64 s[34:35], 0, v10
	v_cmp_ne_u32_e64 s[36:37], 0, v11
	s_bcnt1_i32_b64 s2, s[2:3]
	s_bcnt1_i32_b64 s3, s[30:31]
	s_bcnt1_i32_b64 s30, s[34:35]
	s_bcnt1_i32_b64 s31, s[36:37]
	s_add_u32 s2, s2, s78
	s_addc_u32 s34, 0, s79
	s_add_u32 s2, s2, s3
	s_addc_u32 s3, s34, 0
	s_add_u32 s2, s2, s30
	s_addc_u32 s3, s3, 0
	v_cmp_eq_u64_e64 s[38:39], 1, v[18:19]
	s_add_u32 s78, s2, s31
	v_cmp_eq_u64_e64 s[40:41], 1, v[42:43]
	s_addc_u32 s79, s3, 0
	s_and_b64 s[2:3], s[18:19], s[38:39]
	v_cmp_eq_u64_e64 s[42:43], 1, v[44:45]
	v_cndmask_b32_e64 v10, 0, 1, s[2:3]
	s_and_b64 s[2:3], s[16:17], s[40:41]
	v_cmp_eq_u64_e64 s[44:45], 1, v[46:47]
	v_cndmask_b32_e64 v11, 0, 1, s[2:3]
	s_and_b64 s[2:3], s[14:15], s[42:43]
	v_cndmask_b32_e64 v12, 0, 1, s[2:3]
	s_and_b64 s[2:3], s[12:13], s[44:45]
	v_cndmask_b32_e64 v13, 0, 1, s[2:3]
	v_cmp_ne_u32_e64 s[2:3], 0, v10
	v_cmp_ne_u32_e64 s[30:31], 0, v11
	v_cmp_ne_u32_e64 s[34:35], 0, v12
	v_cmp_ne_u32_e64 s[36:37], 0, v13
	s_bcnt1_i32_b64 s2, s[2:3]
	s_bcnt1_i32_b64 s3, s[30:31]
	s_bcnt1_i32_b64 s30, s[34:35]
	s_bcnt1_i32_b64 s31, s[36:37]
	s_add_u32 s2, s2, s70
	s_addc_u32 s34, 0, s71
	s_add_u32 s2, s2, s3
	s_addc_u32 s3, s34, 0
	s_add_u32 s2, s2, s30
	s_addc_u32 s3, s3, 0
	v_cmp_eq_u64_e64 s[46:47], 2, v[18:19]
	s_add_u32 s70, s2, s31
	v_cmp_eq_u64_e64 s[48:49], 2, v[42:43]
	s_addc_u32 s71, s3, 0
	s_and_b64 s[2:3], s[18:19], s[46:47]
	v_cmp_eq_u64_e64 s[50:51], 2, v[44:45]
	v_cndmask_b32_e64 v12, 0, 1, s[2:3]
	s_and_b64 s[2:3], s[16:17], s[48:49]
	;; [unrolled: 28-line block ×3, first 2 shown]
	v_cmp_eq_u64_e64 s[20:21], 3, v[46:47]
	v_cndmask_b32_e64 v15, 0, 1, s[2:3]
	s_and_b64 s[2:3], s[14:15], s[22:23]
	v_cndmask_b32_e64 v18, 0, 1, s[2:3]
	s_and_b64 s[2:3], s[12:13], s[20:21]
	v_cndmask_b32_e64 v42, 0, 1, s[2:3]
	v_cmp_ne_u32_e64 s[2:3], 0, v14
	v_cmp_ne_u32_e64 s[12:13], 0, v15
	v_cmp_ne_u32_e64 s[14:15], 0, v18
	v_cmp_ne_u32_e64 s[16:17], 0, v42
	s_bcnt1_i32_b64 s2, s[2:3]
	s_bcnt1_i32_b64 s3, s[12:13]
	;; [unrolled: 1-line block ×4, first 2 shown]
	s_add_u32 s2, s2, s66
	s_addc_u32 s14, 0, s67
	s_add_u32 s2, s2, s3
	s_addc_u32 s3, s14, 0
	;; [unrolled: 2-line block ×3, first 2 shown]
	v_lshl_add_u64 v[4:5], v[4:5], 0, s[96:97]
	s_add_u32 s66, s2, s13
	v_cmp_le_u64_e32 vcc, s[6:7], v[4:5]
	s_addc_u32 s67, s3, 0
	v_add_u32_e32 v55, s1, v55
	v_mov_b64_e32 v[8:9], s[78:79]
	v_mov_b64_e32 v[10:11], s[70:71]
	;; [unrolled: 1-line block ×3, first 2 shown]
	s_or_b64 s[54:55], vcc, s[54:55]
	v_mov_b64_e32 v[14:15], s[66:67]
	s_andn2_b64 exec, exec, s[54:55]
	s_cbranch_execnz .LBB46_85
; %bb.86:                               ;   in Loop: Header=BB46_32 Depth=1
	s_or_b64 exec, exec, s[54:55]
	s_mov_b32 s79, s5
	v_readlane_b32 s4, v68, 57
	v_readlane_b32 s50, v68, 59
	;; [unrolled: 1-line block ×6, first 2 shown]
.LBB46_87:                              ;   in Loop: Header=BB46_32 Depth=1
	s_or_b64 exec, exec, s[8:9]
	s_and_b32 s8, s64, 0x7fffffff
	s_mov_b32 s9, s97
	v_lshl_add_u64 v[42:43], s[6:7], 0, v[0:1]
	v_and_b32_e32 v4, 0xffff, v2
	v_mov_b32_e32 v5, v19
	v_cmp_gt_u64_e32 vcc, s[8:9], v[42:43]
	s_and_saveexec_b64 s[6:7], vcc
	s_cbranch_execz .LBB46_91
; %bb.88:                               ;   in Loop: Header=BB46_32 Depth=1
	v_lshl_add_u32 v2, s0, 5, v49
	s_lshl_b32 s20, s65, 3
	s_mov_b64 s[0:1], 0
.LBB46_89:                              ;   Parent Loop BB46_32 Depth=1
                                        ; =>  This Inner Loop Header: Depth=2
	ds_read_b64 v[44:45], v2
	v_lshl_add_u64 v[42:43], v[42:43], 0, v[4:5]
	v_cmp_le_u64_e32 vcc, s[8:9], v[42:43]
	v_add_u32_e32 v2, s20, v2
	s_waitcnt lgkmcnt(0)
	v_ashrrev_i32_e32 v18, 31, v45
	v_xor_b32_e32 v46, v18, v44
	v_or_b32_e32 v18, 0x80000000, v18
	v_cmp_o_f64_e64 s[2:3], v[44:45], v[44:45]
	v_xor_b32_e32 v18, v18, v45
	s_nop 0
	v_cndmask_b32_e64 v44, -1, v46, s[2:3]
	v_cndmask_b32_e64 v45, -1, v18, s[2:3]
	v_and_b32_e32 v46, v44, v38
	v_and_b32_e32 v47, v45, v39
	v_lshrrev_b64 v[44:45], s91, v[44:45]
	v_and_b32_e32 v18, 3, v44
	v_cmp_eq_u64_e64 s[2:3], v[46:47], v[30:31]
	v_cmp_eq_u64_e64 s[12:13], 0, v[18:19]
	;; [unrolled: 1-line block ×3, first 2 shown]
	s_and_b64 s[12:13], s[2:3], s[12:13]
	v_cmp_eq_u64_e64 s[16:17], 2, v[18:19]
	v_cmp_eq_u64_e64 s[18:19], 3, v[18:19]
	v_cndmask_b32_e64 v18, 0, 1, s[12:13]
	s_and_b64 s[12:13], s[2:3], s[14:15]
	v_cndmask_b32_e64 v44, 0, 1, s[12:13]
	s_and_b64 s[12:13], s[2:3], s[16:17]
	s_and_b64 s[2:3], s[2:3], s[18:19]
	v_cndmask_b32_e64 v46, 0, 1, s[2:3]
	v_cmp_ne_u32_e64 s[2:3], 0, v18
	v_cndmask_b32_e64 v45, 0, 1, s[12:13]
	v_cmp_ne_u32_e64 s[12:13], 0, v44
	s_bcnt1_i32_b64 s96, s[2:3]
	v_cmp_ne_u32_e64 s[14:15], 0, v45
	v_lshl_add_u64 v[8:9], s[96:97], 0, v[8:9]
	s_bcnt1_i32_b64 s96, s[12:13]
	v_cmp_ne_u32_e64 s[16:17], 0, v46
	v_lshl_add_u64 v[10:11], s[96:97], 0, v[10:11]
	s_bcnt1_i32_b64 s96, s[14:15]
	v_lshl_add_u64 v[12:13], s[96:97], 0, v[12:13]
	s_bcnt1_i32_b64 s96, s[16:17]
	s_or_b64 s[0:1], vcc, s[0:1]
	v_lshl_add_u64 v[14:15], s[96:97], 0, v[14:15]
	s_andn2_b64 exec, exec, s[0:1]
	s_cbranch_execnz .LBB46_89
; %bb.90:                               ;   in Loop: Header=BB46_32 Depth=1
	s_or_b64 exec, exec, s[0:1]
.LBB46_91:                              ;   in Loop: Header=BB46_32 Depth=1
	s_or_b64 exec, exec, s[6:7]
	s_lshl_b32 s2, s98, 6
	s_and_saveexec_b64 s[0:1], s[4:5]
	s_cbranch_execnz .LBB46_62
	s_branch .LBB46_63
.LBB46_92:                              ;   in Loop: Header=BB46_32 Depth=1
                                        ; implicit-def: $sgpr68_sgpr69
	s_branch .LBB46_71
.LBB46_93:                              ;   in Loop: Header=BB46_32 Depth=1
	s_or_b64 exec, exec, s[6:7]
	s_waitcnt lgkmcnt(0)
	s_barrier
	s_mov_b64 s[2:3], exec
	v_readlane_b32 s6, v68, 32
	v_readlane_b32 s7, v68, 33
	s_and_b64 s[6:7], s[2:3], s[6:7]
	s_mov_b64 exec, s[6:7]
	s_cbranch_execz .LBB46_95
; %bb.94:                               ;   in Loop: Header=BB46_32 Depth=1
	ds_read_b32 v4, v19 offset:5136
	s_waitcnt lgkmcnt(0)
	v_ashrrev_i32_e32 v5, 31, v4
	ds_write_b64 v19, v[4:5] offset:5120
.LBB46_95:                              ;   in Loop: Header=BB46_32 Depth=1
	s_or_b64 exec, exec, s[2:3]
	s_waitcnt lgkmcnt(0)
	s_barrier
	s_mov_b64 s[2:3], -1
	s_and_b64 vcc, exec, s[0:1]
	s_cbranch_vccnz .LBB46_48
	s_branch .LBB46_57
.LBB46_96:                              ;   in Loop: Header=BB46_32 Depth=1
	s_mov_b32 s3, 0
	v_mov_b64_e32 v[4:5], 0
.LBB46_97:                              ;   in Loop: Header=BB46_32 Depth=1
	v_readlane_b32 s6, v68, 51
	v_readlane_b32 s7, v68, 52
	s_andn2_b64 vcc, exec, s[6:7]
	s_cbranch_vccnz .LBB46_100
; %bb.98:                               ;   in Loop: Header=BB46_32 Depth=1
	s_lshl_b32 s6, s98, 9
	s_lshl_b32 s3, s3, 5
	s_add_i32 s6, s6, s3
	v_add_u32_e32 v2, s6, v54
	v_readlane_b32 s3, v68, 50
.LBB46_99:                              ;   Parent Loop BB46_32 Depth=1
                                        ; =>  This Inner Loop Header: Depth=2
	ds_read_b64 v[8:9], v2
	s_add_i32 s3, s3, -1
	v_add_u32_e32 v2, 32, v2
	s_cmp_lg_u32 s3, 0
	s_waitcnt lgkmcnt(0)
	v_lshl_add_u64 v[4:5], v[8:9], 0, v[4:5]
	s_cbranch_scc1 .LBB46_99
.LBB46_100:                             ;   in Loop: Header=BB46_32 Depth=1
	v_add_lshl_u32 v2, s2, v48, 3
	ds_write_b64 v2, v[4:5] offset:3072
.LBB46_101:                             ;   in Loop: Header=BB46_32 Depth=1
	s_or_b64 exec, exec, s[0:1]
	s_lshl_b32 s0, s2, 3
	v_mov_b32_e32 v2, s0
	s_waitcnt lgkmcnt(0)
	s_barrier
	ds_read_b128 v[12:15], v2 offset:3088
	ds_read_b128 v[8:11], v2 offset:3072
	s_lshl_b64 s[14:15], 3, s91
	v_cmp_eq_u64_e64 s[2:3], 1, v[40:41]
	s_not_b64 s[24:25], s[14:15]
	s_waitcnt lgkmcnt(1)
	v_readfirstlane_b32 s22, v12
	s_waitcnt lgkmcnt(0)
	v_cmp_eq_u64_e32 vcc, 1, v[8:9]
	v_readfirstlane_b32 s23, v13
	v_readfirstlane_b32 s12, v14
	;; [unrolled: 1-line block ×3, first 2 shown]
	s_and_b64 s[18:19], vcc, s[2:3]
	s_mov_b64 s[2:3], -1
	s_mov_b64 s[8:9], -1
                                        ; implicit-def: $sgpr6_sgpr7
                                        ; implicit-def: $sgpr0_sgpr1
	s_and_saveexec_b64 s[16:17], s[18:19]
	s_cbranch_execz .LBB46_135
; %bb.102:                              ;   in Loop: Header=BB46_32 Depth=1
	ds_read_b64 v[4:5], v19 offset:5120
	s_waitcnt lgkmcnt(0)
	s_barrier
	v_readfirstlane_b32 s20, v4
	v_readfirstlane_b32 s21, v5
	s_mov_b64 s[0:1], exec
	v_readlane_b32 s6, v68, 36
	v_readlane_b32 s7, v68, 37
	s_and_b64 s[6:7], s[0:1], s[6:7]
	s_mov_b64 exec, s[6:7]
; %bb.103:                              ;   in Loop: Header=BB46_32 Depth=1
	ds_write_b64 v50, v[58:59]
; %bb.104:                              ;   in Loop: Header=BB46_32 Depth=1
	s_or_b64 exec, exec, s[0:1]
	v_cmp_lt_i64_e64 s[8:9], s[20:21], 1
	v_and_b32_e32 v31, s25, v31
	v_and_b32_e32 v30, s24, v30
	v_or_b32_e32 v39, s15, v39
	v_or_b32_e32 v38, s14, v38
	s_mov_b64 s[0:1], -1
	s_mov_b64 s[6:7], 0
	s_and_b64 vcc, exec, s[8:9]
	s_mov_b64 s[8:9], 0
	s_mov_b64 s[26:27], -1
	s_waitcnt lgkmcnt(0)
	s_barrier
                                        ; implicit-def: $vgpr6_vgpr7
	s_cbranch_vccz .LBB46_119
; %bb.105:                              ;   in Loop: Header=BB46_32 Depth=1
	s_mov_b32 s78, s97
	s_cmp_lg_u64 s[78:79], 0
	s_cbranch_scc0 .LBB46_162
; %bb.106:                              ;   in Loop: Header=BB46_32 Depth=1
	s_add_u32 s8, s94, 0
	s_addc_u32 s9, 0, 0
	s_xor_b64 s[8:9], s[8:9], 0
	v_cvt_f32_u32_e32 v2, s8
	v_cvt_f32_u32_e32 v4, s9
	s_sub_u32 s30, 0, s8
	s_subb_u32 s31, 0, s9
	v_fmac_f32_e32 v2, 0x4f800000, v4
	v_rcp_f32_e32 v2, v2
	s_nop 0
	v_mul_f32_e32 v2, 0x5f7ffffc, v2
	v_mul_f32_e32 v4, 0x2f800000, v2
	v_trunc_f32_e32 v4, v4
	v_fmac_f32_e32 v2, 0xcf800000, v4
	v_cvt_u32_f32_e32 v4, v4
	v_cvt_u32_f32_e32 v2, v2
	v_readfirstlane_b32 s34, v4
	v_readfirstlane_b32 s26, v2
	s_mul_i32 s27, s30, s34
	s_mul_hi_u32 s36, s30, s26
	s_mul_i32 s35, s31, s26
	s_add_i32 s27, s36, s27
	s_mul_i32 s37, s30, s26
	s_add_i32 s27, s27, s35
	s_mul_i32 s36, s26, s27
	s_mul_hi_u32 s38, s26, s37
	s_mul_hi_u32 s35, s26, s27
	s_add_u32 s36, s38, s36
	s_addc_u32 s35, 0, s35
	s_mul_hi_u32 s39, s34, s37
	s_mul_i32 s37, s34, s37
	s_add_u32 s36, s36, s37
	s_mul_hi_u32 s38, s34, s27
	s_addc_u32 s35, s35, s39
	s_addc_u32 s36, s38, 0
	s_mul_i32 s27, s34, s27
	s_add_u32 s27, s35, s27
	s_addc_u32 s35, 0, s36
	s_add_u32 s36, s26, s27
	s_cselect_b64 s[26:27], -1, 0
	s_cmp_lg_u64 s[26:27], 0
	s_addc_u32 s34, s34, s35
	s_mul_i32 s26, s30, s34
	s_mul_hi_u32 s27, s30, s36
	s_add_i32 s26, s27, s26
	s_mul_i32 s31, s31, s36
	s_add_i32 s26, s26, s31
	s_mul_i32 s30, s30, s36
	s_mul_hi_u32 s31, s34, s30
	s_mul_i32 s35, s34, s30
	s_mul_i32 s38, s36, s26
	s_mul_hi_u32 s30, s36, s30
	s_mul_hi_u32 s37, s36, s26
	s_add_u32 s30, s30, s38
	s_addc_u32 s37, 0, s37
	s_add_u32 s30, s30, s35
	s_mul_hi_u32 s27, s34, s26
	s_addc_u32 s30, s37, s31
	s_addc_u32 s27, s27, 0
	s_mul_i32 s26, s34, s26
	s_add_u32 s26, s30, s26
	s_addc_u32 s30, 0, s27
	s_add_u32 s35, s36, s26
	s_cselect_b64 s[26:27], -1, 0
	s_cmp_lg_u64 s[26:27], 0
	s_addc_u32 s34, s34, s30
	s_ashr_i32 s26, s79, 31
	s_add_u32 s30, s73, s26
	s_mov_b32 s27, s26
	s_addc_u32 s31, s79, s26
	s_xor_b64 s[30:31], s[30:31], s[26:27]
	s_mul_i32 s37, s30, s34
	s_mul_hi_u32 s38, s30, s35
	s_mul_hi_u32 s36, s30, s34
	s_add_u32 s37, s38, s37
	s_addc_u32 s36, 0, s36
	s_mul_hi_u32 s39, s31, s35
	s_mul_i32 s35, s31, s35
	s_add_u32 s35, s37, s35
	s_mul_hi_u32 s38, s31, s34
	s_addc_u32 s35, s36, s39
	s_addc_u32 s36, s38, 0
	s_mul_i32 s34, s31, s34
	s_add_u32 s34, s35, s34
	s_addc_u32 s35, 0, s36
	s_mul_i32 s35, s8, s35
	s_mul_hi_u32 s36, s8, s34
	s_add_i32 s35, s36, s35
	s_mul_i32 s36, s9, s34
	s_add_i32 s38, s35, s36
	s_sub_i32 s36, s31, s38
	s_mul_i32 s34, s8, s34
	s_sub_u32 s30, s30, s34
	s_cselect_b64 s[34:35], -1, 0
	s_cmp_lg_u64 s[34:35], 0
	s_subb_u32 s39, s36, s9
	s_sub_u32 s40, s30, s8
	s_cselect_b64 s[36:37], -1, 0
	s_cmp_lg_u64 s[36:37], 0
	s_subb_u32 s41, s39, 0
	s_cmp_ge_u32 s41, s9
	s_cselect_b32 s42, -1, 0
	s_cmp_ge_u32 s40, s8
	s_cselect_b32 s43, -1, 0
	s_cmp_eq_u32 s41, s9
	s_cselect_b32 s42, s43, s42
	s_cmp_lg_u64 s[36:37], 0
	s_subb_u32 s39, s39, s9
	s_sub_u32 s43, s40, s8
	s_cselect_b64 s[36:37], -1, 0
	s_cmp_lg_u64 s[36:37], 0
	s_subb_u32 s36, s39, 0
	s_cmp_lg_u32 s42, 0
	s_cselect_b32 s37, s43, s40
	s_cselect_b32 s36, s36, s41
	s_cmp_lg_u64 s[34:35], 0
	s_subb_u32 s31, s31, s38
	s_cmp_ge_u32 s31, s9
	s_cselect_b32 s34, -1, 0
	s_cmp_ge_u32 s30, s8
	s_cselect_b32 s8, -1, 0
	s_cmp_eq_u32 s31, s9
	s_cselect_b32 s8, s8, s34
	s_cmp_lg_u32 s8, 0
	s_cselect_b32 s9, s36, s31
	s_cselect_b32 s8, s37, s30
	s_xor_b64 s[8:9], s[8:9], s[26:27]
	s_sub_u32 s8, s8, s26
	s_subb_u32 s9, s9, s26
	s_cbranch_execnz .LBB46_108
.LBB46_107:                             ;   in Loop: Header=BB46_32 Depth=1
	v_cvt_f32_u32_e32 v2, s94
	s_sub_i32 s8, 0, s94
	v_rcp_iflag_f32_e32 v2, v2
	s_nop 0
	v_mul_f32_e32 v2, 0x4f7ffffe, v2
	v_cvt_u32_f32_e32 v2, v2
	s_nop 0
	v_readfirstlane_b32 s9, v2
	s_mul_i32 s8, s8, s9
	s_mul_hi_u32 s8, s9, s8
	s_add_i32 s9, s9, s8
	s_mul_hi_u32 s8, s73, s9
	s_mul_i32 s8, s8, s94
	s_sub_i32 s8, s73, s8
	s_sub_i32 s9, s8, s94
	s_cmp_ge_u32 s8, s94
	s_cselect_b32 s8, s9, s8
	s_sub_i32 s9, s8, s94
	s_cmp_ge_u32 s8, s94
	s_cselect_b32 s96, s9, s8
	s_mov_b64 s[8:9], s[96:97]
.LBB46_108:                             ;   in Loop: Header=BB46_32 Depth=1
	s_sub_u32 s34, s73, s8
	s_subb_u32 s35, s79, s9
	v_cmp_gt_i64_e32 vcc, s[34:35], v[0:1]
	s_mov_b64 s[26:27], 0
	s_mov_b64 s[8:9], 0
                                        ; implicit-def: $vgpr6_vgpr7
	s_and_saveexec_b64 s[30:31], vcc
	s_cbranch_execz .LBB46_118
; %bb.109:                              ;   in Loop: Header=BB46_32 Depth=1
	v_mov_b64_e32 v[12:13], v[16:17]
	v_mov_b64_e32 v[14:15], v[0:1]
                                        ; implicit-def: $sgpr36_sgpr37
	s_branch .LBB46_113
.LBB46_110:                             ;   in Loop: Header=BB46_113 Depth=2
	s_or_b64 exec, exec, s[38:39]
	s_waitcnt lgkmcnt(0)
	s_barrier
	ds_read_b128 v[4:7], v19 offset:3072
	s_waitcnt lgkmcnt(0)
	s_barrier
	v_cmp_neq_f64_e32 vcc, 0, v[4:5]
	s_cbranch_vccnz .LBB46_116
; %bb.111:                              ;   in Loop: Header=BB46_113 Depth=2
	v_lshl_add_u64 v[14:15], v[14:15], 0, s[94:95]
	v_cmp_le_i64_e32 vcc, s[34:35], v[14:15]
	v_lshl_add_u64 v[12:13], v[12:13], 0, s[70:71]
	s_mov_b64 s[38:39], 0
	s_orn2_b64 s[40:41], vcc, exec
.LBB46_112:                             ;   in Loop: Header=BB46_113 Depth=2
	s_and_b64 s[40:41], exec, s[40:41]
	s_or_b64 s[8:9], s[40:41], s[8:9]
	s_andn2_b64 s[36:37], s[36:37], exec
	s_and_b64 s[38:39], s[38:39], exec
	s_or_b64 s[36:37], s[36:37], s[38:39]
	s_andn2_b64 exec, exec, s[8:9]
	s_cbranch_execz .LBB46_117
.LBB46_113:                             ;   Parent Loop BB46_32 Depth=1
                                        ; =>  This Inner Loop Header: Depth=2
	v_cmp_gt_i64_e32 vcc, s[56:57], v[14:15]
	s_and_saveexec_b64 s[38:39], vcc
	s_cbranch_execz .LBB46_110
; %bb.114:                              ;   in Loop: Header=BB46_113 Depth=2
	global_load_dwordx2 v[4:5], v[12:13], off
	s_waitcnt vmcnt(0)
	v_ashrrev_i32_e32 v2, 31, v5
	v_or_b32_e32 v6, 0x80000000, v2
	v_xor_b32_e32 v2, v2, v4
	v_xor_b32_e32 v6, v6, v5
	v_cmp_o_f64_e32 vcc, v[4:5], v[4:5]
	s_nop 1
	v_cndmask_b32_e32 v2, -1, v2, vcc
	v_cndmask_b32_e32 v6, -1, v6, vcc
	v_and_b32_e32 v7, v6, v39
	v_and_b32_e32 v6, v2, v38
	v_cmp_eq_u64_e32 vcc, v[6:7], v[30:31]
	s_and_b64 exec, exec, vcc
	s_cbranch_execz .LBB46_110
; %bb.115:                              ;   in Loop: Header=BB46_113 Depth=2
	v_mov_b32_e32 v2, v19
	ds_write_b128 v19, v[2:5] offset:3072
	s_branch .LBB46_110
.LBB46_116:                             ;   in Loop: Header=BB46_113 Depth=2
	s_mov_b64 s[40:41], -1
                                        ; implicit-def: $vgpr14_vgpr15
                                        ; implicit-def: $vgpr12_vgpr13
	s_mov_b64 s[38:39], -1
	s_branch .LBB46_112
.LBB46_117:                             ;   in Loop: Header=BB46_32 Depth=1
	s_or_b64 exec, exec, s[8:9]
	s_and_b64 s[8:9], s[36:37], exec
.LBB46_118:                             ;   in Loop: Header=BB46_32 Depth=1
	s_or_b64 exec, exec, s[30:31]
.LBB46_119:                             ;   in Loop: Header=BB46_32 Depth=1
	s_and_b64 vcc, exec, s[26:27]
	s_cbranch_vccz .LBB46_134
; %bb.120:                              ;   in Loop: Header=BB46_32 Depth=1
	v_readlane_b32 s0, v68, 46
	s_add_u32 s30, s20, s0
	v_readlane_b32 s0, v68, 47
	s_addc_u32 s1, s21, s0
	s_mov_b32 s0, s97
	s_cmp_lg_u64 s[0:1], 0
	s_cbranch_scc0 .LBB46_163
; %bb.121:                              ;   in Loop: Header=BB46_32 Depth=1
	s_add_u32 s6, s94, 0
	s_addc_u32 s7, 0, 0
	s_xor_b64 s[6:7], s[6:7], 0
	v_cvt_f32_u32_e32 v2, s6
	v_cvt_f32_u32_e32 v4, s7
	s_sub_u32 s0, 0, s6
	s_subb_u32 s31, 0, s7
	v_fmac_f32_e32 v2, 0x4f800000, v4
	v_rcp_f32_e32 v2, v2
	s_nop 0
	v_mul_f32_e32 v2, 0x5f7ffffc, v2
	v_mul_f32_e32 v4, 0x2f800000, v2
	v_trunc_f32_e32 v4, v4
	v_fmac_f32_e32 v2, 0xcf800000, v4
	v_cvt_u32_f32_e32 v4, v4
	v_cvt_u32_f32_e32 v2, v2
	v_readfirstlane_b32 s34, v4
	v_readfirstlane_b32 s26, v2
	s_mul_i32 s27, s0, s34
	s_mul_hi_u32 s36, s0, s26
	s_mul_i32 s35, s31, s26
	s_add_i32 s27, s36, s27
	s_mul_i32 s37, s0, s26
	s_add_i32 s27, s27, s35
	s_mul_i32 s36, s26, s27
	s_mul_hi_u32 s38, s26, s37
	s_mul_hi_u32 s35, s26, s27
	s_add_u32 s36, s38, s36
	s_addc_u32 s35, 0, s35
	s_mul_hi_u32 s39, s34, s37
	s_mul_i32 s37, s34, s37
	s_add_u32 s36, s36, s37
	s_mul_hi_u32 s38, s34, s27
	s_addc_u32 s35, s35, s39
	s_addc_u32 s36, s38, 0
	s_mul_i32 s27, s34, s27
	s_add_u32 s27, s35, s27
	s_addc_u32 s35, 0, s36
	s_add_u32 s36, s26, s27
	s_cselect_b64 s[26:27], -1, 0
	s_cmp_lg_u64 s[26:27], 0
	s_addc_u32 s34, s34, s35
	s_mul_i32 s26, s0, s34
	s_mul_hi_u32 s27, s0, s36
	s_add_i32 s26, s27, s26
	s_mul_i32 s31, s31, s36
	s_add_i32 s26, s26, s31
	s_mul_i32 s0, s0, s36
	s_mul_hi_u32 s31, s34, s0
	s_mul_i32 s35, s34, s0
	s_mul_i32 s38, s36, s26
	s_mul_hi_u32 s0, s36, s0
	s_mul_hi_u32 s37, s36, s26
	s_add_u32 s0, s0, s38
	s_addc_u32 s37, 0, s37
	s_add_u32 s0, s0, s35
	s_mul_hi_u32 s27, s34, s26
	s_addc_u32 s0, s37, s31
	s_addc_u32 s27, s27, 0
	s_mul_i32 s26, s34, s26
	s_add_u32 s0, s0, s26
	s_addc_u32 s31, 0, s27
	s_add_u32 s0, s36, s0
	s_cselect_b64 s[26:27], -1, 0
	s_cmp_lg_u64 s[26:27], 0
	s_addc_u32 s31, s34, s31
	s_ashr_i32 s26, s1, 31
	s_add_u32 s34, s30, s26
	s_mov_b32 s27, s26
	s_addc_u32 s35, s1, s26
	s_xor_b64 s[34:35], s[34:35], s[26:27]
	s_mul_i32 s37, s34, s31
	s_mul_hi_u32 s38, s34, s0
	s_mul_hi_u32 s36, s34, s31
	s_add_u32 s37, s38, s37
	s_addc_u32 s36, 0, s36
	s_mul_hi_u32 s39, s35, s0
	s_mul_i32 s0, s35, s0
	s_add_u32 s0, s37, s0
	s_mul_hi_u32 s38, s35, s31
	s_addc_u32 s0, s36, s39
	s_addc_u32 s36, s38, 0
	s_mul_i32 s31, s35, s31
	s_add_u32 s0, s0, s31
	s_addc_u32 s31, 0, s36
	s_mul_i32 s31, s6, s31
	s_mul_hi_u32 s36, s6, s0
	s_add_i32 s31, s36, s31
	s_mul_i32 s36, s7, s0
	s_add_i32 s31, s31, s36
	s_sub_i32 s38, s35, s31
	s_mul_i32 s0, s6, s0
	s_sub_u32 s0, s34, s0
	s_cselect_b64 s[36:37], -1, 0
	s_cmp_lg_u64 s[36:37], 0
	s_subb_u32 s34, s38, s7
	s_sub_u32 s40, s0, s6
	s_cselect_b64 s[38:39], -1, 0
	s_cmp_lg_u64 s[38:39], 0
	s_subb_u32 s41, s34, 0
	s_cmp_ge_u32 s41, s7
	s_cselect_b32 s42, -1, 0
	s_cmp_ge_u32 s40, s6
	s_cselect_b32 s43, -1, 0
	s_cmp_eq_u32 s41, s7
	s_cselect_b32 s42, s43, s42
	s_cmp_lg_u64 s[38:39], 0
	s_subb_u32 s34, s34, s7
	s_sub_u32 s43, s40, s6
	s_cselect_b64 s[38:39], -1, 0
	s_cmp_lg_u64 s[38:39], 0
	s_subb_u32 s34, s34, 0
	s_cmp_lg_u32 s42, 0
	s_cselect_b32 s38, s43, s40
	s_cselect_b32 s34, s34, s41
	s_cmp_lg_u64 s[36:37], 0
	s_subb_u32 s31, s35, s31
	s_cmp_ge_u32 s31, s7
	s_cselect_b32 s35, -1, 0
	s_cmp_ge_u32 s0, s6
	s_cselect_b32 s6, -1, 0
	s_cmp_eq_u32 s31, s7
	s_cselect_b32 s6, s6, s35
	s_cmp_lg_u32 s6, 0
	s_cselect_b32 s7, s34, s31
	s_cselect_b32 s6, s38, s0
	s_xor_b64 s[6:7], s[6:7], s[26:27]
	s_sub_u32 s6, s6, s26
	s_subb_u32 s7, s7, s26
	s_cbranch_execnz .LBB46_123
.LBB46_122:                             ;   in Loop: Header=BB46_32 Depth=1
	v_cvt_f32_u32_e32 v2, s94
	s_sub_i32 s0, 0, s94
	v_rcp_iflag_f32_e32 v2, v2
	s_nop 0
	v_mul_f32_e32 v2, 0x4f7ffffe, v2
	v_cvt_u32_f32_e32 v2, v2
	s_nop 0
	v_readfirstlane_b32 s6, v2
	s_mul_i32 s0, s0, s6
	s_mul_hi_u32 s0, s6, s0
	s_add_i32 s6, s6, s0
	s_mul_hi_u32 s0, s30, s6
	s_mul_i32 s0, s0, s94
	s_sub_i32 s0, s30, s0
	s_sub_i32 s6, s0, s94
	s_cmp_ge_u32 s0, s94
	s_cselect_b32 s0, s6, s0
	s_sub_i32 s6, s0, s94
	s_cmp_ge_u32 s0, s94
	s_cselect_b32 s96, s6, s0
	s_mov_b64 s[6:7], s[96:97]
.LBB46_123:                             ;   in Loop: Header=BB46_32 Depth=1
	s_sub_u32 s6, s30, s6
	s_subb_u32 s7, s1, s7
	v_cmp_gt_i64_e32 vcc, s[6:7], v[0:1]
                                        ; implicit-def: $vgpr6_vgpr7
	s_and_saveexec_b64 s[0:1], vcc
	s_cbranch_execz .LBB46_133
; %bb.124:                              ;   in Loop: Header=BB46_32 Depth=1
	s_mov_b64 s[30:31], 0
	v_mov_b32_e32 v14, v49
	v_mov_b64_e32 v[12:13], v[0:1]
                                        ; implicit-def: $sgpr26_sgpr27
	s_branch .LBB46_128
.LBB46_125:                             ;   in Loop: Header=BB46_128 Depth=2
	s_or_b64 exec, exec, s[34:35]
	s_waitcnt lgkmcnt(0)
	s_barrier
	ds_read_b128 v[4:7], v19 offset:3072
	s_waitcnt lgkmcnt(0)
	s_barrier
	v_cmp_neq_f64_e32 vcc, 0, v[4:5]
	s_cbranch_vccnz .LBB46_131
; %bb.126:                              ;   in Loop: Header=BB46_128 Depth=2
	v_lshl_add_u64 v[12:13], v[12:13], 0, s[94:95]
	v_cmp_le_i64_e32 vcc, s[6:7], v[12:13]
	v_add_u32_e32 v14, s90, v14
	s_mov_b64 s[34:35], 0
	s_orn2_b64 s[36:37], vcc, exec
.LBB46_127:                             ;   in Loop: Header=BB46_128 Depth=2
	s_and_b64 s[36:37], exec, s[36:37]
	s_or_b64 s[30:31], s[36:37], s[30:31]
	s_andn2_b64 s[26:27], s[26:27], exec
	s_and_b64 s[34:35], s[34:35], exec
	s_or_b64 s[26:27], s[26:27], s[34:35]
	s_andn2_b64 exec, exec, s[30:31]
	s_cbranch_execz .LBB46_132
.LBB46_128:                             ;   Parent Loop BB46_32 Depth=1
                                        ; =>  This Inner Loop Header: Depth=2
	v_cmp_gt_u64_e32 vcc, s[20:21], v[12:13]
	s_and_saveexec_b64 s[34:35], vcc
	s_cbranch_execz .LBB46_125
; %bb.129:                              ;   in Loop: Header=BB46_128 Depth=2
	ds_read_b64 v[4:5], v14
	s_waitcnt lgkmcnt(0)
	v_ashrrev_i32_e32 v2, 31, v5
	v_or_b32_e32 v6, 0x80000000, v2
	v_xor_b32_e32 v2, v2, v4
	v_xor_b32_e32 v6, v6, v5
	v_cmp_o_f64_e32 vcc, v[4:5], v[4:5]
	s_nop 1
	v_cndmask_b32_e32 v2, -1, v2, vcc
	v_cndmask_b32_e32 v6, -1, v6, vcc
	v_and_b32_e32 v7, v6, v39
	v_and_b32_e32 v6, v2, v38
	v_cmp_eq_u64_e32 vcc, v[6:7], v[30:31]
	s_and_b64 exec, exec, vcc
	s_cbranch_execz .LBB46_125
; %bb.130:                              ;   in Loop: Header=BB46_128 Depth=2
	v_mov_b32_e32 v2, v19
	ds_write_b128 v19, v[2:5] offset:3072
	s_branch .LBB46_125
.LBB46_131:                             ;   in Loop: Header=BB46_128 Depth=2
	s_mov_b64 s[36:37], -1
                                        ; implicit-def: $vgpr12_vgpr13
                                        ; implicit-def: $vgpr14
	s_mov_b64 s[34:35], -1
	s_branch .LBB46_127
.LBB46_132:                             ;   in Loop: Header=BB46_32 Depth=1
	s_or_b64 exec, exec, s[30:31]
	s_andn2_b64 s[6:7], s[8:9], exec
	s_and_b64 s[8:9], s[26:27], exec
	s_or_b64 s[8:9], s[6:7], s[8:9]
.LBB46_133:                             ;   in Loop: Header=BB46_32 Depth=1
	s_or_b64 exec, exec, s[0:1]
	s_mov_b64 s[0:1], 0
	s_mov_b64 s[6:7], -1
.LBB46_134:                             ;   in Loop: Header=BB46_32 Depth=1
	s_orn2_b64 s[8:9], s[8:9], exec
.LBB46_135:                             ;   in Loop: Header=BB46_32 Depth=1
	s_or_b64 exec, exec, s[16:17]
	s_andn2_b64 s[16:17], s[28:29], exec
	s_and_b64 s[6:7], s[6:7], exec
	s_or_b64 s[28:29], s[16:17], s[6:7]
	s_andn2_b64 s[6:7], s[76:77], exec
	s_and_b64 s[0:1], s[0:1], exec
	s_andn2_b64 s[74:75], s[74:75], exec
	s_or_b64 s[76:77], s[6:7], s[0:1]
                                        ; implicit-def: $vgpr12_vgpr13
	s_and_saveexec_b64 s[16:17], s[8:9]
	s_cbranch_execz .LBB46_31
; %bb.136:                              ;   in Loop: Header=BB46_32 Depth=1
	s_xor_b64 s[2:3], s[18:19], -1
	v_mov_b32_e32 v18, 1
	s_mov_b64 s[6:7], 0
	v_mov_b64_e32 v[12:13], 1
	s_and_saveexec_b64 s[0:1], s[2:3]
	s_cbranch_execz .LBB46_145
; %bb.137:                              ;   in Loop: Header=BB46_32 Depth=1
	v_cmp_le_i64_e32 vcc, v[40:41], v[8:9]
	s_and_saveexec_b64 s[2:3], vcc
	s_xor_b64 s[2:3], exec, s[2:3]
	s_cbranch_execz .LBB46_142
; %bb.138:                              ;   in Loop: Header=BB46_32 Depth=1
	ds_read_b64 v[4:5], v19 offset:5120
	v_and_b32_e32 v31, s25, v31
	v_and_b32_e32 v30, s24, v30
	v_or_b32_e32 v39, s15, v39
	v_or_b32_e32 v38, s14, v38
	s_waitcnt lgkmcnt(0)
	v_cmp_ne_u64_e32 vcc, 0, v[4:5]
	s_cbranch_vccnz .LBB46_142
; %bb.139:                              ;   in Loop: Header=BB46_32 Depth=1
	s_mov_b64 s[6:7], exec
	v_readlane_b32 s8, v68, 32
	v_readlane_b32 s9, v68, 33
	s_and_b64 s[8:9], s[6:7], s[8:9]
	s_mov_b64 exec, s[8:9]
; %bb.140:                              ;   in Loop: Header=BB46_32 Depth=1
	ds_write_b64 v19, v[8:9] offset:5128
; %bb.141:                              ;   in Loop: Header=BB46_32 Depth=1
	s_or_b64 exec, exec, s[6:7]
	s_waitcnt lgkmcnt(0)
	s_barrier
.LBB46_142:                             ;   in Loop: Header=BB46_32 Depth=1
	s_or_saveexec_b64 s[2:3], s[2:3]
	s_mov_b64 s[6:7], 0
	v_mov_b32_e32 v18, 8
	s_xor_b64 exec, exec, s[2:3]
; %bb.143:                              ;   in Loop: Header=BB46_32 Depth=1
	v_sub_co_u32_e32 v40, vcc, v40, v8
	s_mov_b64 s[6:7], exec
	s_nop 0
	v_subb_co_u32_e32 v41, vcc, v41, v9, vcc
	v_mov_b32_e32 v18, 0
; %bb.144:                              ;   in Loop: Header=BB46_32 Depth=1
	s_or_b64 exec, exec, s[2:3]
	s_and_b64 s[6:7], s[6:7], exec
	v_mov_b64_e32 v[12:13], v[40:41]
.LBB46_145:                             ;   in Loop: Header=BB46_32 Depth=1
	s_or_b64 exec, exec, s[0:1]
	s_mov_b64 s[18:19], -1
	s_mov_b64 s[0:1], -1
                                        ; implicit-def: $sgpr2_sgpr3
                                        ; implicit-def: $sgpr26_sgpr27
	s_and_saveexec_b64 s[8:9], s[6:7]
	s_xor_b64 s[20:21], exec, s[8:9]
	s_cbranch_execz .LBB46_293
; %bb.146:                              ;   in Loop: Header=BB46_32 Depth=1
	v_cmp_eq_u64_e32 vcc, 1, v[10:11]
	v_cmp_eq_u64_e64 s[2:3], 1, v[12:13]
	s_and_b64 s[34:35], vcc, s[2:3]
                                        ; implicit-def: $sgpr26_sgpr27
                                        ; implicit-def: $sgpr2_sgpr3
	s_and_saveexec_b64 s[30:31], s[34:35]
	s_cbranch_execz .LBB46_182
; %bb.147:                              ;   in Loop: Header=BB46_32 Depth=1
	ds_read_b64 v[4:5], v19 offset:5120
	s_waitcnt lgkmcnt(0)
	s_barrier
	v_readfirstlane_b32 s36, v4
	v_readfirstlane_b32 s37, v5
	s_mov_b64 s[0:1], exec
	v_readlane_b32 s2, v68, 36
	v_readlane_b32 s3, v68, 37
	s_and_b64 s[2:3], s[0:1], s[2:3]
	s_mov_b64 exec, s[2:3]
; %bb.148:                              ;   in Loop: Header=BB46_32 Depth=1
	ds_write_b64 v50, v[58:59]
; %bb.149:                              ;   in Loop: Header=BB46_32 Depth=1
	s_or_b64 exec, exec, s[0:1]
	s_lshl_b64 s[0:1], 1, s91
	v_and_b32_e32 v2, s25, v31
	v_and_b32_e32 v4, s24, v30
	v_or_b32_e32 v31, s1, v2
	v_or_b32_e32 v30, s0, v4
	v_cmp_gt_i64_e64 s[0:1], s[36:37], 0
	v_or_b32_e32 v39, s15, v39
	v_or_b32_e32 v38, s14, v38
	s_mov_b64 s[2:3], -1
	s_mov_b64 s[26:27], 0
	s_and_b64 vcc, exec, s[0:1]
	s_mov_b64 s[0:1], 0
	s_mov_b64 s[6:7], -1
	s_waitcnt lgkmcnt(0)
	s_barrier
                                        ; implicit-def: $vgpr6_vgpr7
	s_cbranch_vccnz .LBB46_166
; %bb.150:                              ;   in Loop: Header=BB46_32 Depth=1
	s_mov_b32 s78, s97
	s_cmp_lg_u64 s[78:79], 0
	s_cbranch_scc0 .LBB46_210
; %bb.151:                              ;   in Loop: Header=BB46_32 Depth=1
	s_add_u32 s0, s94, 0
	s_addc_u32 s1, 0, 0
	s_xor_b64 s[0:1], s[0:1], 0
	v_cvt_f32_u32_e32 v2, s0
	v_cvt_f32_u32_e32 v4, s1
	s_sub_u32 s8, 0, s0
	s_subb_u32 s9, 0, s1
	v_fmac_f32_e32 v2, 0x4f800000, v4
	v_rcp_f32_e32 v2, v2
	s_nop 0
	v_mul_f32_e32 v2, 0x5f7ffffc, v2
	v_mul_f32_e32 v4, 0x2f800000, v2
	v_trunc_f32_e32 v4, v4
	v_fmac_f32_e32 v2, 0xcf800000, v4
	v_cvt_u32_f32_e32 v4, v4
	v_cvt_u32_f32_e32 v2, v2
	v_readfirstlane_b32 s38, v4
	v_readfirstlane_b32 s6, v2
	s_mul_i32 s7, s8, s38
	s_mul_hi_u32 s40, s8, s6
	s_mul_i32 s39, s9, s6
	s_add_i32 s7, s40, s7
	s_mul_i32 s41, s8, s6
	s_add_i32 s7, s7, s39
	s_mul_i32 s40, s6, s7
	s_mul_hi_u32 s42, s6, s41
	s_mul_hi_u32 s39, s6, s7
	s_add_u32 s40, s42, s40
	s_addc_u32 s39, 0, s39
	s_mul_hi_u32 s43, s38, s41
	s_mul_i32 s41, s38, s41
	s_add_u32 s40, s40, s41
	s_mul_hi_u32 s42, s38, s7
	s_addc_u32 s39, s39, s43
	s_addc_u32 s40, s42, 0
	s_mul_i32 s7, s38, s7
	s_add_u32 s7, s39, s7
	s_addc_u32 s39, 0, s40
	s_add_u32 s40, s6, s7
	s_cselect_b64 s[6:7], -1, 0
	s_cmp_lg_u64 s[6:7], 0
	s_addc_u32 s38, s38, s39
	s_mul_i32 s6, s8, s38
	s_mul_hi_u32 s7, s8, s40
	s_add_i32 s6, s7, s6
	s_mul_i32 s9, s9, s40
	s_add_i32 s6, s6, s9
	s_mul_i32 s8, s8, s40
	s_mul_hi_u32 s9, s38, s8
	s_mul_i32 s39, s38, s8
	s_mul_i32 s42, s40, s6
	s_mul_hi_u32 s8, s40, s8
	s_mul_hi_u32 s41, s40, s6
	s_add_u32 s8, s8, s42
	s_addc_u32 s41, 0, s41
	s_add_u32 s8, s8, s39
	s_mul_hi_u32 s7, s38, s6
	s_addc_u32 s8, s41, s9
	s_addc_u32 s7, s7, 0
	s_mul_i32 s6, s38, s6
	s_add_u32 s6, s8, s6
	s_addc_u32 s8, 0, s7
	s_add_u32 s39, s40, s6
	s_cselect_b64 s[6:7], -1, 0
	s_cmp_lg_u64 s[6:7], 0
	s_addc_u32 s38, s38, s8
	s_ashr_i32 s6, s79, 31
	s_add_u32 s8, s73, s6
	s_mov_b32 s7, s6
	s_addc_u32 s9, s79, s6
	s_xor_b64 s[8:9], s[8:9], s[6:7]
	s_mul_i32 s41, s8, s38
	s_mul_hi_u32 s42, s8, s39
	s_mul_hi_u32 s40, s8, s38
	s_add_u32 s41, s42, s41
	s_addc_u32 s40, 0, s40
	s_mul_hi_u32 s43, s9, s39
	s_mul_i32 s39, s9, s39
	s_add_u32 s39, s41, s39
	s_mul_hi_u32 s42, s9, s38
	s_addc_u32 s39, s40, s43
	s_addc_u32 s40, s42, 0
	s_mul_i32 s38, s9, s38
	s_add_u32 s38, s39, s38
	s_addc_u32 s39, 0, s40
	s_mul_i32 s39, s0, s39
	s_mul_hi_u32 s40, s0, s38
	s_add_i32 s39, s40, s39
	s_mul_i32 s40, s1, s38
	s_add_i32 s42, s39, s40
	s_sub_i32 s40, s9, s42
	s_mul_i32 s38, s0, s38
	s_sub_u32 s8, s8, s38
	s_cselect_b64 s[38:39], -1, 0
	s_cmp_lg_u64 s[38:39], 0
	s_subb_u32 s43, s40, s1
	s_sub_u32 s44, s8, s0
	s_cselect_b64 s[40:41], -1, 0
	s_cmp_lg_u64 s[40:41], 0
	s_subb_u32 s45, s43, 0
	s_cmp_ge_u32 s45, s1
	s_cselect_b32 s46, -1, 0
	s_cmp_ge_u32 s44, s0
	s_cselect_b32 s47, -1, 0
	s_cmp_eq_u32 s45, s1
	s_cselect_b32 s46, s47, s46
	s_cmp_lg_u64 s[40:41], 0
	s_subb_u32 s43, s43, s1
	s_sub_u32 s47, s44, s0
	s_cselect_b64 s[40:41], -1, 0
	s_cmp_lg_u64 s[40:41], 0
	s_subb_u32 s40, s43, 0
	s_cmp_lg_u32 s46, 0
	s_cselect_b32 s41, s47, s44
	s_cselect_b32 s40, s40, s45
	s_cmp_lg_u64 s[38:39], 0
	s_subb_u32 s9, s9, s42
	s_cmp_ge_u32 s9, s1
	s_cselect_b32 s38, -1, 0
	s_cmp_ge_u32 s8, s0
	s_cselect_b32 s0, -1, 0
	s_cmp_eq_u32 s9, s1
	s_cselect_b32 s0, s0, s38
	s_cmp_lg_u32 s0, 0
	s_cselect_b32 s1, s40, s9
	s_cselect_b32 s0, s41, s8
	s_xor_b64 s[0:1], s[0:1], s[6:7]
	s_sub_u32 s0, s0, s6
	s_subb_u32 s1, s1, s6
	s_cbranch_execnz .LBB46_153
.LBB46_152:                             ;   in Loop: Header=BB46_32 Depth=1
	v_cvt_f32_u32_e32 v2, s94
	s_sub_i32 s0, 0, s94
	v_rcp_iflag_f32_e32 v2, v2
	s_nop 0
	v_mul_f32_e32 v2, 0x4f7ffffe, v2
	v_cvt_u32_f32_e32 v2, v2
	s_nop 0
	v_readfirstlane_b32 s1, v2
	s_mul_i32 s0, s0, s1
	s_mul_hi_u32 s0, s1, s0
	s_add_i32 s1, s1, s0
	s_mul_hi_u32 s0, s73, s1
	s_mul_i32 s0, s0, s94
	s_sub_i32 s0, s73, s0
	s_sub_i32 s1, s0, s94
	s_cmp_ge_u32 s0, s94
	s_cselect_b32 s0, s1, s0
	s_sub_i32 s1, s0, s94
	s_cmp_ge_u32 s0, s94
	s_cselect_b32 s96, s1, s0
	s_mov_b64 s[0:1], s[96:97]
.LBB46_153:                             ;   in Loop: Header=BB46_32 Depth=1
	s_sub_u32 s38, s73, s0
	s_subb_u32 s39, s79, s1
	v_cmp_gt_i64_e32 vcc, s[38:39], v[0:1]
	s_mov_b64 s[6:7], 0
	s_mov_b64 s[0:1], 0
                                        ; implicit-def: $vgpr6_vgpr7
	s_and_saveexec_b64 s[8:9], vcc
	s_cbranch_execz .LBB46_165
; %bb.154:                              ;   in Loop: Header=BB46_32 Depth=1
	v_mov_b64_e32 v[8:9], v[16:17]
	v_mov_b64_e32 v[14:15], v[0:1]
                                        ; implicit-def: $sgpr40_sgpr41
	s_branch .LBB46_158
.LBB46_155:                             ;   in Loop: Header=BB46_158 Depth=2
	s_or_b64 exec, exec, s[42:43]
	s_waitcnt lgkmcnt(0)
	s_barrier
	ds_read_b128 v[4:7], v19 offset:3072
	s_waitcnt lgkmcnt(0)
	s_barrier
	v_cmp_neq_f64_e32 vcc, 0, v[4:5]
	s_cbranch_vccnz .LBB46_161
; %bb.156:                              ;   in Loop: Header=BB46_158 Depth=2
	v_lshl_add_u64 v[14:15], v[14:15], 0, s[94:95]
	v_cmp_le_i64_e32 vcc, s[38:39], v[14:15]
	v_lshl_add_u64 v[8:9], v[8:9], 0, s[70:71]
	s_mov_b64 s[42:43], 0
	s_orn2_b64 s[44:45], vcc, exec
.LBB46_157:                             ;   in Loop: Header=BB46_158 Depth=2
	s_and_b64 s[44:45], exec, s[44:45]
	s_or_b64 s[0:1], s[44:45], s[0:1]
	s_andn2_b64 s[40:41], s[40:41], exec
	s_and_b64 s[42:43], s[42:43], exec
	s_or_b64 s[40:41], s[40:41], s[42:43]
	s_andn2_b64 exec, exec, s[0:1]
	s_cbranch_execz .LBB46_164
.LBB46_158:                             ;   Parent Loop BB46_32 Depth=1
                                        ; =>  This Inner Loop Header: Depth=2
	v_cmp_gt_i64_e32 vcc, s[56:57], v[14:15]
	s_and_saveexec_b64 s[42:43], vcc
	s_cbranch_execz .LBB46_155
; %bb.159:                              ;   in Loop: Header=BB46_158 Depth=2
	global_load_dwordx2 v[4:5], v[8:9], off
	s_waitcnt vmcnt(0)
	v_ashrrev_i32_e32 v2, 31, v5
	v_or_b32_e32 v6, 0x80000000, v2
	v_xor_b32_e32 v2, v2, v4
	v_xor_b32_e32 v6, v6, v5
	v_cmp_o_f64_e32 vcc, v[4:5], v[4:5]
	s_nop 1
	v_cndmask_b32_e32 v2, -1, v2, vcc
	v_cndmask_b32_e32 v6, -1, v6, vcc
	v_and_b32_e32 v7, v6, v39
	v_and_b32_e32 v6, v2, v38
	v_cmp_eq_u64_e32 vcc, v[6:7], v[30:31]
	s_and_b64 exec, exec, vcc
	s_cbranch_execz .LBB46_155
; %bb.160:                              ;   in Loop: Header=BB46_158 Depth=2
	v_mov_b32_e32 v2, v19
	ds_write_b128 v19, v[2:5] offset:3072
	s_branch .LBB46_155
.LBB46_161:                             ;   in Loop: Header=BB46_158 Depth=2
	s_mov_b64 s[44:45], -1
                                        ; implicit-def: $vgpr14_vgpr15
                                        ; implicit-def: $vgpr8_vgpr9
	s_mov_b64 s[42:43], -1
	s_branch .LBB46_157
.LBB46_162:                             ;   in Loop: Header=BB46_32 Depth=1
                                        ; implicit-def: $sgpr8_sgpr9
	s_andn2_b64 vcc, exec, s[26:27]
	s_cbranch_vccz .LBB46_107
	s_branch .LBB46_108
.LBB46_163:                             ;   in Loop: Header=BB46_32 Depth=1
                                        ; implicit-def: $sgpr6_sgpr7
	s_branch .LBB46_122
.LBB46_164:                             ;   in Loop: Header=BB46_32 Depth=1
	s_or_b64 exec, exec, s[0:1]
	s_and_b64 s[0:1], s[40:41], exec
.LBB46_165:                             ;   in Loop: Header=BB46_32 Depth=1
	s_or_b64 exec, exec, s[8:9]
.LBB46_166:                             ;   in Loop: Header=BB46_32 Depth=1
	s_and_b64 vcc, exec, s[6:7]
	s_cbranch_vccz .LBB46_181
; %bb.167:                              ;   in Loop: Header=BB46_32 Depth=1
	v_readlane_b32 s2, v68, 46
	s_add_u32 s26, s36, s2
	v_readlane_b32 s2, v68, 47
	s_addc_u32 s3, s37, s2
	s_mov_b32 s2, s97
	s_cmp_lg_u64 s[2:3], 0
	s_cbranch_scc0 .LBB46_211
; %bb.168:                              ;   in Loop: Header=BB46_32 Depth=1
	s_add_u32 s6, s94, 0
	s_addc_u32 s7, 0, 0
	s_xor_b64 s[6:7], s[6:7], 0
	v_cvt_f32_u32_e32 v2, s6
	v_cvt_f32_u32_e32 v4, s7
	s_sub_u32 s2, 0, s6
	s_subb_u32 s27, 0, s7
	v_fmac_f32_e32 v2, 0x4f800000, v4
	v_rcp_f32_e32 v2, v2
	s_nop 0
	v_mul_f32_e32 v2, 0x5f7ffffc, v2
	v_mul_f32_e32 v4, 0x2f800000, v2
	v_trunc_f32_e32 v4, v4
	v_fmac_f32_e32 v2, 0xcf800000, v4
	v_cvt_u32_f32_e32 v4, v4
	v_cvt_u32_f32_e32 v2, v2
	v_readfirstlane_b32 s38, v4
	v_readfirstlane_b32 s8, v2
	s_mul_i32 s9, s2, s38
	s_mul_hi_u32 s40, s2, s8
	s_mul_i32 s39, s27, s8
	s_add_i32 s9, s40, s9
	s_mul_i32 s41, s2, s8
	s_add_i32 s9, s9, s39
	s_mul_i32 s40, s8, s9
	s_mul_hi_u32 s42, s8, s41
	s_mul_hi_u32 s39, s8, s9
	s_add_u32 s40, s42, s40
	s_addc_u32 s39, 0, s39
	s_mul_hi_u32 s43, s38, s41
	s_mul_i32 s41, s38, s41
	s_add_u32 s40, s40, s41
	s_mul_hi_u32 s42, s38, s9
	s_addc_u32 s39, s39, s43
	s_addc_u32 s40, s42, 0
	s_mul_i32 s9, s38, s9
	s_add_u32 s9, s39, s9
	s_addc_u32 s39, 0, s40
	s_add_u32 s40, s8, s9
	s_cselect_b64 s[8:9], -1, 0
	s_cmp_lg_u64 s[8:9], 0
	s_addc_u32 s38, s38, s39
	s_mul_i32 s8, s2, s38
	s_mul_hi_u32 s9, s2, s40
	s_add_i32 s8, s9, s8
	s_mul_i32 s27, s27, s40
	s_add_i32 s8, s8, s27
	s_mul_i32 s2, s2, s40
	s_mul_hi_u32 s27, s38, s2
	s_mul_i32 s39, s38, s2
	s_mul_i32 s42, s40, s8
	s_mul_hi_u32 s2, s40, s2
	s_mul_hi_u32 s41, s40, s8
	s_add_u32 s2, s2, s42
	s_addc_u32 s41, 0, s41
	s_add_u32 s2, s2, s39
	s_mul_hi_u32 s9, s38, s8
	s_addc_u32 s2, s41, s27
	s_addc_u32 s9, s9, 0
	s_mul_i32 s8, s38, s8
	s_add_u32 s2, s2, s8
	s_addc_u32 s27, 0, s9
	s_add_u32 s2, s40, s2
	s_cselect_b64 s[8:9], -1, 0
	s_cmp_lg_u64 s[8:9], 0
	s_addc_u32 s27, s38, s27
	s_ashr_i32 s8, s3, 31
	s_add_u32 s38, s26, s8
	s_mov_b32 s9, s8
	s_addc_u32 s39, s3, s8
	s_xor_b64 s[38:39], s[38:39], s[8:9]
	s_mul_i32 s41, s38, s27
	s_mul_hi_u32 s42, s38, s2
	s_mul_hi_u32 s40, s38, s27
	s_add_u32 s41, s42, s41
	s_addc_u32 s40, 0, s40
	s_mul_hi_u32 s43, s39, s2
	s_mul_i32 s2, s39, s2
	s_add_u32 s2, s41, s2
	s_mul_hi_u32 s42, s39, s27
	s_addc_u32 s2, s40, s43
	s_addc_u32 s40, s42, 0
	s_mul_i32 s27, s39, s27
	s_add_u32 s2, s2, s27
	s_addc_u32 s27, 0, s40
	s_mul_i32 s27, s6, s27
	s_mul_hi_u32 s40, s6, s2
	s_add_i32 s27, s40, s27
	s_mul_i32 s40, s7, s2
	s_add_i32 s27, s27, s40
	s_sub_i32 s42, s39, s27
	s_mul_i32 s2, s6, s2
	s_sub_u32 s2, s38, s2
	s_cselect_b64 s[40:41], -1, 0
	s_cmp_lg_u64 s[40:41], 0
	s_subb_u32 s38, s42, s7
	s_sub_u32 s44, s2, s6
	s_cselect_b64 s[42:43], -1, 0
	s_cmp_lg_u64 s[42:43], 0
	s_subb_u32 s45, s38, 0
	s_cmp_ge_u32 s45, s7
	s_cselect_b32 s46, -1, 0
	s_cmp_ge_u32 s44, s6
	s_cselect_b32 s47, -1, 0
	s_cmp_eq_u32 s45, s7
	s_cselect_b32 s46, s47, s46
	s_cmp_lg_u64 s[42:43], 0
	s_subb_u32 s38, s38, s7
	s_sub_u32 s47, s44, s6
	s_cselect_b64 s[42:43], -1, 0
	s_cmp_lg_u64 s[42:43], 0
	s_subb_u32 s38, s38, 0
	s_cmp_lg_u32 s46, 0
	s_cselect_b32 s42, s47, s44
	s_cselect_b32 s38, s38, s45
	s_cmp_lg_u64 s[40:41], 0
	s_subb_u32 s27, s39, s27
	s_cmp_ge_u32 s27, s7
	s_cselect_b32 s39, -1, 0
	s_cmp_ge_u32 s2, s6
	s_cselect_b32 s6, -1, 0
	s_cmp_eq_u32 s27, s7
	s_cselect_b32 s6, s6, s39
	s_cmp_lg_u32 s6, 0
	s_cselect_b32 s7, s38, s27
	s_cselect_b32 s6, s42, s2
	s_xor_b64 s[6:7], s[6:7], s[8:9]
	s_sub_u32 s6, s6, s8
	s_subb_u32 s7, s7, s8
	s_cbranch_execnz .LBB46_170
.LBB46_169:                             ;   in Loop: Header=BB46_32 Depth=1
	v_cvt_f32_u32_e32 v2, s94
	s_sub_i32 s2, 0, s94
	v_rcp_iflag_f32_e32 v2, v2
	s_nop 0
	v_mul_f32_e32 v2, 0x4f7ffffe, v2
	v_cvt_u32_f32_e32 v2, v2
	s_nop 0
	v_readfirstlane_b32 s6, v2
	s_mul_i32 s2, s2, s6
	s_mul_hi_u32 s2, s6, s2
	s_add_i32 s6, s6, s2
	s_mul_hi_u32 s2, s26, s6
	s_mul_i32 s2, s2, s94
	s_sub_i32 s2, s26, s2
	s_sub_i32 s6, s2, s94
	s_cmp_ge_u32 s2, s94
	s_cselect_b32 s2, s6, s2
	s_sub_i32 s6, s2, s94
	s_cmp_ge_u32 s2, s94
	s_cselect_b32 s96, s6, s2
	s_mov_b64 s[6:7], s[96:97]
.LBB46_170:                             ;   in Loop: Header=BB46_32 Depth=1
	s_sub_u32 s6, s26, s6
	s_subb_u32 s7, s3, s7
	v_cmp_gt_i64_e32 vcc, s[6:7], v[0:1]
                                        ; implicit-def: $vgpr6_vgpr7
	s_and_saveexec_b64 s[2:3], vcc
	s_cbranch_execz .LBB46_180
; %bb.171:                              ;   in Loop: Header=BB46_32 Depth=1
	s_mov_b64 s[8:9], 0
	v_mov_b32_e32 v14, v49
	v_mov_b64_e32 v[8:9], v[0:1]
                                        ; implicit-def: $sgpr26_sgpr27
	s_branch .LBB46_175
.LBB46_172:                             ;   in Loop: Header=BB46_175 Depth=2
	s_or_b64 exec, exec, s[38:39]
	s_waitcnt lgkmcnt(0)
	s_barrier
	ds_read_b128 v[4:7], v19 offset:3072
	s_waitcnt lgkmcnt(0)
	s_barrier
	v_cmp_eq_f64_e32 vcc, 0, v[4:5]
	s_cbranch_vccz .LBB46_178
; %bb.173:                              ;   in Loop: Header=BB46_175 Depth=2
	v_lshl_add_u64 v[8:9], v[8:9], 0, s[94:95]
	v_cmp_le_i64_e32 vcc, s[6:7], v[8:9]
	v_add_u32_e32 v14, s90, v14
	s_mov_b64 s[38:39], 0
	s_orn2_b64 s[40:41], vcc, exec
.LBB46_174:                             ;   in Loop: Header=BB46_175 Depth=2
	s_and_b64 s[40:41], exec, s[40:41]
	s_or_b64 s[8:9], s[40:41], s[8:9]
	s_andn2_b64 s[26:27], s[26:27], exec
	s_and_b64 s[38:39], s[38:39], exec
	s_or_b64 s[26:27], s[26:27], s[38:39]
	s_andn2_b64 exec, exec, s[8:9]
	s_cbranch_execz .LBB46_179
.LBB46_175:                             ;   Parent Loop BB46_32 Depth=1
                                        ; =>  This Inner Loop Header: Depth=2
	v_cmp_gt_u64_e32 vcc, s[36:37], v[8:9]
	s_and_saveexec_b64 s[38:39], vcc
	s_cbranch_execz .LBB46_172
; %bb.176:                              ;   in Loop: Header=BB46_175 Depth=2
	ds_read_b64 v[4:5], v14
	s_waitcnt lgkmcnt(0)
	v_ashrrev_i32_e32 v2, 31, v5
	v_or_b32_e32 v6, 0x80000000, v2
	v_xor_b32_e32 v2, v2, v4
	v_xor_b32_e32 v6, v6, v5
	v_cmp_o_f64_e32 vcc, v[4:5], v[4:5]
	s_nop 1
	v_cndmask_b32_e32 v2, -1, v2, vcc
	v_cndmask_b32_e32 v6, -1, v6, vcc
	v_and_b32_e32 v7, v6, v39
	v_and_b32_e32 v6, v2, v38
	v_cmp_eq_u64_e32 vcc, v[6:7], v[30:31]
	s_and_b64 exec, exec, vcc
	s_cbranch_execz .LBB46_172
; %bb.177:                              ;   in Loop: Header=BB46_175 Depth=2
	v_mov_b32_e32 v2, v19
	ds_write_b128 v19, v[2:5] offset:3072
	s_branch .LBB46_172
.LBB46_178:                             ;   in Loop: Header=BB46_175 Depth=2
	s_mov_b64 s[40:41], -1
                                        ; implicit-def: $vgpr8_vgpr9
                                        ; implicit-def: $vgpr14
	s_mov_b64 s[38:39], -1
	s_branch .LBB46_174
.LBB46_179:                             ;   in Loop: Header=BB46_32 Depth=1
	s_or_b64 exec, exec, s[8:9]
	s_andn2_b64 s[0:1], s[0:1], exec
	s_and_b64 s[6:7], s[26:27], exec
	s_or_b64 s[0:1], s[0:1], s[6:7]
.LBB46_180:                             ;   in Loop: Header=BB46_32 Depth=1
	s_or_b64 exec, exec, s[2:3]
	s_mov_b64 s[2:3], 0
	s_mov_b64 s[26:27], -1
.LBB46_181:                             ;   in Loop: Header=BB46_32 Depth=1
	s_orn2_b64 s[0:1], s[0:1], exec
.LBB46_182:                             ;   in Loop: Header=BB46_32 Depth=1
	s_or_b64 exec, exec, s[30:31]
	s_mov_b64 s[6:7], 0
	s_and_saveexec_b64 s[30:31], s[0:1]
	s_cbranch_execz .LBB46_292
; %bb.183:                              ;   in Loop: Header=BB46_32 Depth=1
	s_xor_b64 s[8:9], s[34:35], -1
	v_mov_b32_e32 v18, 1
	v_mov_b64_e32 v[8:9], 1
	s_and_saveexec_b64 s[0:1], s[8:9]
	s_cbranch_execz .LBB46_193
; %bb.184:                              ;   in Loop: Header=BB46_32 Depth=1
	v_cmp_le_i64_e32 vcc, v[12:13], v[10:11]
	s_and_saveexec_b64 s[6:7], vcc
	s_xor_b64 s[6:7], exec, s[6:7]
	s_cbranch_execz .LBB46_190
; %bb.185:                              ;   in Loop: Header=BB46_32 Depth=1
	ds_read_b64 v[4:5], v19 offset:5120
	s_lshl_b64 s[8:9], 1, s91
	v_and_b32_e32 v2, s25, v31
	v_and_b32_e32 v8, s24, v30
	v_or_b32_e32 v31, s9, v2
	s_waitcnt lgkmcnt(0)
	v_cmp_ne_u64_e32 vcc, 0, v[4:5]
	v_or_b32_e32 v30, s8, v8
	v_or_b32_e32 v39, s15, v39
	v_or_b32_e32 v38, s14, v38
	s_cbranch_vccnz .LBB46_189
; %bb.186:                              ;   in Loop: Header=BB46_32 Depth=1
	s_mov_b64 s[8:9], exec
	v_readlane_b32 s34, v68, 32
	v_readlane_b32 s35, v68, 33
	s_and_b64 s[34:35], s[8:9], s[34:35]
	s_mov_b64 exec, s[34:35]
; %bb.187:                              ;   in Loop: Header=BB46_32 Depth=1
	ds_write_b64 v19, v[10:11] offset:5128
; %bb.188:                              ;   in Loop: Header=BB46_32 Depth=1
	s_or_b64 exec, exec, s[8:9]
	s_waitcnt lgkmcnt(0)
	s_barrier
.LBB46_189:                             ;   in Loop: Header=BB46_32 Depth=1
                                        ; implicit-def: $vgpr8_vgpr9_vgpr10_vgpr11
.LBB46_190:                             ;   in Loop: Header=BB46_32 Depth=1
	s_or_saveexec_b64 s[6:7], s[6:7]
	s_mov_b64 s[8:9], 0
	v_mov_b32_e32 v18, 8
	s_xor_b64 exec, exec, s[6:7]
; %bb.191:                              ;   in Loop: Header=BB46_32 Depth=1
	v_sub_co_u32_e32 v12, vcc, v12, v10
	s_mov_b64 s[8:9], exec
	s_nop 0
	v_subb_co_u32_e32 v13, vcc, v13, v11, vcc
	v_mov_b32_e32 v18, 0
; %bb.192:                              ;   in Loop: Header=BB46_32 Depth=1
	s_or_b64 exec, exec, s[6:7]
	s_and_b64 s[6:7], s[8:9], exec
	v_mov_b64_e32 v[8:9], v[12:13]
.LBB46_193:                             ;   in Loop: Header=BB46_32 Depth=1
	s_or_b64 exec, exec, s[0:1]
	s_mov_b64 s[0:1], -1
                                        ; implicit-def: $sgpr36_sgpr37
                                        ; implicit-def: $sgpr38_sgpr39
	s_and_saveexec_b64 s[34:35], s[6:7]
	s_cbranch_execz .LBB46_291
; %bb.194:                              ;   in Loop: Header=BB46_32 Depth=1
	s_cmp_eq_u64 s[22:23], 1
	s_cselect_b64 s[0:1], -1, 0
	v_cmp_eq_u64_e32 vcc, 1, v[8:9]
	s_and_b64 s[42:43], s[0:1], vcc
	s_mov_b64 s[0:1], -1
                                        ; implicit-def: $sgpr38_sgpr39
                                        ; implicit-def: $sgpr36_sgpr37
	s_and_saveexec_b64 s[40:41], s[42:43]
	s_cbranch_execz .LBB46_230
; %bb.195:                              ;   in Loop: Header=BB46_32 Depth=1
	ds_read_b64 v[4:5], v19 offset:5120
	s_waitcnt lgkmcnt(0)
	s_barrier
	v_readfirstlane_b32 s44, v4
	v_readfirstlane_b32 s45, v5
	s_mov_b64 s[0:1], exec
	v_readlane_b32 s6, v68, 36
	v_readlane_b32 s7, v68, 37
	s_and_b64 s[6:7], s[0:1], s[6:7]
	s_mov_b64 exec, s[6:7]
; %bb.196:                              ;   in Loop: Header=BB46_32 Depth=1
	ds_write_b64 v50, v[58:59]
; %bb.197:                              ;   in Loop: Header=BB46_32 Depth=1
	s_or_b64 exec, exec, s[0:1]
	s_lshl_b64 s[0:1], 2, s91
	v_and_b32_e32 v2, s25, v31
	v_and_b32_e32 v4, s24, v30
	v_or_b32_e32 v31, s1, v2
	v_or_b32_e32 v30, s0, v4
	v_cmp_gt_i64_e64 s[0:1], s[44:45], 0
	v_or_b32_e32 v39, s15, v39
	v_or_b32_e32 v38, s14, v38
	s_mov_b64 s[36:37], -1
	s_mov_b64 s[38:39], 0
	s_and_b64 vcc, exec, s[0:1]
	s_mov_b64 s[0:1], 0
	s_mov_b64 s[6:7], -1
	s_waitcnt lgkmcnt(0)
	s_barrier
                                        ; implicit-def: $vgpr6_vgpr7
	s_cbranch_vccnz .LBB46_214
; %bb.198:                              ;   in Loop: Header=BB46_32 Depth=1
	s_mov_b32 s78, s97
	s_cmp_lg_u64 s[78:79], 0
	s_cbranch_scc0 .LBB46_257
; %bb.199:                              ;   in Loop: Header=BB46_32 Depth=1
	s_add_u32 s0, s94, 0
	s_addc_u32 s1, 0, 0
	s_xor_b64 s[0:1], s[0:1], 0
	v_cvt_f32_u32_e32 v2, s0
	v_cvt_f32_u32_e32 v4, s1
	s_sub_u32 s8, 0, s0
	s_subb_u32 s9, 0, s1
	v_fmac_f32_e32 v2, 0x4f800000, v4
	v_rcp_f32_e32 v2, v2
	s_nop 0
	v_mul_f32_e32 v2, 0x5f7ffffc, v2
	v_mul_f32_e32 v4, 0x2f800000, v2
	v_trunc_f32_e32 v4, v4
	v_fmac_f32_e32 v2, 0xcf800000, v4
	v_cvt_u32_f32_e32 v4, v4
	v_cvt_u32_f32_e32 v2, v2
	v_readfirstlane_b32 s46, v4
	v_readfirstlane_b32 s6, v2
	s_mul_i32 s7, s8, s46
	s_mul_hi_u32 s48, s8, s6
	s_mul_i32 s47, s9, s6
	s_add_i32 s7, s48, s7
	s_mul_i32 s49, s8, s6
	s_add_i32 s7, s7, s47
	s_mul_i32 s48, s6, s7
	s_mul_hi_u32 s50, s6, s49
	s_mul_hi_u32 s47, s6, s7
	s_add_u32 s48, s50, s48
	s_addc_u32 s47, 0, s47
	s_mul_hi_u32 s51, s46, s49
	s_mul_i32 s49, s46, s49
	s_add_u32 s48, s48, s49
	s_mul_hi_u32 s50, s46, s7
	s_addc_u32 s47, s47, s51
	s_addc_u32 s48, s50, 0
	s_mul_i32 s7, s46, s7
	s_add_u32 s7, s47, s7
	s_addc_u32 s47, 0, s48
	s_add_u32 s48, s6, s7
	s_cselect_b64 s[6:7], -1, 0
	s_cmp_lg_u64 s[6:7], 0
	s_addc_u32 s46, s46, s47
	s_mul_i32 s6, s8, s46
	s_mul_hi_u32 s7, s8, s48
	s_add_i32 s6, s7, s6
	s_mul_i32 s9, s9, s48
	s_add_i32 s6, s6, s9
	s_mul_i32 s8, s8, s48
	s_mul_hi_u32 s9, s46, s8
	s_mul_i32 s47, s46, s8
	s_mul_i32 s50, s48, s6
	s_mul_hi_u32 s8, s48, s8
	s_mul_hi_u32 s49, s48, s6
	s_add_u32 s8, s8, s50
	s_addc_u32 s49, 0, s49
	s_add_u32 s8, s8, s47
	s_mul_hi_u32 s7, s46, s6
	s_addc_u32 s8, s49, s9
	s_addc_u32 s7, s7, 0
	s_mul_i32 s6, s46, s6
	s_add_u32 s6, s8, s6
	s_addc_u32 s8, 0, s7
	s_add_u32 s47, s48, s6
	s_cselect_b64 s[6:7], -1, 0
	s_cmp_lg_u64 s[6:7], 0
	s_addc_u32 s46, s46, s8
	s_ashr_i32 s6, s79, 31
	s_add_u32 s8, s73, s6
	s_mov_b32 s7, s6
	s_addc_u32 s9, s79, s6
	s_xor_b64 s[8:9], s[8:9], s[6:7]
	s_mul_i32 s49, s8, s46
	s_mul_hi_u32 s50, s8, s47
	s_mul_hi_u32 s48, s8, s46
	s_add_u32 s49, s50, s49
	s_addc_u32 s48, 0, s48
	s_mul_hi_u32 s51, s9, s47
	s_mul_i32 s47, s9, s47
	s_add_u32 s47, s49, s47
	s_mul_hi_u32 s50, s9, s46
	s_addc_u32 s47, s48, s51
	s_addc_u32 s48, s50, 0
	s_mul_i32 s46, s9, s46
	s_add_u32 s46, s47, s46
	s_addc_u32 s47, 0, s48
	s_mul_i32 s47, s0, s47
	s_mul_hi_u32 s48, s0, s46
	s_add_i32 s47, s48, s47
	s_mul_i32 s48, s1, s46
	s_add_i32 s50, s47, s48
	s_sub_i32 s48, s9, s50
	s_mul_i32 s46, s0, s46
	s_sub_u32 s8, s8, s46
	s_cselect_b64 s[46:47], -1, 0
	s_cmp_lg_u64 s[46:47], 0
	s_subb_u32 s51, s48, s1
	s_sub_u32 s52, s8, s0
	s_cselect_b64 s[48:49], -1, 0
	s_cmp_lg_u64 s[48:49], 0
	s_subb_u32 s53, s51, 0
	s_cmp_ge_u32 s53, s1
	s_cselect_b32 s54, -1, 0
	s_cmp_ge_u32 s52, s0
	s_cselect_b32 s55, -1, 0
	s_cmp_eq_u32 s53, s1
	s_cselect_b32 s54, s55, s54
	s_cmp_lg_u64 s[48:49], 0
	s_subb_u32 s51, s51, s1
	s_sub_u32 s55, s52, s0
	s_cselect_b64 s[48:49], -1, 0
	s_cmp_lg_u64 s[48:49], 0
	s_subb_u32 s48, s51, 0
	s_cmp_lg_u32 s54, 0
	s_cselect_b32 s49, s55, s52
	s_cselect_b32 s48, s48, s53
	s_cmp_lg_u64 s[46:47], 0
	s_subb_u32 s9, s9, s50
	s_cmp_ge_u32 s9, s1
	s_cselect_b32 s46, -1, 0
	s_cmp_ge_u32 s8, s0
	s_cselect_b32 s0, -1, 0
	s_cmp_eq_u32 s9, s1
	s_cselect_b32 s0, s0, s46
	s_cmp_lg_u32 s0, 0
	s_cselect_b32 s1, s48, s9
	s_cselect_b32 s0, s49, s8
	s_xor_b64 s[0:1], s[0:1], s[6:7]
	s_sub_u32 s0, s0, s6
	s_subb_u32 s1, s1, s6
	s_cbranch_execnz .LBB46_201
.LBB46_200:                             ;   in Loop: Header=BB46_32 Depth=1
	v_cvt_f32_u32_e32 v2, s94
	s_sub_i32 s0, 0, s94
	v_rcp_iflag_f32_e32 v2, v2
	s_nop 0
	v_mul_f32_e32 v2, 0x4f7ffffe, v2
	v_cvt_u32_f32_e32 v2, v2
	s_nop 0
	v_readfirstlane_b32 s1, v2
	s_mul_i32 s0, s0, s1
	s_mul_hi_u32 s0, s1, s0
	s_add_i32 s1, s1, s0
	s_mul_hi_u32 s0, s73, s1
	s_mul_i32 s0, s0, s94
	s_sub_i32 s0, s73, s0
	s_sub_i32 s1, s0, s94
	s_cmp_ge_u32 s0, s94
	s_cselect_b32 s0, s1, s0
	s_sub_i32 s1, s0, s94
	s_cmp_ge_u32 s0, s94
	s_cselect_b32 s96, s1, s0
	s_mov_b64 s[0:1], s[96:97]
.LBB46_201:                             ;   in Loop: Header=BB46_32 Depth=1
	s_sub_u32 s46, s73, s0
	s_subb_u32 s47, s79, s1
	v_cmp_gt_i64_e32 vcc, s[46:47], v[0:1]
	s_mov_b64 s[6:7], 0
	s_mov_b64 s[0:1], 0
                                        ; implicit-def: $vgpr6_vgpr7
	s_and_saveexec_b64 s[8:9], vcc
	s_cbranch_execz .LBB46_213
; %bb.202:                              ;   in Loop: Header=BB46_32 Depth=1
	v_mov_b64_e32 v[10:11], v[16:17]
	v_mov_b64_e32 v[12:13], v[0:1]
                                        ; implicit-def: $sgpr48_sgpr49
	s_branch .LBB46_206
.LBB46_203:                             ;   in Loop: Header=BB46_206 Depth=2
	s_or_b64 exec, exec, s[50:51]
	s_waitcnt lgkmcnt(0)
	s_barrier
	ds_read_b128 v[4:7], v19 offset:3072
	s_waitcnt lgkmcnt(0)
	s_barrier
	v_cmp_neq_f64_e32 vcc, 0, v[4:5]
	s_cbranch_vccnz .LBB46_209
; %bb.204:                              ;   in Loop: Header=BB46_206 Depth=2
	v_lshl_add_u64 v[12:13], v[12:13], 0, s[94:95]
	v_cmp_le_i64_e32 vcc, s[46:47], v[12:13]
	v_lshl_add_u64 v[10:11], v[10:11], 0, s[70:71]
	s_mov_b64 s[50:51], 0
	s_orn2_b64 s[52:53], vcc, exec
.LBB46_205:                             ;   in Loop: Header=BB46_206 Depth=2
	s_and_b64 s[52:53], exec, s[52:53]
	s_or_b64 s[0:1], s[52:53], s[0:1]
	s_andn2_b64 s[48:49], s[48:49], exec
	s_and_b64 s[50:51], s[50:51], exec
	s_or_b64 s[48:49], s[48:49], s[50:51]
	s_andn2_b64 exec, exec, s[0:1]
	s_cbranch_execz .LBB46_212
.LBB46_206:                             ;   Parent Loop BB46_32 Depth=1
                                        ; =>  This Inner Loop Header: Depth=2
	v_cmp_gt_i64_e32 vcc, s[56:57], v[12:13]
	s_and_saveexec_b64 s[50:51], vcc
	s_cbranch_execz .LBB46_203
; %bb.207:                              ;   in Loop: Header=BB46_206 Depth=2
	global_load_dwordx2 v[4:5], v[10:11], off
	s_waitcnt vmcnt(0)
	v_ashrrev_i32_e32 v2, 31, v5
	v_or_b32_e32 v6, 0x80000000, v2
	v_xor_b32_e32 v2, v2, v4
	v_xor_b32_e32 v6, v6, v5
	v_cmp_o_f64_e32 vcc, v[4:5], v[4:5]
	s_nop 1
	v_cndmask_b32_e32 v2, -1, v2, vcc
	v_cndmask_b32_e32 v6, -1, v6, vcc
	v_and_b32_e32 v7, v6, v39
	v_and_b32_e32 v6, v2, v38
	v_cmp_eq_u64_e32 vcc, v[6:7], v[30:31]
	s_and_b64 exec, exec, vcc
	s_cbranch_execz .LBB46_203
; %bb.208:                              ;   in Loop: Header=BB46_206 Depth=2
	v_mov_b32_e32 v2, v19
	ds_write_b128 v19, v[2:5] offset:3072
	s_branch .LBB46_203
.LBB46_209:                             ;   in Loop: Header=BB46_206 Depth=2
	s_mov_b64 s[52:53], -1
                                        ; implicit-def: $vgpr12_vgpr13
                                        ; implicit-def: $vgpr10_vgpr11
	s_mov_b64 s[50:51], -1
	s_branch .LBB46_205
.LBB46_210:                             ;   in Loop: Header=BB46_32 Depth=1
                                        ; implicit-def: $sgpr0_sgpr1
	s_andn2_b64 vcc, exec, s[6:7]
	s_cbranch_vccz .LBB46_152
	s_branch .LBB46_153
.LBB46_211:                             ;   in Loop: Header=BB46_32 Depth=1
                                        ; implicit-def: $sgpr6_sgpr7
	s_branch .LBB46_169
.LBB46_212:                             ;   in Loop: Header=BB46_32 Depth=1
	s_or_b64 exec, exec, s[0:1]
	s_and_b64 s[0:1], s[48:49], exec
.LBB46_213:                             ;   in Loop: Header=BB46_32 Depth=1
	s_or_b64 exec, exec, s[8:9]
	v_readlane_b32 s4, v68, 57
	v_readlane_b32 s50, v68, 59
	;; [unrolled: 1-line block ×4, first 2 shown]
.LBB46_214:                             ;   in Loop: Header=BB46_32 Depth=1
	s_and_b64 vcc, exec, s[6:7]
	s_cbranch_vccz .LBB46_229
; %bb.215:                              ;   in Loop: Header=BB46_32 Depth=1
	v_readlane_b32 s6, v68, 46
	s_add_u32 s38, s44, s6
	v_readlane_b32 s6, v68, 47
	s_addc_u32 s7, s45, s6
	s_mov_b32 s6, s97
	s_cmp_lg_u64 s[6:7], 0
	s_cbranch_scc0 .LBB46_258
; %bb.216:                              ;   in Loop: Header=BB46_32 Depth=1
	s_add_u32 s8, s94, 0
	s_addc_u32 s9, 0, 0
	s_xor_b64 s[8:9], s[8:9], 0
	v_cvt_f32_u32_e32 v2, s8
	v_cvt_f32_u32_e32 v4, s9
	s_sub_u32 s6, 0, s8
	s_subb_u32 s39, 0, s9
	v_readlane_b32 s4, v68, 57
	v_fmac_f32_e32 v2, 0x4f800000, v4
	v_rcp_f32_e32 v2, v2
	v_readlane_b32 s5, v68, 58
	v_mul_f32_e32 v2, 0x5f7ffffc, v2
	v_mul_f32_e32 v4, 0x2f800000, v2
	v_trunc_f32_e32 v4, v4
	v_fmac_f32_e32 v2, 0xcf800000, v4
	v_cvt_u32_f32_e32 v4, v4
	v_cvt_u32_f32_e32 v2, v2
	v_readfirstlane_b32 s46, v4
	v_readfirstlane_b32 s36, v2
	s_mul_i32 s37, s6, s46
	s_mul_hi_u32 s48, s6, s36
	s_mul_i32 s47, s39, s36
	s_add_i32 s37, s48, s37
	s_mul_i32 s49, s6, s36
	s_add_i32 s37, s37, s47
	s_mul_i32 s48, s36, s37
	s_mul_hi_u32 s50, s36, s49
	s_mul_hi_u32 s47, s36, s37
	s_add_u32 s48, s50, s48
	s_addc_u32 s47, 0, s47
	s_mul_hi_u32 s51, s46, s49
	s_mul_i32 s49, s46, s49
	s_add_u32 s48, s48, s49
	s_mul_hi_u32 s50, s46, s37
	s_addc_u32 s47, s47, s51
	s_addc_u32 s48, s50, 0
	s_mul_i32 s37, s46, s37
	s_add_u32 s37, s47, s37
	s_addc_u32 s47, 0, s48
	s_add_u32 s48, s36, s37
	s_cselect_b64 s[36:37], -1, 0
	s_cmp_lg_u64 s[36:37], 0
	s_addc_u32 s46, s46, s47
	s_mul_i32 s36, s6, s46
	s_mul_hi_u32 s37, s6, s48
	s_add_i32 s36, s37, s36
	s_mul_i32 s39, s39, s48
	s_add_i32 s36, s36, s39
	s_mul_i32 s6, s6, s48
	s_mul_hi_u32 s39, s46, s6
	s_mul_i32 s47, s46, s6
	s_mul_i32 s50, s48, s36
	s_mul_hi_u32 s6, s48, s6
	s_mul_hi_u32 s49, s48, s36
	s_add_u32 s6, s6, s50
	s_addc_u32 s49, 0, s49
	s_add_u32 s6, s6, s47
	s_mul_hi_u32 s37, s46, s36
	s_addc_u32 s6, s49, s39
	s_addc_u32 s37, s37, 0
	s_mul_i32 s36, s46, s36
	s_add_u32 s6, s6, s36
	s_addc_u32 s39, 0, s37
	s_add_u32 s6, s48, s6
	s_cselect_b64 s[36:37], -1, 0
	s_cmp_lg_u64 s[36:37], 0
	s_addc_u32 s39, s46, s39
	s_ashr_i32 s36, s7, 31
	s_add_u32 s46, s38, s36
	s_mov_b32 s37, s36
	s_addc_u32 s47, s7, s36
	s_xor_b64 s[46:47], s[46:47], s[36:37]
	s_mul_i32 s49, s46, s39
	s_mul_hi_u32 s50, s46, s6
	s_mul_hi_u32 s48, s46, s39
	s_add_u32 s49, s50, s49
	s_addc_u32 s48, 0, s48
	s_mul_hi_u32 s51, s47, s6
	s_mul_i32 s6, s47, s6
	s_add_u32 s6, s49, s6
	s_mul_hi_u32 s50, s47, s39
	s_addc_u32 s6, s48, s51
	s_addc_u32 s48, s50, 0
	s_mul_i32 s39, s47, s39
	s_add_u32 s6, s6, s39
	s_addc_u32 s39, 0, s48
	s_mul_i32 s39, s8, s39
	s_mul_hi_u32 s48, s8, s6
	s_add_i32 s39, s48, s39
	s_mul_i32 s48, s9, s6
	s_add_i32 s39, s39, s48
	s_sub_i32 s50, s47, s39
	s_mul_i32 s6, s8, s6
	s_sub_u32 s6, s46, s6
	s_cselect_b64 s[48:49], -1, 0
	s_cmp_lg_u64 s[48:49], 0
	s_subb_u32 s46, s50, s9
	s_sub_u32 s52, s6, s8
	s_cselect_b64 s[50:51], -1, 0
	s_cmp_lg_u64 s[50:51], 0
	s_subb_u32 s53, s46, 0
	s_cmp_ge_u32 s53, s9
	s_cselect_b32 s54, -1, 0
	s_cmp_ge_u32 s52, s8
	s_cselect_b32 s55, -1, 0
	s_cmp_eq_u32 s53, s9
	s_cselect_b32 s54, s55, s54
	s_cmp_lg_u64 s[50:51], 0
	s_subb_u32 s46, s46, s9
	s_sub_u32 s55, s52, s8
	s_cselect_b64 s[50:51], -1, 0
	s_cmp_lg_u64 s[50:51], 0
	s_subb_u32 s46, s46, 0
	s_cmp_lg_u32 s54, 0
	s_cselect_b32 s50, s55, s52
	s_cselect_b32 s46, s46, s53
	s_cmp_lg_u64 s[48:49], 0
	s_subb_u32 s39, s47, s39
	s_cmp_ge_u32 s39, s9
	s_cselect_b32 s47, -1, 0
	s_cmp_ge_u32 s6, s8
	s_cselect_b32 s8, -1, 0
	s_cmp_eq_u32 s39, s9
	s_cselect_b32 s8, s8, s47
	s_cmp_lg_u32 s8, 0
	s_cselect_b32 s9, s46, s39
	s_cselect_b32 s8, s50, s6
	s_xor_b64 s[8:9], s[8:9], s[36:37]
	v_readlane_b32 s50, v68, 59
	s_sub_u32 s8, s8, s36
	v_readlane_b32 s51, v68, 60
	s_subb_u32 s9, s9, s36
	s_cbranch_execnz .LBB46_218
.LBB46_217:                             ;   in Loop: Header=BB46_32 Depth=1
	v_cvt_f32_u32_e32 v2, s94
	s_sub_i32 s6, 0, s94
	v_rcp_iflag_f32_e32 v2, v2
	s_nop 0
	v_mul_f32_e32 v2, 0x4f7ffffe, v2
	v_cvt_u32_f32_e32 v2, v2
	s_nop 0
	v_readfirstlane_b32 s8, v2
	s_mul_i32 s6, s6, s8
	s_mul_hi_u32 s6, s8, s6
	s_add_i32 s8, s8, s6
	s_mul_hi_u32 s6, s38, s8
	s_mul_i32 s6, s6, s94
	s_sub_i32 s6, s38, s6
	s_sub_i32 s8, s6, s94
	s_cmp_ge_u32 s6, s94
	s_cselect_b32 s6, s8, s6
	s_sub_i32 s8, s6, s94
	s_cmp_ge_u32 s6, s94
	s_cselect_b32 s96, s8, s6
	s_mov_b64 s[8:9], s[96:97]
.LBB46_218:                             ;   in Loop: Header=BB46_32 Depth=1
	s_sub_u32 s8, s38, s8
	s_subb_u32 s9, s7, s9
	v_cmp_gt_i64_e32 vcc, s[8:9], v[0:1]
                                        ; implicit-def: $vgpr6_vgpr7
	s_and_saveexec_b64 s[6:7], vcc
	s_cbranch_execz .LBB46_228
; %bb.219:                              ;   in Loop: Header=BB46_32 Depth=1
	s_mov_b64 s[36:37], 0
	v_mov_b32_e32 v12, v49
	v_mov_b64_e32 v[10:11], v[0:1]
                                        ; implicit-def: $sgpr38_sgpr39
	s_branch .LBB46_223
.LBB46_220:                             ;   in Loop: Header=BB46_223 Depth=2
	s_or_b64 exec, exec, s[46:47]
	s_waitcnt lgkmcnt(0)
	s_barrier
	ds_read_b128 v[4:7], v19 offset:3072
	s_waitcnt lgkmcnt(0)
	s_barrier
	v_cmp_eq_f64_e32 vcc, 0, v[4:5]
	s_cbranch_vccz .LBB46_226
; %bb.221:                              ;   in Loop: Header=BB46_223 Depth=2
	v_lshl_add_u64 v[10:11], v[10:11], 0, s[94:95]
	v_cmp_le_i64_e32 vcc, s[8:9], v[10:11]
	v_add_u32_e32 v12, s90, v12
	s_mov_b64 s[46:47], 0
	s_orn2_b64 s[48:49], vcc, exec
.LBB46_222:                             ;   in Loop: Header=BB46_223 Depth=2
	s_and_b64 s[48:49], exec, s[48:49]
	s_or_b64 s[36:37], s[48:49], s[36:37]
	s_andn2_b64 s[38:39], s[38:39], exec
	s_and_b64 s[46:47], s[46:47], exec
	s_or_b64 s[38:39], s[38:39], s[46:47]
	s_andn2_b64 exec, exec, s[36:37]
	s_cbranch_execz .LBB46_227
.LBB46_223:                             ;   Parent Loop BB46_32 Depth=1
                                        ; =>  This Inner Loop Header: Depth=2
	v_cmp_gt_u64_e32 vcc, s[44:45], v[10:11]
	s_and_saveexec_b64 s[46:47], vcc
	s_cbranch_execz .LBB46_220
; %bb.224:                              ;   in Loop: Header=BB46_223 Depth=2
	ds_read_b64 v[4:5], v12
	s_waitcnt lgkmcnt(0)
	v_ashrrev_i32_e32 v2, 31, v5
	v_or_b32_e32 v6, 0x80000000, v2
	v_xor_b32_e32 v2, v2, v4
	v_xor_b32_e32 v6, v6, v5
	v_cmp_o_f64_e32 vcc, v[4:5], v[4:5]
	s_nop 1
	v_cndmask_b32_e32 v2, -1, v2, vcc
	v_cndmask_b32_e32 v6, -1, v6, vcc
	v_and_b32_e32 v7, v6, v39
	v_and_b32_e32 v6, v2, v38
	v_cmp_eq_u64_e32 vcc, v[6:7], v[30:31]
	s_and_b64 exec, exec, vcc
	s_cbranch_execz .LBB46_220
; %bb.225:                              ;   in Loop: Header=BB46_223 Depth=2
	v_mov_b32_e32 v2, v19
	ds_write_b128 v19, v[2:5] offset:3072
	s_branch .LBB46_220
.LBB46_226:                             ;   in Loop: Header=BB46_223 Depth=2
	s_mov_b64 s[48:49], -1
                                        ; implicit-def: $vgpr10_vgpr11
                                        ; implicit-def: $vgpr12
	s_mov_b64 s[46:47], -1
	s_branch .LBB46_222
.LBB46_227:                             ;   in Loop: Header=BB46_32 Depth=1
	s_or_b64 exec, exec, s[36:37]
	s_andn2_b64 s[0:1], s[0:1], exec
	s_and_b64 s[8:9], s[38:39], exec
	s_or_b64 s[0:1], s[0:1], s[8:9]
.LBB46_228:                             ;   in Loop: Header=BB46_32 Depth=1
	s_or_b64 exec, exec, s[6:7]
	s_mov_b64 s[36:37], 0
	s_mov_b64 s[38:39], -1
.LBB46_229:                             ;   in Loop: Header=BB46_32 Depth=1
	s_orn2_b64 s[0:1], s[0:1], exec
.LBB46_230:                             ;   in Loop: Header=BB46_32 Depth=1
	s_or_b64 exec, exec, s[40:41]
	s_mov_b64 s[6:7], 0
	s_and_saveexec_b64 s[40:41], s[0:1]
	s_cbranch_execz .LBB46_290
; %bb.231:                              ;   in Loop: Header=BB46_32 Depth=1
	s_xor_b64 s[6:7], s[42:43], -1
	v_mov_b32_e32 v18, 1
	s_mov_b64 s[42:43], 0
	v_mov_b64_e32 v[10:11], 1
	s_and_saveexec_b64 s[0:1], s[6:7]
	s_cbranch_execz .LBB46_240
; %bb.232:                              ;   in Loop: Header=BB46_32 Depth=1
	v_cmp_ge_i64_e32 vcc, s[22:23], v[8:9]
	s_and_saveexec_b64 s[6:7], vcc
	s_xor_b64 s[6:7], exec, s[6:7]
	s_cbranch_execz .LBB46_237
; %bb.233:                              ;   in Loop: Header=BB46_32 Depth=1
	ds_read_b64 v[4:5], v19 offset:5120
	s_lshl_b64 s[8:9], 2, s91
	v_and_b32_e32 v2, s25, v31
	v_and_b32_e32 v10, s24, v30
	v_or_b32_e32 v31, s9, v2
	s_waitcnt lgkmcnt(0)
	v_cmp_ne_u64_e32 vcc, 0, v[4:5]
	v_or_b32_e32 v30, s8, v10
	v_or_b32_e32 v39, s15, v39
	;; [unrolled: 1-line block ×3, first 2 shown]
	s_cbranch_vccnz .LBB46_237
; %bb.234:                              ;   in Loop: Header=BB46_32 Depth=1
	s_mov_b64 s[8:9], exec
	v_readlane_b32 s24, v68, 32
	v_readlane_b32 s25, v68, 33
	s_and_b64 s[24:25], s[8:9], s[24:25]
	s_mov_b64 exec, s[24:25]
; %bb.235:                              ;   in Loop: Header=BB46_32 Depth=1
	v_mov_b64_e32 v[4:5], s[22:23]
	ds_write_b64 v19, v[4:5] offset:5128
; %bb.236:                              ;   in Loop: Header=BB46_32 Depth=1
	s_or_b64 exec, exec, s[8:9]
	s_waitcnt lgkmcnt(0)
	s_barrier
.LBB46_237:                             ;   in Loop: Header=BB46_32 Depth=1
	s_or_saveexec_b64 s[6:7], s[6:7]
	s_mov_b64 s[8:9], 0
	v_mov_b32_e32 v18, 8
	s_xor_b64 exec, exec, s[6:7]
; %bb.238:                              ;   in Loop: Header=BB46_32 Depth=1
	v_mov_b32_e32 v2, s23
	v_subrev_co_u32_e32 v8, vcc, s22, v8
	s_mov_b64 s[8:9], exec
	s_nop 0
	v_subb_co_u32_e32 v9, vcc, v9, v2, vcc
	v_mov_b32_e32 v18, 0
; %bb.239:                              ;   in Loop: Header=BB46_32 Depth=1
	s_or_b64 exec, exec, s[6:7]
	s_and_b64 s[42:43], s[8:9], exec
	v_mov_b64_e32 v[10:11], v[8:9]
.LBB46_240:                             ;   in Loop: Header=BB46_32 Depth=1
	s_or_b64 exec, exec, s[0:1]
	s_mov_b64 s[8:9], -1
                                        ; implicit-def: $sgpr6_sgpr7
                                        ; implicit-def: $sgpr0_sgpr1
	s_and_saveexec_b64 s[22:23], s[42:43]
	s_cbranch_execz .LBB46_289
; %bb.241:                              ;   in Loop: Header=BB46_32 Depth=1
	s_cmp_eq_u64 s[12:13], 1
	s_cselect_b64 s[0:1], -1, 0
	v_cmp_eq_u64_e32 vcc, 1, v[10:11]
	s_and_b64 s[24:25], s[0:1], vcc
	s_mov_b64 s[44:45], -1
                                        ; implicit-def: $sgpr6_sgpr7
                                        ; implicit-def: $sgpr0_sgpr1
	s_and_saveexec_b64 s[42:43], s[24:25]
	s_cbranch_execz .LBB46_277
; %bb.242:                              ;   in Loop: Header=BB46_32 Depth=1
	ds_read_b64 v[4:5], v19 offset:5120
	s_waitcnt lgkmcnt(0)
	s_barrier
	v_readfirstlane_b32 s44, v4
	v_readfirstlane_b32 s45, v5
	s_mov_b64 s[0:1], exec
	v_readlane_b32 s6, v68, 36
	v_readlane_b32 s7, v68, 37
	s_and_b64 s[6:7], s[0:1], s[6:7]
	s_mov_b64 exec, s[6:7]
; %bb.243:                              ;   in Loop: Header=BB46_32 Depth=1
	ds_write_b64 v50, v[58:59]
; %bb.244:                              ;   in Loop: Header=BB46_32 Depth=1
	s_or_b64 exec, exec, s[0:1]
	v_cmp_gt_i64_e64 s[8:9], s[44:45], 0
	v_or_b32_e32 v31, s15, v31
	v_or_b32_e32 v30, s14, v30
	;; [unrolled: 1-line block ×4, first 2 shown]
	s_mov_b64 s[0:1], -1
	s_mov_b64 s[6:7], 0
	s_and_b64 vcc, exec, s[8:9]
	s_mov_b64 s[8:9], 0
	s_mov_b64 s[46:47], -1
	s_waitcnt lgkmcnt(0)
	s_barrier
                                        ; implicit-def: $vgpr6_vgpr7
	s_cbranch_vccnz .LBB46_261
; %bb.245:                              ;   in Loop: Header=BB46_32 Depth=1
	s_mov_b32 s78, s97
	s_cmp_lg_u64 s[78:79], 0
	s_cbranch_scc0 .LBB46_296
; %bb.246:                              ;   in Loop: Header=BB46_32 Depth=1
	s_add_u32 s8, s94, 0
	s_addc_u32 s9, 0, 0
	s_xor_b64 s[8:9], s[8:9], 0
	v_cvt_f32_u32_e32 v2, s8
	v_cvt_f32_u32_e32 v4, s9
	s_sub_u32 s48, 0, s8
	s_subb_u32 s49, 0, s9
	v_fmac_f32_e32 v2, 0x4f800000, v4
	v_rcp_f32_e32 v2, v2
	s_nop 0
	v_mul_f32_e32 v2, 0x5f7ffffc, v2
	v_mul_f32_e32 v4, 0x2f800000, v2
	v_trunc_f32_e32 v4, v4
	v_fmac_f32_e32 v2, 0xcf800000, v4
	v_cvt_u32_f32_e32 v4, v4
	v_cvt_u32_f32_e32 v2, v2
	v_readfirstlane_b32 s50, v4
	v_readfirstlane_b32 s46, v2
	s_mul_i32 s47, s48, s50
	s_mul_hi_u32 s52, s48, s46
	s_mul_i32 s51, s49, s46
	s_add_i32 s47, s52, s47
	s_mul_i32 s53, s48, s46
	s_add_i32 s47, s47, s51
	s_mul_i32 s52, s46, s47
	s_mul_hi_u32 s54, s46, s53
	s_mul_hi_u32 s51, s46, s47
	s_add_u32 s52, s54, s52
	s_addc_u32 s51, 0, s51
	s_mul_hi_u32 s55, s50, s53
	s_mul_i32 s53, s50, s53
	s_add_u32 s52, s52, s53
	s_mul_hi_u32 s54, s50, s47
	s_addc_u32 s51, s51, s55
	s_addc_u32 s52, s54, 0
	s_mul_i32 s47, s50, s47
	s_add_u32 s47, s51, s47
	s_addc_u32 s51, 0, s52
	s_add_u32 s52, s46, s47
	s_cselect_b64 s[46:47], -1, 0
	s_cmp_lg_u64 s[46:47], 0
	s_addc_u32 s50, s50, s51
	s_mul_i32 s46, s48, s50
	s_mul_hi_u32 s47, s48, s52
	s_add_i32 s46, s47, s46
	s_mul_i32 s49, s49, s52
	s_add_i32 s46, s46, s49
	s_mul_i32 s48, s48, s52
	s_mul_hi_u32 s49, s50, s48
	s_mul_i32 s51, s50, s48
	s_mul_i32 s54, s52, s46
	s_mul_hi_u32 s48, s52, s48
	s_mul_hi_u32 s53, s52, s46
	s_add_u32 s48, s48, s54
	s_addc_u32 s53, 0, s53
	s_add_u32 s48, s48, s51
	s_mul_hi_u32 s47, s50, s46
	s_addc_u32 s48, s53, s49
	s_addc_u32 s47, s47, 0
	s_mul_i32 s46, s50, s46
	s_add_u32 s46, s48, s46
	s_addc_u32 s48, 0, s47
	s_add_u32 s51, s52, s46
	s_cselect_b64 s[46:47], -1, 0
	s_cmp_lg_u64 s[46:47], 0
	s_addc_u32 s50, s50, s48
	s_ashr_i32 s46, s79, 31
	s_add_u32 s48, s73, s46
	s_mov_b32 s47, s46
	s_addc_u32 s49, s79, s46
	s_xor_b64 s[48:49], s[48:49], s[46:47]
	s_mul_i32 s53, s48, s50
	s_mul_hi_u32 s54, s48, s51
	s_mul_hi_u32 s52, s48, s50
	s_add_u32 s53, s54, s53
	s_addc_u32 s52, 0, s52
	s_mul_hi_u32 s55, s49, s51
	s_mul_i32 s51, s49, s51
	s_add_u32 s51, s53, s51
	s_mul_hi_u32 s54, s49, s50
	s_addc_u32 s51, s52, s55
	s_addc_u32 s52, s54, 0
	s_mul_i32 s50, s49, s50
	s_add_u32 s50, s51, s50
	s_addc_u32 s51, 0, s52
	s_mul_i32 s51, s8, s51
	s_mul_hi_u32 s52, s8, s50
	s_add_i32 s51, s52, s51
	s_mul_i32 s52, s9, s50
	s_add_i32 s54, s51, s52
	s_sub_i32 s52, s49, s54
	s_mul_i32 s50, s8, s50
	s_sub_u32 s48, s48, s50
	s_cselect_b64 s[50:51], -1, 0
	s_cmp_lg_u64 s[50:51], 0
	s_subb_u32 s55, s52, s9
	s_sub_u32 s64, s48, s8
	s_cselect_b64 s[52:53], -1, 0
	s_cmp_lg_u64 s[52:53], 0
	s_subb_u32 s65, s55, 0
	s_cmp_ge_u32 s65, s9
	s_cselect_b32 s66, -1, 0
	s_cmp_ge_u32 s64, s8
	s_cselect_b32 s67, -1, 0
	s_cmp_eq_u32 s65, s9
	s_cselect_b32 s66, s67, s66
	s_cmp_lg_u64 s[52:53], 0
	s_subb_u32 s55, s55, s9
	s_sub_u32 s67, s64, s8
	s_cselect_b64 s[52:53], -1, 0
	s_cmp_lg_u64 s[52:53], 0
	s_subb_u32 s52, s55, 0
	s_cmp_lg_u32 s66, 0
	s_cselect_b32 s53, s67, s64
	s_cselect_b32 s52, s52, s65
	s_cmp_lg_u64 s[50:51], 0
	s_subb_u32 s49, s49, s54
	s_cmp_ge_u32 s49, s9
	s_cselect_b32 s50, -1, 0
	s_cmp_ge_u32 s48, s8
	s_cselect_b32 s8, -1, 0
	s_cmp_eq_u32 s49, s9
	s_cselect_b32 s8, s8, s50
	s_cmp_lg_u32 s8, 0
	s_cselect_b32 s9, s52, s49
	s_cselect_b32 s8, s53, s48
	s_xor_b64 s[8:9], s[8:9], s[46:47]
	s_sub_u32 s8, s8, s46
	s_subb_u32 s9, s9, s46
	s_cbranch_execnz .LBB46_248
.LBB46_247:                             ;   in Loop: Header=BB46_32 Depth=1
	v_cvt_f32_u32_e32 v2, s94
	s_sub_i32 s8, 0, s94
	v_rcp_iflag_f32_e32 v2, v2
	s_nop 0
	v_mul_f32_e32 v2, 0x4f7ffffe, v2
	v_cvt_u32_f32_e32 v2, v2
	s_nop 0
	v_readfirstlane_b32 s9, v2
	s_mul_i32 s8, s8, s9
	s_mul_hi_u32 s8, s9, s8
	s_add_i32 s9, s9, s8
	s_mul_hi_u32 s8, s73, s9
	s_mul_i32 s8, s8, s94
	s_sub_i32 s8, s73, s8
	s_sub_i32 s9, s8, s94
	s_cmp_ge_u32 s8, s94
	s_cselect_b32 s8, s9, s8
	s_sub_i32 s9, s8, s94
	s_cmp_ge_u32 s8, s94
	s_cselect_b32 s96, s9, s8
	s_mov_b64 s[8:9], s[96:97]
.LBB46_248:                             ;   in Loop: Header=BB46_32 Depth=1
	s_sub_u32 s50, s73, s8
	s_subb_u32 s51, s79, s9
	v_cmp_gt_i64_e32 vcc, s[50:51], v[0:1]
	s_mov_b64 s[46:47], 0
	s_mov_b64 s[8:9], 0
                                        ; implicit-def: $vgpr6_vgpr7
	s_and_saveexec_b64 s[48:49], vcc
	s_cbranch_execz .LBB46_260
; %bb.249:                              ;   in Loop: Header=BB46_32 Depth=1
	v_mov_b64_e32 v[8:9], v[16:17]
	v_mov_b64_e32 v[12:13], v[0:1]
                                        ; implicit-def: $sgpr52_sgpr53
	s_branch .LBB46_253
.LBB46_250:                             ;   in Loop: Header=BB46_253 Depth=2
	s_or_b64 exec, exec, s[54:55]
	s_waitcnt lgkmcnt(0)
	s_barrier
	ds_read_b128 v[4:7], v19 offset:3072
	s_waitcnt lgkmcnt(0)
	s_barrier
	v_cmp_neq_f64_e32 vcc, 0, v[4:5]
	s_cbranch_vccnz .LBB46_256
; %bb.251:                              ;   in Loop: Header=BB46_253 Depth=2
	v_lshl_add_u64 v[12:13], v[12:13], 0, s[94:95]
	v_cmp_le_i64_e32 vcc, s[50:51], v[12:13]
	v_lshl_add_u64 v[8:9], v[8:9], 0, s[70:71]
	s_mov_b64 s[54:55], 0
	s_orn2_b64 s[64:65], vcc, exec
.LBB46_252:                             ;   in Loop: Header=BB46_253 Depth=2
	s_and_b64 s[64:65], exec, s[64:65]
	s_or_b64 s[8:9], s[64:65], s[8:9]
	s_andn2_b64 s[52:53], s[52:53], exec
	s_and_b64 s[54:55], s[54:55], exec
	s_or_b64 s[52:53], s[52:53], s[54:55]
	s_andn2_b64 exec, exec, s[8:9]
	s_cbranch_execz .LBB46_259
.LBB46_253:                             ;   Parent Loop BB46_32 Depth=1
                                        ; =>  This Inner Loop Header: Depth=2
	v_cmp_gt_i64_e32 vcc, s[56:57], v[12:13]
	s_and_saveexec_b64 s[54:55], vcc
	s_cbranch_execz .LBB46_250
; %bb.254:                              ;   in Loop: Header=BB46_253 Depth=2
	global_load_dwordx2 v[4:5], v[8:9], off
	s_waitcnt vmcnt(0)
	v_ashrrev_i32_e32 v2, 31, v5
	v_or_b32_e32 v6, 0x80000000, v2
	v_xor_b32_e32 v2, v2, v4
	v_xor_b32_e32 v6, v6, v5
	v_cmp_o_f64_e32 vcc, v[4:5], v[4:5]
	s_nop 1
	v_cndmask_b32_e32 v2, -1, v2, vcc
	v_cndmask_b32_e32 v6, -1, v6, vcc
	v_and_b32_e32 v7, v6, v39
	v_and_b32_e32 v6, v2, v38
	v_cmp_eq_u64_e32 vcc, v[6:7], v[30:31]
	s_and_b64 exec, exec, vcc
	s_cbranch_execz .LBB46_250
; %bb.255:                              ;   in Loop: Header=BB46_253 Depth=2
	v_mov_b32_e32 v2, v19
	ds_write_b128 v19, v[2:5] offset:3072
	s_branch .LBB46_250
.LBB46_256:                             ;   in Loop: Header=BB46_253 Depth=2
	s_mov_b64 s[64:65], -1
                                        ; implicit-def: $vgpr12_vgpr13
                                        ; implicit-def: $vgpr8_vgpr9
	s_mov_b64 s[54:55], -1
	s_branch .LBB46_252
.LBB46_257:                             ;   in Loop: Header=BB46_32 Depth=1
                                        ; implicit-def: $sgpr0_sgpr1
	s_andn2_b64 vcc, exec, s[6:7]
	s_cbranch_vccz .LBB46_200
	s_branch .LBB46_201
.LBB46_258:                             ;   in Loop: Header=BB46_32 Depth=1
                                        ; implicit-def: $sgpr8_sgpr9
	s_branch .LBB46_217
.LBB46_259:                             ;   in Loop: Header=BB46_32 Depth=1
	s_or_b64 exec, exec, s[8:9]
	s_and_b64 s[8:9], s[52:53], exec
.LBB46_260:                             ;   in Loop: Header=BB46_32 Depth=1
	s_or_b64 exec, exec, s[48:49]
	v_readlane_b32 s4, v68, 57
	v_readlane_b32 s50, v68, 59
	v_readlane_b32 s5, v68, 58
	v_readlane_b32 s51, v68, 60
.LBB46_261:                             ;   in Loop: Header=BB46_32 Depth=1
	s_and_b64 vcc, exec, s[46:47]
	s_cbranch_vccz .LBB46_276
; %bb.262:                              ;   in Loop: Header=BB46_32 Depth=1
	v_readlane_b32 s0, v68, 46
	s_add_u32 s48, s44, s0
	v_readlane_b32 s0, v68, 47
	s_addc_u32 s1, s45, s0
	s_mov_b32 s0, s97
	s_cmp_lg_u64 s[0:1], 0
	s_cbranch_scc0 .LBB46_297
; %bb.263:                              ;   in Loop: Header=BB46_32 Depth=1
	s_add_u32 s6, s94, 0
	s_addc_u32 s7, 0, 0
	s_xor_b64 s[6:7], s[6:7], 0
	v_cvt_f32_u32_e32 v2, s6
	v_cvt_f32_u32_e32 v4, s7
	s_sub_u32 s0, 0, s6
	s_subb_u32 s49, 0, s7
	v_readlane_b32 s4, v68, 57
	v_fmac_f32_e32 v2, 0x4f800000, v4
	v_rcp_f32_e32 v2, v2
	v_readlane_b32 s5, v68, 58
	v_mul_f32_e32 v2, 0x5f7ffffc, v2
	v_mul_f32_e32 v4, 0x2f800000, v2
	v_trunc_f32_e32 v4, v4
	v_fmac_f32_e32 v2, 0xcf800000, v4
	v_cvt_u32_f32_e32 v4, v4
	v_cvt_u32_f32_e32 v2, v2
	v_readfirstlane_b32 s50, v4
	v_readfirstlane_b32 s46, v2
	s_mul_i32 s47, s0, s50
	s_mul_hi_u32 s52, s0, s46
	s_mul_i32 s51, s49, s46
	s_add_i32 s47, s52, s47
	s_mul_i32 s53, s0, s46
	s_add_i32 s47, s47, s51
	s_mul_i32 s52, s46, s47
	s_mul_hi_u32 s54, s46, s53
	s_mul_hi_u32 s51, s46, s47
	s_add_u32 s52, s54, s52
	s_addc_u32 s51, 0, s51
	s_mul_hi_u32 s55, s50, s53
	s_mul_i32 s53, s50, s53
	s_add_u32 s52, s52, s53
	s_mul_hi_u32 s54, s50, s47
	s_addc_u32 s51, s51, s55
	s_addc_u32 s52, s54, 0
	s_mul_i32 s47, s50, s47
	s_add_u32 s47, s51, s47
	s_addc_u32 s51, 0, s52
	s_add_u32 s52, s46, s47
	s_cselect_b64 s[46:47], -1, 0
	s_cmp_lg_u64 s[46:47], 0
	s_addc_u32 s50, s50, s51
	s_mul_i32 s46, s0, s50
	s_mul_hi_u32 s47, s0, s52
	s_add_i32 s46, s47, s46
	s_mul_i32 s49, s49, s52
	s_add_i32 s46, s46, s49
	s_mul_i32 s0, s0, s52
	s_mul_hi_u32 s49, s50, s0
	s_mul_i32 s51, s50, s0
	s_mul_i32 s54, s52, s46
	s_mul_hi_u32 s0, s52, s0
	s_mul_hi_u32 s53, s52, s46
	s_add_u32 s0, s0, s54
	s_addc_u32 s53, 0, s53
	s_add_u32 s0, s0, s51
	s_mul_hi_u32 s47, s50, s46
	s_addc_u32 s0, s53, s49
	s_addc_u32 s47, s47, 0
	s_mul_i32 s46, s50, s46
	s_add_u32 s0, s0, s46
	s_addc_u32 s49, 0, s47
	s_add_u32 s0, s52, s0
	s_cselect_b64 s[46:47], -1, 0
	s_cmp_lg_u64 s[46:47], 0
	s_addc_u32 s49, s50, s49
	s_ashr_i32 s46, s1, 31
	s_add_u32 s50, s48, s46
	s_mov_b32 s47, s46
	s_addc_u32 s51, s1, s46
	s_xor_b64 s[50:51], s[50:51], s[46:47]
	s_mul_i32 s53, s50, s49
	s_mul_hi_u32 s54, s50, s0
	s_mul_hi_u32 s52, s50, s49
	s_add_u32 s53, s54, s53
	s_addc_u32 s52, 0, s52
	s_mul_hi_u32 s55, s51, s0
	s_mul_i32 s0, s51, s0
	s_add_u32 s0, s53, s0
	s_mul_hi_u32 s54, s51, s49
	s_addc_u32 s0, s52, s55
	s_addc_u32 s52, s54, 0
	s_mul_i32 s49, s51, s49
	s_add_u32 s0, s0, s49
	s_addc_u32 s49, 0, s52
	s_mul_i32 s49, s6, s49
	s_mul_hi_u32 s52, s6, s0
	s_add_i32 s49, s52, s49
	s_mul_i32 s52, s7, s0
	s_add_i32 s49, s49, s52
	s_sub_i32 s54, s51, s49
	s_mul_i32 s0, s6, s0
	s_sub_u32 s0, s50, s0
	s_cselect_b64 s[52:53], -1, 0
	s_cmp_lg_u64 s[52:53], 0
	s_subb_u32 s50, s54, s7
	s_sub_u32 s64, s0, s6
	s_cselect_b64 s[54:55], -1, 0
	s_cmp_lg_u64 s[54:55], 0
	s_subb_u32 s65, s50, 0
	s_cmp_ge_u32 s65, s7
	s_cselect_b32 s66, -1, 0
	s_cmp_ge_u32 s64, s6
	s_cselect_b32 s67, -1, 0
	s_cmp_eq_u32 s65, s7
	s_cselect_b32 s66, s67, s66
	s_cmp_lg_u64 s[54:55], 0
	s_subb_u32 s50, s50, s7
	s_sub_u32 s67, s64, s6
	s_cselect_b64 s[54:55], -1, 0
	s_cmp_lg_u64 s[54:55], 0
	s_subb_u32 s50, s50, 0
	s_cmp_lg_u32 s66, 0
	s_cselect_b32 s54, s67, s64
	s_cselect_b32 s50, s50, s65
	s_cmp_lg_u64 s[52:53], 0
	s_subb_u32 s49, s51, s49
	s_cmp_ge_u32 s49, s7
	s_cselect_b32 s51, -1, 0
	s_cmp_ge_u32 s0, s6
	s_cselect_b32 s6, -1, 0
	s_cmp_eq_u32 s49, s7
	s_cselect_b32 s6, s6, s51
	s_cmp_lg_u32 s6, 0
	s_cselect_b32 s7, s50, s49
	s_cselect_b32 s6, s54, s0
	s_xor_b64 s[6:7], s[6:7], s[46:47]
	v_readlane_b32 s50, v68, 59
	s_sub_u32 s6, s6, s46
	v_readlane_b32 s51, v68, 60
	s_subb_u32 s7, s7, s46
	s_cbranch_execnz .LBB46_265
.LBB46_264:                             ;   in Loop: Header=BB46_32 Depth=1
	v_cvt_f32_u32_e32 v2, s94
	s_sub_i32 s0, 0, s94
	v_rcp_iflag_f32_e32 v2, v2
	s_nop 0
	v_mul_f32_e32 v2, 0x4f7ffffe, v2
	v_cvt_u32_f32_e32 v2, v2
	s_nop 0
	v_readfirstlane_b32 s6, v2
	s_mul_i32 s0, s0, s6
	s_mul_hi_u32 s0, s6, s0
	s_add_i32 s6, s6, s0
	s_mul_hi_u32 s0, s48, s6
	s_mul_i32 s0, s0, s94
	s_sub_i32 s0, s48, s0
	s_sub_i32 s6, s0, s94
	s_cmp_ge_u32 s0, s94
	s_cselect_b32 s0, s6, s0
	s_sub_i32 s6, s0, s94
	s_cmp_ge_u32 s0, s94
	s_cselect_b32 s96, s6, s0
	s_mov_b64 s[6:7], s[96:97]
.LBB46_265:                             ;   in Loop: Header=BB46_32 Depth=1
	s_sub_u32 s6, s48, s6
	s_subb_u32 s7, s1, s7
	v_cmp_gt_i64_e32 vcc, s[6:7], v[0:1]
                                        ; implicit-def: $vgpr6_vgpr7
	s_and_saveexec_b64 s[0:1], vcc
	s_cbranch_execz .LBB46_275
; %bb.266:                              ;   in Loop: Header=BB46_32 Depth=1
	s_mov_b64 s[46:47], 0
	v_mov_b32_e32 v12, v49
	v_mov_b64_e32 v[8:9], v[0:1]
                                        ; implicit-def: $sgpr48_sgpr49
	s_branch .LBB46_270
.LBB46_267:                             ;   in Loop: Header=BB46_270 Depth=2
	s_or_b64 exec, exec, s[50:51]
	s_waitcnt lgkmcnt(0)
	s_barrier
	ds_read_b128 v[4:7], v19 offset:3072
	s_waitcnt lgkmcnt(0)
	s_barrier
	v_cmp_eq_f64_e32 vcc, 0, v[4:5]
	s_cbranch_vccz .LBB46_273
; %bb.268:                              ;   in Loop: Header=BB46_270 Depth=2
	v_lshl_add_u64 v[8:9], v[8:9], 0, s[94:95]
	v_cmp_le_i64_e32 vcc, s[6:7], v[8:9]
	v_add_u32_e32 v12, s90, v12
	s_mov_b64 s[50:51], 0
	s_orn2_b64 s[52:53], vcc, exec
.LBB46_269:                             ;   in Loop: Header=BB46_270 Depth=2
	s_and_b64 s[52:53], exec, s[52:53]
	s_or_b64 s[46:47], s[52:53], s[46:47]
	s_andn2_b64 s[48:49], s[48:49], exec
	s_and_b64 s[50:51], s[50:51], exec
	s_or_b64 s[48:49], s[48:49], s[50:51]
	s_andn2_b64 exec, exec, s[46:47]
	s_cbranch_execz .LBB46_274
.LBB46_270:                             ;   Parent Loop BB46_32 Depth=1
                                        ; =>  This Inner Loop Header: Depth=2
	v_cmp_gt_u64_e32 vcc, s[44:45], v[8:9]
	s_and_saveexec_b64 s[50:51], vcc
	s_cbranch_execz .LBB46_267
; %bb.271:                              ;   in Loop: Header=BB46_270 Depth=2
	ds_read_b64 v[4:5], v12
	s_waitcnt lgkmcnt(0)
	v_ashrrev_i32_e32 v2, 31, v5
	v_or_b32_e32 v6, 0x80000000, v2
	v_xor_b32_e32 v2, v2, v4
	v_xor_b32_e32 v6, v6, v5
	v_cmp_o_f64_e32 vcc, v[4:5], v[4:5]
	s_nop 1
	v_cndmask_b32_e32 v2, -1, v2, vcc
	v_cndmask_b32_e32 v6, -1, v6, vcc
	v_and_b32_e32 v7, v6, v39
	v_and_b32_e32 v6, v2, v38
	v_cmp_eq_u64_e32 vcc, v[6:7], v[30:31]
	s_and_b64 exec, exec, vcc
	s_cbranch_execz .LBB46_267
; %bb.272:                              ;   in Loop: Header=BB46_270 Depth=2
	v_mov_b32_e32 v2, v19
	ds_write_b128 v19, v[2:5] offset:3072
	s_branch .LBB46_267
.LBB46_273:                             ;   in Loop: Header=BB46_270 Depth=2
	s_mov_b64 s[52:53], -1
                                        ; implicit-def: $vgpr8_vgpr9
                                        ; implicit-def: $vgpr12
	s_mov_b64 s[50:51], -1
	s_branch .LBB46_269
.LBB46_274:                             ;   in Loop: Header=BB46_32 Depth=1
	s_or_b64 exec, exec, s[46:47]
	s_andn2_b64 s[6:7], s[8:9], exec
	s_and_b64 s[8:9], s[48:49], exec
	v_readlane_b32 s4, v68, 57
	v_readlane_b32 s50, v68, 59
	s_or_b64 s[8:9], s[6:7], s[8:9]
	v_readlane_b32 s5, v68, 58
	v_readlane_b32 s51, v68, 60
.LBB46_275:                             ;   in Loop: Header=BB46_32 Depth=1
	s_or_b64 exec, exec, s[0:1]
	s_mov_b64 s[0:1], 0
	s_mov_b64 s[6:7], -1
.LBB46_276:                             ;   in Loop: Header=BB46_32 Depth=1
	s_orn2_b64 s[44:45], s[8:9], exec
.LBB46_277:                             ;   in Loop: Header=BB46_32 Depth=1
	s_or_b64 exec, exec, s[42:43]
	s_mov_b64 s[42:43], 0
	s_and_saveexec_b64 s[8:9], s[44:45]
	s_cbranch_execz .LBB46_288
; %bb.278:                              ;   in Loop: Header=BB46_32 Depth=1
	s_xor_b64 s[42:43], s[24:25], -1
	v_mov_b64_e32 v[4:5], 1
	v_mov_b32_e32 v18, 1
	s_and_saveexec_b64 s[24:25], s[42:43]
	s_cbranch_execz .LBB46_287
; %bb.279:                              ;   in Loop: Header=BB46_32 Depth=1
	v_cmp_ge_i64_e32 vcc, s[12:13], v[10:11]
	s_and_saveexec_b64 s[42:43], vcc
	s_xor_b64 s[42:43], exec, s[42:43]
	s_cbranch_execz .LBB46_284
; %bb.280:                              ;   in Loop: Header=BB46_32 Depth=1
	ds_read_b64 v[4:5], v19 offset:5120
	v_or_b32_e32 v31, s15, v31
	v_or_b32_e32 v30, s14, v30
	;; [unrolled: 1-line block ×4, first 2 shown]
	s_waitcnt lgkmcnt(0)
	v_cmp_ne_u64_e32 vcc, 0, v[4:5]
	s_cbranch_vccnz .LBB46_284
; %bb.281:                              ;   in Loop: Header=BB46_32 Depth=1
	s_mov_b64 s[14:15], exec
	v_readlane_b32 s44, v68, 32
	v_readlane_b32 s45, v68, 33
	s_and_b64 s[44:45], s[14:15], s[44:45]
	s_mov_b64 exec, s[44:45]
; %bb.282:                              ;   in Loop: Header=BB46_32 Depth=1
	v_mov_b64_e32 v[4:5], s[12:13]
	ds_write_b64 v19, v[4:5] offset:5128
; %bb.283:                              ;   in Loop: Header=BB46_32 Depth=1
	s_or_b64 exec, exec, s[14:15]
	s_waitcnt lgkmcnt(0)
	s_barrier
.LBB46_284:                             ;   in Loop: Header=BB46_32 Depth=1
	s_andn2_saveexec_b64 s[14:15], s[42:43]
; %bb.285:                              ;   in Loop: Header=BB46_32 Depth=1
	v_mov_b32_e32 v2, s13
	v_subrev_co_u32_e32 v10, vcc, s12, v10
	s_nop 1
	v_subb_co_u32_e32 v11, vcc, v11, v2, vcc
; %bb.286:                              ;   in Loop: Header=BB46_32 Depth=1
	s_or_b64 exec, exec, s[14:15]
	v_mov_b32_e32 v18, 8
	v_mov_b64_e32 v[4:5], v[10:11]
.LBB46_287:                             ;   in Loop: Header=BB46_32 Depth=1
	s_or_b64 exec, exec, s[24:25]
	s_mov_b64 s[42:43], exec
	v_mov_b64_e32 v[10:11], v[4:5]
.LBB46_288:                             ;   in Loop: Header=BB46_32 Depth=1
	s_or_b64 exec, exec, s[8:9]
	s_orn2_b64 s[8:9], s[42:43], exec
.LBB46_289:                             ;   in Loop: Header=BB46_32 Depth=1
	s_or_b64 exec, exec, s[22:23]
	s_andn2_b64 s[12:13], s[38:39], exec
	s_and_b64 s[6:7], s[6:7], exec
	s_or_b64 s[38:39], s[12:13], s[6:7]
	s_andn2_b64 s[6:7], s[36:37], exec
	s_and_b64 s[0:1], s[0:1], exec
	s_or_b64 s[36:37], s[6:7], s[0:1]
	s_and_b64 s[6:7], s[8:9], exec
	v_mov_b64_e32 v[8:9], v[10:11]
.LBB46_290:                             ;   in Loop: Header=BB46_32 Depth=1
	s_or_b64 exec, exec, s[40:41]
	s_orn2_b64 s[0:1], s[6:7], exec
.LBB46_291:                             ;   in Loop: Header=BB46_32 Depth=1
	s_or_b64 exec, exec, s[34:35]
	s_andn2_b64 s[6:7], s[26:27], exec
	s_and_b64 s[8:9], s[38:39], exec
	s_or_b64 s[26:27], s[6:7], s[8:9]
	s_andn2_b64 s[2:3], s[2:3], exec
	s_and_b64 s[6:7], s[36:37], exec
	s_or_b64 s[2:3], s[2:3], s[6:7]
	s_and_b64 s[6:7], s[0:1], exec
	v_mov_b64_e32 v[12:13], v[8:9]
.LBB46_292:                             ;   in Loop: Header=BB46_32 Depth=1
	s_or_b64 exec, exec, s[30:31]
	s_orn2_b64 s[0:1], s[6:7], exec
.LBB46_293:                             ;   in Loop: Header=BB46_32 Depth=1
	s_or_b64 exec, exec, s[20:21]
	s_mov_b64 s[6:7], 0
	s_and_saveexec_b64 s[8:9], s[0:1]
	s_xor_b64 s[0:1], exec, s[8:9]
	s_cbranch_execz .LBB46_30
; %bb.294:                              ;   in Loop: Header=BB46_32 Depth=1
	v_and_b32_e32 v2, 7, v18
	v_cmp_eq_u32_e32 vcc, 0, v2
	s_mov_b64 s[8:9], -1
	s_mov_b64 s[6:7], -1
	s_and_saveexec_b64 s[12:13], vcc
	s_cbranch_execz .LBB46_29
; %bb.295:                              ;   in Loop: Header=BB46_32 Depth=1
	s_xor_b32 s98, s98, 1
	s_add_i32 s14, s91, -2
	s_cmp_eq_u32 s91, 0
	s_cselect_b64 s[8:9], -1, 0
	s_xor_b64 s[6:7], exec, -1
	s_orn2_b64 s[8:9], s[8:9], exec
	s_mov_b32 s91, s14
	s_branch .LBB46_29
.LBB46_296:                             ;   in Loop: Header=BB46_32 Depth=1
                                        ; implicit-def: $sgpr8_sgpr9
	s_andn2_b64 vcc, exec, s[46:47]
	s_cbranch_vccz .LBB46_247
	s_branch .LBB46_248
.LBB46_297:                             ;   in Loop: Header=BB46_32 Depth=1
                                        ; implicit-def: $sgpr6_sgpr7
	s_branch .LBB46_264
.LBB46_298:
	s_or_b64 exec, exec, s[10:11]
	s_xor_b64 s[4:5], s[82:83], -1
	s_xor_b64 s[0:1], s[58:59], -1
	;; [unrolled: 1-line block ×3, first 2 shown]
	s_mov_b64 s[2:3], 0
	s_and_saveexec_b64 s[8:9], s[0:1]
	s_xor_b64 s[0:1], exec, s[8:9]
	s_cbranch_execnz .LBB46_303
; %bb.299:
	s_andn2_saveexec_b64 s[0:1], s[0:1]
	s_cbranch_execnz .LBB46_325
.LBB46_300:
	s_or_b64 exec, exec, s[0:1]
	s_and_saveexec_b64 s[0:1], s[2:3]
.LBB46_301:
	; divergent unreachable
.LBB46_302:
	s_endpgm
.LBB46_303:
	s_and_saveexec_b64 s[2:3], s[4:5]
	s_xor_b64 s[4:5], exec, s[2:3]
	s_cbranch_execz .LBB46_323
; %bb.304:
	s_and_saveexec_b64 s[2:3], s[6:7]
	s_xor_b64 s[2:3], exec, s[2:3]
; %bb.305:
	v_lshrrev_b32_e32 v2, 31, v31
	v_mov_b32_e32 v3, 0
	v_lshl_add_u64 v[2:3], v[2:3], 0, -1
	v_or_b32_e32 v3, 0x80000000, v3
	v_xor_b32_e32 v7, v3, v31
	v_xor_b32_e32 v6, v2, v30
; %bb.306:
	s_or_b64 exec, exec, s[2:3]
	s_mov_b64 s[2:3], exec
	v_readlane_b32 s6, v68, 32
	v_readlane_b32 s7, v68, 33
	;; [unrolled: 1-line block ×4, first 2 shown]
	s_and_b64 s[6:7], s[2:3], s[6:7]
	v_readlane_b32 s26, v68, 34
	v_readlane_b32 s29, v68, 25
	;; [unrolled: 1-line block ×6, first 2 shown]
	s_mov_b64 exec, s[6:7]
; %bb.307:
	v_mov_b32_e32 v2, 0
	v_mov_b32_e32 v3, s56
	ds_write_b32 v2, v3 offset:5140
; %bb.308:
	s_or_b64 exec, exec, s[2:3]
	s_waitcnt lgkmcnt(0)
	s_barrier
	s_mov_b64 s[6:7], exec
	v_readlane_b32 s2, v68, 42
	v_readlane_b32 s3, v68, 43
	s_and_b64 s[2:3], s[6:7], s[2:3]
	s_mov_b64 exec, s[2:3]
	s_cbranch_execz .LBB46_320
; %bb.309:
	v_mov_b32_e32 v2, 0
	ds_read_b32 v4, v2 offset:5140
	v_cmp_u_f64_e32 vcc, v[6:7], v[6:7]
	s_mov_b64 s[8:9], 0
	s_xor_b64 s[10:11], vcc, -1
                                        ; implicit-def: $sgpr12_sgpr13
                                        ; implicit-def: $sgpr14_sgpr15
                                        ; implicit-def: $sgpr16_sgpr17
	s_waitcnt lgkmcnt(0)
	v_ashrrev_i32_e32 v5, 31, v4
	s_branch .LBB46_312
.LBB46_310:                             ;   in Loop: Header=BB46_312 Depth=1
	s_or_b64 exec, exec, s[22:23]
	s_andn2_b64 s[16:17], s[16:17], exec
	s_and_b64 s[2:3], s[2:3], exec
	s_or_b64 s[16:17], s[16:17], s[2:3]
	s_andn2_b64 s[2:3], s[14:15], exec
	s_and_b64 s[14:15], s[20:21], exec
	s_or_b64 s[14:15], s[2:3], s[14:15]
.LBB46_311:                             ;   in Loop: Header=BB46_312 Depth=1
	s_or_b64 exec, exec, s[18:19]
	s_and_b64 s[2:3], exec, s[14:15]
	s_or_b64 s[8:9], s[2:3], s[8:9]
	s_andn2_b64 s[2:3], s[12:13], exec
	s_and_b64 s[12:13], s[16:17], exec
	s_or_b64 s[12:13], s[2:3], s[12:13]
	s_andn2_b64 exec, exec, s[8:9]
	s_cbranch_execz .LBB46_315
.LBB46_312:                             ; =>This Inner Loop Header: Depth=1
	v_mov_b64_e32 v[2:3], v[0:1]
	v_cmp_lt_i64_e32 vcc, v[2:3], v[4:5]
	s_or_b64 s[16:17], s[16:17], exec
	s_or_b64 s[14:15], s[14:15], exec
                                        ; implicit-def: $vgpr0_vgpr1
	s_and_saveexec_b64 s[18:19], vcc
	s_cbranch_execz .LBB46_311
; %bb.313:                              ;   in Loop: Header=BB46_312 Depth=1
	global_load_dwordx2 v[0:1], v[16:17], off
	s_mov_b64 s[20:21], -1
	s_waitcnt vmcnt(0)
	v_cmp_o_f64_e64 s[2:3], v[0:1], v[0:1]
	v_cmp_neq_f64_e32 vcc, v[0:1], v[6:7]
	s_or_b64 s[2:3], s[2:3], s[10:11]
	s_and_b64 s[24:25], vcc, s[2:3]
	s_mov_b64 s[2:3], 0
                                        ; implicit-def: $vgpr0_vgpr1
	s_and_saveexec_b64 s[22:23], s[24:25]
	s_cbranch_execz .LBB46_310
; %bb.314:                              ;   in Loop: Header=BB46_312 Depth=1
	v_lshl_add_u64 v[0:1], v[2:3], 0, s[94:95]
	v_cmp_le_i64_e32 vcc, s[56:57], v[0:1]
	s_mov_b64 s[2:3], exec
	v_lshl_add_u64 v[16:17], v[16:17], 0, s[70:71]
	s_orn2_b64 s[20:21], vcc, exec
	s_branch .LBB46_310
.LBB46_315:
	s_or_b64 exec, exec, s[8:9]
	s_xor_b64 s[2:3], s[12:13], -1
	s_and_saveexec_b64 s[8:9], s[2:3]
	s_xor_b64 s[8:9], exec, s[8:9]
	s_cbranch_execz .LBB46_320
; %bb.316:
	s_mov_b64 s[2:3], exec
	s_brev_b32 s8, -2
.LBB46_317:                             ; =>This Inner Loop Header: Depth=1
	s_ff1_i32_b64 s9, s[2:3]
	v_readlane_b32 s12, v2, s9
	s_lshl_b64 s[10:11], 1, s9
	s_min_i32 s8, s8, s12
	s_andn2_b64 s[2:3], s[2:3], s[10:11]
	s_cmp_lg_u64 s[2:3], 0
	s_cbranch_scc1 .LBB46_317
; %bb.318:
	v_mbcnt_lo_u32_b32 v0, exec_lo, 0
	v_mbcnt_hi_u32_b32 v0, exec_hi, v0
	v_cmp_eq_u32_e32 vcc, 0, v0
	s_and_saveexec_b64 s[2:3], vcc
	s_xor_b64 s[2:3], exec, s[2:3]
; %bb.319:
	v_mov_b32_e32 v0, 0
	v_mov_b32_e32 v1, s8
	ds_min_i32 v0, v1 offset:5140
.LBB46_320:
	s_or_b64 exec, exec, s[6:7]
	s_waitcnt lgkmcnt(0)
	s_barrier
	s_mov_b64 s[2:3], exec
	v_readlane_b32 s6, v68, 32
	v_readlane_b32 s7, v68, 33
	s_and_b64 s[6:7], s[2:3], s[6:7]
	s_mov_b64 exec, s[6:7]
	s_cbranch_execz .LBB46_322
; %bb.321:
	s_mul_i32 s6, s34, s31
	s_mul_hi_u32 s7, s34, s30
	s_add_i32 s6, s7, s6
	s_mul_i32 s7, s35, s30
	s_add_i32 s6, s6, s7
	s_mul_i32 s7, s34, s30
	v_readlane_b32 s10, v68, 8
	s_sub_u32 s8, s26, s7
	v_readlane_b32 s11, v68, 9
	s_subb_u32 s6, 0, s6
	s_mul_i32 s7, s8, s11
	s_mul_hi_u32 s9, s8, s10
	v_readlane_b32 s12, v68, 0
	s_add_i32 s7, s9, s7
	s_mul_i32 s6, s6, s10
	v_readlane_b32 s13, v68, 1
	v_readlane_b32 s18, v68, 6
	s_add_i32 s7, s7, s6
	s_mul_i32 s6, s8, s10
	v_readlane_b32 s19, v68, 7
	s_mul_i32 s8, s18, s13
	s_mul_hi_u32 s9, s18, s12
	s_add_i32 s8, s9, s8
	s_mul_i32 s9, s19, s12
	s_add_i32 s8, s8, s9
	s_mul_i32 s9, s18, s12
	v_readlane_b32 s16, v68, 4
	v_readlane_b32 s20, v68, 16
	;; [unrolled: 1-line block ×3, first 2 shown]
	s_sub_u32 s10, s16, s9
	v_readlane_b32 s22, v68, 18
	v_readlane_b32 s23, v68, 19
	s_subb_u32 s8, s17, s8
	s_mul_i32 s9, s10, s23
	s_mul_hi_u32 s11, s10, s22
	v_readlane_b32 s14, v68, 2
	v_readlane_b32 s15, v68, 3
	;; [unrolled: 1-line block ×3, first 2 shown]
	s_add_i32 s9, s11, s9
	s_mul_i32 s8, s8, s22
	s_add_i32 s9, s9, s8
	s_mul_i32 s8, s10, s22
	s_mul_i32 s10, s18, s21
	s_mul_hi_u32 s11, s18, s20
	s_mul_i32 s12, s16, s15
	s_mul_hi_u32 s13, s16, s14
	s_add_i32 s10, s11, s10
	s_mul_i32 s11, s19, s20
	s_add_i32 s12, s13, s12
	s_mul_i32 s13, s17, s14
	s_add_i32 s11, s10, s11
	s_add_i32 s12, s12, s13
	s_mul_i32 s13, s16, s14
	v_readlane_b32 s16, v68, 14
	s_sub_u32 s14, s26, s13
	v_readlane_b32 s17, v68, 15
	s_subb_u32 s12, 0, s12
	s_mul_i32 s13, s14, s17
	s_mul_hi_u32 s15, s14, s16
	s_mul_i32 s10, s18, s20
	s_add_i32 s13, s15, s13
	s_mul_i32 s12, s12, s16
	v_readlane_b32 s18, v68, 20
	s_add_i32 s13, s13, s12
	s_mul_i32 s12, s14, s16
	v_readlane_b32 s19, v68, 21
	s_mul_i32 s14, s18, s29
	s_mul_hi_u32 s15, s18, s28
	s_add_i32 s14, s15, s14
	s_mul_i32 s15, s19, s28
	s_add_i32 s14, s14, s15
	s_mul_i32 s15, s18, s28
	v_readlane_b32 s20, v68, 10
	s_sub_u32 s16, s34, s15
	v_readlane_b32 s22, v68, 12
	v_readlane_b32 s23, v68, 13
	s_subb_u32 s14, s35, s14
	s_mul_i32 s15, s16, s23
	s_mul_hi_u32 s17, s16, s22
	v_readlane_b32 s21, v68, 11
	s_add_i32 s15, s17, s15
	s_mul_i32 s14, s14, s22
	s_add_i32 s15, s15, s14
	s_mul_i32 s14, s16, s22
	s_mul_i32 s16, s18, s21
	s_mul_hi_u32 s17, s18, s20
	s_add_i32 s16, s17, s16
	s_mul_i32 s17, s19, s20
	s_add_i32 s17, s16, s17
	s_mul_i32 s16, s18, s20
	s_lshl_b64 s[10:11], s[10:11], 3
	v_readlane_b32 s18, v68, 30
	v_readlane_b32 s19, v68, 31
	s_add_u32 s10, s18, s10
	s_addc_u32 s11, s19, s11
	s_lshl_b64 s[8:9], s[8:9], 3
	s_add_u32 s10, s10, s8
	s_addc_u32 s11, s11, s9
	s_lshl_b64 s[8:9], s[12:13], 3
	;; [unrolled: 3-line block ×3, first 2 shown]
	v_readlane_b32 s12, v68, 28
	v_mov_b32_e32 v2, 0
	v_readlane_b32 s13, v68, 29
	s_add_u32 s12, s12, s10
	ds_read_b32 v0, v2 offset:5140
	s_addc_u32 s13, s13, s11
	s_lshl_b64 s[10:11], s[14:15], 3
	s_add_u32 s10, s12, s10
	s_addc_u32 s11, s13, s11
	s_lshl_b64 s[6:7], s[6:7], 3
	s_add_u32 s6, s10, s6
	s_addc_u32 s7, s11, s7
	s_waitcnt lgkmcnt(0)
	v_ashrrev_i32_e32 v1, 31, v0
	global_store_dwordx2 v2, v[0:1], s[6:7]
	global_store_dwordx2 v2, v[6:7], s[8:9]
.LBB46_322:
	s_or_b64 exec, exec, s[2:3]
.LBB46_323:
	s_or_saveexec_b64 s[2:3], s[4:5]
	s_mov_b64 s[4:5], 0
	s_xor_b64 exec, exec, s[2:3]
	s_cbranch_execnz .LBB46_326
.LBB46_324:
	s_or_b64 exec, exec, s[2:3]
	s_and_b64 s[2:3], s[4:5], exec
	s_andn2_saveexec_b64 s[0:1], s[0:1]
	s_cbranch_execz .LBB46_300
.LBB46_325:
	s_or_b64 s[2:3], s[2:3], exec
	s_trap 2
	s_or_b64 exec, exec, s[0:1]
	s_and_saveexec_b64 s[0:1], s[2:3]
	s_cbranch_execnz .LBB46_301
	s_branch .LBB46_302
.LBB46_326:
	s_mov_b64 s[4:5], exec
	s_trap 2
	s_branch .LBB46_324
	.section	.rodata,"a",@progbits
	.p2align	6, 0x0
	.amdhsa_kernel _ZN2at6native12_GLOBAL__N_114gatherKthValueIdlLi3EEEvNS_4cuda6detail10TensorInfoIKT_T0_EES8_S8_S8_S8_NS5_IS6_S8_EENS5_IlS8_EE
		.amdhsa_group_segment_fixed_size 5144
		.amdhsa_private_segment_fixed_size 0
		.amdhsa_kernarg_size 1536
		.amdhsa_user_sgpr_count 2
		.amdhsa_user_sgpr_dispatch_ptr 0
		.amdhsa_user_sgpr_queue_ptr 0
		.amdhsa_user_sgpr_kernarg_segment_ptr 1
		.amdhsa_user_sgpr_dispatch_id 0
		.amdhsa_user_sgpr_kernarg_preload_length 0
		.amdhsa_user_sgpr_kernarg_preload_offset 0
		.amdhsa_user_sgpr_private_segment_size 0
		.amdhsa_uses_dynamic_stack 0
		.amdhsa_enable_private_segment 0
		.amdhsa_system_sgpr_workgroup_id_x 1
		.amdhsa_system_sgpr_workgroup_id_y 1
		.amdhsa_system_sgpr_workgroup_id_z 1
		.amdhsa_system_sgpr_workgroup_info 0
		.amdhsa_system_vgpr_workitem_id 0
		.amdhsa_next_free_vgpr 69
		.amdhsa_next_free_sgpr 99
		.amdhsa_accum_offset 72
		.amdhsa_reserve_vcc 1
		.amdhsa_float_round_mode_32 0
		.amdhsa_float_round_mode_16_64 0
		.amdhsa_float_denorm_mode_32 3
		.amdhsa_float_denorm_mode_16_64 3
		.amdhsa_dx10_clamp 1
		.amdhsa_ieee_mode 1
		.amdhsa_fp16_overflow 0
		.amdhsa_tg_split 0
		.amdhsa_exception_fp_ieee_invalid_op 0
		.amdhsa_exception_fp_denorm_src 0
		.amdhsa_exception_fp_ieee_div_zero 0
		.amdhsa_exception_fp_ieee_overflow 0
		.amdhsa_exception_fp_ieee_underflow 0
		.amdhsa_exception_fp_ieee_inexact 0
		.amdhsa_exception_int_div_zero 0
	.end_amdhsa_kernel
	.section	.text._ZN2at6native12_GLOBAL__N_114gatherKthValueIdlLi3EEEvNS_4cuda6detail10TensorInfoIKT_T0_EES8_S8_S8_S8_NS5_IS6_S8_EENS5_IlS8_EE,"axG",@progbits,_ZN2at6native12_GLOBAL__N_114gatherKthValueIdlLi3EEEvNS_4cuda6detail10TensorInfoIKT_T0_EES8_S8_S8_S8_NS5_IS6_S8_EENS5_IlS8_EE,comdat
.Lfunc_end46:
	.size	_ZN2at6native12_GLOBAL__N_114gatherKthValueIdlLi3EEEvNS_4cuda6detail10TensorInfoIKT_T0_EES8_S8_S8_S8_NS5_IS6_S8_EENS5_IlS8_EE, .Lfunc_end46-_ZN2at6native12_GLOBAL__N_114gatherKthValueIdlLi3EEEvNS_4cuda6detail10TensorInfoIKT_T0_EES8_S8_S8_S8_NS5_IS6_S8_EENS5_IlS8_EE
                                        ; -- End function
	.set _ZN2at6native12_GLOBAL__N_114gatherKthValueIdlLi3EEEvNS_4cuda6detail10TensorInfoIKT_T0_EES8_S8_S8_S8_NS5_IS6_S8_EENS5_IlS8_EE.num_vgpr, 69
	.set _ZN2at6native12_GLOBAL__N_114gatherKthValueIdlLi3EEEvNS_4cuda6detail10TensorInfoIKT_T0_EES8_S8_S8_S8_NS5_IS6_S8_EENS5_IlS8_EE.num_agpr, 0
	.set _ZN2at6native12_GLOBAL__N_114gatherKthValueIdlLi3EEEvNS_4cuda6detail10TensorInfoIKT_T0_EES8_S8_S8_S8_NS5_IS6_S8_EENS5_IlS8_EE.numbered_sgpr, 99
	.set _ZN2at6native12_GLOBAL__N_114gatherKthValueIdlLi3EEEvNS_4cuda6detail10TensorInfoIKT_T0_EES8_S8_S8_S8_NS5_IS6_S8_EENS5_IlS8_EE.num_named_barrier, 0
	.set _ZN2at6native12_GLOBAL__N_114gatherKthValueIdlLi3EEEvNS_4cuda6detail10TensorInfoIKT_T0_EES8_S8_S8_S8_NS5_IS6_S8_EENS5_IlS8_EE.private_seg_size, 0
	.set _ZN2at6native12_GLOBAL__N_114gatherKthValueIdlLi3EEEvNS_4cuda6detail10TensorInfoIKT_T0_EES8_S8_S8_S8_NS5_IS6_S8_EENS5_IlS8_EE.uses_vcc, 1
	.set _ZN2at6native12_GLOBAL__N_114gatherKthValueIdlLi3EEEvNS_4cuda6detail10TensorInfoIKT_T0_EES8_S8_S8_S8_NS5_IS6_S8_EENS5_IlS8_EE.uses_flat_scratch, 0
	.set _ZN2at6native12_GLOBAL__N_114gatherKthValueIdlLi3EEEvNS_4cuda6detail10TensorInfoIKT_T0_EES8_S8_S8_S8_NS5_IS6_S8_EENS5_IlS8_EE.has_dyn_sized_stack, 0
	.set _ZN2at6native12_GLOBAL__N_114gatherKthValueIdlLi3EEEvNS_4cuda6detail10TensorInfoIKT_T0_EES8_S8_S8_S8_NS5_IS6_S8_EENS5_IlS8_EE.has_recursion, 0
	.set _ZN2at6native12_GLOBAL__N_114gatherKthValueIdlLi3EEEvNS_4cuda6detail10TensorInfoIKT_T0_EES8_S8_S8_S8_NS5_IS6_S8_EENS5_IlS8_EE.has_indirect_call, 0
	.section	.AMDGPU.csdata,"",@progbits
; Kernel info:
; codeLenInByte = 21612
; TotalNumSgprs: 105
; NumVgprs: 69
; NumAgprs: 0
; TotalNumVgprs: 69
; ScratchSize: 0
; MemoryBound: 0
; FloatMode: 240
; IeeeMode: 1
; LDSByteSize: 5144 bytes/workgroup (compile time only)
; SGPRBlocks: 13
; VGPRBlocks: 8
; NumSGPRsForWavesPerEU: 105
; NumVGPRsForWavesPerEU: 69
; AccumOffset: 72
; Occupancy: 7
; WaveLimiterHint : 1
; COMPUTE_PGM_RSRC2:SCRATCH_EN: 0
; COMPUTE_PGM_RSRC2:USER_SGPR: 2
; COMPUTE_PGM_RSRC2:TRAP_HANDLER: 0
; COMPUTE_PGM_RSRC2:TGID_X_EN: 1
; COMPUTE_PGM_RSRC2:TGID_Y_EN: 1
; COMPUTE_PGM_RSRC2:TGID_Z_EN: 1
; COMPUTE_PGM_RSRC2:TIDIG_COMP_CNT: 0
; COMPUTE_PGM_RSRC3_GFX90A:ACCUM_OFFSET: 17
; COMPUTE_PGM_RSRC3_GFX90A:TG_SPLIT: 0
	.section	.text._ZN2at6native12_GLOBAL__N_114gatherKthValueIdlLin1EEEvNS_4cuda6detail10TensorInfoIKT_T0_EES8_S8_S8_S8_NS5_IS6_S8_EENS5_IlS8_EE,"axG",@progbits,_ZN2at6native12_GLOBAL__N_114gatherKthValueIdlLin1EEEvNS_4cuda6detail10TensorInfoIKT_T0_EES8_S8_S8_S8_NS5_IS6_S8_EENS5_IlS8_EE,comdat
	.globl	_ZN2at6native12_GLOBAL__N_114gatherKthValueIdlLin1EEEvNS_4cuda6detail10TensorInfoIKT_T0_EES8_S8_S8_S8_NS5_IS6_S8_EENS5_IlS8_EE ; -- Begin function _ZN2at6native12_GLOBAL__N_114gatherKthValueIdlLin1EEEvNS_4cuda6detail10TensorInfoIKT_T0_EES8_S8_S8_S8_NS5_IS6_S8_EENS5_IlS8_EE
	.p2align	8
	.type	_ZN2at6native12_GLOBAL__N_114gatherKthValueIdlLin1EEEvNS_4cuda6detail10TensorInfoIKT_T0_EES8_S8_S8_S8_NS5_IS6_S8_EENS5_IlS8_EE,@function
_ZN2at6native12_GLOBAL__N_114gatherKthValueIdlLin1EEEvNS_4cuda6detail10TensorInfoIKT_T0_EES8_S8_S8_S8_NS5_IS6_S8_EENS5_IlS8_EE: ; @_ZN2at6native12_GLOBAL__N_114gatherKthValueIdlLin1EEEvNS_4cuda6detail10TensorInfoIKT_T0_EES8_S8_S8_S8_NS5_IS6_S8_EENS5_IlS8_EE
; %bb.0:
	s_load_dwordx2 s[12:13], s[0:1], 0x500
	s_load_dwordx8 s[56:63], s[0:1], 0x1a0
	s_add_u32 s10, s0, 0x500
	s_addc_u32 s11, s1, 0
	s_mov_b32 s7, 0
	s_waitcnt lgkmcnt(0)
	s_mul_i32 s4, s13, s4
	s_add_i32 s3, s4, s3
	s_mul_i32 s3, s3, s12
	s_add_i32 s6, s3, s2
	v_mov_b64_e32 v[2:3], s[6:7]
	v_cmp_le_i64_e32 vcc, s[60:61], v[2:3]
	s_cbranch_vccnz .LBB47_306
; %bb.1:
	s_load_dword s13, s[0:1], 0x198
	s_mov_b64 s[4:5], 0
	s_mov_b64 s[8:9], s[6:7]
	s_waitcnt lgkmcnt(0)
	s_cmp_lt_i32 s13, 2
	s_cbranch_scc1 .LBB47_9
; %bb.2:
	s_mov_b32 s14, 0
	s_add_i32 s4, s13, -1
	s_mov_b32 s5, s14
	s_add_i32 s3, s13, 1
	s_lshl_b64 s[4:5], s[4:5], 3
	s_add_u32 s4, s0, s4
	s_addc_u32 s5, s1, s5
	s_add_u32 s16, s4, 8
	s_addc_u32 s17, s5, 0
	s_mov_b64 s[4:5], 0
	s_mov_b64 s[18:19], s[6:7]
.LBB47_3:                               ; =>This Inner Loop Header: Depth=1
	s_load_dwordx2 s[20:21], s[16:17], 0x0
	s_waitcnt lgkmcnt(0)
	s_or_b64 s[8:9], s[18:19], s[20:21]
	s_mov_b32 s15, s9
	s_cmp_lg_u64 s[14:15], 0
	s_cbranch_scc0 .LBB47_8
; %bb.4:                                ;   in Loop: Header=BB47_3 Depth=1
	s_ashr_i32 s8, s21, 31
	s_add_u32 s22, s20, s8
	s_mov_b32 s9, s8
	s_addc_u32 s23, s21, s8
	s_xor_b64 s[22:23], s[22:23], s[8:9]
	v_cvt_f32_u32_e32 v1, s22
	v_cvt_f32_u32_e32 v2, s23
	s_sub_u32 s13, 0, s22
	s_subb_u32 s15, 0, s23
	v_fmac_f32_e32 v1, 0x4f800000, v2
	v_rcp_f32_e32 v1, v1
	s_nop 0
	v_mul_f32_e32 v1, 0x5f7ffffc, v1
	v_mul_f32_e32 v2, 0x2f800000, v1
	v_trunc_f32_e32 v2, v2
	v_fmac_f32_e32 v1, 0xcf800000, v2
	v_cvt_u32_f32_e32 v2, v2
	v_cvt_u32_f32_e32 v1, v1
	v_readfirstlane_b32 s26, v2
	v_readfirstlane_b32 s24, v1
	s_mul_i32 s25, s13, s26
	s_mul_hi_u32 s28, s13, s24
	s_mul_i32 s27, s15, s24
	s_add_i32 s25, s28, s25
	s_add_i32 s25, s25, s27
	s_mul_i32 s29, s13, s24
	s_mul_i32 s28, s24, s25
	s_mul_hi_u32 s30, s24, s29
	s_mul_hi_u32 s27, s24, s25
	s_add_u32 s28, s30, s28
	s_addc_u32 s27, 0, s27
	s_mul_hi_u32 s31, s26, s29
	s_mul_i32 s29, s26, s29
	s_add_u32 s28, s28, s29
	s_mul_hi_u32 s30, s26, s25
	s_addc_u32 s27, s27, s31
	s_addc_u32 s28, s30, 0
	s_mul_i32 s25, s26, s25
	s_add_u32 s25, s27, s25
	s_addc_u32 s27, 0, s28
	s_add_u32 s28, s24, s25
	s_cselect_b64 s[24:25], -1, 0
	s_cmp_lg_u64 s[24:25], 0
	s_addc_u32 s26, s26, s27
	s_mul_i32 s24, s13, s26
	s_mul_hi_u32 s25, s13, s28
	s_add_i32 s24, s25, s24
	s_mul_i32 s15, s15, s28
	s_add_i32 s24, s24, s15
	s_mul_i32 s13, s13, s28
	s_mul_hi_u32 s25, s26, s13
	s_mul_i32 s27, s26, s13
	s_mul_i32 s30, s28, s24
	s_mul_hi_u32 s13, s28, s13
	s_mul_hi_u32 s29, s28, s24
	s_add_u32 s13, s13, s30
	s_addc_u32 s29, 0, s29
	s_add_u32 s13, s13, s27
	s_mul_hi_u32 s15, s26, s24
	s_addc_u32 s13, s29, s25
	s_addc_u32 s15, s15, 0
	s_mul_i32 s24, s26, s24
	s_add_u32 s13, s13, s24
	s_addc_u32 s15, 0, s15
	s_add_u32 s13, s28, s13
	s_cselect_b64 s[24:25], -1, 0
	s_cmp_lg_u64 s[24:25], 0
	s_addc_u32 s15, s26, s15
	s_ashr_i32 s24, s19, 31
	s_add_u32 s26, s18, s24
	s_mov_b32 s25, s24
	s_addc_u32 s27, s19, s24
	s_xor_b64 s[26:27], s[26:27], s[24:25]
	s_mul_i32 s29, s26, s15
	s_mul_hi_u32 s30, s26, s13
	s_mul_hi_u32 s28, s26, s15
	s_add_u32 s29, s30, s29
	s_addc_u32 s28, 0, s28
	s_mul_hi_u32 s31, s27, s13
	s_mul_i32 s13, s27, s13
	s_add_u32 s13, s29, s13
	s_mul_hi_u32 s30, s27, s15
	s_addc_u32 s13, s28, s31
	s_addc_u32 s28, s30, 0
	s_mul_i32 s15, s27, s15
	s_add_u32 s13, s13, s15
	s_addc_u32 s15, 0, s28
	s_mul_i32 s28, s22, s15
	s_mul_hi_u32 s29, s22, s13
	s_add_i32 s28, s29, s28
	s_mul_i32 s29, s23, s13
	s_add_i32 s33, s28, s29
	s_sub_i32 s30, s27, s33
	s_mul_i32 s28, s22, s13
	s_sub_u32 s26, s26, s28
	s_cselect_b64 s[28:29], -1, 0
	s_cmp_lg_u64 s[28:29], 0
	s_subb_u32 s34, s30, s23
	s_sub_u32 s35, s26, s22
	s_cselect_b64 s[30:31], -1, 0
	s_cmp_lg_u64 s[30:31], 0
	s_subb_u32 s30, s34, 0
	s_cmp_ge_u32 s30, s23
	s_cselect_b32 s31, -1, 0
	s_cmp_ge_u32 s35, s22
	s_cselect_b32 s34, -1, 0
	s_cmp_eq_u32 s30, s23
	s_cselect_b32 s30, s34, s31
	s_add_u32 s31, s13, 1
	s_addc_u32 s34, s15, 0
	s_add_u32 s35, s13, 2
	s_addc_u32 s36, s15, 0
	s_cmp_lg_u32 s30, 0
	s_cselect_b32 s30, s35, s31
	s_cselect_b32 s31, s36, s34
	s_cmp_lg_u64 s[28:29], 0
	s_subb_u32 s27, s27, s33
	s_cmp_ge_u32 s27, s23
	s_cselect_b32 s28, -1, 0
	s_cmp_ge_u32 s26, s22
	s_cselect_b32 s22, -1, 0
	s_cmp_eq_u32 s27, s23
	s_cselect_b32 s22, s22, s28
	s_cmp_lg_u32 s22, 0
	s_cselect_b32 s23, s31, s15
	s_cselect_b32 s22, s30, s13
	s_xor_b64 s[8:9], s[24:25], s[8:9]
	s_xor_b64 s[22:23], s[22:23], s[8:9]
	s_sub_u32 s8, s22, s8
	s_subb_u32 s9, s23, s9
	s_cbranch_execnz .LBB47_6
.LBB47_5:                               ;   in Loop: Header=BB47_3 Depth=1
	v_cvt_f32_u32_e32 v1, s20
	s_sub_i32 s8, 0, s20
	v_rcp_iflag_f32_e32 v1, v1
	s_nop 0
	v_mul_f32_e32 v1, 0x4f7ffffe, v1
	v_cvt_u32_f32_e32 v1, v1
	s_nop 0
	v_readfirstlane_b32 s9, v1
	s_mul_i32 s8, s8, s9
	s_mul_hi_u32 s8, s9, s8
	s_add_i32 s9, s9, s8
	s_mul_hi_u32 s8, s18, s9
	s_mul_i32 s13, s8, s20
	s_sub_i32 s13, s18, s13
	s_add_i32 s9, s8, 1
	s_sub_i32 s15, s13, s20
	s_cmp_ge_u32 s13, s20
	s_cselect_b32 s8, s9, s8
	s_cselect_b32 s13, s15, s13
	s_add_i32 s9, s8, 1
	s_cmp_ge_u32 s13, s20
	s_cselect_b32 s8, s9, s8
	s_mov_b32 s9, s14
.LBB47_6:                               ;   in Loop: Header=BB47_3 Depth=1
	s_mul_i32 s13, s8, s21
	s_mul_hi_u32 s15, s8, s20
	s_load_dwordx2 s[22:23], s[16:17], 0xc8
	s_add_i32 s13, s15, s13
	s_mul_i32 s15, s9, s20
	s_add_i32 s13, s13, s15
	s_mul_i32 s15, s8, s20
	s_sub_u32 s15, s18, s15
	s_subb_u32 s13, s19, s13
	s_waitcnt lgkmcnt(0)
	s_mul_i32 s13, s22, s13
	s_mul_hi_u32 s18, s22, s15
	s_add_i32 s13, s18, s13
	s_mul_i32 s18, s23, s15
	s_add_i32 s13, s13, s18
	s_mul_i32 s15, s22, s15
	s_add_u32 s4, s15, s4
	s_addc_u32 s5, s13, s5
	s_add_i32 s3, s3, -1
	s_add_u32 s16, s16, -8
	s_addc_u32 s17, s17, -1
	s_cmp_gt_u32 s3, 2
	s_cbranch_scc0 .LBB47_9
; %bb.7:                                ;   in Loop: Header=BB47_3 Depth=1
	s_mov_b64 s[18:19], s[8:9]
	s_branch .LBB47_3
.LBB47_8:                               ;   in Loop: Header=BB47_3 Depth=1
                                        ; implicit-def: $sgpr8_sgpr9
	s_branch .LBB47_5
.LBB47_9:
	s_load_dword s13, s[0:1], 0x358
	s_load_dwordx2 s[14:15], s[0:1], 0xd0
	s_add_u32 s16, s0, 0x1c0
	s_addc_u32 s17, s1, 0
	s_mov_b64 s[54:55], 0
	s_waitcnt lgkmcnt(0)
	s_cmp_lt_i32 s13, 2
	s_mov_b64 s[60:61], s[6:7]
	s_cbranch_scc1 .LBB47_17
; %bb.10:
	s_mov_b32 s18, 0
	s_add_i32 s20, s13, -1
	s_mov_b32 s21, s18
	s_add_i32 s3, s13, 1
	s_lshl_b64 s[20:21], s[20:21], 3
	s_add_u32 s13, s16, s20
	s_addc_u32 s19, s17, s21
	s_add_u32 s20, s13, 8
	s_addc_u32 s21, s19, 0
	s_mov_b64 s[22:23], s[6:7]
.LBB47_11:                              ; =>This Inner Loop Header: Depth=1
	s_load_dwordx2 s[24:25], s[20:21], 0x0
	s_waitcnt lgkmcnt(0)
	s_or_b64 s[26:27], s[22:23], s[24:25]
	s_mov_b32 s19, s27
	s_cmp_lg_u64 s[18:19], 0
	s_cbranch_scc0 .LBB47_16
; %bb.12:                               ;   in Loop: Header=BB47_11 Depth=1
	s_ashr_i32 s26, s25, 31
	s_add_u32 s28, s24, s26
	s_mov_b32 s27, s26
	s_addc_u32 s29, s25, s26
	s_xor_b64 s[28:29], s[28:29], s[26:27]
	v_cvt_f32_u32_e32 v1, s28
	v_cvt_f32_u32_e32 v2, s29
	s_sub_u32 s13, 0, s28
	s_subb_u32 s19, 0, s29
	v_fmac_f32_e32 v1, 0x4f800000, v2
	v_rcp_f32_e32 v1, v1
	s_nop 0
	v_mul_f32_e32 v1, 0x5f7ffffc, v1
	v_mul_f32_e32 v2, 0x2f800000, v1
	v_trunc_f32_e32 v2, v2
	v_fmac_f32_e32 v1, 0xcf800000, v2
	v_cvt_u32_f32_e32 v2, v2
	v_cvt_u32_f32_e32 v1, v1
	v_readfirstlane_b32 s33, v2
	v_readfirstlane_b32 s30, v1
	s_mul_i32 s31, s13, s33
	s_mul_hi_u32 s35, s13, s30
	s_mul_i32 s34, s19, s30
	s_add_i32 s31, s35, s31
	s_add_i32 s31, s31, s34
	s_mul_i32 s36, s13, s30
	s_mul_i32 s35, s30, s31
	s_mul_hi_u32 s37, s30, s36
	s_mul_hi_u32 s34, s30, s31
	s_add_u32 s35, s37, s35
	s_addc_u32 s34, 0, s34
	s_mul_hi_u32 s38, s33, s36
	s_mul_i32 s36, s33, s36
	s_add_u32 s35, s35, s36
	s_mul_hi_u32 s37, s33, s31
	s_addc_u32 s34, s34, s38
	s_addc_u32 s35, s37, 0
	s_mul_i32 s31, s33, s31
	s_add_u32 s31, s34, s31
	s_addc_u32 s34, 0, s35
	s_add_u32 s35, s30, s31
	s_cselect_b64 s[30:31], -1, 0
	s_cmp_lg_u64 s[30:31], 0
	s_addc_u32 s33, s33, s34
	s_mul_i32 s30, s13, s33
	s_mul_hi_u32 s31, s13, s35
	s_add_i32 s30, s31, s30
	s_mul_i32 s19, s19, s35
	s_add_i32 s30, s30, s19
	s_mul_i32 s13, s13, s35
	s_mul_hi_u32 s31, s33, s13
	s_mul_i32 s34, s33, s13
	s_mul_i32 s37, s35, s30
	s_mul_hi_u32 s13, s35, s13
	s_mul_hi_u32 s36, s35, s30
	s_add_u32 s13, s13, s37
	s_addc_u32 s36, 0, s36
	s_add_u32 s13, s13, s34
	s_mul_hi_u32 s19, s33, s30
	s_addc_u32 s13, s36, s31
	s_addc_u32 s19, s19, 0
	s_mul_i32 s30, s33, s30
	s_add_u32 s13, s13, s30
	s_addc_u32 s19, 0, s19
	s_add_u32 s13, s35, s13
	s_cselect_b64 s[30:31], -1, 0
	s_cmp_lg_u64 s[30:31], 0
	s_addc_u32 s19, s33, s19
	s_ashr_i32 s30, s23, 31
	s_add_u32 s34, s22, s30
	s_mov_b32 s31, s30
	s_addc_u32 s35, s23, s30
	s_xor_b64 s[34:35], s[34:35], s[30:31]
	s_mul_i32 s36, s34, s19
	s_mul_hi_u32 s37, s34, s13
	s_mul_hi_u32 s33, s34, s19
	s_add_u32 s36, s37, s36
	s_addc_u32 s33, 0, s33
	s_mul_hi_u32 s38, s35, s13
	s_mul_i32 s13, s35, s13
	s_add_u32 s13, s36, s13
	s_mul_hi_u32 s37, s35, s19
	s_addc_u32 s13, s33, s38
	s_addc_u32 s33, s37, 0
	s_mul_i32 s19, s35, s19
	s_add_u32 s13, s13, s19
	s_addc_u32 s19, 0, s33
	s_mul_i32 s33, s28, s19
	s_mul_hi_u32 s36, s28, s13
	s_add_i32 s33, s36, s33
	s_mul_i32 s36, s29, s13
	s_add_i32 s33, s33, s36
	s_sub_i32 s38, s35, s33
	s_mul_i32 s36, s28, s13
	s_sub_u32 s34, s34, s36
	s_cselect_b64 s[36:37], -1, 0
	s_cmp_lg_u64 s[36:37], 0
	s_subb_u32 s40, s38, s29
	s_sub_u32 s41, s34, s28
	s_cselect_b64 s[38:39], -1, 0
	s_cmp_lg_u64 s[38:39], 0
	s_subb_u32 s38, s40, 0
	s_cmp_ge_u32 s38, s29
	s_cselect_b32 s39, -1, 0
	s_cmp_ge_u32 s41, s28
	s_cselect_b32 s40, -1, 0
	s_cmp_eq_u32 s38, s29
	s_cselect_b32 s38, s40, s39
	s_add_u32 s39, s13, 1
	s_addc_u32 s40, s19, 0
	s_add_u32 s41, s13, 2
	s_addc_u32 s42, s19, 0
	s_cmp_lg_u32 s38, 0
	s_cselect_b32 s38, s41, s39
	s_cselect_b32 s39, s42, s40
	s_cmp_lg_u64 s[36:37], 0
	s_subb_u32 s33, s35, s33
	s_cmp_ge_u32 s33, s29
	s_cselect_b32 s35, -1, 0
	s_cmp_ge_u32 s34, s28
	s_cselect_b32 s28, -1, 0
	s_cmp_eq_u32 s33, s29
	s_cselect_b32 s28, s28, s35
	s_cmp_lg_u32 s28, 0
	s_cselect_b32 s29, s39, s19
	s_cselect_b32 s28, s38, s13
	s_xor_b64 s[26:27], s[30:31], s[26:27]
	s_xor_b64 s[28:29], s[28:29], s[26:27]
	s_sub_u32 s60, s28, s26
	s_subb_u32 s61, s29, s27
	s_cbranch_execnz .LBB47_14
.LBB47_13:                              ;   in Loop: Header=BB47_11 Depth=1
	v_cvt_f32_u32_e32 v1, s24
	s_sub_i32 s13, 0, s24
	s_mov_b32 s61, s18
	v_rcp_iflag_f32_e32 v1, v1
	s_nop 0
	v_mul_f32_e32 v1, 0x4f7ffffe, v1
	v_cvt_u32_f32_e32 v1, v1
	s_nop 0
	v_readfirstlane_b32 s19, v1
	s_mul_i32 s13, s13, s19
	s_mul_hi_u32 s13, s19, s13
	s_add_i32 s19, s19, s13
	s_mul_hi_u32 s13, s22, s19
	s_mul_i32 s26, s13, s24
	s_sub_i32 s26, s22, s26
	s_add_i32 s19, s13, 1
	s_sub_i32 s27, s26, s24
	s_cmp_ge_u32 s26, s24
	s_cselect_b32 s13, s19, s13
	s_cselect_b32 s26, s27, s26
	s_add_i32 s19, s13, 1
	s_cmp_ge_u32 s26, s24
	s_cselect_b32 s60, s19, s13
.LBB47_14:                              ;   in Loop: Header=BB47_11 Depth=1
	s_mul_i32 s13, s60, s25
	s_mul_hi_u32 s19, s60, s24
	s_load_dwordx2 s[26:27], s[20:21], 0xc8
	s_add_i32 s13, s19, s13
	s_mul_i32 s19, s61, s24
	s_add_i32 s13, s13, s19
	s_mul_i32 s19, s60, s24
	s_sub_u32 s19, s22, s19
	s_subb_u32 s13, s23, s13
	s_waitcnt lgkmcnt(0)
	s_mul_i32 s13, s26, s13
	s_mul_hi_u32 s22, s26, s19
	s_add_i32 s13, s22, s13
	s_mul_i32 s22, s27, s19
	s_add_i32 s13, s13, s22
	s_mul_i32 s19, s26, s19
	s_add_u32 s54, s19, s54
	s_addc_u32 s55, s13, s55
	s_add_i32 s3, s3, -1
	s_add_u32 s20, s20, -8
	s_addc_u32 s21, s21, -1
	s_cmp_gt_u32 s3, 2
	s_cbranch_scc0 .LBB47_17
; %bb.15:                               ;   in Loop: Header=BB47_11 Depth=1
	s_mov_b64 s[22:23], s[60:61]
	s_branch .LBB47_11
.LBB47_16:                              ;   in Loop: Header=BB47_11 Depth=1
                                        ; implicit-def: $sgpr60_sgpr61
	s_branch .LBB47_13
.LBB47_17:
	s_load_dword s18, s[0:1], 0x4f8
	s_load_dwordx2 s[20:21], s[16:17], 0xd0
	s_add_u32 s13, s0, 0x360
                                        ; implicit-def: $vgpr76 : SGPR spill to VGPR lane
                                        ; kill: killed $sgpr16 killed $sgpr17
	s_addc_u32 s17, s1, 0
	s_mov_b64 s[64:65], 0
	s_waitcnt lgkmcnt(0)
	s_cmp_lt_i32 s18, 2
	v_writelane_b32 v76, s20, 0
	s_nop 1
	v_writelane_b32 v76, s21, 1
	s_cbranch_scc1 .LBB47_25
; %bb.18:
	s_mov_b32 s16, 0
	s_add_i32 s3, s18, 1
	s_add_i32 s18, s18, -1
	s_mov_b32 s19, s16
	s_lshl_b64 s[18:19], s[18:19], 3
	s_add_u32 s13, s13, s18
	s_addc_u32 s17, s17, s19
	s_add_u32 s18, s13, 8
	s_addc_u32 s19, s17, 0
.LBB47_19:                              ; =>This Inner Loop Header: Depth=1
	s_load_dwordx2 s[20:21], s[18:19], 0x0
	s_waitcnt lgkmcnt(0)
	s_or_b64 s[22:23], s[6:7], s[20:21]
	s_mov_b32 s17, s23
	s_cmp_lg_u64 s[16:17], 0
	s_cbranch_scc0 .LBB47_24
; %bb.20:                               ;   in Loop: Header=BB47_19 Depth=1
	s_ashr_i32 s22, s21, 31
	s_add_u32 s24, s20, s22
	s_mov_b32 s23, s22
	s_addc_u32 s25, s21, s22
	s_xor_b64 s[24:25], s[24:25], s[22:23]
	v_cvt_f32_u32_e32 v1, s24
	v_cvt_f32_u32_e32 v2, s25
	s_sub_u32 s13, 0, s24
	s_subb_u32 s17, 0, s25
	v_fmac_f32_e32 v1, 0x4f800000, v2
	v_rcp_f32_e32 v1, v1
	s_nop 0
	v_mul_f32_e32 v1, 0x5f7ffffc, v1
	v_mul_f32_e32 v2, 0x2f800000, v1
	v_trunc_f32_e32 v2, v2
	v_fmac_f32_e32 v1, 0xcf800000, v2
	v_cvt_u32_f32_e32 v2, v2
	v_cvt_u32_f32_e32 v1, v1
	v_readfirstlane_b32 s28, v2
	v_readfirstlane_b32 s26, v1
	s_mul_i32 s27, s13, s28
	s_mul_hi_u32 s30, s13, s26
	s_mul_i32 s29, s17, s26
	s_add_i32 s27, s30, s27
	s_add_i32 s27, s27, s29
	s_mul_i32 s31, s13, s26
	s_mul_i32 s30, s26, s27
	s_mul_hi_u32 s33, s26, s31
	s_mul_hi_u32 s29, s26, s27
	s_add_u32 s30, s33, s30
	s_addc_u32 s29, 0, s29
	s_mul_hi_u32 s34, s28, s31
	s_mul_i32 s31, s28, s31
	s_add_u32 s30, s30, s31
	s_mul_hi_u32 s33, s28, s27
	s_addc_u32 s29, s29, s34
	s_addc_u32 s30, s33, 0
	s_mul_i32 s27, s28, s27
	s_add_u32 s27, s29, s27
	s_addc_u32 s29, 0, s30
	s_add_u32 s30, s26, s27
	s_cselect_b64 s[26:27], -1, 0
	s_cmp_lg_u64 s[26:27], 0
	s_addc_u32 s28, s28, s29
	s_mul_i32 s26, s13, s28
	s_mul_hi_u32 s27, s13, s30
	s_add_i32 s26, s27, s26
	s_mul_i32 s17, s17, s30
	s_add_i32 s26, s26, s17
	s_mul_i32 s13, s13, s30
	s_mul_hi_u32 s27, s28, s13
	s_mul_i32 s29, s28, s13
	s_mul_i32 s33, s30, s26
	s_mul_hi_u32 s13, s30, s13
	s_mul_hi_u32 s31, s30, s26
	s_add_u32 s13, s13, s33
	s_addc_u32 s31, 0, s31
	s_add_u32 s13, s13, s29
	s_mul_hi_u32 s17, s28, s26
	s_addc_u32 s13, s31, s27
	s_addc_u32 s17, s17, 0
	s_mul_i32 s26, s28, s26
	s_add_u32 s13, s13, s26
	s_addc_u32 s17, 0, s17
	s_add_u32 s13, s30, s13
	s_cselect_b64 s[26:27], -1, 0
	s_cmp_lg_u64 s[26:27], 0
	s_addc_u32 s17, s28, s17
	s_ashr_i32 s26, s7, 31
	s_add_u32 s28, s6, s26
	s_mov_b32 s27, s26
	s_addc_u32 s29, s7, s26
	s_xor_b64 s[28:29], s[28:29], s[26:27]
	s_mul_i32 s31, s28, s17
	s_mul_hi_u32 s33, s28, s13
	s_mul_hi_u32 s30, s28, s17
	s_add_u32 s31, s33, s31
	s_addc_u32 s30, 0, s30
	s_mul_hi_u32 s34, s29, s13
	s_mul_i32 s13, s29, s13
	s_add_u32 s13, s31, s13
	s_mul_hi_u32 s33, s29, s17
	s_addc_u32 s13, s30, s34
	s_addc_u32 s30, s33, 0
	s_mul_i32 s17, s29, s17
	s_add_u32 s13, s13, s17
	s_addc_u32 s17, 0, s30
	s_mul_i32 s30, s24, s17
	s_mul_hi_u32 s31, s24, s13
	s_add_i32 s30, s31, s30
	s_mul_i32 s31, s25, s13
	s_add_i32 s33, s30, s31
	s_sub_i32 s34, s29, s33
	s_mul_i32 s30, s24, s13
	s_sub_u32 s28, s28, s30
	s_cselect_b64 s[30:31], -1, 0
	s_cmp_lg_u64 s[30:31], 0
	s_subb_u32 s36, s34, s25
	s_sub_u32 s37, s28, s24
	s_cselect_b64 s[34:35], -1, 0
	s_cmp_lg_u64 s[34:35], 0
	s_subb_u32 s34, s36, 0
	s_cmp_ge_u32 s34, s25
	s_cselect_b32 s35, -1, 0
	s_cmp_ge_u32 s37, s24
	s_cselect_b32 s36, -1, 0
	s_cmp_eq_u32 s34, s25
	s_cselect_b32 s34, s36, s35
	s_add_u32 s35, s13, 1
	s_addc_u32 s36, s17, 0
	s_add_u32 s37, s13, 2
	s_addc_u32 s38, s17, 0
	s_cmp_lg_u32 s34, 0
	s_cselect_b32 s34, s37, s35
	s_cselect_b32 s35, s38, s36
	s_cmp_lg_u64 s[30:31], 0
	s_subb_u32 s29, s29, s33
	s_cmp_ge_u32 s29, s25
	s_cselect_b32 s30, -1, 0
	s_cmp_ge_u32 s28, s24
	s_cselect_b32 s24, -1, 0
	s_cmp_eq_u32 s29, s25
	s_cselect_b32 s24, s24, s30
	s_cmp_lg_u32 s24, 0
	s_cselect_b32 s25, s35, s17
	s_cselect_b32 s24, s34, s13
	s_xor_b64 s[22:23], s[26:27], s[22:23]
	s_xor_b64 s[24:25], s[24:25], s[22:23]
	s_sub_u32 s68, s24, s22
	s_subb_u32 s69, s25, s23
	s_cbranch_execnz .LBB47_22
.LBB47_21:                              ;   in Loop: Header=BB47_19 Depth=1
	v_cvt_f32_u32_e32 v1, s20
	s_sub_i32 s13, 0, s20
	s_mov_b32 s69, s16
	v_rcp_iflag_f32_e32 v1, v1
	s_nop 0
	v_mul_f32_e32 v1, 0x4f7ffffe, v1
	v_cvt_u32_f32_e32 v1, v1
	s_nop 0
	v_readfirstlane_b32 s17, v1
	s_mul_i32 s13, s13, s17
	s_mul_hi_u32 s13, s17, s13
	s_add_i32 s17, s17, s13
	s_mul_hi_u32 s13, s6, s17
	s_mul_i32 s22, s13, s20
	s_sub_i32 s22, s6, s22
	s_add_i32 s17, s13, 1
	s_sub_i32 s23, s22, s20
	s_cmp_ge_u32 s22, s20
	s_cselect_b32 s13, s17, s13
	s_cselect_b32 s22, s23, s22
	s_add_i32 s17, s13, 1
	s_cmp_ge_u32 s22, s20
	s_cselect_b32 s68, s17, s13
.LBB47_22:                              ;   in Loop: Header=BB47_19 Depth=1
	s_mul_i32 s13, s68, s21
	s_mul_hi_u32 s17, s68, s20
	s_load_dwordx2 s[22:23], s[18:19], 0xc8
	s_add_i32 s13, s17, s13
	s_mul_i32 s17, s69, s20
	s_add_i32 s13, s13, s17
	s_mul_i32 s17, s68, s20
	s_sub_u32 s6, s6, s17
	s_subb_u32 s7, s7, s13
	s_waitcnt lgkmcnt(0)
	s_mul_i32 s7, s22, s7
	s_mul_hi_u32 s13, s22, s6
	s_add_i32 s7, s13, s7
	s_mul_i32 s13, s23, s6
	s_add_i32 s7, s7, s13
	s_mul_i32 s6, s22, s6
	s_add_u32 s64, s6, s64
	s_addc_u32 s65, s7, s65
	s_add_i32 s3, s3, -1
	s_add_u32 s18, s18, -8
	s_addc_u32 s19, s19, -1
	s_cmp_gt_u32 s3, 2
	s_cbranch_scc0 .LBB47_26
; %bb.23:                               ;   in Loop: Header=BB47_19 Depth=1
	s_mov_b64 s[6:7], s[68:69]
	s_branch .LBB47_19
.LBB47_24:                              ;   in Loop: Header=BB47_19 Depth=1
                                        ; implicit-def: $sgpr68_sgpr69
	s_branch .LBB47_21
.LBB47_25:
	s_mov_b64 s[68:69], s[6:7]
.LBB47_26:
	s_load_dwordx2 s[6:7], s[0:1], 0x430
	s_mov_b32 s79, 0
                                        ; kill: killed $sgpr0 killed $sgpr1
	s_waitcnt lgkmcnt(0)
	v_writelane_b32 v76, s6, 2
	s_nop 1
	v_writelane_b32 v76, s7, 3
	s_load_dwordx2 s[16:17], s[0:1], 0x0
	s_load_dwordx2 s[6:7], s[0:1], 0x1c0
	s_waitcnt lgkmcnt(0)
	v_writelane_b32 v76, s6, 4
	s_nop 1
	v_writelane_b32 v76, s7, 5
	s_load_dwordx2 s[6:7], s[0:1], 0x360
	s_waitcnt lgkmcnt(0)
	v_writelane_b32 v76, s6, 6
	s_nop 1
	v_writelane_b32 v76, s7, 7
	v_cmp_eq_u32_e64 s[6:7], 0, v0
	s_mov_b64 s[0:1], exec
	s_nop 0
	v_writelane_b32 v76, s6, 8
	s_nop 1
	v_writelane_b32 v76, s7, 9
	s_and_b64 s[6:7], s[0:1], s[6:7]
	s_mov_b64 exec, s[6:7]
	s_cbranch_execz .LBB47_28
; %bb.27:
	v_mov_b32_e32 v2, 0
	v_mov_b32_e32 v4, s56
	;; [unrolled: 1-line block ×4, first 2 shown]
	ds_write_b32 v2, v2 offset:5136
	ds_write_b128 v2, v[2:5] offset:5120
.LBB47_28:
	s_or_b64 exec, exec, s[0:1]
	s_mul_i32 s0, s14, s9
	s_mul_hi_u32 s1, s14, s8
	s_add_i32 s0, s1, s0
	s_mul_i32 s1, s15, s8
	s_add_i32 s1, s0, s1
	s_mul_i32 s0, s14, s8
	s_lshl_b64 s[0:1], s[0:1], 3
	s_add_u32 s8, s16, s0
	s_addc_u32 s9, s17, s1
	s_lshl_b64 s[82:83], s[4:5], 3
	v_cmp_gt_u32_e64 s[4:5], 2, v0
	v_mov_b64_e32 v[2:3], 0x180
	v_mbcnt_lo_u32_b32 v1, -1, 0
	v_writelane_b32 v76, s4, 10
	v_mov_b32_e32 v19, 0
	v_mbcnt_hi_u32_b32 v56, -1, v1
	v_writelane_b32 v76, s5, 11
	v_cmp_gt_i64_e64 s[4:5], s[56:57], v[2:3]
	v_mov_b32_e32 v1, v19
	s_waitcnt lgkmcnt(0)
	v_writelane_b32 v76, s4, 12
	s_barrier
	s_nop 0
	v_writelane_b32 v76, s5, 13
	v_cmp_gt_u64_e64 s[4:5], s[56:57], v[0:1]
	s_load_dword s3, s[10:11], 0xc
	s_add_u32 s14, s8, s82
	v_writelane_b32 v76, s4, 14
	s_addc_u32 s15, s9, s83
	v_cmp_gt_u32_e32 vcc, 64, v0
	v_writelane_b32 v76, s5, 15
	v_mad_u64_u32 v[2:3], s[4:5], s62, v0, 0
	v_mov_b32_e32 v4, v3
	v_cmp_gt_i32_e64 s[6:7], 4, v56
	v_mad_u64_u32 v[4:5], s[4:5], s63, v0, v[4:5]
	v_writelane_b32 v76, s14, 16
	s_and_b64 s[86:87], vcc, s[6:7]
	v_cmp_gt_i64_e64 s[4:5], s[56:57], v[0:1]
	v_writelane_b32 v76, s15, 17
	s_waitcnt lgkmcnt(0)
	s_and_b32 s76, s3, 0xffff
	s_bfe_u32 s3, s3, 0xa0006
	v_writelane_b32 v76, s4, 18
	s_cmp_gt_u32 s76, 63
	v_lshlrev_b32_e32 v6, 2, v56
	v_writelane_b32 v76, s5, 19
	s_cselect_b64 s[4:5], -1, 0
	v_writelane_b32 v76, s4, 20
	v_and_b32_e32 v59, 0x100, v6
	v_lshlrev_b64 v[6:7], v56, -1
	v_writelane_b32 v76, s5, 21
	s_add_u32 s4, s76, -1
	s_addc_u32 s5, 0, -1
	v_writelane_b32 v76, s4, 22
	s_add_u32 s4, s4, s56
	s_addc_u32 s91, s5, s57
	s_cmp_lt_u32 s2, s12
	s_cselect_b32 s2, 12, 18
	s_add_u32 s70, s10, s2
	s_addc_u32 s71, s11, 0
	s_add_i32 s2, s3, -1
	v_writelane_b32 v76, s4, 23
	s_bfe_u32 s4, s76, 0x30006
	s_and_b32 s2, s2, 0xffff
	s_cmp_gt_u32 s2, 6
	v_writelane_b32 v76, s5, 24
	s_cselect_b64 s[6:7], -1, 0
	v_writelane_b32 v76, s6, 25
	s_and_b32 s33, s3, 0x3f8
	s_cmp_lg_u32 s4, 0
	v_writelane_b32 v76, s7, 26
	v_writelane_b32 v76, s4, 27
	s_cselect_b64 s[2:3], -1, 0
	v_writelane_b32 v76, s2, 28
	v_not_b32_e32 v24, v6
	v_lshrrev_b32_e32 v6, 1, v0
	v_writelane_b32 v76, s3, 29
	s_add_u32 s2, s0, s82
	s_addc_u32 s3, s1, s83
	s_add_u32 s2, s16, s2
	s_addc_u32 s3, s17, s3
	v_writelane_b32 v76, s2, 30
	v_and_b32_e32 v6, 0x1e0, v6
	v_lshlrev_b32_e32 v61, 5, v0
	v_writelane_b32 v76, s3, 31
	s_lshl_b64 s[2:3], s[62:63], 3
	v_not_b32_e32 v25, v7
	v_or_b32_e32 v60, 0xc00, v6
	v_writelane_b32 v76, s2, 32
	v_or_b32_e32 v9, 24, v61
	v_mov_b64_e32 v[6:7], s[8:9]
	v_writelane_b32 v76, s3, 33
	v_mad_u64_u32 v[26:27], s[2:3], s62, v9, v[6:7]
	v_mov_b32_e32 v8, v27
	v_mad_u64_u32 v[8:9], s[2:3], s63, v9, v[8:9]
	s_lshl_b64 s[2:3], s[62:63], 5
	s_nop 0
	v_writelane_b32 v76, s2, 34
	v_or_b32_e32 v9, 16, v61
	v_mov_b32_e32 v27, v8
	v_writelane_b32 v76, s3, 35
	v_mad_u64_u32 v[28:29], s[2:3], s62, v9, v[6:7]
	v_mov_b32_e32 v8, v29
	v_mad_u64_u32 v[8:9], s[2:3], s63, v9, v[8:9]
	v_mov_b32_e32 v29, v8
	v_or_b32_e32 v8, 8, v61
	v_mad_u64_u32 v[32:33], s[2:3], s62, v8, v[6:7]
	v_mov_b32_e32 v6, v33
	v_mad_u64_u32 v[6:7], s[2:3], s63, v8, v[6:7]
	s_add_u32 s2, s16, s82
	s_addc_u32 s3, s17, s83
	v_mov_b32_e32 v3, v4
	s_add_u32 s0, s2, s0
	v_lshlrev_b64 v[4:5], 3, v[2:3]
	s_addc_u32 s1, s3, s1
	v_lshl_add_u64 v[16:17], s[0:1], 0, v[4:5]
	s_mul_i32 s0, s63, s76
	s_mul_hi_u32 s1, s62, s76
	s_add_i32 s1, s1, s0
	s_mul_i32 s0, s62, s76
	s_lshl_b64 s[80:81], s[0:1], 3
	v_writelane_b32 v76, s80, 36
	v_lshlrev_b64 v[2:3], 5, v[2:3]
	v_lshlrev_b32_e32 v57, 3, v0
	v_writelane_b32 v76, s81, 37
	v_writelane_b32 v76, s86, 38
	v_lshl_add_u64 v[34:35], s[8:9], 0, v[2:3]
	v_mov_b32_e32 v2, 0xc00
	v_writelane_b32 v76, s87, 39
	v_writelane_b32 v76, s70, 40
	v_cmp_eq_u32_e64 s[92:93], 0, v56
	v_add_u32_e32 v58, 0xc00, v57
	v_lshl_add_u64 v[20:21], s[14:15], 0, v[4:5]
	v_lshlrev_b32_e32 v22, 2, v0
	v_mov_b32_e32 v23, v19
	s_mov_b32 s77, s79
	v_mov_b32_e32 v33, v6
	v_lshl_add_u64 v[36:37], s[56:57], 0, v[0:1]
	v_lshl_or_b32 v62, v56, 3, v2
	s_lshl_b32 s90, s76, 3
	s_mov_b32 s5, 62
	v_mov_b64_e32 v[6:7], 0
	s_mov_b64 s[66:67], 0
	v_mov_b64_e32 v[40:41], s[58:59]
	v_mov_b64_e32 v[30:31], 0
	;; [unrolled: 1-line block ×4, first 2 shown]
	v_mov_b32_e32 v3, 0x3ff00000
	v_mov_b32_e32 v66, v19
	;; [unrolled: 1-line block ×3, first 2 shown]
	s_mov_b32 s4, 0
	v_writelane_b32 v76, s71, 41
                                        ; implicit-def: $sgpr58_sgpr59
                                        ; implicit-def: $sgpr10_sgpr11
                                        ; implicit-def: $sgpr74_sgpr75
                                        ; implicit-def: $sgpr96_sgpr97
                                        ; implicit-def: $sgpr28_sgpr29
                                        ; implicit-def: $sgpr94_sgpr95
	v_writelane_b32 v76, s90, 42
	s_branch .LBB47_32
.LBB47_29:                              ;   in Loop: Header=BB47_32 Depth=1
	s_or_b64 exec, exec, s[12:13]
	s_and_b64 s[6:7], s[6:7], exec
	s_andn2_b64 s[26:27], s[26:27], exec
	s_andn2_b64 s[2:3], s[2:3], exec
	s_orn2_b64 s[18:19], s[8:9], exec
.LBB47_30:                              ;   in Loop: Header=BB47_32 Depth=1
	s_or_b64 exec, exec, s[0:1]
	s_andn2_b64 s[0:1], s[94:95], exec
	s_and_b64 s[6:7], s[6:7], exec
	s_or_b64 s[94:95], s[0:1], s[6:7]
	s_andn2_b64 s[0:1], s[28:29], exec
	s_and_b64 s[6:7], s[26:27], exec
	s_or_b64 s[28:29], s[0:1], s[6:7]
	;; [unrolled: 3-line block ×3, first 2 shown]
	s_orn2_b64 s[2:3], s[18:19], exec
.LBB47_31:                              ;   in Loop: Header=BB47_32 Depth=1
	s_or_b64 exec, exec, s[16:17]
	s_and_b64 s[0:1], exec, s[2:3]
	s_or_b64 s[66:67], s[0:1], s[66:67]
	s_andn2_b64 s[0:1], s[74:75], exec
	s_and_b64 s[2:3], s[94:95], exec
	s_or_b64 s[74:75], s[0:1], s[2:3]
	s_andn2_b64 s[0:1], s[10:11], exec
	s_and_b64 s[2:3], s[28:29], exec
	s_or_b64 s[10:11], s[0:1], s[2:3]
	s_andn2_b64 s[0:1], s[58:59], exec
	s_and_b64 s[2:3], s[96:97], exec
	s_or_b64 s[58:59], s[0:1], s[2:3]
	v_mov_b64_e32 v[40:41], v[12:13]
	s_andn2_b64 exec, exec, s[66:67]
	s_cbranch_execz .LBB47_302
.LBB47_32:                              ; =>This Loop Header: Depth=1
                                        ;     Child Loop BB47_38 Depth 2
                                        ;     Child Loop BB47_51 Depth 2
	;; [unrolled: 1-line block ×16, first 2 shown]
	ds_read_b128 v[8:11], v19 offset:5120
	s_waitcnt lgkmcnt(0)
	v_readfirstlane_b32 s85, v9
	v_readfirstlane_b32 s84, v8
	s_nop 1
	v_cmp_gt_i64_e64 s[0:1], s[84:85], 0
	s_and_b64 vcc, exec, s[0:1]
	s_cbranch_vccnz .LBB47_59
; %bb.33:                               ;   in Loop: Header=BB47_32 Depth=1
	v_readlane_b32 s0, v76, 12
	v_readlane_b32 s1, v76, 13
	s_and_b64 vcc, exec, s[0:1]
	s_cbranch_vccz .LBB47_46
; %bb.34:                               ;   in Loop: Header=BB47_32 Depth=1
	s_mov_b64 s[0:1], 0x181
	v_cmp_gt_i64_e32 vcc, s[0:1], v[10:11]
	s_mov_b64 s[0:1], 0
	s_mov_b64 s[2:3], 0
	s_cbranch_vccz .LBB47_47
; %bb.35:                               ;   in Loop: Header=BB47_32 Depth=1
	s_mov_b64 s[6:7], exec
	v_readlane_b32 s2, v76, 14
	v_readlane_b32 s3, v76, 15
	s_and_b64 s[2:3], s[6:7], s[2:3]
	s_mov_b64 exec, s[2:3]
	s_cbranch_execz .LBB47_93
; %bb.36:                               ;   in Loop: Header=BB47_32 Depth=1
	global_load_ushort v2, v19, s[70:71]
	global_load_dwordx2 v[4:5], v[20:21], off
	v_readlane_b32 s2, v76, 30
	v_readlane_b32 s3, v76, 31
	;; [unrolled: 1-line block ×4, first 2 shown]
	v_mov_b64_e32 v[8:9], s[2:3]
	s_mov_b64 s[8:9], 0
	s_waitcnt vmcnt(1)
	v_readfirstlane_b32 s2, v2
	s_and_b32 s2, 0xffff, s2
	s_nop 0
	v_add_u32_e32 v10, s2, v0
	s_mul_i32 s12, s17, s2
	s_mul_hi_u32 s13, s16, s2
	s_mul_i32 s14, s16, s2
	v_mad_u64_u32 v[8:9], s[2:3], s16, v10, v[8:9]
	v_and_b32_e32 v18, 0xffff, v2
	v_mov_b32_e32 v2, v9
	v_mad_u64_u32 v[10:11], s[2:3], s17, v10, v[2:3]
	s_add_i32 s15, s13, s12
	v_mov_b32_e32 v9, v10
	v_mov_b64_e32 v[10:11], v[0:1]
	s_branch .LBB47_38
.LBB47_37:                              ;   in Loop: Header=BB47_38 Depth=2
	s_or_b64 exec, exec, s[2:3]
	v_lshl_add_u64 v[8:9], v[8:9], 0, s[14:15]
	v_mov_b64_e32 v[4:5], v[12:13]
	s_andn2_b64 exec, exec, s[8:9]
	s_cbranch_execz .LBB47_93
.LBB47_38:                              ;   Parent Loop BB47_32 Depth=1
                                        ; =>  This Inner Loop Header: Depth=2
	v_lshl_add_u64 v[10:11], v[10:11], 0, v[18:19]
	v_cmp_gt_i64_e64 s[2:3], s[56:57], v[10:11]
	v_cmp_le_i64_e32 vcc, s[56:57], v[10:11]
	v_mov_b64_e32 v[12:13], 0
	s_and_saveexec_b64 s[12:13], s[2:3]
	s_cbranch_execz .LBB47_40
; %bb.39:                               ;   in Loop: Header=BB47_38 Depth=2
	global_load_dwordx2 v[12:13], v[8:9], off
.LBB47_40:                              ;   in Loop: Header=BB47_38 Depth=2
	s_or_b64 exec, exec, s[12:13]
	s_waitcnt vmcnt(0) lgkmcnt(0)
	v_ashrrev_i32_e32 v2, 31, v5
	v_or_b32_e32 v14, 0x80000000, v2
	v_xor_b32_e32 v14, v14, v5
	v_xor_b32_e32 v2, v2, v4
	v_cmp_o_f64_e64 s[2:3], v[4:5], v[4:5]
	s_nop 1
	v_cndmask_b32_e64 v14, -1, v14, s[2:3]
	v_cndmask_b32_e64 v2, -1, v2, s[2:3]
	v_and_b32_e32 v15, v14, v39
	v_and_b32_e32 v14, v2, v38
	v_cmp_eq_u64_e64 s[12:13], v[14:15], v[30:31]
	s_cmp_lg_u64 s[12:13], 0
	s_cselect_b64 s[2:3], -1, 0
	s_and_b64 s[2:3], s[92:93], s[2:3]
	v_mov_b32_e32 v2, 0
	s_and_saveexec_b64 s[16:17], s[2:3]
	s_cbranch_execz .LBB47_44
; %bb.41:                               ;   in Loop: Header=BB47_38 Depth=2
	s_mov_b64 s[20:21], exec
	v_mbcnt_lo_u32_b32 v2, s20, 0
	v_mbcnt_hi_u32_b32 v2, s21, v2
	s_bcnt1_i32_b64 s22, s[12:13]
	v_cmp_eq_u32_e64 s[2:3], 0, v2
                                        ; implicit-def: $vgpr14
	s_and_saveexec_b64 s[18:19], s[2:3]
; %bb.42:                               ;   in Loop: Header=BB47_38 Depth=2
	s_bcnt1_i32_b64 s2, s[20:21]
	s_mul_i32 s2, s22, s2
	v_mov_b32_e32 v14, s2
	ds_add_rtn_u32 v14, v19, v14 offset:5136
; %bb.43:                               ;   in Loop: Header=BB47_38 Depth=2
	s_or_b64 exec, exec, s[18:19]
	s_waitcnt lgkmcnt(0)
	v_readfirstlane_b32 s2, v14
	s_nop 1
	v_mov_b32_e32 v14, s2
	v_mad_u32_u24 v2, s22, v2, v14
.LBB47_44:                              ;   in Loop: Header=BB47_38 Depth=2
	s_or_b64 exec, exec, s[16:17]
	ds_bpermute_b32 v2, v59, v2
	s_and_b64 s[2:3], exec, vcc
	s_or_b64 s[8:9], s[2:3], s[8:9]
	s_and_saveexec_b64 s[2:3], s[12:13]
	s_cbranch_execz .LBB47_37
; %bb.45:                               ;   in Loop: Header=BB47_38 Depth=2
	v_and_b32_e32 v15, s12, v24
	v_and_b32_e32 v14, s13, v25
	v_bcnt_u32_b32 v15, v15, 0
	v_bcnt_u32_b32 v14, v14, v15
	v_lshlrev_b32_e32 v14, 3, v14
	s_waitcnt lgkmcnt(0)
	v_lshl_add_u32 v2, v2, 3, v14
	ds_write_b64 v2, v[4:5]
	s_branch .LBB47_37
.LBB47_46:                              ;   in Loop: Header=BB47_32 Depth=1
	s_mov_b64 s[0:1], -1
	s_mov_b64 s[2:3], 0
.LBB47_47:                              ;   in Loop: Header=BB47_32 Depth=1
	s_and_b64 vcc, exec, s[0:1]
	s_cbranch_vccz .LBB47_57
.LBB47_48:                              ;   in Loop: Header=BB47_32 Depth=1
	s_mov_b64 s[0:1], exec
	v_readlane_b32 s2, v76, 18
	v_readlane_b32 s3, v76, 19
	s_and_b64 s[2:3], s[0:1], s[2:3]
	s_mov_b64 exec, s[2:3]
	s_cbranch_execz .LBB47_54
; %bb.49:                               ;   in Loop: Header=BB47_32 Depth=1
	global_load_ushort v2, v19, s[70:71]
	global_load_dwordx2 v[4:5], v[20:21], off
	s_waitcnt vmcnt(1)
	v_add_u32_sdwa v18, v2, v0 dst_sel:DWORD dst_unused:UNUSED_PAD src0_sel:WORD_0 src1_sel:DWORD
	v_readfirstlane_b32 s6, v2
	v_cmp_gt_i64_e32 vcc, s[56:57], v[18:19]
	v_mov_b32_e32 v2, v0
	s_and_saveexec_b64 s[2:3], vcc
	s_cbranch_execz .LBB47_53
; %bb.50:                               ;   in Loop: Header=BB47_32 Depth=1
	s_and_b32 s78, s6, 0xffff
	v_readlane_b32 s6, v76, 30
	v_readlane_b32 s7, v76, 31
	;; [unrolled: 1-line block ×4, first 2 shown]
	v_mov_b64_e32 v[8:9], s[6:7]
	v_mad_u64_u32 v[8:9], s[6:7], s8, v18, v[8:9]
	v_mov_b32_e32 v2, v9
	v_mad_u64_u32 v[10:11], s[6:7], s9, v18, v[2:3]
	s_mul_i32 s6, s9, s78
	s_mul_hi_u32 s7, s8, s78
	v_mov_b32_e32 v9, v10
	s_add_i32 s7, s7, s6
	s_mul_i32 s6, s8, s78
	s_mov_b64 s[8:9], 0
	v_mov_b64_e32 v[12:13], v[18:19]
	v_mov_b64_e32 v[14:15], v[0:1]
.LBB47_51:                              ;   Parent Loop BB47_32 Depth=1
                                        ; =>  This Inner Loop Header: Depth=2
	global_load_dwordx2 v[10:11], v[8:9], off
	v_mov_b64_e32 v[42:43], v[12:13]
	v_lshl_add_u64 v[12:13], v[42:43], 0, s[78:79]
	v_lshlrev_b32_e32 v2, 3, v14
	v_cmp_le_i64_e32 vcc, s[56:57], v[12:13]
	v_lshl_add_u64 v[8:9], v[8:9], 0, s[6:7]
	s_waitcnt vmcnt(1)
	ds_write_b64 v2, v[4:5]
	v_mov_b64_e32 v[14:15], v[42:43]
	s_or_b64 s[8:9], vcc, s[8:9]
	s_waitcnt vmcnt(0)
	v_mov_b64_e32 v[4:5], v[10:11]
	s_andn2_b64 exec, exec, s[8:9]
	s_cbranch_execnz .LBB47_51
; %bb.52:                               ;   in Loop: Header=BB47_32 Depth=1
	s_or_b64 exec, exec, s[8:9]
	v_subrev_u32_e32 v2, s78, v12
	v_mov_b64_e32 v[4:5], v[10:11]
.LBB47_53:                              ;   in Loop: Header=BB47_32 Depth=1
	s_or_b64 exec, exec, s[2:3]
	v_lshlrev_b32_e32 v2, 3, v2
	s_waitcnt vmcnt(0)
	ds_write_b64 v2, v[4:5]
.LBB47_54:                              ;   in Loop: Header=BB47_32 Depth=1
	s_or_b64 exec, exec, s[0:1]
	s_waitcnt lgkmcnt(0)
	s_barrier
	s_mov_b64 s[0:1], exec
	v_readlane_b32 s2, v76, 8
	v_readlane_b32 s3, v76, 9
	s_and_b64 s[2:3], s[0:1], s[2:3]
	s_mov_b64 exec, s[2:3]
; %bb.55:                               ;   in Loop: Header=BB47_32 Depth=1
	ds_write_b64 v19, v[64:65] offset:5120
; %bb.56:                               ;   in Loop: Header=BB47_32 Depth=1
	s_or_b64 exec, exec, s[0:1]
	s_waitcnt lgkmcnt(0)
	s_barrier
	s_mov_b64 s[2:3], -1
.LBB47_57:                              ;   in Loop: Header=BB47_32 Depth=1
	s_and_b64 vcc, exec, s[2:3]
	s_cbranch_vccz .LBB47_59
; %bb.58:                               ;   in Loop: Header=BB47_32 Depth=1
	ds_read_b64 v[4:5], v19 offset:5120
	s_waitcnt lgkmcnt(0)
	v_readfirstlane_b32 s84, v4
.LBB47_59:                              ;   in Loop: Header=BB47_32 Depth=1
	s_cmp_lt_i32 s84, 1
	s_mov_b64 s[0:1], -1
                                        ; implicit-def: $vgpr8_vgpr9
                                        ; implicit-def: $vgpr12_vgpr13
	s_cbranch_scc1 .LBB47_69
; %bb.60:                               ;   in Loop: Header=BB47_32 Depth=1
	s_and_b64 vcc, exec, s[0:1]
	s_cbranch_vccnz .LBB47_83
.LBB47_61:                              ;   in Loop: Header=BB47_32 Depth=1
	s_lshl_b32 s2, s4, 6
	s_and_saveexec_b64 s[0:1], s[92:93]
	s_cbranch_execz .LBB47_63
.LBB47_62:                              ;   in Loop: Header=BB47_32 Depth=1
	v_lshl_add_u32 v2, s2, 3, v60
	ds_write_b128 v2, v[8:11]
	ds_write_b128 v2, v[12:15] offset:16
.LBB47_63:                              ;   in Loop: Header=BB47_32 Depth=1
	s_or_b64 exec, exec, s[0:1]
	s_waitcnt lgkmcnt(0)
	s_barrier
	s_and_saveexec_b64 s[0:1], s[86:87]
	s_cbranch_execz .LBB47_101
; %bb.64:                               ;   in Loop: Header=BB47_32 Depth=1
	v_readlane_b32 s6, v76, 20
	v_readlane_b32 s7, v76, 21
	s_andn2_b64 vcc, exec, s[6:7]
	v_mov_b64_e32 v[4:5], 0
	s_cbranch_vccnz .LBB47_100
; %bb.65:                               ;   in Loop: Header=BB47_32 Depth=1
	v_readlane_b32 s6, v76, 25
	v_readlane_b32 s7, v76, 26
	s_andn2_b64 vcc, exec, s[6:7]
	s_cbranch_vccnz .LBB47_96
; %bb.66:                               ;   in Loop: Header=BB47_32 Depth=1
	v_lshl_add_u32 v2, s4, 9, v62
	v_mov_b64_e32 v[4:5], 0
	s_mov_b32 s3, 0
.LBB47_67:                              ;   Parent Loop BB47_32 Depth=1
                                        ; =>  This Inner Loop Header: Depth=2
	ds_read2_b64 v[8:11], v2 offset1:4
	ds_read2_b64 v[12:15], v2 offset0:8 offset1:12
	ds_read2_b64 v[42:45], v2 offset0:16 offset1:20
	ds_read2_b64 v[46:49], v2 offset0:24 offset1:28
	s_add_i32 s3, s3, 8
	s_waitcnt lgkmcnt(3)
	v_lshl_add_u64 v[4:5], v[8:9], 0, v[4:5]
	v_lshl_add_u64 v[4:5], v[10:11], 0, v[4:5]
	s_waitcnt lgkmcnt(2)
	v_lshl_add_u64 v[4:5], v[12:13], 0, v[4:5]
	v_lshl_add_u64 v[4:5], v[14:15], 0, v[4:5]
	;; [unrolled: 3-line block ×3, first 2 shown]
	s_waitcnt lgkmcnt(0)
	v_lshl_add_u64 v[4:5], v[46:47], 0, v[4:5]
	v_add_u32_e32 v2, 0x100, v2
	s_cmp_eq_u32 s33, s3
	v_lshl_add_u64 v[4:5], v[48:49], 0, v[4:5]
	s_cbranch_scc0 .LBB47_67
; %bb.68:                               ;   in Loop: Header=BB47_32 Depth=1
	s_mov_b32 s3, s33
	s_branch .LBB47_97
.LBB47_69:                              ;   in Loop: Header=BB47_32 Depth=1
	global_load_ushort v2, v19, s[70:71]
	s_mov_b32 s0, s79
	s_waitcnt vmcnt(0)
	v_readfirstlane_b32 s1, v2
	s_and_b32 s98, s1, 0xffff
	s_lshl_b32 s78, s98, 2
	s_mov_b32 s1, s57
	s_cmp_lg_u64 s[0:1], 0
	s_cbranch_scc0 .LBB47_92
; %bb.70:                               ;   in Loop: Header=BB47_32 Depth=1
	s_add_u32 s0, s78, 0
	s_addc_u32 s1, 0, 0
	s_xor_b64 s[0:1], s[0:1], 0
	v_cvt_f32_u32_e32 v2, s0
	v_cvt_f32_u32_e32 v4, s1
	s_sub_u32 s6, 0, s0
	s_subb_u32 s7, 0, s1
	v_fmac_f32_e32 v2, 0x4f800000, v4
	v_rcp_f32_e32 v2, v2
	s_nop 0
	v_mul_f32_e32 v2, 0x5f7ffffc, v2
	v_mul_f32_e32 v4, 0x2f800000, v2
	v_trunc_f32_e32 v4, v4
	v_fmac_f32_e32 v2, 0xcf800000, v4
	v_cvt_u32_f32_e32 v4, v4
	v_cvt_u32_f32_e32 v2, v2
	v_readfirstlane_b32 s8, v4
	v_readfirstlane_b32 s2, v2
	s_mul_i32 s3, s6, s8
	s_mul_hi_u32 s12, s6, s2
	s_mul_i32 s9, s7, s2
	s_add_i32 s3, s12, s3
	s_mul_i32 s13, s6, s2
	s_add_i32 s3, s3, s9
	s_mul_i32 s12, s2, s3
	s_mul_hi_u32 s14, s2, s13
	s_mul_hi_u32 s9, s2, s3
	s_add_u32 s12, s14, s12
	s_addc_u32 s9, 0, s9
	s_mul_hi_u32 s15, s8, s13
	s_mul_i32 s13, s8, s13
	s_add_u32 s12, s12, s13
	s_mul_hi_u32 s14, s8, s3
	s_addc_u32 s9, s9, s15
	s_addc_u32 s12, s14, 0
	s_mul_i32 s3, s8, s3
	s_add_u32 s3, s9, s3
	s_addc_u32 s9, 0, s12
	s_add_u32 s12, s2, s3
	s_cselect_b64 s[2:3], -1, 0
	s_cmp_lg_u64 s[2:3], 0
	s_addc_u32 s8, s8, s9
	s_mul_i32 s2, s6, s8
	s_mul_hi_u32 s3, s6, s12
	s_add_i32 s2, s3, s2
	s_mul_i32 s7, s7, s12
	s_add_i32 s2, s2, s7
	s_mul_i32 s6, s6, s12
	s_mul_hi_u32 s7, s8, s6
	s_mul_i32 s9, s8, s6
	s_mul_i32 s14, s12, s2
	s_mul_hi_u32 s6, s12, s6
	s_mul_hi_u32 s13, s12, s2
	s_add_u32 s6, s6, s14
	s_addc_u32 s13, 0, s13
	s_add_u32 s6, s6, s9
	s_mul_hi_u32 s3, s8, s2
	s_addc_u32 s6, s13, s7
	s_addc_u32 s3, s3, 0
	s_mul_i32 s2, s8, s2
	s_add_u32 s2, s6, s2
	s_addc_u32 s6, 0, s3
	s_add_u32 s9, s12, s2
	s_cselect_b64 s[2:3], -1, 0
	s_cmp_lg_u64 s[2:3], 0
	s_addc_u32 s8, s8, s6
	s_ashr_i32 s2, s57, 31
	s_add_u32 s6, s56, s2
	s_mov_b32 s3, s2
	s_addc_u32 s7, s57, s2
	s_xor_b64 s[6:7], s[6:7], s[2:3]
	s_mul_i32 s13, s6, s8
	s_mul_hi_u32 s14, s6, s9
	s_mul_hi_u32 s12, s6, s8
	s_add_u32 s13, s14, s13
	s_addc_u32 s12, 0, s12
	s_mul_hi_u32 s15, s7, s9
	s_mul_i32 s9, s7, s9
	s_add_u32 s9, s13, s9
	s_mul_hi_u32 s14, s7, s8
	s_addc_u32 s9, s12, s15
	s_addc_u32 s12, s14, 0
	s_mul_i32 s8, s7, s8
	s_add_u32 s8, s9, s8
	s_addc_u32 s9, 0, s12
	s_mul_i32 s9, s0, s9
	s_mul_hi_u32 s12, s0, s8
	s_add_i32 s9, s12, s9
	s_mul_i32 s12, s1, s8
	s_add_i32 s14, s9, s12
	s_sub_i32 s12, s7, s14
	s_mul_i32 s8, s0, s8
	s_sub_u32 s6, s6, s8
	s_cselect_b64 s[8:9], -1, 0
	s_cmp_lg_u64 s[8:9], 0
	s_subb_u32 s15, s12, s1
	s_sub_u32 s16, s6, s0
	s_cselect_b64 s[12:13], -1, 0
	s_cmp_lg_u64 s[12:13], 0
	s_subb_u32 s17, s15, 0
	s_cmp_ge_u32 s17, s1
	s_cselect_b32 s18, -1, 0
	s_cmp_ge_u32 s16, s0
	s_cselect_b32 s19, -1, 0
	s_cmp_eq_u32 s17, s1
	s_cselect_b32 s18, s19, s18
	s_cmp_lg_u64 s[12:13], 0
	s_subb_u32 s15, s15, s1
	s_sub_u32 s19, s16, s0
	s_cselect_b64 s[12:13], -1, 0
	s_cmp_lg_u64 s[12:13], 0
	s_subb_u32 s12, s15, 0
	s_cmp_lg_u32 s18, 0
	s_cselect_b32 s13, s19, s16
	s_cselect_b32 s12, s12, s17
	s_cmp_lg_u64 s[8:9], 0
	s_subb_u32 s7, s7, s14
	s_cmp_ge_u32 s7, s1
	s_cselect_b32 s8, -1, 0
	s_cmp_ge_u32 s6, s0
	s_cselect_b32 s0, -1, 0
	s_cmp_eq_u32 s7, s1
	s_cselect_b32 s0, s0, s8
	s_cmp_lg_u32 s0, 0
	s_cselect_b32 s1, s12, s7
	s_cselect_b32 s0, s13, s6
	s_xor_b64 s[0:1], s[0:1], s[2:3]
	s_sub_u32 s0, s0, s2
	s_subb_u32 s1, s1, s2
	s_cbranch_execnz .LBB47_72
.LBB47_71:                              ;   in Loop: Header=BB47_32 Depth=1
	v_cvt_f32_u32_e32 v2, s78
	s_sub_i32 s0, 0, s78
	v_rcp_iflag_f32_e32 v2, v2
	s_nop 0
	v_mul_f32_e32 v2, 0x4f7ffffe, v2
	v_cvt_u32_f32_e32 v2, v2
	s_nop 0
	v_readfirstlane_b32 s1, v2
	s_mul_i32 s0, s0, s1
	s_mul_hi_u32 s0, s1, s0
	s_add_i32 s1, s1, s0
	s_mul_hi_u32 s0, s56, s1
	s_mul_i32 s0, s0, s78
	s_sub_i32 s0, s56, s0
	s_sub_i32 s1, s0, s78
	s_cmp_ge_u32 s0, s78
	s_cselect_b32 s0, s1, s0
	s_sub_i32 s1, s0, s78
	s_cmp_ge_u32 s0, s78
	s_cselect_b32 s0, s1, s0
	s_mov_b32 s1, s79
.LBB47_72:                              ;   in Loop: Header=BB47_32 Depth=1
	s_sub_u32 s8, s56, s0
	s_subb_u32 s9, s57, s1
	s_mov_b32 s99, s79
	v_cmp_gt_i64_e32 vcc, s[8:9], v[22:23]
	v_mov_b64_e32 v[8:9], 0
	v_mov_b64_e32 v[10:11], 0
	;; [unrolled: 1-line block ×4, first 2 shown]
	s_and_saveexec_b64 s[88:89], vcc
	s_cbranch_execz .LBB47_76
; %bb.73:                               ;   in Loop: Header=BB47_32 Depth=1
	v_readlane_b32 s6, v76, 34
	v_readlane_b32 s7, v76, 35
	s_mul_i32 s2, s7, s98
	s_mul_hi_u32 s3, s6, s98
	s_mov_b32 s85, s91
	s_mov_b64 s[80:81], s[92:93]
	s_add_i32 s7, s3, s2
	s_mul_i32 s6, s6, s98
	s_mov_b64 s[72:73], 0
	v_mov_b64_e32 v[4:5], v[34:35]
	v_mov_b64_e32 v[42:43], v[32:33]
	;; [unrolled: 1-line block ×4, first 2 shown]
	s_mov_b64 s[86:87], 0
	s_mov_b64 s[92:93], 0
	;; [unrolled: 1-line block ×4, first 2 shown]
	v_mov_b64_e32 v[48:49], v[22:23]
.LBB47_74:                              ;   Parent Loop BB47_32 Depth=1
                                        ; =>  This Inner Loop Header: Depth=2
	v_lshl_add_u64 v[14:15], v[4:5], 0, s[82:83]
	v_lshl_add_u64 v[50:51], v[42:43], 0, s[82:83]
	;; [unrolled: 1-line block ×4, first 2 shown]
	global_load_dwordx2 v[14:15], v[14:15], off
	s_nop 0
	global_load_dwordx2 v[50:51], v[50:51], off
	s_nop 0
	;; [unrolled: 2-line block ×3, first 2 shown]
	global_load_dwordx2 v[54:55], v[54:55], off
	v_mov_b32_e32 v9, v19
	v_mov_b32_e32 v11, v19
	;; [unrolled: 1-line block ×3, first 2 shown]
	v_lshl_add_u64 v[48:49], v[48:49], 0, s[78:79]
	v_cmp_le_i64_e32 vcc, s[8:9], v[48:49]
	v_lshl_add_u64 v[46:47], v[46:47], 0, s[6:7]
	v_lshl_add_u64 v[44:45], v[44:45], 0, s[6:7]
	;; [unrolled: 1-line block ×4, first 2 shown]
	s_waitcnt vmcnt(3)
	v_ashrrev_i32_e32 v2, 31, v15
	s_waitcnt vmcnt(2)
	v_ashrrev_i32_e32 v8, 31, v51
	v_xor_b32_e32 v18, v8, v50
	v_cmp_o_f64_e64 s[2:3], v[50:51], v[50:51]
	v_xor_b32_e32 v50, v2, v14
	v_or_b32_e32 v2, 0x80000000, v2
	s_waitcnt vmcnt(1)
	v_ashrrev_i32_e32 v10, 31, v53
	s_waitcnt vmcnt(0)
	v_ashrrev_i32_e32 v12, 31, v55
	v_cmp_o_f64_e64 s[16:17], v[14:15], v[14:15]
	v_or_b32_e32 v8, 0x80000000, v8
	v_xor_b32_e32 v2, v2, v15
	v_xor_b32_e32 v63, v10, v52
	;; [unrolled: 1-line block ×3, first 2 shown]
	v_cmp_o_f64_e64 s[14:15], v[54:55], v[54:55]
	v_or_b32_e32 v10, 0x80000000, v10
	v_xor_b32_e32 v8, v8, v51
	v_cndmask_b32_e64 v14, -1, v50, s[16:17]
	v_cndmask_b32_e64 v15, -1, v2, s[16:17]
	v_cmp_o_f64_e64 s[12:13], v[52:53], v[52:53]
	v_or_b32_e32 v12, 0x80000000, v12
	v_xor_b32_e32 v10, v10, v53
	v_cndmask_b32_e64 v50, -1, v18, s[2:3]
	v_cndmask_b32_e64 v54, -1, v68, s[14:15]
	;; [unrolled: 1-line block ×3, first 2 shown]
	v_and_b32_e32 v68, v14, v38
	v_and_b32_e32 v69, v15, v39
	v_lshrrev_b64 v[14:15], s5, v[14:15]
	v_xor_b32_e32 v12, v12, v55
	v_cndmask_b32_e64 v52, -1, v63, s[12:13]
	v_cndmask_b32_e64 v53, -1, v10, s[12:13]
	v_and_b32_e32 v70, v50, v38
	v_and_b32_e32 v71, v51, v39
	v_lshrrev_b64 v[50:51], s5, v[50:51]
	v_and_b32_e32 v18, 3, v14
	v_cndmask_b32_e64 v55, -1, v12, s[14:15]
	v_and_b32_e32 v72, v52, v38
	v_and_b32_e32 v73, v53, v39
	v_lshrrev_b64 v[52:53], s5, v[52:53]
	v_cmp_eq_u64_e64 s[18:19], v[68:69], v[30:31]
	v_and_b32_e32 v8, 3, v50
	v_cmp_eq_u64_e64 s[2:3], 0, v[18:19]
	v_and_b32_e32 v74, v54, v38
	v_and_b32_e32 v75, v55, v39
	v_lshrrev_b64 v[54:55], s5, v[54:55]
	v_cmp_eq_u64_e64 s[16:17], v[70:71], v[30:31]
	v_and_b32_e32 v10, 3, v52
	v_cmp_eq_u64_e64 s[30:31], 0, v[8:9]
	s_and_b64 s[2:3], s[18:19], s[2:3]
	v_cmp_eq_u64_e64 s[14:15], v[72:73], v[30:31]
	v_and_b32_e32 v12, 3, v54
	v_cmp_eq_u64_e64 s[34:35], 0, v[10:11]
	v_cndmask_b32_e64 v2, 0, 1, s[2:3]
	s_and_b64 s[2:3], s[16:17], s[30:31]
	v_cmp_eq_u64_e64 s[12:13], v[74:75], v[30:31]
	v_cmp_eq_u64_e64 s[36:37], 0, v[12:13]
	;; [unrolled: 1-line block ×5, first 2 shown]
	v_cndmask_b32_e64 v8, 0, 1, s[2:3]
	s_and_b64 s[2:3], s[14:15], s[34:35]
	v_cndmask_b32_e64 v9, 0, 1, s[2:3]
	s_and_b64 s[2:3], s[12:13], s[36:37]
	v_cmp_eq_u64_e64 s[42:43], 1, v[10:11]
	v_cmp_eq_u64_e64 s[50:51], 2, v[10:11]
	;; [unrolled: 1-line block ×3, first 2 shown]
	v_cndmask_b32_e64 v10, 0, 1, s[2:3]
	v_cmp_ne_u32_e64 s[2:3], 0, v2
	v_cmp_ne_u32_e64 s[30:31], 0, v8
	;; [unrolled: 1-line block ×4, first 2 shown]
	s_bcnt1_i32_b64 s2, s[2:3]
	s_bcnt1_i32_b64 s3, s[30:31]
	;; [unrolled: 1-line block ×4, first 2 shown]
	s_add_u32 s2, s2, s70
	s_addc_u32 s34, 0, s71
	s_add_u32 s2, s2, s3
	s_addc_u32 s3, s34, 0
	;; [unrolled: 2-line block ×3, first 2 shown]
	v_cmp_eq_u64_e64 s[38:39], 1, v[18:19]
	s_add_u32 s70, s2, s31
	s_addc_u32 s71, s3, 0
	s_and_b64 s[2:3], s[18:19], s[38:39]
	v_cndmask_b32_e64 v2, 0, 1, s[2:3]
	s_and_b64 s[2:3], s[16:17], s[40:41]
	v_cmp_eq_u64_e64 s[44:45], 1, v[12:13]
	v_cndmask_b32_e64 v10, 0, 1, s[2:3]
	s_and_b64 s[2:3], s[14:15], s[42:43]
	v_cndmask_b32_e64 v11, 0, 1, s[2:3]
	s_and_b64 s[2:3], s[12:13], s[44:45]
	v_cmp_eq_u64_e64 s[52:53], 2, v[12:13]
	v_cmp_eq_u64_e64 s[20:21], 3, v[12:13]
	v_cndmask_b32_e64 v12, 0, 1, s[2:3]
	v_cmp_ne_u32_e64 s[2:3], 0, v2
	v_cmp_ne_u32_e64 s[30:31], 0, v10
	;; [unrolled: 1-line block ×4, first 2 shown]
	s_bcnt1_i32_b64 s2, s[2:3]
	s_bcnt1_i32_b64 s3, s[30:31]
	;; [unrolled: 1-line block ×4, first 2 shown]
	s_add_u32 s2, s2, s90
	s_addc_u32 s34, 0, s91
	s_add_u32 s2, s2, s3
	s_addc_u32 s3, s34, 0
	;; [unrolled: 2-line block ×3, first 2 shown]
	v_cmp_eq_u64_e64 s[46:47], 2, v[18:19]
	s_add_u32 s90, s2, s31
	s_addc_u32 s91, s3, 0
	s_and_b64 s[2:3], s[18:19], s[46:47]
	v_cndmask_b32_e64 v2, 0, 1, s[2:3]
	s_and_b64 s[2:3], s[16:17], s[48:49]
	v_cndmask_b32_e64 v12, 0, 1, s[2:3]
	s_and_b64 s[2:3], s[14:15], s[50:51]
	v_cndmask_b32_e64 v13, 0, 1, s[2:3]
	s_and_b64 s[2:3], s[12:13], s[52:53]
	v_cndmask_b32_e64 v14, 0, 1, s[2:3]
	v_cmp_ne_u32_e64 s[2:3], 0, v2
	v_cmp_ne_u32_e64 s[30:31], 0, v12
	;; [unrolled: 1-line block ×4, first 2 shown]
	s_bcnt1_i32_b64 s2, s[2:3]
	s_bcnt1_i32_b64 s3, s[30:31]
	;; [unrolled: 1-line block ×4, first 2 shown]
	s_add_u32 s2, s2, s92
	s_addc_u32 s34, 0, s93
	s_add_u32 s2, s2, s3
	s_addc_u32 s3, s34, 0
	s_add_u32 s2, s2, s30
	s_addc_u32 s3, s3, 0
	v_cmp_eq_u64_e64 s[26:27], 3, v[18:19]
	s_add_u32 s92, s2, s31
	s_addc_u32 s93, s3, 0
	s_and_b64 s[2:3], s[18:19], s[26:27]
	v_cndmask_b32_e64 v2, 0, 1, s[2:3]
	s_and_b64 s[2:3], s[16:17], s[24:25]
	v_cndmask_b32_e64 v14, 0, 1, s[2:3]
	;; [unrolled: 2-line block ×4, first 2 shown]
	v_cmp_ne_u32_e64 s[2:3], 0, v2
	v_cmp_ne_u32_e64 s[12:13], 0, v14
	;; [unrolled: 1-line block ×4, first 2 shown]
	s_bcnt1_i32_b64 s2, s[2:3]
	s_bcnt1_i32_b64 s3, s[12:13]
	;; [unrolled: 1-line block ×4, first 2 shown]
	s_add_u32 s2, s2, s86
	s_addc_u32 s14, 0, s87
	s_add_u32 s2, s2, s3
	s_addc_u32 s3, s14, 0
	;; [unrolled: 2-line block ×4, first 2 shown]
	v_mov_b64_e32 v[8:9], s[70:71]
	v_mov_b64_e32 v[10:11], s[90:91]
	;; [unrolled: 1-line block ×3, first 2 shown]
	s_or_b64 s[72:73], vcc, s[72:73]
	v_mov_b64_e32 v[14:15], s[86:87]
	s_andn2_b64 exec, exec, s[72:73]
	s_cbranch_execnz .LBB47_74
; %bb.75:                               ;   in Loop: Header=BB47_32 Depth=1
	s_or_b64 exec, exec, s[72:73]
	s_mov_b64 s[92:93], s[80:81]
	v_readlane_b32 s80, v76, 36
	v_readlane_b32 s86, v76, 38
	;; [unrolled: 1-line block ×5, first 2 shown]
	s_mov_b32 s91, s85
	v_readlane_b32 s71, v76, 41
	v_readlane_b32 s90, v76, 42
.LBB47_76:                              ;   in Loop: Header=BB47_32 Depth=1
	s_or_b64 exec, exec, s[88:89]
	v_lshl_add_u64 v[4:5], s[8:9], 0, v[0:1]
	v_cmp_gt_i64_e32 vcc, s[56:57], v[4:5]
	s_and_saveexec_b64 s[6:7], vcc
	s_cbranch_execz .LBB47_82
; %bb.77:                               ;   in Loop: Header=BB47_32 Depth=1
	v_mad_u64_u32 v[42:43], s[2:3], v4, s62, 0
	v_mul_lo_u32 v2, v5, s62
	v_mul_lo_u32 v18, v4, s63
	v_readlane_b32 s2, v76, 16
	v_add3_u32 v43, v43, v18, v2
	v_readlane_b32 s3, v76, 17
	v_mov_b32_e32 v2, s1
	s_mov_b64 s[8:9], 0
	v_lshl_add_u64 v[42:43], v[42:43], 3, s[2:3]
	global_load_dwordx2 v[44:45], v[42:43], off
	v_lshl_add_u64 v[42:43], v[36:37], 0, s[98:99]
	v_subrev_co_u32_e32 v18, vcc, s0, v42
	v_readlane_b32 s0, v76, 30
	v_readlane_b32 s1, v76, 31
	v_subb_co_u32_e32 v2, vcc, v43, v2, vcc
	v_readlane_b32 s2, v76, 32
	v_mov_b64_e32 v[42:43], s[0:1]
	v_readlane_b32 s3, v76, 33
	v_mad_u64_u32 v[42:43], s[0:1], s2, v18, v[42:43]
	v_mul_lo_u32 v2, s2, v2
	v_mul_lo_u32 v46, s3, v18
	s_mul_i32 s0, s3, s98
	s_mul_hi_u32 s1, s2, s98
	v_add3_u32 v43, v46, v43, v2
	s_add_i32 s1, s1, s0
	s_mul_i32 s0, s2, s98
	s_branch .LBB47_79
.LBB47_78:                              ;   in Loop: Header=BB47_79 Depth=2
	s_or_b64 exec, exec, s[12:13]
	s_waitcnt vmcnt(0)
	v_ashrrev_i32_e32 v2, 31, v45
	v_or_b32_e32 v18, 0x80000000, v2
	s_and_b64 s[2:3], exec, vcc
	v_xor_b32_e32 v18, v18, v45
	v_xor_b32_e32 v2, v2, v44
	v_cmp_o_f64_e32 vcc, v[44:45], v[44:45]
	s_or_b64 s[8:9], s[2:3], s[8:9]
	v_lshl_add_u64 v[42:43], v[42:43], 0, s[0:1]
	v_cndmask_b32_e32 v45, -1, v18, vcc
	v_cndmask_b32_e32 v44, -1, v2, vcc
	v_and_b32_e32 v49, v45, v39
	v_and_b32_e32 v48, v44, v38
	v_lshrrev_b64 v[44:45], s5, v[44:45]
	v_and_b32_e32 v18, 3, v44
	v_cmp_eq_u64_e32 vcc, v[48:49], v[30:31]
	v_cmp_eq_u64_e64 s[2:3], 0, v[18:19]
	s_and_b64 s[2:3], vcc, s[2:3]
	v_mov_b64_e32 v[44:45], v[46:47]
	v_cndmask_b32_e64 v2, 0, 1, s[2:3]
	v_cmp_ne_u32_e64 s[2:3], 0, v2
	s_bcnt1_i32_b64 s78, s[2:3]
	v_cmp_eq_u64_e64 s[2:3], 1, v[18:19]
	s_and_b64 s[2:3], vcc, s[2:3]
	v_lshl_add_u64 v[8:9], s[78:79], 0, v[8:9]
	v_cndmask_b32_e64 v2, 0, 1, s[2:3]
	v_cmp_ne_u32_e64 s[2:3], 0, v2
	s_bcnt1_i32_b64 s78, s[2:3]
	v_cmp_eq_u64_e64 s[2:3], 2, v[18:19]
	s_and_b64 s[2:3], vcc, s[2:3]
	v_lshl_add_u64 v[10:11], s[78:79], 0, v[10:11]
	;; [unrolled: 6-line block ×3, first 2 shown]
	v_cndmask_b32_e64 v2, 0, 1, s[2:3]
	v_cmp_ne_u32_e32 vcc, 0, v2
	s_bcnt1_i32_b64 s78, vcc
	v_lshl_add_u64 v[14:15], s[78:79], 0, v[14:15]
	s_andn2_b64 exec, exec, s[8:9]
	s_cbranch_execz .LBB47_81
.LBB47_79:                              ;   Parent Loop BB47_32 Depth=1
                                        ; =>  This Inner Loop Header: Depth=2
	v_lshl_add_u64 v[4:5], v[4:5], 0, s[98:99]
	v_cmp_gt_i64_e64 s[2:3], s[56:57], v[4:5]
	v_cmp_le_i64_e32 vcc, s[56:57], v[4:5]
	v_mov_b64_e32 v[46:47], 0
	s_and_saveexec_b64 s[12:13], s[2:3]
	s_cbranch_execz .LBB47_78
; %bb.80:                               ;   in Loop: Header=BB47_79 Depth=2
	global_load_dwordx2 v[46:47], v[42:43], off
	s_branch .LBB47_78
.LBB47_81:                              ;   in Loop: Header=BB47_32 Depth=1
	s_or_b64 exec, exec, s[8:9]
.LBB47_82:                              ;   in Loop: Header=BB47_32 Depth=1
	s_or_b64 exec, exec, s[6:7]
	s_branch .LBB47_61
.LBB47_83:                              ;   in Loop: Header=BB47_32 Depth=1
	global_load_ushort v2, v19, s[70:71]
	v_mov_b64_e32 v[8:9], 0
	v_mov_b64_e32 v[10:11], 0
	;; [unrolled: 1-line block ×4, first 2 shown]
	s_waitcnt vmcnt(0)
	v_readfirstlane_b32 s0, v2
	s_and_b32 s85, 0xffff, s0
	s_lshl_b32 s78, s85, 2
	v_cvt_f32_u32_e32 v4, s78
	s_sub_i32 s0, 0, s78
	v_rcp_iflag_f32_e32 v4, v4
	s_nop 0
	v_mul_f32_e32 v4, 0x4f7ffffe, v4
	v_cvt_u32_f32_e32 v4, v4
	s_nop 0
	v_readfirstlane_b32 s1, v4
	s_mul_i32 s0, s0, s1
	s_mul_hi_u32 s0, s1, s0
	s_add_i32 s1, s1, s0
	s_mul_hi_u32 s0, s84, s1
	s_mul_i32 s1, s0, s78
	s_sub_i32 s1, s84, s1
	s_add_i32 s2, s0, 1
	s_sub_i32 s3, s1, s78
	s_cmp_ge_u32 s1, s78
	s_cselect_b32 s0, s2, s0
	s_cselect_b32 s1, s3, s1
	s_add_i32 s2, s0, 1
	s_cmp_ge_u32 s1, s78
	s_cselect_b32 s0, s2, s0
	s_mul_hi_u32 s1, s85, s0
	s_mul_i32 s0, s85, s0
	s_lshl_b64 s[8:9], s[0:1], 2
	v_cmp_gt_u64_e32 vcc, s[8:9], v[22:23]
	s_and_saveexec_b64 s[88:89], vcc
	s_cbranch_execz .LBB47_87
; %bb.84:                               ;   in Loop: Header=BB47_32 Depth=1
	s_mov_b32 s99, s91
	s_lshl_b32 s1, s85, 5
	s_mov_b64 s[6:7], 0
	v_mov_b32_e32 v48, v61
	s_mov_b64 s[70:71], 0
	s_mov_b64 s[72:73], 0
	;; [unrolled: 1-line block ×4, first 2 shown]
	v_mov_b64_e32 v[4:5], v[22:23]
.LBB47_85:                              ;   Parent Loop BB47_32 Depth=1
                                        ; =>  This Inner Loop Header: Depth=2
	ds_read_b128 v[12:15], v48
	ds_read_b128 v[8:11], v48 offset:16
	v_mov_b32_e32 v43, v19
	v_mov_b32_e32 v45, v19
	;; [unrolled: 1-line block ×3, first 2 shown]
	s_waitcnt lgkmcnt(1)
	v_ashrrev_i32_e32 v18, 31, v13
	s_waitcnt lgkmcnt(0)
	v_ashrrev_i32_e32 v46, 31, v11
	v_ashrrev_i32_e32 v42, 31, v15
	;; [unrolled: 1-line block ×3, first 2 shown]
	v_xor_b32_e32 v50, v46, v10
	v_cmp_o_f64_e64 s[14:15], v[10:11], v[10:11]
	v_or_b32_e32 v10, 0x80000000, v18
	v_xor_b32_e32 v49, v42, v14
	v_cmp_o_f64_e64 s[2:3], v[14:15], v[14:15]
	v_xor_b32_e32 v14, v44, v8
	v_cmp_o_f64_e64 s[12:13], v[8:9], v[8:9]
	;; [unrolled: 2-line block ×3, first 2 shown]
	v_or_b32_e32 v12, 0x80000000, v42
	v_or_b32_e32 v18, 0x80000000, v44
	v_xor_b32_e32 v13, v10, v13
	v_or_b32_e32 v42, 0x80000000, v46
	v_xor_b32_e32 v15, v12, v15
	v_xor_b32_e32 v18, v18, v9
	v_cndmask_b32_e64 v8, -1, v8, s[16:17]
	v_cndmask_b32_e64 v9, -1, v13, s[16:17]
	v_xor_b32_e32 v42, v42, v11
	v_cndmask_b32_e64 v10, -1, v49, s[2:3]
	v_cndmask_b32_e64 v12, -1, v14, s[12:13]
	v_cndmask_b32_e64 v14, -1, v50, s[14:15]
	v_cndmask_b32_e64 v11, -1, v15, s[2:3]
	v_and_b32_e32 v50, v8, v38
	v_and_b32_e32 v51, v9, v39
	v_lshrrev_b64 v[8:9], s5, v[8:9]
	v_cndmask_b32_e64 v13, -1, v18, s[12:13]
	v_and_b32_e32 v52, v10, v38
	v_and_b32_e32 v53, v11, v39
	v_lshrrev_b64 v[10:11], s5, v[10:11]
	v_and_b32_e32 v18, 3, v8
	v_cndmask_b32_e64 v15, -1, v42, s[14:15]
	v_and_b32_e32 v54, v12, v38
	v_and_b32_e32 v55, v13, v39
	v_lshrrev_b64 v[12:13], s5, v[12:13]
	v_cmp_eq_u64_e64 s[18:19], v[50:51], v[30:31]
	v_and_b32_e32 v42, 3, v10
	v_cmp_eq_u64_e64 s[2:3], 0, v[18:19]
	v_and_b32_e32 v68, v14, v38
	v_and_b32_e32 v69, v15, v39
	v_lshrrev_b64 v[14:15], s5, v[14:15]
	v_cmp_eq_u64_e64 s[16:17], v[52:53], v[30:31]
	v_and_b32_e32 v44, 3, v12
	v_cmp_eq_u64_e64 s[30:31], 0, v[42:43]
	s_and_b64 s[2:3], s[18:19], s[2:3]
	v_cmp_eq_u64_e64 s[14:15], v[54:55], v[30:31]
	v_and_b32_e32 v46, 3, v14
	v_cmp_eq_u64_e64 s[34:35], 0, v[44:45]
	v_cndmask_b32_e64 v8, 0, 1, s[2:3]
	s_and_b64 s[2:3], s[16:17], s[30:31]
	v_cmp_eq_u64_e64 s[12:13], v[68:69], v[30:31]
	v_cmp_eq_u64_e64 s[36:37], 0, v[46:47]
	v_cndmask_b32_e64 v9, 0, 1, s[2:3]
	s_and_b64 s[2:3], s[14:15], s[34:35]
	v_cndmask_b32_e64 v10, 0, 1, s[2:3]
	s_and_b64 s[2:3], s[12:13], s[36:37]
	v_cndmask_b32_e64 v11, 0, 1, s[2:3]
	v_cmp_ne_u32_e64 s[2:3], 0, v8
	v_cmp_ne_u32_e64 s[30:31], 0, v9
	v_cmp_ne_u32_e64 s[34:35], 0, v10
	v_cmp_ne_u32_e64 s[36:37], 0, v11
	s_bcnt1_i32_b64 s2, s[2:3]
	s_bcnt1_i32_b64 s3, s[30:31]
	s_bcnt1_i32_b64 s30, s[34:35]
	s_bcnt1_i32_b64 s31, s[36:37]
	s_add_u32 s2, s2, s90
	s_addc_u32 s34, 0, s91
	s_add_u32 s2, s2, s3
	s_addc_u32 s3, s34, 0
	s_add_u32 s2, s2, s30
	s_addc_u32 s3, s3, 0
	v_cmp_eq_u64_e64 s[38:39], 1, v[18:19]
	s_add_u32 s90, s2, s31
	v_cmp_eq_u64_e64 s[40:41], 1, v[42:43]
	s_addc_u32 s91, s3, 0
	s_and_b64 s[2:3], s[18:19], s[38:39]
	v_cmp_eq_u64_e64 s[42:43], 1, v[44:45]
	v_cndmask_b32_e64 v10, 0, 1, s[2:3]
	s_and_b64 s[2:3], s[16:17], s[40:41]
	v_cmp_eq_u64_e64 s[44:45], 1, v[46:47]
	v_cndmask_b32_e64 v11, 0, 1, s[2:3]
	s_and_b64 s[2:3], s[14:15], s[42:43]
	v_cndmask_b32_e64 v12, 0, 1, s[2:3]
	s_and_b64 s[2:3], s[12:13], s[44:45]
	v_cndmask_b32_e64 v13, 0, 1, s[2:3]
	v_cmp_ne_u32_e64 s[2:3], 0, v10
	v_cmp_ne_u32_e64 s[30:31], 0, v11
	v_cmp_ne_u32_e64 s[34:35], 0, v12
	v_cmp_ne_u32_e64 s[36:37], 0, v13
	s_bcnt1_i32_b64 s2, s[2:3]
	s_bcnt1_i32_b64 s3, s[30:31]
	s_bcnt1_i32_b64 s30, s[34:35]
	s_bcnt1_i32_b64 s31, s[36:37]
	s_add_u32 s2, s2, s86
	s_addc_u32 s34, 0, s87
	s_add_u32 s2, s2, s3
	s_addc_u32 s3, s34, 0
	s_add_u32 s2, s2, s30
	s_addc_u32 s3, s3, 0
	v_cmp_eq_u64_e64 s[46:47], 2, v[18:19]
	s_add_u32 s86, s2, s31
	v_cmp_eq_u64_e64 s[48:49], 2, v[42:43]
	s_addc_u32 s87, s3, 0
	s_and_b64 s[2:3], s[18:19], s[46:47]
	v_cmp_eq_u64_e64 s[50:51], 2, v[44:45]
	v_cndmask_b32_e64 v12, 0, 1, s[2:3]
	s_and_b64 s[2:3], s[16:17], s[48:49]
	;; [unrolled: 28-line block ×3, first 2 shown]
	v_cmp_eq_u64_e64 s[20:21], 3, v[46:47]
	v_cndmask_b32_e64 v15, 0, 1, s[2:3]
	s_and_b64 s[2:3], s[14:15], s[22:23]
	v_cndmask_b32_e64 v18, 0, 1, s[2:3]
	s_and_b64 s[2:3], s[12:13], s[20:21]
	v_cndmask_b32_e64 v42, 0, 1, s[2:3]
	v_cmp_ne_u32_e64 s[2:3], 0, v14
	v_cmp_ne_u32_e64 s[12:13], 0, v15
	;; [unrolled: 1-line block ×4, first 2 shown]
	s_bcnt1_i32_b64 s2, s[2:3]
	s_bcnt1_i32_b64 s3, s[12:13]
	;; [unrolled: 1-line block ×4, first 2 shown]
	s_add_u32 s2, s2, s70
	s_addc_u32 s14, 0, s71
	s_add_u32 s2, s2, s3
	s_addc_u32 s3, s14, 0
	;; [unrolled: 2-line block ×3, first 2 shown]
	v_lshl_add_u64 v[4:5], v[4:5], 0, s[78:79]
	s_add_u32 s70, s2, s13
	v_cmp_le_u64_e32 vcc, s[8:9], v[4:5]
	s_addc_u32 s71, s3, 0
	v_add_u32_e32 v48, s1, v48
	v_mov_b64_e32 v[8:9], s[90:91]
	v_mov_b64_e32 v[10:11], s[86:87]
	;; [unrolled: 1-line block ×3, first 2 shown]
	s_or_b64 s[6:7], vcc, s[6:7]
	v_mov_b64_e32 v[14:15], s[70:71]
	s_andn2_b64 exec, exec, s[6:7]
	s_cbranch_execnz .LBB47_85
; %bb.86:                               ;   in Loop: Header=BB47_32 Depth=1
	s_or_b64 exec, exec, s[6:7]
	v_readlane_b32 s80, v76, 36
	v_readlane_b32 s86, v76, 38
	;; [unrolled: 1-line block ×5, first 2 shown]
	s_mov_b32 s91, s99
	v_readlane_b32 s71, v76, 41
	v_readlane_b32 s90, v76, 42
.LBB47_87:                              ;   in Loop: Header=BB47_32 Depth=1
	s_or_b64 exec, exec, s[88:89]
	s_and_b32 s6, s84, 0x7fffffff
	s_mov_b32 s7, s79
	v_lshl_add_u64 v[42:43], s[8:9], 0, v[0:1]
	v_and_b32_e32 v4, 0xffff, v2
	v_mov_b32_e32 v5, v19
	v_cmp_gt_u64_e32 vcc, s[6:7], v[42:43]
	s_and_saveexec_b64 s[8:9], vcc
	s_cbranch_execz .LBB47_91
; %bb.88:                               ;   in Loop: Header=BB47_32 Depth=1
	v_lshl_add_u32 v2, s0, 5, v57
	s_lshl_b32 s20, s85, 3
	s_mov_b64 s[0:1], 0
.LBB47_89:                              ;   Parent Loop BB47_32 Depth=1
                                        ; =>  This Inner Loop Header: Depth=2
	ds_read_b64 v[44:45], v2
	v_lshl_add_u64 v[42:43], v[42:43], 0, v[4:5]
	v_cmp_le_u64_e32 vcc, s[6:7], v[42:43]
	v_add_u32_e32 v2, s20, v2
	s_waitcnt lgkmcnt(0)
	v_ashrrev_i32_e32 v18, 31, v45
	v_xor_b32_e32 v46, v18, v44
	v_or_b32_e32 v18, 0x80000000, v18
	v_cmp_o_f64_e64 s[2:3], v[44:45], v[44:45]
	v_xor_b32_e32 v18, v18, v45
	s_nop 0
	v_cndmask_b32_e64 v44, -1, v46, s[2:3]
	v_cndmask_b32_e64 v45, -1, v18, s[2:3]
	v_and_b32_e32 v46, v44, v38
	v_and_b32_e32 v47, v45, v39
	v_lshrrev_b64 v[44:45], s5, v[44:45]
	v_and_b32_e32 v18, 3, v44
	v_cmp_eq_u64_e64 s[2:3], v[46:47], v[30:31]
	v_cmp_eq_u64_e64 s[12:13], 0, v[18:19]
	;; [unrolled: 1-line block ×3, first 2 shown]
	s_and_b64 s[12:13], s[2:3], s[12:13]
	v_cmp_eq_u64_e64 s[16:17], 2, v[18:19]
	v_cmp_eq_u64_e64 s[18:19], 3, v[18:19]
	v_cndmask_b32_e64 v18, 0, 1, s[12:13]
	s_and_b64 s[12:13], s[2:3], s[14:15]
	v_cndmask_b32_e64 v44, 0, 1, s[12:13]
	s_and_b64 s[12:13], s[2:3], s[16:17]
	s_and_b64 s[2:3], s[2:3], s[18:19]
	v_cndmask_b32_e64 v46, 0, 1, s[2:3]
	v_cmp_ne_u32_e64 s[2:3], 0, v18
	v_cndmask_b32_e64 v45, 0, 1, s[12:13]
	v_cmp_ne_u32_e64 s[12:13], 0, v44
	s_bcnt1_i32_b64 s78, s[2:3]
	v_cmp_ne_u32_e64 s[14:15], 0, v45
	v_lshl_add_u64 v[8:9], s[78:79], 0, v[8:9]
	s_bcnt1_i32_b64 s78, s[12:13]
	v_cmp_ne_u32_e64 s[16:17], 0, v46
	v_lshl_add_u64 v[10:11], s[78:79], 0, v[10:11]
	s_bcnt1_i32_b64 s78, s[14:15]
	v_lshl_add_u64 v[12:13], s[78:79], 0, v[12:13]
	s_bcnt1_i32_b64 s78, s[16:17]
	s_or_b64 s[0:1], vcc, s[0:1]
	v_lshl_add_u64 v[14:15], s[78:79], 0, v[14:15]
	s_andn2_b64 exec, exec, s[0:1]
	s_cbranch_execnz .LBB47_89
; %bb.90:                               ;   in Loop: Header=BB47_32 Depth=1
	s_or_b64 exec, exec, s[0:1]
.LBB47_91:                              ;   in Loop: Header=BB47_32 Depth=1
	s_or_b64 exec, exec, s[8:9]
	s_lshl_b32 s2, s4, 6
	s_and_saveexec_b64 s[0:1], s[92:93]
	s_cbranch_execnz .LBB47_62
	s_branch .LBB47_63
.LBB47_92:                              ;   in Loop: Header=BB47_32 Depth=1
                                        ; implicit-def: $sgpr0_sgpr1
	s_branch .LBB47_71
.LBB47_93:                              ;   in Loop: Header=BB47_32 Depth=1
	s_or_b64 exec, exec, s[6:7]
	s_waitcnt lgkmcnt(0)
	s_barrier
	s_mov_b64 s[2:3], exec
	v_readlane_b32 s6, v76, 8
	v_readlane_b32 s7, v76, 9
	s_and_b64 s[6:7], s[2:3], s[6:7]
	s_mov_b64 exec, s[6:7]
	s_cbranch_execz .LBB47_95
; %bb.94:                               ;   in Loop: Header=BB47_32 Depth=1
	ds_read_b32 v4, v19 offset:5136
	s_waitcnt lgkmcnt(0)
	v_ashrrev_i32_e32 v5, 31, v4
	ds_write_b64 v19, v[4:5] offset:5120
.LBB47_95:                              ;   in Loop: Header=BB47_32 Depth=1
	s_or_b64 exec, exec, s[2:3]
	s_waitcnt lgkmcnt(0)
	s_barrier
	s_mov_b64 s[2:3], -1
	s_and_b64 vcc, exec, s[0:1]
	s_cbranch_vccnz .LBB47_48
	s_branch .LBB47_57
.LBB47_96:                              ;   in Loop: Header=BB47_32 Depth=1
	s_mov_b32 s3, 0
	v_mov_b64_e32 v[4:5], 0
.LBB47_97:                              ;   in Loop: Header=BB47_32 Depth=1
	v_readlane_b32 s6, v76, 28
	v_readlane_b32 s7, v76, 29
	s_andn2_b64 vcc, exec, s[6:7]
	s_cbranch_vccnz .LBB47_100
; %bb.98:                               ;   in Loop: Header=BB47_32 Depth=1
	s_lshl_b32 s6, s4, 9
	s_lshl_b32 s3, s3, 5
	s_add_i32 s6, s6, s3
	v_add_u32_e32 v2, s6, v62
	v_readlane_b32 s3, v76, 27
.LBB47_99:                              ;   Parent Loop BB47_32 Depth=1
                                        ; =>  This Inner Loop Header: Depth=2
	ds_read_b64 v[8:9], v2
	s_add_i32 s3, s3, -1
	v_add_u32_e32 v2, 32, v2
	s_cmp_lg_u32 s3, 0
	s_waitcnt lgkmcnt(0)
	v_lshl_add_u64 v[4:5], v[8:9], 0, v[4:5]
	s_cbranch_scc1 .LBB47_99
.LBB47_100:                             ;   in Loop: Header=BB47_32 Depth=1
	v_add_lshl_u32 v2, s2, v56, 3
	ds_write_b64 v2, v[4:5] offset:3072
.LBB47_101:                             ;   in Loop: Header=BB47_32 Depth=1
	s_or_b64 exec, exec, s[0:1]
	s_lshl_b32 s0, s2, 3
	v_mov_b32_e32 v2, s0
	s_waitcnt lgkmcnt(0)
	s_barrier
	ds_read_b128 v[12:15], v2 offset:3088
	ds_read_b128 v[8:11], v2 offset:3072
	s_lshl_b64 s[14:15], 3, s5
	v_cmp_eq_u64_e64 s[2:3], 1, v[40:41]
	s_not_b64 s[24:25], s[14:15]
	s_waitcnt lgkmcnt(1)
	v_readfirstlane_b32 s22, v12
	s_waitcnt lgkmcnt(0)
	v_cmp_eq_u64_e32 vcc, 1, v[8:9]
	v_readfirstlane_b32 s23, v13
	v_readfirstlane_b32 s12, v14
	;; [unrolled: 1-line block ×3, first 2 shown]
	s_and_b64 s[18:19], vcc, s[2:3]
	s_mov_b64 s[2:3], -1
	s_mov_b64 s[8:9], -1
                                        ; implicit-def: $sgpr6_sgpr7
                                        ; implicit-def: $sgpr0_sgpr1
	s_and_saveexec_b64 s[16:17], s[18:19]
	s_cbranch_execz .LBB47_137
; %bb.102:                              ;   in Loop: Header=BB47_32 Depth=1
	ds_read_b64 v[4:5], v19 offset:5120
	s_waitcnt lgkmcnt(0)
	s_barrier
	v_readfirstlane_b32 s20, v4
	v_readfirstlane_b32 s21, v5
	s_mov_b64 s[0:1], exec
	v_readlane_b32 s6, v76, 10
	v_readlane_b32 s7, v76, 11
	s_and_b64 s[6:7], s[0:1], s[6:7]
	s_mov_b64 exec, s[6:7]
; %bb.103:                              ;   in Loop: Header=BB47_32 Depth=1
	ds_write_b64 v58, v[66:67]
; %bb.104:                              ;   in Loop: Header=BB47_32 Depth=1
	s_or_b64 exec, exec, s[0:1]
	v_cmp_lt_i64_e64 s[8:9], s[20:21], 1
	v_and_b32_e32 v31, s25, v31
	v_and_b32_e32 v30, s24, v30
	v_or_b32_e32 v39, s15, v39
	v_or_b32_e32 v38, s14, v38
	s_mov_b64 s[0:1], -1
	s_mov_b64 s[6:7], 0
	s_and_b64 vcc, exec, s[8:9]
	s_mov_b64 s[8:9], 0
	s_mov_b64 s[26:27], -1
	s_waitcnt lgkmcnt(0)
	s_barrier
                                        ; implicit-def: $vgpr6_vgpr7
	s_cbranch_vccz .LBB47_121
; %bb.105:                              ;   in Loop: Header=BB47_32 Depth=1
	s_mov_b32 s90, s79
	s_cmp_lg_u64 s[90:91], 0
	s_cbranch_scc0 .LBB47_107
; %bb.106:                              ;   in Loop: Header=BB47_32 Depth=1
	s_add_u32 s8, s76, 0
	s_addc_u32 s9, 0, 0
	s_xor_b64 s[8:9], s[8:9], 0
	v_cvt_f32_u32_e32 v2, s8
	v_cvt_f32_u32_e32 v4, s9
	s_sub_u32 s30, 0, s8
	s_subb_u32 s31, 0, s9
	v_fmac_f32_e32 v2, 0x4f800000, v4
	v_rcp_f32_e32 v2, v2
	s_nop 0
	v_mul_f32_e32 v2, 0x5f7ffffc, v2
	v_mul_f32_e32 v4, 0x2f800000, v2
	v_trunc_f32_e32 v4, v4
	v_fmac_f32_e32 v2, 0xcf800000, v4
	v_cvt_u32_f32_e32 v4, v4
	v_cvt_u32_f32_e32 v2, v2
	v_readfirstlane_b32 s34, v4
	v_readfirstlane_b32 s26, v2
	s_mul_i32 s27, s30, s34
	s_mul_hi_u32 s36, s30, s26
	s_mul_i32 s35, s31, s26
	s_add_i32 s27, s36, s27
	s_mul_i32 s37, s30, s26
	s_add_i32 s27, s27, s35
	s_mul_i32 s36, s26, s27
	s_mul_hi_u32 s38, s26, s37
	s_mul_hi_u32 s35, s26, s27
	s_add_u32 s36, s38, s36
	s_addc_u32 s35, 0, s35
	s_mul_hi_u32 s39, s34, s37
	s_mul_i32 s37, s34, s37
	s_add_u32 s36, s36, s37
	s_mul_hi_u32 s38, s34, s27
	s_addc_u32 s35, s35, s39
	s_addc_u32 s36, s38, 0
	s_mul_i32 s27, s34, s27
	s_add_u32 s27, s35, s27
	s_addc_u32 s35, 0, s36
	s_add_u32 s36, s26, s27
	s_cselect_b64 s[26:27], -1, 0
	s_cmp_lg_u64 s[26:27], 0
	s_addc_u32 s34, s34, s35
	s_mul_i32 s26, s30, s34
	s_mul_hi_u32 s27, s30, s36
	s_add_i32 s26, s27, s26
	s_mul_i32 s31, s31, s36
	s_add_i32 s26, s26, s31
	s_mul_i32 s30, s30, s36
	s_mul_hi_u32 s31, s34, s30
	s_mul_i32 s35, s34, s30
	s_mul_i32 s38, s36, s26
	s_mul_hi_u32 s30, s36, s30
	s_mul_hi_u32 s37, s36, s26
	s_add_u32 s30, s30, s38
	s_addc_u32 s37, 0, s37
	s_add_u32 s30, s30, s35
	s_mul_hi_u32 s27, s34, s26
	s_addc_u32 s30, s37, s31
	s_addc_u32 s27, s27, 0
	s_mul_i32 s26, s34, s26
	s_add_u32 s26, s30, s26
	s_addc_u32 s30, 0, s27
	s_add_u32 s35, s36, s26
	s_cselect_b64 s[26:27], -1, 0
	s_cmp_lg_u64 s[26:27], 0
	s_addc_u32 s34, s34, s30
	s_ashr_i32 s26, s91, 31
	v_readlane_b32 s30, v76, 23
	s_add_u32 s30, s30, s26
	s_mov_b32 s27, s26
	s_addc_u32 s31, s91, s26
	s_xor_b64 s[30:31], s[30:31], s[26:27]
	s_mul_i32 s37, s30, s34
	s_mul_hi_u32 s38, s30, s35
	s_mul_hi_u32 s36, s30, s34
	s_add_u32 s37, s38, s37
	s_addc_u32 s36, 0, s36
	s_mul_hi_u32 s39, s31, s35
	s_mul_i32 s35, s31, s35
	s_add_u32 s35, s37, s35
	s_mul_hi_u32 s38, s31, s34
	s_addc_u32 s35, s36, s39
	s_addc_u32 s36, s38, 0
	s_mul_i32 s34, s31, s34
	s_add_u32 s34, s35, s34
	s_addc_u32 s35, 0, s36
	s_mul_i32 s35, s8, s35
	s_mul_hi_u32 s36, s8, s34
	s_add_i32 s35, s36, s35
	s_mul_i32 s36, s9, s34
	s_add_i32 s38, s35, s36
	s_sub_i32 s36, s31, s38
	s_mul_i32 s34, s8, s34
	s_sub_u32 s30, s30, s34
	s_cselect_b64 s[34:35], -1, 0
	s_cmp_lg_u64 s[34:35], 0
	s_subb_u32 s39, s36, s9
	s_sub_u32 s40, s30, s8
	s_cselect_b64 s[36:37], -1, 0
	s_cmp_lg_u64 s[36:37], 0
	s_subb_u32 s41, s39, 0
	s_cmp_ge_u32 s41, s9
	s_cselect_b32 s42, -1, 0
	s_cmp_ge_u32 s40, s8
	s_cselect_b32 s43, -1, 0
	s_cmp_eq_u32 s41, s9
	s_cselect_b32 s42, s43, s42
	s_cmp_lg_u64 s[36:37], 0
	s_subb_u32 s39, s39, s9
	s_sub_u32 s43, s40, s8
	s_cselect_b64 s[36:37], -1, 0
	s_cmp_lg_u64 s[36:37], 0
	s_subb_u32 s36, s39, 0
	s_cmp_lg_u32 s42, 0
	s_cselect_b32 s37, s43, s40
	s_cselect_b32 s36, s36, s41
	s_cmp_lg_u64 s[34:35], 0
	s_subb_u32 s31, s31, s38
	s_cmp_ge_u32 s31, s9
	s_cselect_b32 s34, -1, 0
	s_cmp_ge_u32 s30, s8
	s_cselect_b32 s8, -1, 0
	s_cmp_eq_u32 s31, s9
	s_cselect_b32 s8, s8, s34
	s_cmp_lg_u32 s8, 0
	s_cselect_b32 s9, s36, s31
	s_cselect_b32 s8, s37, s30
	s_xor_b64 s[8:9], s[8:9], s[26:27]
	s_sub_u32 s8, s8, s26
	s_subb_u32 s9, s9, s26
	s_mov_b64 s[26:27], 0
	s_branch .LBB47_108
.LBB47_107:                             ;   in Loop: Header=BB47_32 Depth=1
                                        ; implicit-def: $sgpr8_sgpr9
.LBB47_108:                             ;   in Loop: Header=BB47_32 Depth=1
	s_andn2_b64 vcc, exec, s[26:27]
	v_readlane_b32 s90, v76, 42
	s_cbranch_vccnz .LBB47_110
; %bb.109:                              ;   in Loop: Header=BB47_32 Depth=1
	v_cvt_f32_u32_e32 v2, s76
	s_sub_i32 s8, 0, s76
	v_readlane_b32 s26, v76, 23
	v_rcp_iflag_f32_e32 v2, v2
	s_nop 0
	v_mul_f32_e32 v2, 0x4f7ffffe, v2
	v_cvt_u32_f32_e32 v2, v2
	s_nop 0
	v_readfirstlane_b32 s9, v2
	s_mul_i32 s8, s8, s9
	s_mul_hi_u32 s8, s9, s8
	s_add_i32 s9, s9, s8
	s_mul_hi_u32 s8, s26, s9
	s_mul_i32 s8, s8, s76
	s_sub_i32 s8, s26, s8
	s_sub_i32 s9, s8, s76
	s_cmp_ge_u32 s8, s76
	s_cselect_b32 s8, s9, s8
	s_sub_i32 s9, s8, s76
	s_cmp_ge_u32 s8, s76
	s_cselect_b32 s78, s9, s8
	s_mov_b64 s[8:9], s[78:79]
.LBB47_110:                             ;   in Loop: Header=BB47_32 Depth=1
	v_readlane_b32 s26, v76, 23
	s_sub_u32 s34, s26, s8
	s_subb_u32 s35, s91, s9
	v_cmp_gt_i64_e32 vcc, s[34:35], v[0:1]
	s_mov_b64 s[26:27], 0
	s_mov_b64 s[8:9], 0
                                        ; implicit-def: $vgpr6_vgpr7
	s_and_saveexec_b64 s[30:31], vcc
	s_cbranch_execz .LBB47_120
; %bb.111:                              ;   in Loop: Header=BB47_32 Depth=1
	v_mov_b64_e32 v[12:13], v[16:17]
	v_mov_b64_e32 v[14:15], v[0:1]
                                        ; implicit-def: $sgpr36_sgpr37
	s_branch .LBB47_115
.LBB47_112:                             ;   in Loop: Header=BB47_115 Depth=2
	s_or_b64 exec, exec, s[38:39]
	s_waitcnt lgkmcnt(0)
	s_barrier
	ds_read_b128 v[4:7], v19 offset:3072
	s_waitcnt lgkmcnt(0)
	s_barrier
	v_cmp_neq_f64_e32 vcc, 0, v[4:5]
	s_cbranch_vccnz .LBB47_118
; %bb.113:                              ;   in Loop: Header=BB47_115 Depth=2
	v_lshl_add_u64 v[14:15], v[14:15], 0, s[76:77]
	v_cmp_le_i64_e32 vcc, s[34:35], v[14:15]
	v_lshl_add_u64 v[12:13], v[12:13], 0, s[80:81]
	s_mov_b64 s[38:39], 0
	s_orn2_b64 s[40:41], vcc, exec
.LBB47_114:                             ;   in Loop: Header=BB47_115 Depth=2
	s_and_b64 s[40:41], exec, s[40:41]
	s_or_b64 s[8:9], s[40:41], s[8:9]
	s_andn2_b64 s[36:37], s[36:37], exec
	s_and_b64 s[38:39], s[38:39], exec
	s_or_b64 s[36:37], s[36:37], s[38:39]
	s_andn2_b64 exec, exec, s[8:9]
	s_cbranch_execz .LBB47_119
.LBB47_115:                             ;   Parent Loop BB47_32 Depth=1
                                        ; =>  This Inner Loop Header: Depth=2
	v_cmp_gt_i64_e32 vcc, s[56:57], v[14:15]
	s_and_saveexec_b64 s[38:39], vcc
	s_cbranch_execz .LBB47_112
; %bb.116:                              ;   in Loop: Header=BB47_115 Depth=2
	global_load_dwordx2 v[4:5], v[12:13], off
	s_waitcnt vmcnt(0)
	v_ashrrev_i32_e32 v2, 31, v5
	v_or_b32_e32 v6, 0x80000000, v2
	v_xor_b32_e32 v2, v2, v4
	v_xor_b32_e32 v6, v6, v5
	v_cmp_o_f64_e32 vcc, v[4:5], v[4:5]
	s_nop 1
	v_cndmask_b32_e32 v2, -1, v2, vcc
	v_cndmask_b32_e32 v6, -1, v6, vcc
	v_and_b32_e32 v7, v6, v39
	v_and_b32_e32 v6, v2, v38
	v_cmp_eq_u64_e32 vcc, v[6:7], v[30:31]
	s_and_b64 exec, exec, vcc
	s_cbranch_execz .LBB47_112
; %bb.117:                              ;   in Loop: Header=BB47_115 Depth=2
	v_mov_b32_e32 v2, v19
	ds_write_b128 v19, v[2:5] offset:3072
	s_branch .LBB47_112
.LBB47_118:                             ;   in Loop: Header=BB47_115 Depth=2
	s_mov_b64 s[40:41], -1
                                        ; implicit-def: $vgpr14_vgpr15
                                        ; implicit-def: $vgpr12_vgpr13
	s_mov_b64 s[38:39], -1
	s_branch .LBB47_114
.LBB47_119:                             ;   in Loop: Header=BB47_32 Depth=1
	s_or_b64 exec, exec, s[8:9]
	s_and_b64 s[8:9], s[36:37], exec
.LBB47_120:                             ;   in Loop: Header=BB47_32 Depth=1
	s_or_b64 exec, exec, s[30:31]
.LBB47_121:                             ;   in Loop: Header=BB47_32 Depth=1
	s_and_b64 vcc, exec, s[26:27]
	s_cbranch_vccz .LBB47_136
; %bb.122:                              ;   in Loop: Header=BB47_32 Depth=1
	v_readlane_b32 s0, v76, 22
	s_add_u32 s30, s20, s0
	v_readlane_b32 s0, v76, 24
	s_addc_u32 s1, s21, s0
	s_mov_b32 s0, s79
	s_cmp_lg_u64 s[0:1], 0
	s_cbranch_scc0 .LBB47_154
; %bb.123:                              ;   in Loop: Header=BB47_32 Depth=1
	s_add_u32 s6, s76, 0
	s_addc_u32 s7, 0, 0
	s_xor_b64 s[6:7], s[6:7], 0
	v_cvt_f32_u32_e32 v2, s6
	v_cvt_f32_u32_e32 v4, s7
	s_sub_u32 s0, 0, s6
	s_subb_u32 s31, 0, s7
	v_fmac_f32_e32 v2, 0x4f800000, v4
	v_rcp_f32_e32 v2, v2
	s_nop 0
	v_mul_f32_e32 v2, 0x5f7ffffc, v2
	v_mul_f32_e32 v4, 0x2f800000, v2
	v_trunc_f32_e32 v4, v4
	v_fmac_f32_e32 v2, 0xcf800000, v4
	v_cvt_u32_f32_e32 v4, v4
	v_cvt_u32_f32_e32 v2, v2
	v_readfirstlane_b32 s34, v4
	v_readfirstlane_b32 s26, v2
	s_mul_i32 s27, s0, s34
	s_mul_hi_u32 s36, s0, s26
	s_mul_i32 s35, s31, s26
	s_add_i32 s27, s36, s27
	s_mul_i32 s37, s0, s26
	s_add_i32 s27, s27, s35
	s_mul_i32 s36, s26, s27
	s_mul_hi_u32 s38, s26, s37
	s_mul_hi_u32 s35, s26, s27
	s_add_u32 s36, s38, s36
	s_addc_u32 s35, 0, s35
	s_mul_hi_u32 s39, s34, s37
	s_mul_i32 s37, s34, s37
	s_add_u32 s36, s36, s37
	s_mul_hi_u32 s38, s34, s27
	s_addc_u32 s35, s35, s39
	s_addc_u32 s36, s38, 0
	s_mul_i32 s27, s34, s27
	s_add_u32 s27, s35, s27
	s_addc_u32 s35, 0, s36
	s_add_u32 s36, s26, s27
	s_cselect_b64 s[26:27], -1, 0
	s_cmp_lg_u64 s[26:27], 0
	s_addc_u32 s34, s34, s35
	s_mul_i32 s26, s0, s34
	s_mul_hi_u32 s27, s0, s36
	s_add_i32 s26, s27, s26
	s_mul_i32 s31, s31, s36
	s_add_i32 s26, s26, s31
	s_mul_i32 s0, s0, s36
	s_mul_hi_u32 s31, s34, s0
	s_mul_i32 s35, s34, s0
	s_mul_i32 s38, s36, s26
	s_mul_hi_u32 s0, s36, s0
	s_mul_hi_u32 s37, s36, s26
	s_add_u32 s0, s0, s38
	s_addc_u32 s37, 0, s37
	s_add_u32 s0, s0, s35
	s_mul_hi_u32 s27, s34, s26
	s_addc_u32 s0, s37, s31
	s_addc_u32 s27, s27, 0
	s_mul_i32 s26, s34, s26
	s_add_u32 s0, s0, s26
	s_addc_u32 s31, 0, s27
	s_add_u32 s0, s36, s0
	s_cselect_b64 s[26:27], -1, 0
	s_cmp_lg_u64 s[26:27], 0
	s_addc_u32 s31, s34, s31
	s_ashr_i32 s26, s1, 31
	s_add_u32 s34, s30, s26
	s_mov_b32 s27, s26
	s_addc_u32 s35, s1, s26
	s_xor_b64 s[34:35], s[34:35], s[26:27]
	s_mul_i32 s37, s34, s31
	s_mul_hi_u32 s38, s34, s0
	s_mul_hi_u32 s36, s34, s31
	s_add_u32 s37, s38, s37
	s_addc_u32 s36, 0, s36
	s_mul_hi_u32 s39, s35, s0
	s_mul_i32 s0, s35, s0
	s_add_u32 s0, s37, s0
	s_mul_hi_u32 s38, s35, s31
	s_addc_u32 s0, s36, s39
	s_addc_u32 s36, s38, 0
	s_mul_i32 s31, s35, s31
	s_add_u32 s0, s0, s31
	s_addc_u32 s31, 0, s36
	s_mul_i32 s31, s6, s31
	s_mul_hi_u32 s36, s6, s0
	s_add_i32 s31, s36, s31
	s_mul_i32 s36, s7, s0
	s_add_i32 s31, s31, s36
	s_sub_i32 s38, s35, s31
	s_mul_i32 s0, s6, s0
	s_sub_u32 s0, s34, s0
	s_cselect_b64 s[36:37], -1, 0
	s_cmp_lg_u64 s[36:37], 0
	s_subb_u32 s34, s38, s7
	s_sub_u32 s40, s0, s6
	s_cselect_b64 s[38:39], -1, 0
	s_cmp_lg_u64 s[38:39], 0
	s_subb_u32 s41, s34, 0
	s_cmp_ge_u32 s41, s7
	s_cselect_b32 s42, -1, 0
	s_cmp_ge_u32 s40, s6
	s_cselect_b32 s43, -1, 0
	s_cmp_eq_u32 s41, s7
	s_cselect_b32 s42, s43, s42
	s_cmp_lg_u64 s[38:39], 0
	s_subb_u32 s34, s34, s7
	s_sub_u32 s43, s40, s6
	s_cselect_b64 s[38:39], -1, 0
	s_cmp_lg_u64 s[38:39], 0
	s_subb_u32 s34, s34, 0
	s_cmp_lg_u32 s42, 0
	s_cselect_b32 s38, s43, s40
	s_cselect_b32 s34, s34, s41
	s_cmp_lg_u64 s[36:37], 0
	s_subb_u32 s31, s35, s31
	s_cmp_ge_u32 s31, s7
	s_cselect_b32 s35, -1, 0
	s_cmp_ge_u32 s0, s6
	s_cselect_b32 s6, -1, 0
	s_cmp_eq_u32 s31, s7
	s_cselect_b32 s6, s6, s35
	s_cmp_lg_u32 s6, 0
	s_cselect_b32 s7, s34, s31
	s_cselect_b32 s6, s38, s0
	s_xor_b64 s[6:7], s[6:7], s[26:27]
	s_sub_u32 s6, s6, s26
	s_subb_u32 s7, s7, s26
	s_cbranch_execnz .LBB47_125
.LBB47_124:                             ;   in Loop: Header=BB47_32 Depth=1
	v_cvt_f32_u32_e32 v2, s76
	s_sub_i32 s0, 0, s76
	v_rcp_iflag_f32_e32 v2, v2
	s_nop 0
	v_mul_f32_e32 v2, 0x4f7ffffe, v2
	v_cvt_u32_f32_e32 v2, v2
	s_nop 0
	v_readfirstlane_b32 s6, v2
	s_mul_i32 s0, s0, s6
	s_mul_hi_u32 s0, s6, s0
	s_add_i32 s6, s6, s0
	s_mul_hi_u32 s0, s30, s6
	s_mul_i32 s0, s0, s76
	s_sub_i32 s0, s30, s0
	s_sub_i32 s6, s0, s76
	s_cmp_ge_u32 s0, s76
	s_cselect_b32 s0, s6, s0
	s_sub_i32 s6, s0, s76
	s_cmp_ge_u32 s0, s76
	s_cselect_b32 s78, s6, s0
	s_mov_b64 s[6:7], s[78:79]
.LBB47_125:                             ;   in Loop: Header=BB47_32 Depth=1
	s_sub_u32 s6, s30, s6
	s_subb_u32 s7, s1, s7
	v_cmp_gt_i64_e32 vcc, s[6:7], v[0:1]
                                        ; implicit-def: $vgpr6_vgpr7
	s_and_saveexec_b64 s[0:1], vcc
	s_cbranch_execz .LBB47_135
; %bb.126:                              ;   in Loop: Header=BB47_32 Depth=1
	s_mov_b64 s[30:31], 0
	v_mov_b32_e32 v14, v57
	v_mov_b64_e32 v[12:13], v[0:1]
                                        ; implicit-def: $sgpr26_sgpr27
	s_branch .LBB47_130
.LBB47_127:                             ;   in Loop: Header=BB47_130 Depth=2
	s_or_b64 exec, exec, s[34:35]
	s_waitcnt lgkmcnt(0)
	s_barrier
	ds_read_b128 v[4:7], v19 offset:3072
	s_waitcnt lgkmcnt(0)
	s_barrier
	v_cmp_neq_f64_e32 vcc, 0, v[4:5]
	s_cbranch_vccnz .LBB47_133
; %bb.128:                              ;   in Loop: Header=BB47_130 Depth=2
	v_lshl_add_u64 v[12:13], v[12:13], 0, s[76:77]
	v_cmp_le_i64_e32 vcc, s[6:7], v[12:13]
	v_add_u32_e32 v14, s90, v14
	s_mov_b64 s[34:35], 0
	s_orn2_b64 s[36:37], vcc, exec
.LBB47_129:                             ;   in Loop: Header=BB47_130 Depth=2
	s_and_b64 s[36:37], exec, s[36:37]
	s_or_b64 s[30:31], s[36:37], s[30:31]
	s_andn2_b64 s[26:27], s[26:27], exec
	s_and_b64 s[34:35], s[34:35], exec
	s_or_b64 s[26:27], s[26:27], s[34:35]
	s_andn2_b64 exec, exec, s[30:31]
	s_cbranch_execz .LBB47_134
.LBB47_130:                             ;   Parent Loop BB47_32 Depth=1
                                        ; =>  This Inner Loop Header: Depth=2
	v_cmp_gt_u64_e32 vcc, s[20:21], v[12:13]
	s_and_saveexec_b64 s[34:35], vcc
	s_cbranch_execz .LBB47_127
; %bb.131:                              ;   in Loop: Header=BB47_130 Depth=2
	ds_read_b64 v[4:5], v14
	s_waitcnt lgkmcnt(0)
	v_ashrrev_i32_e32 v2, 31, v5
	v_or_b32_e32 v6, 0x80000000, v2
	v_xor_b32_e32 v2, v2, v4
	v_xor_b32_e32 v6, v6, v5
	v_cmp_o_f64_e32 vcc, v[4:5], v[4:5]
	s_nop 1
	v_cndmask_b32_e32 v2, -1, v2, vcc
	v_cndmask_b32_e32 v6, -1, v6, vcc
	v_and_b32_e32 v7, v6, v39
	v_and_b32_e32 v6, v2, v38
	v_cmp_eq_u64_e32 vcc, v[6:7], v[30:31]
	s_and_b64 exec, exec, vcc
	s_cbranch_execz .LBB47_127
; %bb.132:                              ;   in Loop: Header=BB47_130 Depth=2
	v_mov_b32_e32 v2, v19
	ds_write_b128 v19, v[2:5] offset:3072
	s_branch .LBB47_127
.LBB47_133:                             ;   in Loop: Header=BB47_130 Depth=2
	s_mov_b64 s[36:37], -1
                                        ; implicit-def: $vgpr12_vgpr13
                                        ; implicit-def: $vgpr14
	s_mov_b64 s[34:35], -1
	s_branch .LBB47_129
.LBB47_134:                             ;   in Loop: Header=BB47_32 Depth=1
	s_or_b64 exec, exec, s[30:31]
	s_andn2_b64 s[6:7], s[8:9], exec
	s_and_b64 s[8:9], s[26:27], exec
	s_or_b64 s[8:9], s[6:7], s[8:9]
.LBB47_135:                             ;   in Loop: Header=BB47_32 Depth=1
	s_or_b64 exec, exec, s[0:1]
	s_mov_b64 s[0:1], 0
	s_mov_b64 s[6:7], -1
.LBB47_136:                             ;   in Loop: Header=BB47_32 Depth=1
	s_orn2_b64 s[8:9], s[8:9], exec
.LBB47_137:                             ;   in Loop: Header=BB47_32 Depth=1
	s_or_b64 exec, exec, s[16:17]
	s_andn2_b64 s[16:17], s[28:29], exec
	s_and_b64 s[6:7], s[6:7], exec
	s_or_b64 s[28:29], s[16:17], s[6:7]
	s_andn2_b64 s[6:7], s[96:97], exec
	s_and_b64 s[0:1], s[0:1], exec
	s_andn2_b64 s[94:95], s[94:95], exec
	s_or_b64 s[96:97], s[6:7], s[0:1]
                                        ; implicit-def: $vgpr12_vgpr13
	s_and_saveexec_b64 s[16:17], s[8:9]
	s_cbranch_execz .LBB47_31
; %bb.138:                              ;   in Loop: Header=BB47_32 Depth=1
	s_xor_b64 s[2:3], s[18:19], -1
	v_mov_b32_e32 v18, 1
	s_mov_b64 s[6:7], 0
	v_mov_b64_e32 v[12:13], 1
	s_and_saveexec_b64 s[0:1], s[2:3]
	s_cbranch_execz .LBB47_147
; %bb.139:                              ;   in Loop: Header=BB47_32 Depth=1
	v_cmp_le_i64_e32 vcc, v[40:41], v[8:9]
	s_and_saveexec_b64 s[2:3], vcc
	s_xor_b64 s[2:3], exec, s[2:3]
	s_cbranch_execz .LBB47_144
; %bb.140:                              ;   in Loop: Header=BB47_32 Depth=1
	ds_read_b64 v[4:5], v19 offset:5120
	v_and_b32_e32 v31, s25, v31
	v_and_b32_e32 v30, s24, v30
	v_or_b32_e32 v39, s15, v39
	v_or_b32_e32 v38, s14, v38
	s_waitcnt lgkmcnt(0)
	v_cmp_ne_u64_e32 vcc, 0, v[4:5]
	s_cbranch_vccnz .LBB47_144
; %bb.141:                              ;   in Loop: Header=BB47_32 Depth=1
	s_mov_b64 s[6:7], exec
	v_readlane_b32 s8, v76, 8
	v_readlane_b32 s9, v76, 9
	s_and_b64 s[8:9], s[6:7], s[8:9]
	s_mov_b64 exec, s[8:9]
; %bb.142:                              ;   in Loop: Header=BB47_32 Depth=1
	ds_write_b64 v19, v[8:9] offset:5128
; %bb.143:                              ;   in Loop: Header=BB47_32 Depth=1
	s_or_b64 exec, exec, s[6:7]
	s_waitcnt lgkmcnt(0)
	s_barrier
.LBB47_144:                             ;   in Loop: Header=BB47_32 Depth=1
	s_or_saveexec_b64 s[2:3], s[2:3]
	s_mov_b64 s[6:7], 0
	v_mov_b32_e32 v18, 8
	s_xor_b64 exec, exec, s[2:3]
; %bb.145:                              ;   in Loop: Header=BB47_32 Depth=1
	v_sub_co_u32_e32 v40, vcc, v40, v8
	s_mov_b64 s[6:7], exec
	s_nop 0
	v_subb_co_u32_e32 v41, vcc, v41, v9, vcc
	v_mov_b32_e32 v18, 0
; %bb.146:                              ;   in Loop: Header=BB47_32 Depth=1
	s_or_b64 exec, exec, s[2:3]
	s_and_b64 s[6:7], s[6:7], exec
	v_mov_b64_e32 v[12:13], v[40:41]
.LBB47_147:                             ;   in Loop: Header=BB47_32 Depth=1
	s_or_b64 exec, exec, s[0:1]
	s_mov_b64 s[18:19], -1
	s_mov_b64 s[0:1], -1
                                        ; implicit-def: $sgpr2_sgpr3
                                        ; implicit-def: $sgpr26_sgpr27
	s_and_saveexec_b64 s[8:9], s[6:7]
	s_xor_b64 s[20:21], exec, s[8:9]
	s_cbranch_execz .LBB47_298
; %bb.148:                              ;   in Loop: Header=BB47_32 Depth=1
	v_cmp_eq_u64_e32 vcc, 1, v[10:11]
	v_cmp_eq_u64_e64 s[2:3], 1, v[12:13]
	s_and_b64 s[34:35], vcc, s[2:3]
                                        ; implicit-def: $sgpr26_sgpr27
                                        ; implicit-def: $sgpr2_sgpr3
	s_and_saveexec_b64 s[30:31], s[34:35]
	s_cbranch_execz .LBB47_185
; %bb.149:                              ;   in Loop: Header=BB47_32 Depth=1
	ds_read_b64 v[4:5], v19 offset:5120
	s_waitcnt lgkmcnt(0)
	s_barrier
	v_readfirstlane_b32 s36, v4
	v_readfirstlane_b32 s37, v5
	s_mov_b64 s[0:1], exec
	v_readlane_b32 s2, v76, 10
	v_readlane_b32 s3, v76, 11
	s_and_b64 s[2:3], s[0:1], s[2:3]
	s_mov_b64 exec, s[2:3]
; %bb.150:                              ;   in Loop: Header=BB47_32 Depth=1
	ds_write_b64 v58, v[66:67]
; %bb.151:                              ;   in Loop: Header=BB47_32 Depth=1
	s_or_b64 exec, exec, s[0:1]
	s_lshl_b64 s[0:1], 1, s5
	v_and_b32_e32 v2, s25, v31
	v_and_b32_e32 v4, s24, v30
	v_or_b32_e32 v31, s1, v2
	v_or_b32_e32 v30, s0, v4
	v_cmp_gt_i64_e64 s[0:1], s[36:37], 0
	v_or_b32_e32 v39, s15, v39
	v_or_b32_e32 v38, s14, v38
	s_mov_b64 s[2:3], -1
	s_mov_b64 s[26:27], 0
	s_and_b64 vcc, exec, s[0:1]
	s_mov_b64 s[0:1], 0
	s_mov_b64 s[6:7], -1
	s_waitcnt lgkmcnt(0)
	s_barrier
                                        ; implicit-def: $vgpr6_vgpr7
	s_cbranch_vccnz .LBB47_169
; %bb.152:                              ;   in Loop: Header=BB47_32 Depth=1
	s_mov_b32 s90, s79
	s_cmp_lg_u64 s[90:91], 0
	s_cbranch_scc0 .LBB47_155
; %bb.153:                              ;   in Loop: Header=BB47_32 Depth=1
	s_add_u32 s0, s76, 0
	s_addc_u32 s1, 0, 0
	s_xor_b64 s[0:1], s[0:1], 0
	v_cvt_f32_u32_e32 v2, s0
	v_cvt_f32_u32_e32 v4, s1
	s_sub_u32 s8, 0, s0
	s_subb_u32 s9, 0, s1
	v_fmac_f32_e32 v2, 0x4f800000, v4
	v_rcp_f32_e32 v2, v2
	s_nop 0
	v_mul_f32_e32 v2, 0x5f7ffffc, v2
	v_mul_f32_e32 v4, 0x2f800000, v2
	v_trunc_f32_e32 v4, v4
	v_fmac_f32_e32 v2, 0xcf800000, v4
	v_cvt_u32_f32_e32 v4, v4
	v_cvt_u32_f32_e32 v2, v2
	v_readfirstlane_b32 s38, v4
	v_readfirstlane_b32 s6, v2
	s_mul_i32 s7, s8, s38
	s_mul_hi_u32 s40, s8, s6
	s_mul_i32 s39, s9, s6
	s_add_i32 s7, s40, s7
	s_mul_i32 s41, s8, s6
	s_add_i32 s7, s7, s39
	s_mul_i32 s40, s6, s7
	s_mul_hi_u32 s42, s6, s41
	s_mul_hi_u32 s39, s6, s7
	s_add_u32 s40, s42, s40
	s_addc_u32 s39, 0, s39
	s_mul_hi_u32 s43, s38, s41
	s_mul_i32 s41, s38, s41
	s_add_u32 s40, s40, s41
	s_mul_hi_u32 s42, s38, s7
	s_addc_u32 s39, s39, s43
	s_addc_u32 s40, s42, 0
	s_mul_i32 s7, s38, s7
	s_add_u32 s7, s39, s7
	s_addc_u32 s39, 0, s40
	s_add_u32 s40, s6, s7
	s_cselect_b64 s[6:7], -1, 0
	s_cmp_lg_u64 s[6:7], 0
	s_addc_u32 s38, s38, s39
	s_mul_i32 s6, s8, s38
	s_mul_hi_u32 s7, s8, s40
	s_add_i32 s6, s7, s6
	s_mul_i32 s9, s9, s40
	s_add_i32 s6, s6, s9
	s_mul_i32 s8, s8, s40
	s_mul_hi_u32 s9, s38, s8
	s_mul_i32 s39, s38, s8
	s_mul_i32 s42, s40, s6
	s_mul_hi_u32 s8, s40, s8
	s_mul_hi_u32 s41, s40, s6
	s_add_u32 s8, s8, s42
	s_addc_u32 s41, 0, s41
	s_add_u32 s8, s8, s39
	s_mul_hi_u32 s7, s38, s6
	s_addc_u32 s8, s41, s9
	s_addc_u32 s7, s7, 0
	s_mul_i32 s6, s38, s6
	s_add_u32 s6, s8, s6
	s_addc_u32 s8, 0, s7
	s_add_u32 s39, s40, s6
	s_cselect_b64 s[6:7], -1, 0
	s_cmp_lg_u64 s[6:7], 0
	s_addc_u32 s38, s38, s8
	s_ashr_i32 s6, s91, 31
	v_readlane_b32 s8, v76, 23
	s_add_u32 s8, s8, s6
	s_mov_b32 s7, s6
	s_addc_u32 s9, s91, s6
	s_xor_b64 s[8:9], s[8:9], s[6:7]
	s_mul_i32 s41, s8, s38
	s_mul_hi_u32 s42, s8, s39
	s_mul_hi_u32 s40, s8, s38
	s_add_u32 s41, s42, s41
	s_addc_u32 s40, 0, s40
	s_mul_hi_u32 s43, s9, s39
	s_mul_i32 s39, s9, s39
	s_add_u32 s39, s41, s39
	s_mul_hi_u32 s42, s9, s38
	s_addc_u32 s39, s40, s43
	s_addc_u32 s40, s42, 0
	s_mul_i32 s38, s9, s38
	s_add_u32 s38, s39, s38
	s_addc_u32 s39, 0, s40
	s_mul_i32 s39, s0, s39
	s_mul_hi_u32 s40, s0, s38
	s_add_i32 s39, s40, s39
	s_mul_i32 s40, s1, s38
	s_add_i32 s42, s39, s40
	s_sub_i32 s40, s9, s42
	s_mul_i32 s38, s0, s38
	s_sub_u32 s8, s8, s38
	s_cselect_b64 s[38:39], -1, 0
	s_cmp_lg_u64 s[38:39], 0
	s_subb_u32 s43, s40, s1
	s_sub_u32 s44, s8, s0
	s_cselect_b64 s[40:41], -1, 0
	s_cmp_lg_u64 s[40:41], 0
	s_subb_u32 s45, s43, 0
	s_cmp_ge_u32 s45, s1
	s_cselect_b32 s46, -1, 0
	s_cmp_ge_u32 s44, s0
	s_cselect_b32 s47, -1, 0
	s_cmp_eq_u32 s45, s1
	s_cselect_b32 s46, s47, s46
	s_cmp_lg_u64 s[40:41], 0
	s_subb_u32 s43, s43, s1
	s_sub_u32 s47, s44, s0
	s_cselect_b64 s[40:41], -1, 0
	s_cmp_lg_u64 s[40:41], 0
	s_subb_u32 s40, s43, 0
	s_cmp_lg_u32 s46, 0
	s_cselect_b32 s41, s47, s44
	s_cselect_b32 s40, s40, s45
	s_cmp_lg_u64 s[38:39], 0
	s_subb_u32 s9, s9, s42
	s_cmp_ge_u32 s9, s1
	s_cselect_b32 s38, -1, 0
	s_cmp_ge_u32 s8, s0
	s_cselect_b32 s0, -1, 0
	s_cmp_eq_u32 s9, s1
	s_cselect_b32 s0, s0, s38
	s_cmp_lg_u32 s0, 0
	s_cselect_b32 s1, s40, s9
	s_cselect_b32 s0, s41, s8
	s_xor_b64 s[0:1], s[0:1], s[6:7]
	s_sub_u32 s0, s0, s6
	s_subb_u32 s1, s1, s6
	s_mov_b64 s[6:7], 0
	s_branch .LBB47_156
.LBB47_154:                             ;   in Loop: Header=BB47_32 Depth=1
                                        ; implicit-def: $sgpr6_sgpr7
	s_branch .LBB47_124
.LBB47_155:                             ;   in Loop: Header=BB47_32 Depth=1
                                        ; implicit-def: $sgpr0_sgpr1
.LBB47_156:                             ;   in Loop: Header=BB47_32 Depth=1
	s_andn2_b64 vcc, exec, s[6:7]
	v_readlane_b32 s90, v76, 42
	s_cbranch_vccnz .LBB47_158
; %bb.157:                              ;   in Loop: Header=BB47_32 Depth=1
	v_cvt_f32_u32_e32 v2, s76
	s_sub_i32 s0, 0, s76
	v_readlane_b32 s6, v76, 23
	v_rcp_iflag_f32_e32 v2, v2
	s_nop 0
	v_mul_f32_e32 v2, 0x4f7ffffe, v2
	v_cvt_u32_f32_e32 v2, v2
	s_nop 0
	v_readfirstlane_b32 s1, v2
	s_mul_i32 s0, s0, s1
	s_mul_hi_u32 s0, s1, s0
	s_add_i32 s1, s1, s0
	s_mul_hi_u32 s0, s6, s1
	s_mul_i32 s0, s0, s76
	s_sub_i32 s0, s6, s0
	s_sub_i32 s1, s0, s76
	s_cmp_ge_u32 s0, s76
	s_cselect_b32 s0, s1, s0
	s_sub_i32 s1, s0, s76
	s_cmp_ge_u32 s0, s76
	s_cselect_b32 s78, s1, s0
	s_mov_b64 s[0:1], s[78:79]
.LBB47_158:                             ;   in Loop: Header=BB47_32 Depth=1
	v_readlane_b32 s6, v76, 23
	s_sub_u32 s38, s6, s0
	s_subb_u32 s39, s91, s1
	v_cmp_gt_i64_e32 vcc, s[38:39], v[0:1]
	s_mov_b64 s[6:7], 0
	s_mov_b64 s[0:1], 0
                                        ; implicit-def: $vgpr6_vgpr7
	s_and_saveexec_b64 s[8:9], vcc
	s_cbranch_execz .LBB47_168
; %bb.159:                              ;   in Loop: Header=BB47_32 Depth=1
	v_mov_b64_e32 v[8:9], v[16:17]
	v_mov_b64_e32 v[14:15], v[0:1]
                                        ; implicit-def: $sgpr40_sgpr41
	s_branch .LBB47_163
.LBB47_160:                             ;   in Loop: Header=BB47_163 Depth=2
	s_or_b64 exec, exec, s[42:43]
	s_waitcnt lgkmcnt(0)
	s_barrier
	ds_read_b128 v[4:7], v19 offset:3072
	s_waitcnt lgkmcnt(0)
	s_barrier
	v_cmp_neq_f64_e32 vcc, 0, v[4:5]
	s_cbranch_vccnz .LBB47_166
; %bb.161:                              ;   in Loop: Header=BB47_163 Depth=2
	v_lshl_add_u64 v[14:15], v[14:15], 0, s[76:77]
	v_cmp_le_i64_e32 vcc, s[38:39], v[14:15]
	v_lshl_add_u64 v[8:9], v[8:9], 0, s[80:81]
	s_mov_b64 s[42:43], 0
	s_orn2_b64 s[44:45], vcc, exec
.LBB47_162:                             ;   in Loop: Header=BB47_163 Depth=2
	s_and_b64 s[44:45], exec, s[44:45]
	s_or_b64 s[0:1], s[44:45], s[0:1]
	s_andn2_b64 s[40:41], s[40:41], exec
	s_and_b64 s[42:43], s[42:43], exec
	s_or_b64 s[40:41], s[40:41], s[42:43]
	s_andn2_b64 exec, exec, s[0:1]
	s_cbranch_execz .LBB47_167
.LBB47_163:                             ;   Parent Loop BB47_32 Depth=1
                                        ; =>  This Inner Loop Header: Depth=2
	v_cmp_gt_i64_e32 vcc, s[56:57], v[14:15]
	s_and_saveexec_b64 s[42:43], vcc
	s_cbranch_execz .LBB47_160
; %bb.164:                              ;   in Loop: Header=BB47_163 Depth=2
	global_load_dwordx2 v[4:5], v[8:9], off
	s_waitcnt vmcnt(0)
	v_ashrrev_i32_e32 v2, 31, v5
	v_or_b32_e32 v6, 0x80000000, v2
	v_xor_b32_e32 v2, v2, v4
	v_xor_b32_e32 v6, v6, v5
	v_cmp_o_f64_e32 vcc, v[4:5], v[4:5]
	s_nop 1
	v_cndmask_b32_e32 v2, -1, v2, vcc
	v_cndmask_b32_e32 v6, -1, v6, vcc
	v_and_b32_e32 v7, v6, v39
	v_and_b32_e32 v6, v2, v38
	v_cmp_eq_u64_e32 vcc, v[6:7], v[30:31]
	s_and_b64 exec, exec, vcc
	s_cbranch_execz .LBB47_160
; %bb.165:                              ;   in Loop: Header=BB47_163 Depth=2
	v_mov_b32_e32 v2, v19
	ds_write_b128 v19, v[2:5] offset:3072
	s_branch .LBB47_160
.LBB47_166:                             ;   in Loop: Header=BB47_163 Depth=2
	s_mov_b64 s[44:45], -1
                                        ; implicit-def: $vgpr14_vgpr15
                                        ; implicit-def: $vgpr8_vgpr9
	s_mov_b64 s[42:43], -1
	s_branch .LBB47_162
.LBB47_167:                             ;   in Loop: Header=BB47_32 Depth=1
	s_or_b64 exec, exec, s[0:1]
	s_and_b64 s[0:1], s[40:41], exec
.LBB47_168:                             ;   in Loop: Header=BB47_32 Depth=1
	s_or_b64 exec, exec, s[8:9]
.LBB47_169:                             ;   in Loop: Header=BB47_32 Depth=1
	s_and_b64 vcc, exec, s[6:7]
	s_cbranch_vccz .LBB47_184
; %bb.170:                              ;   in Loop: Header=BB47_32 Depth=1
	v_readlane_b32 s2, v76, 22
	s_add_u32 s26, s36, s2
	v_readlane_b32 s2, v76, 24
	s_addc_u32 s3, s37, s2
	s_mov_b32 s2, s79
	s_cmp_lg_u64 s[2:3], 0
	s_cbranch_scc0 .LBB47_203
; %bb.171:                              ;   in Loop: Header=BB47_32 Depth=1
	s_add_u32 s6, s76, 0
	s_addc_u32 s7, 0, 0
	s_xor_b64 s[6:7], s[6:7], 0
	v_cvt_f32_u32_e32 v2, s6
	v_cvt_f32_u32_e32 v4, s7
	s_sub_u32 s2, 0, s6
	s_subb_u32 s27, 0, s7
	v_fmac_f32_e32 v2, 0x4f800000, v4
	v_rcp_f32_e32 v2, v2
	s_nop 0
	v_mul_f32_e32 v2, 0x5f7ffffc, v2
	v_mul_f32_e32 v4, 0x2f800000, v2
	v_trunc_f32_e32 v4, v4
	v_fmac_f32_e32 v2, 0xcf800000, v4
	v_cvt_u32_f32_e32 v4, v4
	v_cvt_u32_f32_e32 v2, v2
	v_readfirstlane_b32 s38, v4
	v_readfirstlane_b32 s8, v2
	s_mul_i32 s9, s2, s38
	s_mul_hi_u32 s40, s2, s8
	s_mul_i32 s39, s27, s8
	s_add_i32 s9, s40, s9
	s_mul_i32 s41, s2, s8
	s_add_i32 s9, s9, s39
	s_mul_i32 s40, s8, s9
	s_mul_hi_u32 s42, s8, s41
	s_mul_hi_u32 s39, s8, s9
	s_add_u32 s40, s42, s40
	s_addc_u32 s39, 0, s39
	s_mul_hi_u32 s43, s38, s41
	s_mul_i32 s41, s38, s41
	s_add_u32 s40, s40, s41
	s_mul_hi_u32 s42, s38, s9
	s_addc_u32 s39, s39, s43
	s_addc_u32 s40, s42, 0
	s_mul_i32 s9, s38, s9
	s_add_u32 s9, s39, s9
	s_addc_u32 s39, 0, s40
	s_add_u32 s40, s8, s9
	s_cselect_b64 s[8:9], -1, 0
	s_cmp_lg_u64 s[8:9], 0
	s_addc_u32 s38, s38, s39
	s_mul_i32 s8, s2, s38
	s_mul_hi_u32 s9, s2, s40
	s_add_i32 s8, s9, s8
	s_mul_i32 s27, s27, s40
	s_add_i32 s8, s8, s27
	s_mul_i32 s2, s2, s40
	s_mul_hi_u32 s27, s38, s2
	s_mul_i32 s39, s38, s2
	s_mul_i32 s42, s40, s8
	s_mul_hi_u32 s2, s40, s2
	s_mul_hi_u32 s41, s40, s8
	s_add_u32 s2, s2, s42
	s_addc_u32 s41, 0, s41
	s_add_u32 s2, s2, s39
	s_mul_hi_u32 s9, s38, s8
	s_addc_u32 s2, s41, s27
	s_addc_u32 s9, s9, 0
	s_mul_i32 s8, s38, s8
	s_add_u32 s2, s2, s8
	s_addc_u32 s27, 0, s9
	s_add_u32 s2, s40, s2
	s_cselect_b64 s[8:9], -1, 0
	s_cmp_lg_u64 s[8:9], 0
	s_addc_u32 s27, s38, s27
	s_ashr_i32 s8, s3, 31
	s_add_u32 s38, s26, s8
	s_mov_b32 s9, s8
	s_addc_u32 s39, s3, s8
	s_xor_b64 s[38:39], s[38:39], s[8:9]
	s_mul_i32 s41, s38, s27
	s_mul_hi_u32 s42, s38, s2
	s_mul_hi_u32 s40, s38, s27
	s_add_u32 s41, s42, s41
	s_addc_u32 s40, 0, s40
	s_mul_hi_u32 s43, s39, s2
	s_mul_i32 s2, s39, s2
	s_add_u32 s2, s41, s2
	s_mul_hi_u32 s42, s39, s27
	s_addc_u32 s2, s40, s43
	s_addc_u32 s40, s42, 0
	s_mul_i32 s27, s39, s27
	s_add_u32 s2, s2, s27
	s_addc_u32 s27, 0, s40
	s_mul_i32 s27, s6, s27
	s_mul_hi_u32 s40, s6, s2
	s_add_i32 s27, s40, s27
	s_mul_i32 s40, s7, s2
	s_add_i32 s27, s27, s40
	s_sub_i32 s42, s39, s27
	s_mul_i32 s2, s6, s2
	s_sub_u32 s2, s38, s2
	s_cselect_b64 s[40:41], -1, 0
	s_cmp_lg_u64 s[40:41], 0
	s_subb_u32 s38, s42, s7
	s_sub_u32 s44, s2, s6
	s_cselect_b64 s[42:43], -1, 0
	s_cmp_lg_u64 s[42:43], 0
	s_subb_u32 s45, s38, 0
	s_cmp_ge_u32 s45, s7
	s_cselect_b32 s46, -1, 0
	s_cmp_ge_u32 s44, s6
	s_cselect_b32 s47, -1, 0
	s_cmp_eq_u32 s45, s7
	s_cselect_b32 s46, s47, s46
	s_cmp_lg_u64 s[42:43], 0
	s_subb_u32 s38, s38, s7
	s_sub_u32 s47, s44, s6
	s_cselect_b64 s[42:43], -1, 0
	s_cmp_lg_u64 s[42:43], 0
	s_subb_u32 s38, s38, 0
	s_cmp_lg_u32 s46, 0
	s_cselect_b32 s42, s47, s44
	s_cselect_b32 s38, s38, s45
	s_cmp_lg_u64 s[40:41], 0
	s_subb_u32 s27, s39, s27
	s_cmp_ge_u32 s27, s7
	s_cselect_b32 s39, -1, 0
	s_cmp_ge_u32 s2, s6
	s_cselect_b32 s6, -1, 0
	s_cmp_eq_u32 s27, s7
	s_cselect_b32 s6, s6, s39
	s_cmp_lg_u32 s6, 0
	s_cselect_b32 s7, s38, s27
	s_cselect_b32 s6, s42, s2
	s_xor_b64 s[6:7], s[6:7], s[8:9]
	s_sub_u32 s6, s6, s8
	s_subb_u32 s7, s7, s8
	s_cbranch_execnz .LBB47_173
.LBB47_172:                             ;   in Loop: Header=BB47_32 Depth=1
	v_cvt_f32_u32_e32 v2, s76
	s_sub_i32 s2, 0, s76
	v_rcp_iflag_f32_e32 v2, v2
	s_nop 0
	v_mul_f32_e32 v2, 0x4f7ffffe, v2
	v_cvt_u32_f32_e32 v2, v2
	s_nop 0
	v_readfirstlane_b32 s6, v2
	s_mul_i32 s2, s2, s6
	s_mul_hi_u32 s2, s6, s2
	s_add_i32 s6, s6, s2
	s_mul_hi_u32 s2, s26, s6
	s_mul_i32 s2, s2, s76
	s_sub_i32 s2, s26, s2
	s_sub_i32 s6, s2, s76
	s_cmp_ge_u32 s2, s76
	s_cselect_b32 s2, s6, s2
	s_sub_i32 s6, s2, s76
	s_cmp_ge_u32 s2, s76
	s_cselect_b32 s78, s6, s2
	s_mov_b64 s[6:7], s[78:79]
.LBB47_173:                             ;   in Loop: Header=BB47_32 Depth=1
	s_sub_u32 s6, s26, s6
	s_subb_u32 s7, s3, s7
	v_cmp_gt_i64_e32 vcc, s[6:7], v[0:1]
                                        ; implicit-def: $vgpr6_vgpr7
	s_and_saveexec_b64 s[2:3], vcc
	s_cbranch_execz .LBB47_183
; %bb.174:                              ;   in Loop: Header=BB47_32 Depth=1
	s_mov_b64 s[8:9], 0
	v_mov_b32_e32 v14, v57
	v_mov_b64_e32 v[8:9], v[0:1]
                                        ; implicit-def: $sgpr26_sgpr27
	s_branch .LBB47_178
.LBB47_175:                             ;   in Loop: Header=BB47_178 Depth=2
	s_or_b64 exec, exec, s[38:39]
	s_waitcnt lgkmcnt(0)
	s_barrier
	ds_read_b128 v[4:7], v19 offset:3072
	s_waitcnt lgkmcnt(0)
	s_barrier
	v_cmp_eq_f64_e32 vcc, 0, v[4:5]
	s_cbranch_vccz .LBB47_181
; %bb.176:                              ;   in Loop: Header=BB47_178 Depth=2
	v_lshl_add_u64 v[8:9], v[8:9], 0, s[76:77]
	v_cmp_le_i64_e32 vcc, s[6:7], v[8:9]
	v_add_u32_e32 v14, s90, v14
	s_mov_b64 s[38:39], 0
	s_orn2_b64 s[40:41], vcc, exec
.LBB47_177:                             ;   in Loop: Header=BB47_178 Depth=2
	s_and_b64 s[40:41], exec, s[40:41]
	s_or_b64 s[8:9], s[40:41], s[8:9]
	s_andn2_b64 s[26:27], s[26:27], exec
	s_and_b64 s[38:39], s[38:39], exec
	s_or_b64 s[26:27], s[26:27], s[38:39]
	s_andn2_b64 exec, exec, s[8:9]
	s_cbranch_execz .LBB47_182
.LBB47_178:                             ;   Parent Loop BB47_32 Depth=1
                                        ; =>  This Inner Loop Header: Depth=2
	v_cmp_gt_u64_e32 vcc, s[36:37], v[8:9]
	s_and_saveexec_b64 s[38:39], vcc
	s_cbranch_execz .LBB47_175
; %bb.179:                              ;   in Loop: Header=BB47_178 Depth=2
	ds_read_b64 v[4:5], v14
	s_waitcnt lgkmcnt(0)
	v_ashrrev_i32_e32 v2, 31, v5
	v_or_b32_e32 v6, 0x80000000, v2
	v_xor_b32_e32 v2, v2, v4
	v_xor_b32_e32 v6, v6, v5
	v_cmp_o_f64_e32 vcc, v[4:5], v[4:5]
	s_nop 1
	v_cndmask_b32_e32 v2, -1, v2, vcc
	v_cndmask_b32_e32 v6, -1, v6, vcc
	v_and_b32_e32 v7, v6, v39
	v_and_b32_e32 v6, v2, v38
	v_cmp_eq_u64_e32 vcc, v[6:7], v[30:31]
	s_and_b64 exec, exec, vcc
	s_cbranch_execz .LBB47_175
; %bb.180:                              ;   in Loop: Header=BB47_178 Depth=2
	v_mov_b32_e32 v2, v19
	ds_write_b128 v19, v[2:5] offset:3072
	s_branch .LBB47_175
.LBB47_181:                             ;   in Loop: Header=BB47_178 Depth=2
	s_mov_b64 s[40:41], -1
                                        ; implicit-def: $vgpr8_vgpr9
                                        ; implicit-def: $vgpr14
	s_mov_b64 s[38:39], -1
	s_branch .LBB47_177
.LBB47_182:                             ;   in Loop: Header=BB47_32 Depth=1
	s_or_b64 exec, exec, s[8:9]
	s_andn2_b64 s[0:1], s[0:1], exec
	s_and_b64 s[6:7], s[26:27], exec
	s_or_b64 s[0:1], s[0:1], s[6:7]
.LBB47_183:                             ;   in Loop: Header=BB47_32 Depth=1
	s_or_b64 exec, exec, s[2:3]
	s_mov_b64 s[2:3], 0
	s_mov_b64 s[26:27], -1
.LBB47_184:                             ;   in Loop: Header=BB47_32 Depth=1
	s_orn2_b64 s[0:1], s[0:1], exec
.LBB47_185:                             ;   in Loop: Header=BB47_32 Depth=1
	s_or_b64 exec, exec, s[30:31]
	s_mov_b64 s[6:7], 0
	s_and_saveexec_b64 s[30:31], s[0:1]
	s_cbranch_execz .LBB47_297
; %bb.186:                              ;   in Loop: Header=BB47_32 Depth=1
	s_xor_b64 s[8:9], s[34:35], -1
	v_mov_b32_e32 v18, 1
	v_mov_b64_e32 v[8:9], 1
	s_and_saveexec_b64 s[0:1], s[8:9]
	s_cbranch_execz .LBB47_196
; %bb.187:                              ;   in Loop: Header=BB47_32 Depth=1
	v_cmp_le_i64_e32 vcc, v[12:13], v[10:11]
	s_and_saveexec_b64 s[6:7], vcc
	s_xor_b64 s[6:7], exec, s[6:7]
	s_cbranch_execz .LBB47_193
; %bb.188:                              ;   in Loop: Header=BB47_32 Depth=1
	ds_read_b64 v[4:5], v19 offset:5120
	s_lshl_b64 s[8:9], 1, s5
	v_and_b32_e32 v2, s25, v31
	v_and_b32_e32 v8, s24, v30
	v_or_b32_e32 v31, s9, v2
	s_waitcnt lgkmcnt(0)
	v_cmp_ne_u64_e32 vcc, 0, v[4:5]
	v_or_b32_e32 v30, s8, v8
	v_or_b32_e32 v39, s15, v39
	;; [unrolled: 1-line block ×3, first 2 shown]
	s_cbranch_vccnz .LBB47_192
; %bb.189:                              ;   in Loop: Header=BB47_32 Depth=1
	s_mov_b64 s[8:9], exec
	v_readlane_b32 s34, v76, 8
	v_readlane_b32 s35, v76, 9
	s_and_b64 s[34:35], s[8:9], s[34:35]
	s_mov_b64 exec, s[34:35]
; %bb.190:                              ;   in Loop: Header=BB47_32 Depth=1
	ds_write_b64 v19, v[10:11] offset:5128
; %bb.191:                              ;   in Loop: Header=BB47_32 Depth=1
	s_or_b64 exec, exec, s[8:9]
	s_waitcnt lgkmcnt(0)
	s_barrier
.LBB47_192:                             ;   in Loop: Header=BB47_32 Depth=1
                                        ; implicit-def: $vgpr8_vgpr9_vgpr10_vgpr11
.LBB47_193:                             ;   in Loop: Header=BB47_32 Depth=1
	s_or_saveexec_b64 s[6:7], s[6:7]
	s_mov_b64 s[8:9], 0
	v_mov_b32_e32 v18, 8
	s_xor_b64 exec, exec, s[6:7]
; %bb.194:                              ;   in Loop: Header=BB47_32 Depth=1
	v_sub_co_u32_e32 v12, vcc, v12, v10
	s_mov_b64 s[8:9], exec
	s_nop 0
	v_subb_co_u32_e32 v13, vcc, v13, v11, vcc
	v_mov_b32_e32 v18, 0
; %bb.195:                              ;   in Loop: Header=BB47_32 Depth=1
	s_or_b64 exec, exec, s[6:7]
	s_and_b64 s[6:7], s[8:9], exec
	v_mov_b64_e32 v[8:9], v[12:13]
.LBB47_196:                             ;   in Loop: Header=BB47_32 Depth=1
	s_or_b64 exec, exec, s[0:1]
	s_mov_b64 s[0:1], -1
                                        ; implicit-def: $sgpr36_sgpr37
                                        ; implicit-def: $sgpr38_sgpr39
	s_and_saveexec_b64 s[34:35], s[6:7]
	s_cbranch_execz .LBB47_296
; %bb.197:                              ;   in Loop: Header=BB47_32 Depth=1
	s_cmp_eq_u64 s[22:23], 1
	s_cselect_b64 s[0:1], -1, 0
	v_cmp_eq_u64_e32 vcc, 1, v[8:9]
	s_and_b64 s[42:43], s[0:1], vcc
	s_mov_b64 s[0:1], -1
                                        ; implicit-def: $sgpr38_sgpr39
                                        ; implicit-def: $sgpr36_sgpr37
	s_and_saveexec_b64 s[40:41], s[42:43]
	s_cbranch_execz .LBB47_234
; %bb.198:                              ;   in Loop: Header=BB47_32 Depth=1
	ds_read_b64 v[4:5], v19 offset:5120
	s_waitcnt lgkmcnt(0)
	s_barrier
	v_readfirstlane_b32 s44, v4
	v_readfirstlane_b32 s45, v5
	s_mov_b64 s[0:1], exec
	v_readlane_b32 s6, v76, 10
	v_readlane_b32 s7, v76, 11
	s_and_b64 s[6:7], s[0:1], s[6:7]
	s_mov_b64 exec, s[6:7]
; %bb.199:                              ;   in Loop: Header=BB47_32 Depth=1
	ds_write_b64 v58, v[66:67]
; %bb.200:                              ;   in Loop: Header=BB47_32 Depth=1
	s_or_b64 exec, exec, s[0:1]
	s_lshl_b64 s[0:1], 2, s5
	v_and_b32_e32 v2, s25, v31
	v_and_b32_e32 v4, s24, v30
	v_or_b32_e32 v31, s1, v2
	v_or_b32_e32 v30, s0, v4
	v_cmp_gt_i64_e64 s[0:1], s[44:45], 0
	v_or_b32_e32 v39, s15, v39
	v_or_b32_e32 v38, s14, v38
	s_mov_b64 s[36:37], -1
	s_mov_b64 s[38:39], 0
	s_and_b64 vcc, exec, s[0:1]
	s_mov_b64 s[0:1], 0
	s_mov_b64 s[6:7], -1
	s_waitcnt lgkmcnt(0)
	s_barrier
                                        ; implicit-def: $vgpr6_vgpr7
	s_cbranch_vccnz .LBB47_218
; %bb.201:                              ;   in Loop: Header=BB47_32 Depth=1
	s_mov_b32 s90, s79
	s_cmp_lg_u64 s[90:91], 0
	s_cbranch_scc0 .LBB47_204
; %bb.202:                              ;   in Loop: Header=BB47_32 Depth=1
	s_add_u32 s0, s76, 0
	s_addc_u32 s1, 0, 0
	s_xor_b64 s[0:1], s[0:1], 0
	v_cvt_f32_u32_e32 v2, s0
	v_cvt_f32_u32_e32 v4, s1
	s_sub_u32 s8, 0, s0
	s_subb_u32 s9, 0, s1
	v_fmac_f32_e32 v2, 0x4f800000, v4
	v_rcp_f32_e32 v2, v2
	s_nop 0
	v_mul_f32_e32 v2, 0x5f7ffffc, v2
	v_mul_f32_e32 v4, 0x2f800000, v2
	v_trunc_f32_e32 v4, v4
	v_fmac_f32_e32 v2, 0xcf800000, v4
	v_cvt_u32_f32_e32 v4, v4
	v_cvt_u32_f32_e32 v2, v2
	v_readfirstlane_b32 s46, v4
	v_readfirstlane_b32 s6, v2
	s_mul_i32 s7, s8, s46
	s_mul_hi_u32 s48, s8, s6
	s_mul_i32 s47, s9, s6
	s_add_i32 s7, s48, s7
	s_mul_i32 s49, s8, s6
	s_add_i32 s7, s7, s47
	s_mul_i32 s48, s6, s7
	s_mul_hi_u32 s50, s6, s49
	s_mul_hi_u32 s47, s6, s7
	s_add_u32 s48, s50, s48
	s_addc_u32 s47, 0, s47
	s_mul_hi_u32 s51, s46, s49
	s_mul_i32 s49, s46, s49
	s_add_u32 s48, s48, s49
	s_mul_hi_u32 s50, s46, s7
	s_addc_u32 s47, s47, s51
	s_addc_u32 s48, s50, 0
	s_mul_i32 s7, s46, s7
	s_add_u32 s7, s47, s7
	s_addc_u32 s47, 0, s48
	s_add_u32 s48, s6, s7
	s_cselect_b64 s[6:7], -1, 0
	s_cmp_lg_u64 s[6:7], 0
	s_addc_u32 s46, s46, s47
	s_mul_i32 s6, s8, s46
	s_mul_hi_u32 s7, s8, s48
	s_add_i32 s6, s7, s6
	s_mul_i32 s9, s9, s48
	s_add_i32 s6, s6, s9
	s_mul_i32 s8, s8, s48
	s_mul_hi_u32 s9, s46, s8
	s_mul_i32 s47, s46, s8
	s_mul_i32 s50, s48, s6
	s_mul_hi_u32 s8, s48, s8
	s_mul_hi_u32 s49, s48, s6
	s_add_u32 s8, s8, s50
	s_addc_u32 s49, 0, s49
	s_add_u32 s8, s8, s47
	s_mul_hi_u32 s7, s46, s6
	s_addc_u32 s8, s49, s9
	s_addc_u32 s7, s7, 0
	s_mul_i32 s6, s46, s6
	s_add_u32 s6, s8, s6
	s_addc_u32 s8, 0, s7
	s_add_u32 s47, s48, s6
	s_cselect_b64 s[6:7], -1, 0
	s_cmp_lg_u64 s[6:7], 0
	s_addc_u32 s46, s46, s8
	s_ashr_i32 s6, s91, 31
	v_readlane_b32 s8, v76, 23
	s_add_u32 s8, s8, s6
	s_mov_b32 s7, s6
	s_addc_u32 s9, s91, s6
	s_xor_b64 s[8:9], s[8:9], s[6:7]
	s_mul_i32 s49, s8, s46
	s_mul_hi_u32 s50, s8, s47
	s_mul_hi_u32 s48, s8, s46
	s_add_u32 s49, s50, s49
	s_addc_u32 s48, 0, s48
	s_mul_hi_u32 s51, s9, s47
	s_mul_i32 s47, s9, s47
	s_add_u32 s47, s49, s47
	s_mul_hi_u32 s50, s9, s46
	s_addc_u32 s47, s48, s51
	s_addc_u32 s48, s50, 0
	s_mul_i32 s46, s9, s46
	s_add_u32 s46, s47, s46
	s_addc_u32 s47, 0, s48
	s_mul_i32 s47, s0, s47
	s_mul_hi_u32 s48, s0, s46
	s_add_i32 s47, s48, s47
	s_mul_i32 s48, s1, s46
	s_add_i32 s50, s47, s48
	s_sub_i32 s48, s9, s50
	s_mul_i32 s46, s0, s46
	s_sub_u32 s8, s8, s46
	s_cselect_b64 s[46:47], -1, 0
	s_cmp_lg_u64 s[46:47], 0
	s_subb_u32 s51, s48, s1
	s_sub_u32 s52, s8, s0
	s_cselect_b64 s[48:49], -1, 0
	s_cmp_lg_u64 s[48:49], 0
	s_subb_u32 s53, s51, 0
	s_cmp_ge_u32 s53, s1
	s_cselect_b32 s70, -1, 0
	s_cmp_ge_u32 s52, s0
	s_cselect_b32 s71, -1, 0
	s_cmp_eq_u32 s53, s1
	s_cselect_b32 s70, s71, s70
	s_cmp_lg_u64 s[48:49], 0
	s_subb_u32 s51, s51, s1
	s_sub_u32 s71, s52, s0
	s_cselect_b64 s[48:49], -1, 0
	s_cmp_lg_u64 s[48:49], 0
	s_subb_u32 s48, s51, 0
	s_cmp_lg_u32 s70, 0
	s_cselect_b32 s49, s71, s52
	s_cselect_b32 s48, s48, s53
	s_cmp_lg_u64 s[46:47], 0
	s_subb_u32 s9, s9, s50
	s_cmp_ge_u32 s9, s1
	s_cselect_b32 s46, -1, 0
	s_cmp_ge_u32 s8, s0
	s_cselect_b32 s0, -1, 0
	s_cmp_eq_u32 s9, s1
	s_cselect_b32 s0, s0, s46
	s_cmp_lg_u32 s0, 0
	s_cselect_b32 s1, s48, s9
	s_cselect_b32 s0, s49, s8
	s_xor_b64 s[0:1], s[0:1], s[6:7]
	s_sub_u32 s0, s0, s6
	s_subb_u32 s1, s1, s6
	s_mov_b64 s[6:7], 0
	s_branch .LBB47_205
.LBB47_203:                             ;   in Loop: Header=BB47_32 Depth=1
                                        ; implicit-def: $sgpr6_sgpr7
	s_branch .LBB47_172
.LBB47_204:                             ;   in Loop: Header=BB47_32 Depth=1
                                        ; implicit-def: $sgpr0_sgpr1
.LBB47_205:                             ;   in Loop: Header=BB47_32 Depth=1
	s_andn2_b64 vcc, exec, s[6:7]
	v_readlane_b32 s90, v76, 42
	s_cbranch_vccnz .LBB47_207
; %bb.206:                              ;   in Loop: Header=BB47_32 Depth=1
	v_cvt_f32_u32_e32 v2, s76
	s_sub_i32 s0, 0, s76
	v_readlane_b32 s6, v76, 23
	v_rcp_iflag_f32_e32 v2, v2
	s_nop 0
	v_mul_f32_e32 v2, 0x4f7ffffe, v2
	v_cvt_u32_f32_e32 v2, v2
	s_nop 0
	v_readfirstlane_b32 s1, v2
	s_mul_i32 s0, s0, s1
	s_mul_hi_u32 s0, s1, s0
	s_add_i32 s1, s1, s0
	s_mul_hi_u32 s0, s6, s1
	s_mul_i32 s0, s0, s76
	s_sub_i32 s0, s6, s0
	s_sub_i32 s1, s0, s76
	s_cmp_ge_u32 s0, s76
	s_cselect_b32 s0, s1, s0
	s_sub_i32 s1, s0, s76
	s_cmp_ge_u32 s0, s76
	s_cselect_b32 s78, s1, s0
	s_mov_b64 s[0:1], s[78:79]
.LBB47_207:                             ;   in Loop: Header=BB47_32 Depth=1
	v_readlane_b32 s6, v76, 23
	s_sub_u32 s46, s6, s0
	s_subb_u32 s47, s91, s1
	v_cmp_gt_i64_e32 vcc, s[46:47], v[0:1]
	s_mov_b64 s[6:7], 0
	s_mov_b64 s[0:1], 0
                                        ; implicit-def: $vgpr6_vgpr7
	s_and_saveexec_b64 s[8:9], vcc
	v_readlane_b32 s70, v76, 40
	v_readlane_b32 s71, v76, 41
	s_cbranch_execz .LBB47_217
; %bb.208:                              ;   in Loop: Header=BB47_32 Depth=1
	v_mov_b64_e32 v[10:11], v[16:17]
	v_mov_b64_e32 v[12:13], v[0:1]
                                        ; implicit-def: $sgpr48_sgpr49
	s_branch .LBB47_212
.LBB47_209:                             ;   in Loop: Header=BB47_212 Depth=2
	s_or_b64 exec, exec, s[50:51]
	s_waitcnt lgkmcnt(0)
	s_barrier
	ds_read_b128 v[4:7], v19 offset:3072
	s_waitcnt lgkmcnt(0)
	s_barrier
	v_cmp_neq_f64_e32 vcc, 0, v[4:5]
	s_cbranch_vccnz .LBB47_215
; %bb.210:                              ;   in Loop: Header=BB47_212 Depth=2
	v_lshl_add_u64 v[12:13], v[12:13], 0, s[76:77]
	v_cmp_le_i64_e32 vcc, s[46:47], v[12:13]
	v_lshl_add_u64 v[10:11], v[10:11], 0, s[80:81]
	s_mov_b64 s[50:51], 0
	s_orn2_b64 s[52:53], vcc, exec
.LBB47_211:                             ;   in Loop: Header=BB47_212 Depth=2
	s_and_b64 s[52:53], exec, s[52:53]
	s_or_b64 s[0:1], s[52:53], s[0:1]
	s_andn2_b64 s[48:49], s[48:49], exec
	s_and_b64 s[50:51], s[50:51], exec
	s_or_b64 s[48:49], s[48:49], s[50:51]
	s_andn2_b64 exec, exec, s[0:1]
	s_cbranch_execz .LBB47_216
.LBB47_212:                             ;   Parent Loop BB47_32 Depth=1
                                        ; =>  This Inner Loop Header: Depth=2
	v_cmp_gt_i64_e32 vcc, s[56:57], v[12:13]
	s_and_saveexec_b64 s[50:51], vcc
	s_cbranch_execz .LBB47_209
; %bb.213:                              ;   in Loop: Header=BB47_212 Depth=2
	global_load_dwordx2 v[4:5], v[10:11], off
	s_waitcnt vmcnt(0)
	v_ashrrev_i32_e32 v2, 31, v5
	v_or_b32_e32 v6, 0x80000000, v2
	v_xor_b32_e32 v2, v2, v4
	v_xor_b32_e32 v6, v6, v5
	v_cmp_o_f64_e32 vcc, v[4:5], v[4:5]
	s_nop 1
	v_cndmask_b32_e32 v2, -1, v2, vcc
	v_cndmask_b32_e32 v6, -1, v6, vcc
	v_and_b32_e32 v7, v6, v39
	v_and_b32_e32 v6, v2, v38
	v_cmp_eq_u64_e32 vcc, v[6:7], v[30:31]
	s_and_b64 exec, exec, vcc
	s_cbranch_execz .LBB47_209
; %bb.214:                              ;   in Loop: Header=BB47_212 Depth=2
	v_mov_b32_e32 v2, v19
	ds_write_b128 v19, v[2:5] offset:3072
	s_branch .LBB47_209
.LBB47_215:                             ;   in Loop: Header=BB47_212 Depth=2
	s_mov_b64 s[52:53], -1
                                        ; implicit-def: $vgpr12_vgpr13
                                        ; implicit-def: $vgpr10_vgpr11
	s_mov_b64 s[50:51], -1
	s_branch .LBB47_211
.LBB47_216:                             ;   in Loop: Header=BB47_32 Depth=1
	s_or_b64 exec, exec, s[0:1]
	s_and_b64 s[0:1], s[48:49], exec
.LBB47_217:                             ;   in Loop: Header=BB47_32 Depth=1
	s_or_b64 exec, exec, s[8:9]
.LBB47_218:                             ;   in Loop: Header=BB47_32 Depth=1
	s_and_b64 vcc, exec, s[6:7]
	s_cbranch_vccz .LBB47_233
; %bb.219:                              ;   in Loop: Header=BB47_32 Depth=1
	v_readlane_b32 s6, v76, 22
	s_add_u32 s38, s44, s6
	v_readlane_b32 s6, v76, 24
	s_addc_u32 s7, s45, s6
	s_mov_b32 s6, s79
	s_cmp_lg_u64 s[6:7], 0
	s_cbranch_scc0 .LBB47_251
; %bb.220:                              ;   in Loop: Header=BB47_32 Depth=1
	s_add_u32 s8, s76, 0
	s_addc_u32 s9, 0, 0
	s_xor_b64 s[8:9], s[8:9], 0
	v_cvt_f32_u32_e32 v2, s8
	v_cvt_f32_u32_e32 v4, s9
	s_sub_u32 s6, 0, s8
	s_subb_u32 s39, 0, s9
	v_fmac_f32_e32 v2, 0x4f800000, v4
	v_rcp_f32_e32 v2, v2
	s_nop 0
	v_mul_f32_e32 v2, 0x5f7ffffc, v2
	v_mul_f32_e32 v4, 0x2f800000, v2
	v_trunc_f32_e32 v4, v4
	v_fmac_f32_e32 v2, 0xcf800000, v4
	v_cvt_u32_f32_e32 v4, v4
	v_cvt_u32_f32_e32 v2, v2
	v_readfirstlane_b32 s46, v4
	v_readfirstlane_b32 s36, v2
	s_mul_i32 s37, s6, s46
	s_mul_hi_u32 s48, s6, s36
	s_mul_i32 s47, s39, s36
	s_add_i32 s37, s48, s37
	s_mul_i32 s49, s6, s36
	s_add_i32 s37, s37, s47
	s_mul_i32 s48, s36, s37
	s_mul_hi_u32 s50, s36, s49
	s_mul_hi_u32 s47, s36, s37
	s_add_u32 s48, s50, s48
	s_addc_u32 s47, 0, s47
	s_mul_hi_u32 s51, s46, s49
	s_mul_i32 s49, s46, s49
	s_add_u32 s48, s48, s49
	s_mul_hi_u32 s50, s46, s37
	s_addc_u32 s47, s47, s51
	s_addc_u32 s48, s50, 0
	s_mul_i32 s37, s46, s37
	s_add_u32 s37, s47, s37
	s_addc_u32 s47, 0, s48
	s_add_u32 s48, s36, s37
	s_cselect_b64 s[36:37], -1, 0
	s_cmp_lg_u64 s[36:37], 0
	s_addc_u32 s46, s46, s47
	s_mul_i32 s36, s6, s46
	s_mul_hi_u32 s37, s6, s48
	s_add_i32 s36, s37, s36
	s_mul_i32 s39, s39, s48
	s_add_i32 s36, s36, s39
	s_mul_i32 s6, s6, s48
	s_mul_hi_u32 s39, s46, s6
	s_mul_i32 s47, s46, s6
	s_mul_i32 s50, s48, s36
	s_mul_hi_u32 s6, s48, s6
	s_mul_hi_u32 s49, s48, s36
	s_add_u32 s6, s6, s50
	s_addc_u32 s49, 0, s49
	s_add_u32 s6, s6, s47
	s_mul_hi_u32 s37, s46, s36
	s_addc_u32 s6, s49, s39
	s_addc_u32 s37, s37, 0
	s_mul_i32 s36, s46, s36
	s_add_u32 s6, s6, s36
	s_addc_u32 s39, 0, s37
	s_add_u32 s6, s48, s6
	s_cselect_b64 s[36:37], -1, 0
	s_cmp_lg_u64 s[36:37], 0
	s_addc_u32 s39, s46, s39
	s_ashr_i32 s36, s7, 31
	s_add_u32 s46, s38, s36
	s_mov_b32 s37, s36
	s_addc_u32 s47, s7, s36
	s_xor_b64 s[46:47], s[46:47], s[36:37]
	s_mul_i32 s49, s46, s39
	s_mul_hi_u32 s50, s46, s6
	s_mul_hi_u32 s48, s46, s39
	s_add_u32 s49, s50, s49
	s_addc_u32 s48, 0, s48
	s_mul_hi_u32 s51, s47, s6
	s_mul_i32 s6, s47, s6
	s_add_u32 s6, s49, s6
	s_mul_hi_u32 s50, s47, s39
	s_addc_u32 s6, s48, s51
	s_addc_u32 s48, s50, 0
	s_mul_i32 s39, s47, s39
	s_add_u32 s6, s6, s39
	s_addc_u32 s39, 0, s48
	s_mul_i32 s39, s8, s39
	s_mul_hi_u32 s48, s8, s6
	s_add_i32 s39, s48, s39
	s_mul_i32 s48, s9, s6
	s_add_i32 s39, s39, s48
	s_sub_i32 s50, s47, s39
	s_mul_i32 s6, s8, s6
	s_sub_u32 s6, s46, s6
	s_cselect_b64 s[48:49], -1, 0
	s_cmp_lg_u64 s[48:49], 0
	s_subb_u32 s46, s50, s9
	s_sub_u32 s52, s6, s8
	s_cselect_b64 s[50:51], -1, 0
	s_cmp_lg_u64 s[50:51], 0
	s_subb_u32 s53, s46, 0
	s_cmp_ge_u32 s53, s9
	s_cselect_b32 s70, -1, 0
	s_cmp_ge_u32 s52, s8
	s_cselect_b32 s71, -1, 0
	s_cmp_eq_u32 s53, s9
	s_cselect_b32 s70, s71, s70
	s_cmp_lg_u64 s[50:51], 0
	s_subb_u32 s46, s46, s9
	s_sub_u32 s71, s52, s8
	s_cselect_b64 s[50:51], -1, 0
	s_cmp_lg_u64 s[50:51], 0
	s_subb_u32 s46, s46, 0
	s_cmp_lg_u32 s70, 0
	s_cselect_b32 s50, s71, s52
	s_cselect_b32 s46, s46, s53
	s_cmp_lg_u64 s[48:49], 0
	s_subb_u32 s39, s47, s39
	s_cmp_ge_u32 s39, s9
	s_cselect_b32 s47, -1, 0
	s_cmp_ge_u32 s6, s8
	s_cselect_b32 s8, -1, 0
	s_cmp_eq_u32 s39, s9
	s_cselect_b32 s8, s8, s47
	s_cmp_lg_u32 s8, 0
	s_cselect_b32 s9, s46, s39
	s_cselect_b32 s8, s50, s6
	s_xor_b64 s[8:9], s[8:9], s[36:37]
	v_readlane_b32 s70, v76, 40
	s_sub_u32 s8, s8, s36
	v_readlane_b32 s71, v76, 41
	s_subb_u32 s9, s9, s36
	s_cbranch_execnz .LBB47_222
.LBB47_221:                             ;   in Loop: Header=BB47_32 Depth=1
	v_cvt_f32_u32_e32 v2, s76
	s_sub_i32 s6, 0, s76
	v_rcp_iflag_f32_e32 v2, v2
	s_nop 0
	v_mul_f32_e32 v2, 0x4f7ffffe, v2
	v_cvt_u32_f32_e32 v2, v2
	s_nop 0
	v_readfirstlane_b32 s8, v2
	s_mul_i32 s6, s6, s8
	s_mul_hi_u32 s6, s8, s6
	s_add_i32 s8, s8, s6
	s_mul_hi_u32 s6, s38, s8
	s_mul_i32 s6, s6, s76
	s_sub_i32 s6, s38, s6
	s_sub_i32 s8, s6, s76
	s_cmp_ge_u32 s6, s76
	s_cselect_b32 s6, s8, s6
	s_sub_i32 s8, s6, s76
	s_cmp_ge_u32 s6, s76
	s_cselect_b32 s78, s8, s6
	s_mov_b64 s[8:9], s[78:79]
.LBB47_222:                             ;   in Loop: Header=BB47_32 Depth=1
	s_sub_u32 s8, s38, s8
	s_subb_u32 s9, s7, s9
	v_cmp_gt_i64_e32 vcc, s[8:9], v[0:1]
                                        ; implicit-def: $vgpr6_vgpr7
	s_and_saveexec_b64 s[6:7], vcc
	s_cbranch_execz .LBB47_232
; %bb.223:                              ;   in Loop: Header=BB47_32 Depth=1
	s_mov_b64 s[36:37], 0
	v_mov_b32_e32 v12, v57
	v_mov_b64_e32 v[10:11], v[0:1]
                                        ; implicit-def: $sgpr38_sgpr39
	s_branch .LBB47_227
.LBB47_224:                             ;   in Loop: Header=BB47_227 Depth=2
	s_or_b64 exec, exec, s[46:47]
	s_waitcnt lgkmcnt(0)
	s_barrier
	ds_read_b128 v[4:7], v19 offset:3072
	s_waitcnt lgkmcnt(0)
	s_barrier
	v_cmp_eq_f64_e32 vcc, 0, v[4:5]
	s_cbranch_vccz .LBB47_230
; %bb.225:                              ;   in Loop: Header=BB47_227 Depth=2
	v_lshl_add_u64 v[10:11], v[10:11], 0, s[76:77]
	v_cmp_le_i64_e32 vcc, s[8:9], v[10:11]
	v_add_u32_e32 v12, s90, v12
	s_mov_b64 s[46:47], 0
	s_orn2_b64 s[48:49], vcc, exec
.LBB47_226:                             ;   in Loop: Header=BB47_227 Depth=2
	s_and_b64 s[48:49], exec, s[48:49]
	s_or_b64 s[36:37], s[48:49], s[36:37]
	s_andn2_b64 s[38:39], s[38:39], exec
	s_and_b64 s[46:47], s[46:47], exec
	s_or_b64 s[38:39], s[38:39], s[46:47]
	s_andn2_b64 exec, exec, s[36:37]
	s_cbranch_execz .LBB47_231
.LBB47_227:                             ;   Parent Loop BB47_32 Depth=1
                                        ; =>  This Inner Loop Header: Depth=2
	v_cmp_gt_u64_e32 vcc, s[44:45], v[10:11]
	s_and_saveexec_b64 s[46:47], vcc
	s_cbranch_execz .LBB47_224
; %bb.228:                              ;   in Loop: Header=BB47_227 Depth=2
	ds_read_b64 v[4:5], v12
	s_waitcnt lgkmcnt(0)
	v_ashrrev_i32_e32 v2, 31, v5
	v_or_b32_e32 v6, 0x80000000, v2
	v_xor_b32_e32 v2, v2, v4
	v_xor_b32_e32 v6, v6, v5
	v_cmp_o_f64_e32 vcc, v[4:5], v[4:5]
	s_nop 1
	v_cndmask_b32_e32 v2, -1, v2, vcc
	v_cndmask_b32_e32 v6, -1, v6, vcc
	v_and_b32_e32 v7, v6, v39
	v_and_b32_e32 v6, v2, v38
	v_cmp_eq_u64_e32 vcc, v[6:7], v[30:31]
	s_and_b64 exec, exec, vcc
	s_cbranch_execz .LBB47_224
; %bb.229:                              ;   in Loop: Header=BB47_227 Depth=2
	v_mov_b32_e32 v2, v19
	ds_write_b128 v19, v[2:5] offset:3072
	s_branch .LBB47_224
.LBB47_230:                             ;   in Loop: Header=BB47_227 Depth=2
	s_mov_b64 s[48:49], -1
                                        ; implicit-def: $vgpr10_vgpr11
                                        ; implicit-def: $vgpr12
	s_mov_b64 s[46:47], -1
	s_branch .LBB47_226
.LBB47_231:                             ;   in Loop: Header=BB47_32 Depth=1
	s_or_b64 exec, exec, s[36:37]
	s_andn2_b64 s[0:1], s[0:1], exec
	s_and_b64 s[8:9], s[38:39], exec
	s_or_b64 s[0:1], s[0:1], s[8:9]
.LBB47_232:                             ;   in Loop: Header=BB47_32 Depth=1
	s_or_b64 exec, exec, s[6:7]
	s_mov_b64 s[36:37], 0
	s_mov_b64 s[38:39], -1
.LBB47_233:                             ;   in Loop: Header=BB47_32 Depth=1
	s_orn2_b64 s[0:1], s[0:1], exec
.LBB47_234:                             ;   in Loop: Header=BB47_32 Depth=1
	s_or_b64 exec, exec, s[40:41]
	s_mov_b64 s[6:7], 0
	s_and_saveexec_b64 s[40:41], s[0:1]
	s_cbranch_execz .LBB47_295
; %bb.235:                              ;   in Loop: Header=BB47_32 Depth=1
	s_xor_b64 s[6:7], s[42:43], -1
	v_mov_b32_e32 v18, 1
	s_mov_b64 s[8:9], 0
	v_mov_b64_e32 v[10:11], 1
	s_and_saveexec_b64 s[0:1], s[6:7]
	s_cbranch_execz .LBB47_244
; %bb.236:                              ;   in Loop: Header=BB47_32 Depth=1
	v_cmp_ge_i64_e32 vcc, s[22:23], v[8:9]
	s_and_saveexec_b64 s[6:7], vcc
	s_xor_b64 s[6:7], exec, s[6:7]
	s_cbranch_execz .LBB47_241
; %bb.237:                              ;   in Loop: Header=BB47_32 Depth=1
	ds_read_b64 v[4:5], v19 offset:5120
	s_lshl_b64 s[8:9], 2, s5
	v_and_b32_e32 v2, s25, v31
	v_and_b32_e32 v10, s24, v30
	v_or_b32_e32 v31, s9, v2
	s_waitcnt lgkmcnt(0)
	v_cmp_ne_u64_e32 vcc, 0, v[4:5]
	v_or_b32_e32 v30, s8, v10
	v_or_b32_e32 v39, s15, v39
	;; [unrolled: 1-line block ×3, first 2 shown]
	s_cbranch_vccnz .LBB47_241
; %bb.238:                              ;   in Loop: Header=BB47_32 Depth=1
	s_mov_b64 s[8:9], exec
	v_readlane_b32 s24, v76, 8
	v_readlane_b32 s25, v76, 9
	s_and_b64 s[24:25], s[8:9], s[24:25]
	s_mov_b64 exec, s[24:25]
; %bb.239:                              ;   in Loop: Header=BB47_32 Depth=1
	v_mov_b64_e32 v[4:5], s[22:23]
	ds_write_b64 v19, v[4:5] offset:5128
; %bb.240:                              ;   in Loop: Header=BB47_32 Depth=1
	s_or_b64 exec, exec, s[8:9]
	s_waitcnt lgkmcnt(0)
	s_barrier
.LBB47_241:                             ;   in Loop: Header=BB47_32 Depth=1
	s_or_saveexec_b64 s[6:7], s[6:7]
	s_mov_b64 s[8:9], 0
	v_mov_b32_e32 v18, 8
	s_xor_b64 exec, exec, s[6:7]
; %bb.242:                              ;   in Loop: Header=BB47_32 Depth=1
	v_mov_b32_e32 v2, s23
	v_subrev_co_u32_e32 v8, vcc, s22, v8
	s_mov_b64 s[8:9], exec
	s_nop 0
	v_subb_co_u32_e32 v9, vcc, v9, v2, vcc
	v_mov_b32_e32 v18, 0
; %bb.243:                              ;   in Loop: Header=BB47_32 Depth=1
	s_or_b64 exec, exec, s[6:7]
	s_and_b64 s[8:9], s[8:9], exec
	v_mov_b64_e32 v[10:11], v[8:9]
.LBB47_244:                             ;   in Loop: Header=BB47_32 Depth=1
	s_or_b64 exec, exec, s[0:1]
	s_mov_b64 s[6:7], -1
                                        ; implicit-def: $sgpr46_sgpr47
                                        ; implicit-def: $sgpr0_sgpr1
	s_and_saveexec_b64 s[22:23], s[8:9]
	s_cbranch_execz .LBB47_294
; %bb.245:                              ;   in Loop: Header=BB47_32 Depth=1
	s_cmp_eq_u64 s[12:13], 1
	s_cselect_b64 s[0:1], -1, 0
	v_cmp_eq_u64_e32 vcc, 1, v[10:11]
	s_and_b64 s[24:25], s[0:1], vcc
	s_mov_b64 s[8:9], -1
                                        ; implicit-def: $sgpr46_sgpr47
                                        ; implicit-def: $sgpr0_sgpr1
	s_and_saveexec_b64 s[42:43], s[24:25]
	s_cbranch_execz .LBB47_282
; %bb.246:                              ;   in Loop: Header=BB47_32 Depth=1
	ds_read_b64 v[4:5], v19 offset:5120
	s_waitcnt lgkmcnt(0)
	s_barrier
	v_readfirstlane_b32 s44, v4
	v_readfirstlane_b32 s45, v5
	s_mov_b64 s[0:1], exec
	v_readlane_b32 s6, v76, 10
	v_readlane_b32 s7, v76, 11
	s_and_b64 s[6:7], s[0:1], s[6:7]
	s_mov_b64 exec, s[6:7]
; %bb.247:                              ;   in Loop: Header=BB47_32 Depth=1
	ds_write_b64 v58, v[66:67]
; %bb.248:                              ;   in Loop: Header=BB47_32 Depth=1
	s_or_b64 exec, exec, s[0:1]
	v_cmp_gt_i64_e64 s[6:7], s[44:45], 0
	v_or_b32_e32 v31, s15, v31
	v_or_b32_e32 v30, s14, v30
	;; [unrolled: 1-line block ×4, first 2 shown]
	s_mov_b64 s[0:1], -1
	s_mov_b64 s[46:47], 0
	s_and_b64 vcc, exec, s[6:7]
	s_mov_b64 s[6:7], 0
	s_waitcnt lgkmcnt(0)
	s_barrier
                                        ; implicit-def: $vgpr6_vgpr7
	s_cbranch_vccnz .LBB47_266
; %bb.249:                              ;   in Loop: Header=BB47_32 Depth=1
	s_mov_b32 s90, s79
	s_cmp_lg_u64 s[90:91], 0
	s_cbranch_scc0 .LBB47_252
; %bb.250:                              ;   in Loop: Header=BB47_32 Depth=1
	s_add_u32 s6, s76, 0
	s_addc_u32 s7, 0, 0
	s_xor_b64 s[6:7], s[6:7], 0
	v_cvt_f32_u32_e32 v2, s6
	v_cvt_f32_u32_e32 v4, s7
	s_sub_u32 s48, 0, s6
	s_subb_u32 s49, 0, s7
	v_fmac_f32_e32 v2, 0x4f800000, v4
	v_rcp_f32_e32 v2, v2
	s_nop 0
	v_mul_f32_e32 v2, 0x5f7ffffc, v2
	v_mul_f32_e32 v4, 0x2f800000, v2
	v_trunc_f32_e32 v4, v4
	v_fmac_f32_e32 v2, 0xcf800000, v4
	v_cvt_u32_f32_e32 v4, v4
	v_cvt_u32_f32_e32 v2, v2
	v_readfirstlane_b32 s50, v4
	v_readfirstlane_b32 s8, v2
	s_mul_i32 s9, s48, s50
	s_mul_hi_u32 s52, s48, s8
	s_mul_i32 s51, s49, s8
	s_add_i32 s9, s52, s9
	s_mul_i32 s53, s48, s8
	s_add_i32 s9, s9, s51
	s_mul_i32 s52, s8, s9
	s_mul_hi_u32 s70, s8, s53
	s_mul_hi_u32 s51, s8, s9
	s_add_u32 s52, s70, s52
	s_addc_u32 s51, 0, s51
	s_mul_hi_u32 s71, s50, s53
	s_mul_i32 s53, s50, s53
	s_add_u32 s52, s52, s53
	s_mul_hi_u32 s70, s50, s9
	s_addc_u32 s51, s51, s71
	s_addc_u32 s52, s70, 0
	s_mul_i32 s9, s50, s9
	s_add_u32 s9, s51, s9
	s_addc_u32 s51, 0, s52
	s_add_u32 s52, s8, s9
	s_cselect_b64 s[8:9], -1, 0
	s_cmp_lg_u64 s[8:9], 0
	s_addc_u32 s50, s50, s51
	s_mul_i32 s8, s48, s50
	s_mul_hi_u32 s9, s48, s52
	s_add_i32 s8, s9, s8
	s_mul_i32 s49, s49, s52
	s_add_i32 s8, s8, s49
	s_mul_i32 s48, s48, s52
	s_mul_hi_u32 s49, s50, s48
	s_mul_i32 s51, s50, s48
	s_mul_i32 s70, s52, s8
	s_mul_hi_u32 s48, s52, s48
	s_mul_hi_u32 s53, s52, s8
	s_add_u32 s48, s48, s70
	s_addc_u32 s53, 0, s53
	s_add_u32 s48, s48, s51
	s_mul_hi_u32 s9, s50, s8
	s_addc_u32 s48, s53, s49
	s_addc_u32 s9, s9, 0
	s_mul_i32 s8, s50, s8
	s_add_u32 s8, s48, s8
	s_addc_u32 s48, 0, s9
	s_add_u32 s51, s52, s8
	s_cselect_b64 s[8:9], -1, 0
	s_cmp_lg_u64 s[8:9], 0
	s_addc_u32 s50, s50, s48
	s_ashr_i32 s8, s91, 31
	v_readlane_b32 s48, v76, 23
	s_add_u32 s48, s48, s8
	s_mov_b32 s9, s8
	s_addc_u32 s49, s91, s8
	s_xor_b64 s[48:49], s[48:49], s[8:9]
	s_mul_i32 s53, s48, s50
	s_mul_hi_u32 s70, s48, s51
	s_mul_hi_u32 s52, s48, s50
	s_add_u32 s53, s70, s53
	s_addc_u32 s52, 0, s52
	s_mul_hi_u32 s71, s49, s51
	s_mul_i32 s51, s49, s51
	s_add_u32 s51, s53, s51
	s_mul_hi_u32 s70, s49, s50
	s_addc_u32 s51, s52, s71
	s_addc_u32 s52, s70, 0
	s_mul_i32 s50, s49, s50
	s_add_u32 s50, s51, s50
	s_addc_u32 s51, 0, s52
	s_mul_i32 s51, s6, s51
	s_mul_hi_u32 s52, s6, s50
	s_add_i32 s51, s52, s51
	s_mul_i32 s52, s7, s50
	s_add_i32 s70, s51, s52
	s_sub_i32 s52, s49, s70
	s_mul_i32 s50, s6, s50
	s_sub_u32 s48, s48, s50
	s_cselect_b64 s[50:51], -1, 0
	s_cmp_lg_u64 s[50:51], 0
	s_subb_u32 s71, s52, s7
	s_sub_u32 s72, s48, s6
	s_cselect_b64 s[52:53], -1, 0
	s_cmp_lg_u64 s[52:53], 0
	s_subb_u32 s73, s71, 0
	s_cmp_ge_u32 s73, s7
	s_cselect_b32 s78, -1, 0
	s_cmp_ge_u32 s72, s6
	s_cselect_b32 s84, -1, 0
	s_cmp_eq_u32 s73, s7
	s_cselect_b32 s78, s84, s78
	s_cmp_lg_u64 s[52:53], 0
	s_subb_u32 s71, s71, s7
	s_sub_u32 s84, s72, s6
	s_cselect_b64 s[52:53], -1, 0
	s_cmp_lg_u64 s[52:53], 0
	s_subb_u32 s52, s71, 0
	s_cmp_lg_u32 s78, 0
	s_cselect_b32 s53, s84, s72
	s_cselect_b32 s52, s52, s73
	s_cmp_lg_u64 s[50:51], 0
	s_subb_u32 s49, s49, s70
	s_cmp_ge_u32 s49, s7
	s_cselect_b32 s50, -1, 0
	s_cmp_ge_u32 s48, s6
	s_cselect_b32 s6, -1, 0
	s_cmp_eq_u32 s49, s7
	s_cselect_b32 s6, s6, s50
	s_cmp_lg_u32 s6, 0
	s_cselect_b32 s7, s52, s49
	s_cselect_b32 s6, s53, s48
	s_xor_b64 s[6:7], s[6:7], s[8:9]
	s_sub_u32 s6, s6, s8
	s_subb_u32 s7, s7, s8
	s_mov_b64 s[8:9], 0
	s_branch .LBB47_253
.LBB47_251:                             ;   in Loop: Header=BB47_32 Depth=1
                                        ; implicit-def: $sgpr8_sgpr9
	s_branch .LBB47_221
.LBB47_252:                             ;   in Loop: Header=BB47_32 Depth=1
                                        ; implicit-def: $sgpr6_sgpr7
.LBB47_253:                             ;   in Loop: Header=BB47_32 Depth=1
	s_andn2_b64 vcc, exec, s[8:9]
	v_readlane_b32 s90, v76, 42
	s_cbranch_vccnz .LBB47_255
; %bb.254:                              ;   in Loop: Header=BB47_32 Depth=1
	v_cvt_f32_u32_e32 v2, s76
	s_sub_i32 s6, 0, s76
	v_readlane_b32 s8, v76, 23
	v_rcp_iflag_f32_e32 v2, v2
	s_nop 0
	v_mul_f32_e32 v2, 0x4f7ffffe, v2
	v_cvt_u32_f32_e32 v2, v2
	s_nop 0
	v_readfirstlane_b32 s7, v2
	s_mul_i32 s6, s6, s7
	s_mul_hi_u32 s6, s7, s6
	s_add_i32 s7, s7, s6
	s_mul_hi_u32 s6, s8, s7
	s_mul_i32 s6, s6, s76
	s_sub_i32 s6, s8, s6
	s_sub_i32 s7, s6, s76
	s_cmp_ge_u32 s6, s76
	s_cselect_b32 s6, s7, s6
	s_sub_i32 s7, s6, s76
	s_cmp_ge_u32 s6, s76
	s_cselect_b32 s78, s7, s6
	s_mov_b64 s[6:7], s[78:79]
.LBB47_255:                             ;   in Loop: Header=BB47_32 Depth=1
	v_readlane_b32 s8, v76, 23
	s_sub_u32 s50, s8, s6
	s_subb_u32 s51, s91, s7
	v_cmp_gt_i64_e32 vcc, s[50:51], v[0:1]
	s_mov_b64 s[8:9], 0
	s_mov_b64 s[6:7], 0
                                        ; implicit-def: $vgpr6_vgpr7
	s_and_saveexec_b64 s[48:49], vcc
	s_cbranch_execz .LBB47_265
; %bb.256:                              ;   in Loop: Header=BB47_32 Depth=1
	v_mov_b64_e32 v[8:9], v[16:17]
	v_mov_b64_e32 v[12:13], v[0:1]
                                        ; implicit-def: $sgpr52_sgpr53
	s_branch .LBB47_260
.LBB47_257:                             ;   in Loop: Header=BB47_260 Depth=2
	s_or_b64 exec, exec, s[70:71]
	s_waitcnt lgkmcnt(0)
	s_barrier
	ds_read_b128 v[4:7], v19 offset:3072
	s_waitcnt lgkmcnt(0)
	s_barrier
	v_cmp_neq_f64_e32 vcc, 0, v[4:5]
	s_cbranch_vccnz .LBB47_263
; %bb.258:                              ;   in Loop: Header=BB47_260 Depth=2
	v_lshl_add_u64 v[12:13], v[12:13], 0, s[76:77]
	v_cmp_le_i64_e32 vcc, s[50:51], v[12:13]
	v_lshl_add_u64 v[8:9], v[8:9], 0, s[80:81]
	s_mov_b64 s[70:71], 0
	s_orn2_b64 s[72:73], vcc, exec
.LBB47_259:                             ;   in Loop: Header=BB47_260 Depth=2
	s_and_b64 s[72:73], exec, s[72:73]
	s_or_b64 s[6:7], s[72:73], s[6:7]
	s_andn2_b64 s[52:53], s[52:53], exec
	s_and_b64 s[70:71], s[70:71], exec
	s_or_b64 s[52:53], s[52:53], s[70:71]
	s_andn2_b64 exec, exec, s[6:7]
	s_cbranch_execz .LBB47_264
.LBB47_260:                             ;   Parent Loop BB47_32 Depth=1
                                        ; =>  This Inner Loop Header: Depth=2
	v_cmp_gt_i64_e32 vcc, s[56:57], v[12:13]
	s_and_saveexec_b64 s[70:71], vcc
	s_cbranch_execz .LBB47_257
; %bb.261:                              ;   in Loop: Header=BB47_260 Depth=2
	global_load_dwordx2 v[4:5], v[8:9], off
	s_waitcnt vmcnt(0)
	v_ashrrev_i32_e32 v2, 31, v5
	v_or_b32_e32 v6, 0x80000000, v2
	v_xor_b32_e32 v2, v2, v4
	v_xor_b32_e32 v6, v6, v5
	v_cmp_o_f64_e32 vcc, v[4:5], v[4:5]
	s_nop 1
	v_cndmask_b32_e32 v2, -1, v2, vcc
	v_cndmask_b32_e32 v6, -1, v6, vcc
	v_and_b32_e32 v7, v6, v39
	v_and_b32_e32 v6, v2, v38
	v_cmp_eq_u64_e32 vcc, v[6:7], v[30:31]
	s_and_b64 exec, exec, vcc
	s_cbranch_execz .LBB47_257
; %bb.262:                              ;   in Loop: Header=BB47_260 Depth=2
	v_mov_b32_e32 v2, v19
	ds_write_b128 v19, v[2:5] offset:3072
	s_branch .LBB47_257
.LBB47_263:                             ;   in Loop: Header=BB47_260 Depth=2
	s_mov_b64 s[72:73], -1
                                        ; implicit-def: $vgpr12_vgpr13
                                        ; implicit-def: $vgpr8_vgpr9
	s_mov_b64 s[70:71], -1
	s_branch .LBB47_259
.LBB47_264:                             ;   in Loop: Header=BB47_32 Depth=1
	s_or_b64 exec, exec, s[6:7]
	s_and_b64 s[6:7], s[52:53], exec
.LBB47_265:                             ;   in Loop: Header=BB47_32 Depth=1
	s_or_b64 exec, exec, s[48:49]
	v_readlane_b32 s70, v76, 40
	v_readlane_b32 s71, v76, 41
.LBB47_266:                             ;   in Loop: Header=BB47_32 Depth=1
	s_and_b64 vcc, exec, s[8:9]
	s_cbranch_vccz .LBB47_281
; %bb.267:                              ;   in Loop: Header=BB47_32 Depth=1
	v_readlane_b32 s0, v76, 22
	s_add_u32 s48, s44, s0
	v_readlane_b32 s0, v76, 24
	s_addc_u32 s1, s45, s0
	s_mov_b32 s0, s79
	s_cmp_lg_u64 s[0:1], 0
	s_cbranch_scc0 .LBB47_301
; %bb.268:                              ;   in Loop: Header=BB47_32 Depth=1
	s_add_u32 s8, s76, 0
	s_addc_u32 s9, 0, 0
	s_xor_b64 s[8:9], s[8:9], 0
	v_cvt_f32_u32_e32 v2, s8
	v_cvt_f32_u32_e32 v4, s9
	s_sub_u32 s0, 0, s8
	s_subb_u32 s49, 0, s9
	v_fmac_f32_e32 v2, 0x4f800000, v4
	v_rcp_f32_e32 v2, v2
	s_nop 0
	v_mul_f32_e32 v2, 0x5f7ffffc, v2
	v_mul_f32_e32 v4, 0x2f800000, v2
	v_trunc_f32_e32 v4, v4
	v_fmac_f32_e32 v2, 0xcf800000, v4
	v_cvt_u32_f32_e32 v4, v4
	v_cvt_u32_f32_e32 v2, v2
	v_readfirstlane_b32 s50, v4
	v_readfirstlane_b32 s46, v2
	s_mul_i32 s47, s0, s50
	s_mul_hi_u32 s52, s0, s46
	s_mul_i32 s51, s49, s46
	s_add_i32 s47, s52, s47
	s_mul_i32 s53, s0, s46
	s_add_i32 s47, s47, s51
	s_mul_i32 s52, s46, s47
	s_mul_hi_u32 s70, s46, s53
	s_mul_hi_u32 s51, s46, s47
	s_add_u32 s52, s70, s52
	s_addc_u32 s51, 0, s51
	s_mul_hi_u32 s71, s50, s53
	s_mul_i32 s53, s50, s53
	s_add_u32 s52, s52, s53
	s_mul_hi_u32 s70, s50, s47
	s_addc_u32 s51, s51, s71
	s_addc_u32 s52, s70, 0
	s_mul_i32 s47, s50, s47
	s_add_u32 s47, s51, s47
	s_addc_u32 s51, 0, s52
	s_add_u32 s52, s46, s47
	s_cselect_b64 s[46:47], -1, 0
	s_cmp_lg_u64 s[46:47], 0
	s_addc_u32 s50, s50, s51
	s_mul_i32 s46, s0, s50
	s_mul_hi_u32 s47, s0, s52
	s_add_i32 s46, s47, s46
	s_mul_i32 s49, s49, s52
	s_add_i32 s46, s46, s49
	s_mul_i32 s0, s0, s52
	s_mul_hi_u32 s49, s50, s0
	s_mul_i32 s51, s50, s0
	s_mul_i32 s70, s52, s46
	s_mul_hi_u32 s0, s52, s0
	s_mul_hi_u32 s53, s52, s46
	s_add_u32 s0, s0, s70
	s_addc_u32 s53, 0, s53
	s_add_u32 s0, s0, s51
	s_mul_hi_u32 s47, s50, s46
	s_addc_u32 s0, s53, s49
	s_addc_u32 s47, s47, 0
	s_mul_i32 s46, s50, s46
	s_add_u32 s0, s0, s46
	s_addc_u32 s49, 0, s47
	s_add_u32 s0, s52, s0
	s_cselect_b64 s[46:47], -1, 0
	s_cmp_lg_u64 s[46:47], 0
	s_addc_u32 s49, s50, s49
	s_ashr_i32 s46, s1, 31
	s_add_u32 s50, s48, s46
	s_mov_b32 s47, s46
	s_addc_u32 s51, s1, s46
	s_xor_b64 s[50:51], s[50:51], s[46:47]
	s_mul_i32 s53, s50, s49
	s_mul_hi_u32 s70, s50, s0
	s_mul_hi_u32 s52, s50, s49
	s_add_u32 s53, s70, s53
	s_addc_u32 s52, 0, s52
	s_mul_hi_u32 s71, s51, s0
	s_mul_i32 s0, s51, s0
	s_add_u32 s0, s53, s0
	s_mul_hi_u32 s70, s51, s49
	s_addc_u32 s0, s52, s71
	s_addc_u32 s52, s70, 0
	s_mul_i32 s49, s51, s49
	s_add_u32 s0, s0, s49
	s_addc_u32 s49, 0, s52
	s_mul_i32 s49, s8, s49
	s_mul_hi_u32 s52, s8, s0
	s_add_i32 s49, s52, s49
	s_mul_i32 s52, s9, s0
	s_add_i32 s49, s49, s52
	s_sub_i32 s70, s51, s49
	s_mul_i32 s0, s8, s0
	s_sub_u32 s0, s50, s0
	s_cselect_b64 s[52:53], -1, 0
	s_cmp_lg_u64 s[52:53], 0
	s_subb_u32 s50, s70, s9
	s_sub_u32 s72, s0, s8
	s_cselect_b64 s[70:71], -1, 0
	s_cmp_lg_u64 s[70:71], 0
	s_subb_u32 s73, s50, 0
	s_cmp_ge_u32 s73, s9
	s_cselect_b32 s78, -1, 0
	s_cmp_ge_u32 s72, s8
	s_cselect_b32 s84, -1, 0
	s_cmp_eq_u32 s73, s9
	s_cselect_b32 s78, s84, s78
	s_cmp_lg_u64 s[70:71], 0
	s_subb_u32 s50, s50, s9
	s_sub_u32 s84, s72, s8
	s_cselect_b64 s[70:71], -1, 0
	s_cmp_lg_u64 s[70:71], 0
	s_subb_u32 s50, s50, 0
	s_cmp_lg_u32 s78, 0
	s_cselect_b32 s70, s84, s72
	s_cselect_b32 s50, s50, s73
	s_cmp_lg_u64 s[52:53], 0
	s_subb_u32 s49, s51, s49
	s_cmp_ge_u32 s49, s9
	s_cselect_b32 s51, -1, 0
	s_cmp_ge_u32 s0, s8
	s_cselect_b32 s8, -1, 0
	s_cmp_eq_u32 s49, s9
	s_cselect_b32 s8, s8, s51
	s_cmp_lg_u32 s8, 0
	s_cselect_b32 s9, s50, s49
	s_cselect_b32 s8, s70, s0
	s_xor_b64 s[8:9], s[8:9], s[46:47]
	v_readlane_b32 s70, v76, 40
	s_sub_u32 s8, s8, s46
	v_readlane_b32 s71, v76, 41
	s_subb_u32 s9, s9, s46
	s_cbranch_execnz .LBB47_270
.LBB47_269:                             ;   in Loop: Header=BB47_32 Depth=1
	v_cvt_f32_u32_e32 v2, s76
	s_sub_i32 s0, 0, s76
	v_rcp_iflag_f32_e32 v2, v2
	s_nop 0
	v_mul_f32_e32 v2, 0x4f7ffffe, v2
	v_cvt_u32_f32_e32 v2, v2
	s_nop 0
	v_readfirstlane_b32 s8, v2
	s_mul_i32 s0, s0, s8
	s_mul_hi_u32 s0, s8, s0
	s_add_i32 s8, s8, s0
	s_mul_hi_u32 s0, s48, s8
	s_mul_i32 s0, s0, s76
	s_sub_i32 s0, s48, s0
	s_sub_i32 s8, s0, s76
	s_cmp_ge_u32 s0, s76
	s_cselect_b32 s0, s8, s0
	s_sub_i32 s8, s0, s76
	s_cmp_ge_u32 s0, s76
	s_cselect_b32 s78, s8, s0
	s_mov_b64 s[8:9], s[78:79]
.LBB47_270:                             ;   in Loop: Header=BB47_32 Depth=1
	s_sub_u32 s8, s48, s8
	s_subb_u32 s9, s1, s9
	v_cmp_gt_i64_e32 vcc, s[8:9], v[0:1]
                                        ; implicit-def: $vgpr6_vgpr7
	s_and_saveexec_b64 s[0:1], vcc
	s_cbranch_execz .LBB47_280
; %bb.271:                              ;   in Loop: Header=BB47_32 Depth=1
	s_mov_b64 s[46:47], 0
	v_mov_b32_e32 v12, v57
	v_mov_b64_e32 v[8:9], v[0:1]
                                        ; implicit-def: $sgpr48_sgpr49
	s_branch .LBB47_275
.LBB47_272:                             ;   in Loop: Header=BB47_275 Depth=2
	s_or_b64 exec, exec, s[50:51]
	s_waitcnt lgkmcnt(0)
	s_barrier
	ds_read_b128 v[4:7], v19 offset:3072
	s_waitcnt lgkmcnt(0)
	s_barrier
	v_cmp_eq_f64_e32 vcc, 0, v[4:5]
	s_cbranch_vccz .LBB47_278
; %bb.273:                              ;   in Loop: Header=BB47_275 Depth=2
	v_lshl_add_u64 v[8:9], v[8:9], 0, s[76:77]
	v_cmp_le_i64_e32 vcc, s[8:9], v[8:9]
	v_add_u32_e32 v12, s90, v12
	s_mov_b64 s[50:51], 0
	s_orn2_b64 s[52:53], vcc, exec
.LBB47_274:                             ;   in Loop: Header=BB47_275 Depth=2
	s_and_b64 s[52:53], exec, s[52:53]
	s_or_b64 s[46:47], s[52:53], s[46:47]
	s_andn2_b64 s[48:49], s[48:49], exec
	s_and_b64 s[50:51], s[50:51], exec
	s_or_b64 s[48:49], s[48:49], s[50:51]
	s_andn2_b64 exec, exec, s[46:47]
	s_cbranch_execz .LBB47_279
.LBB47_275:                             ;   Parent Loop BB47_32 Depth=1
                                        ; =>  This Inner Loop Header: Depth=2
	v_cmp_gt_u64_e32 vcc, s[44:45], v[8:9]
	s_and_saveexec_b64 s[50:51], vcc
	s_cbranch_execz .LBB47_272
; %bb.276:                              ;   in Loop: Header=BB47_275 Depth=2
	ds_read_b64 v[4:5], v12
	s_waitcnt lgkmcnt(0)
	v_ashrrev_i32_e32 v2, 31, v5
	v_or_b32_e32 v6, 0x80000000, v2
	v_xor_b32_e32 v2, v2, v4
	v_xor_b32_e32 v6, v6, v5
	v_cmp_o_f64_e32 vcc, v[4:5], v[4:5]
	s_nop 1
	v_cndmask_b32_e32 v2, -1, v2, vcc
	v_cndmask_b32_e32 v6, -1, v6, vcc
	v_and_b32_e32 v7, v6, v39
	v_and_b32_e32 v6, v2, v38
	v_cmp_eq_u64_e32 vcc, v[6:7], v[30:31]
	s_and_b64 exec, exec, vcc
	s_cbranch_execz .LBB47_272
; %bb.277:                              ;   in Loop: Header=BB47_275 Depth=2
	v_mov_b32_e32 v2, v19
	ds_write_b128 v19, v[2:5] offset:3072
	s_branch .LBB47_272
.LBB47_278:                             ;   in Loop: Header=BB47_275 Depth=2
	s_mov_b64 s[52:53], -1
                                        ; implicit-def: $vgpr8_vgpr9
                                        ; implicit-def: $vgpr12
	s_mov_b64 s[50:51], -1
	s_branch .LBB47_274
.LBB47_279:                             ;   in Loop: Header=BB47_32 Depth=1
	s_or_b64 exec, exec, s[46:47]
	s_andn2_b64 s[6:7], s[6:7], exec
	s_and_b64 s[8:9], s[48:49], exec
	s_or_b64 s[6:7], s[6:7], s[8:9]
.LBB47_280:                             ;   in Loop: Header=BB47_32 Depth=1
	s_or_b64 exec, exec, s[0:1]
	s_mov_b64 s[0:1], 0
	s_mov_b64 s[46:47], -1
.LBB47_281:                             ;   in Loop: Header=BB47_32 Depth=1
	s_orn2_b64 s[8:9], s[6:7], exec
.LBB47_282:                             ;   in Loop: Header=BB47_32 Depth=1
	s_or_b64 exec, exec, s[42:43]
	s_mov_b64 s[42:43], 0
	s_and_saveexec_b64 s[6:7], s[8:9]
	s_cbranch_execz .LBB47_293
; %bb.283:                              ;   in Loop: Header=BB47_32 Depth=1
	s_xor_b64 s[24:25], s[24:25], -1
	v_mov_b64_e32 v[4:5], 1
	v_mov_b32_e32 v18, 1
	s_and_saveexec_b64 s[8:9], s[24:25]
	s_cbranch_execz .LBB47_292
; %bb.284:                              ;   in Loop: Header=BB47_32 Depth=1
	v_cmp_ge_i64_e32 vcc, s[12:13], v[10:11]
	s_and_saveexec_b64 s[24:25], vcc
	s_xor_b64 s[24:25], exec, s[24:25]
	s_cbranch_execz .LBB47_289
; %bb.285:                              ;   in Loop: Header=BB47_32 Depth=1
	ds_read_b64 v[4:5], v19 offset:5120
	v_or_b32_e32 v31, s15, v31
	v_or_b32_e32 v30, s14, v30
	;; [unrolled: 1-line block ×4, first 2 shown]
	s_waitcnt lgkmcnt(0)
	v_cmp_ne_u64_e32 vcc, 0, v[4:5]
	s_cbranch_vccnz .LBB47_289
; %bb.286:                              ;   in Loop: Header=BB47_32 Depth=1
	s_mov_b64 s[14:15], exec
	v_readlane_b32 s42, v76, 8
	v_readlane_b32 s43, v76, 9
	s_and_b64 s[42:43], s[14:15], s[42:43]
	s_mov_b64 exec, s[42:43]
; %bb.287:                              ;   in Loop: Header=BB47_32 Depth=1
	v_mov_b64_e32 v[4:5], s[12:13]
	ds_write_b64 v19, v[4:5] offset:5128
; %bb.288:                              ;   in Loop: Header=BB47_32 Depth=1
	s_or_b64 exec, exec, s[14:15]
	s_waitcnt lgkmcnt(0)
	s_barrier
.LBB47_289:                             ;   in Loop: Header=BB47_32 Depth=1
	s_andn2_saveexec_b64 s[14:15], s[24:25]
; %bb.290:                              ;   in Loop: Header=BB47_32 Depth=1
	v_mov_b32_e32 v2, s13
	v_subrev_co_u32_e32 v10, vcc, s12, v10
	s_nop 1
	v_subb_co_u32_e32 v11, vcc, v11, v2, vcc
; %bb.291:                              ;   in Loop: Header=BB47_32 Depth=1
	s_or_b64 exec, exec, s[14:15]
	v_mov_b32_e32 v18, 8
	v_mov_b64_e32 v[4:5], v[10:11]
.LBB47_292:                             ;   in Loop: Header=BB47_32 Depth=1
	s_or_b64 exec, exec, s[8:9]
	s_mov_b64 s[42:43], exec
	v_mov_b64_e32 v[10:11], v[4:5]
.LBB47_293:                             ;   in Loop: Header=BB47_32 Depth=1
	s_or_b64 exec, exec, s[6:7]
	s_orn2_b64 s[6:7], s[42:43], exec
.LBB47_294:                             ;   in Loop: Header=BB47_32 Depth=1
	s_or_b64 exec, exec, s[22:23]
	s_andn2_b64 s[8:9], s[38:39], exec
	s_and_b64 s[12:13], s[46:47], exec
	s_or_b64 s[38:39], s[8:9], s[12:13]
	s_andn2_b64 s[8:9], s[36:37], exec
	s_and_b64 s[0:1], s[0:1], exec
	s_or_b64 s[36:37], s[8:9], s[0:1]
	s_and_b64 s[6:7], s[6:7], exec
	v_mov_b64_e32 v[8:9], v[10:11]
.LBB47_295:                             ;   in Loop: Header=BB47_32 Depth=1
	s_or_b64 exec, exec, s[40:41]
	s_orn2_b64 s[0:1], s[6:7], exec
.LBB47_296:                             ;   in Loop: Header=BB47_32 Depth=1
	s_or_b64 exec, exec, s[34:35]
	s_andn2_b64 s[6:7], s[26:27], exec
	s_and_b64 s[8:9], s[38:39], exec
	s_or_b64 s[26:27], s[6:7], s[8:9]
	s_andn2_b64 s[2:3], s[2:3], exec
	s_and_b64 s[6:7], s[36:37], exec
	s_or_b64 s[2:3], s[2:3], s[6:7]
	s_and_b64 s[6:7], s[0:1], exec
	v_mov_b64_e32 v[12:13], v[8:9]
.LBB47_297:                             ;   in Loop: Header=BB47_32 Depth=1
	s_or_b64 exec, exec, s[30:31]
	s_orn2_b64 s[0:1], s[6:7], exec
.LBB47_298:                             ;   in Loop: Header=BB47_32 Depth=1
	s_or_b64 exec, exec, s[20:21]
	s_mov_b64 s[6:7], 0
	s_and_saveexec_b64 s[8:9], s[0:1]
	s_xor_b64 s[0:1], exec, s[8:9]
	s_cbranch_execz .LBB47_30
; %bb.299:                              ;   in Loop: Header=BB47_32 Depth=1
	v_and_b32_e32 v2, 7, v18
	v_cmp_eq_u32_e32 vcc, 0, v2
	s_mov_b64 s[8:9], -1
	s_mov_b64 s[6:7], -1
	s_and_saveexec_b64 s[12:13], vcc
	s_cbranch_execz .LBB47_29
; %bb.300:                              ;   in Loop: Header=BB47_32 Depth=1
	s_xor_b32 s4, s4, 1
	s_add_i32 s14, s5, -2
	s_cmp_eq_u32 s5, 0
	s_cselect_b64 s[8:9], -1, 0
	s_xor_b64 s[6:7], exec, -1
	s_orn2_b64 s[8:9], s[8:9], exec
	s_mov_b32 s5, s14
	s_branch .LBB47_29
.LBB47_301:                             ;   in Loop: Header=BB47_32 Depth=1
                                        ; implicit-def: $sgpr8_sgpr9
	s_branch .LBB47_269
.LBB47_302:
	s_or_b64 exec, exec, s[66:67]
	s_xor_b64 s[4:5], s[10:11], -1
	s_xor_b64 s[0:1], s[58:59], -1
	;; [unrolled: 1-line block ×3, first 2 shown]
	s_mov_b64 s[2:3], 0
	s_and_saveexec_b64 s[8:9], s[0:1]
	s_xor_b64 s[0:1], exec, s[8:9]
	s_cbranch_execnz .LBB47_307
; %bb.303:
	s_andn2_saveexec_b64 s[0:1], s[0:1]
	s_cbranch_execnz .LBB47_329
.LBB47_304:
	s_or_b64 exec, exec, s[0:1]
	s_and_saveexec_b64 s[0:1], s[2:3]
.LBB47_305:
	; divergent unreachable
.LBB47_306:
	s_endpgm
.LBB47_307:
	s_and_saveexec_b64 s[2:3], s[4:5]
	s_xor_b64 s[4:5], exec, s[2:3]
	s_cbranch_execz .LBB47_327
; %bb.308:
	s_and_saveexec_b64 s[2:3], s[6:7]
	s_xor_b64 s[2:3], exec, s[2:3]
; %bb.309:
	v_lshrrev_b32_e32 v2, 31, v31
	v_mov_b32_e32 v3, 0
	v_lshl_add_u64 v[2:3], v[2:3], 0, -1
	v_or_b32_e32 v3, 0x80000000, v3
	v_xor_b32_e32 v7, v3, v31
	v_xor_b32_e32 v6, v2, v30
; %bb.310:
	s_or_b64 exec, exec, s[2:3]
	s_mov_b64 s[2:3], exec
	v_readlane_b32 s6, v76, 8
	v_readlane_b32 s7, v76, 9
	s_and_b64 s[6:7], s[2:3], s[6:7]
	s_mov_b64 exec, s[6:7]
; %bb.311:
	v_mov_b32_e32 v2, 0
	v_mov_b32_e32 v3, s56
	ds_write_b32 v2, v3 offset:5140
; %bb.312:
	s_or_b64 exec, exec, s[2:3]
	s_waitcnt lgkmcnt(0)
	s_barrier
	s_mov_b64 s[6:7], exec
	v_readlane_b32 s2, v76, 18
	v_readlane_b32 s3, v76, 19
	s_and_b64 s[2:3], s[6:7], s[2:3]
	s_mov_b64 exec, s[2:3]
	s_cbranch_execz .LBB47_324
; %bb.313:
	v_mov_b32_e32 v2, 0
	ds_read_b32 v4, v2 offset:5140
	v_cmp_u_f64_e32 vcc, v[6:7], v[6:7]
	s_mov_b64 s[8:9], 0
	s_xor_b64 s[10:11], vcc, -1
                                        ; implicit-def: $sgpr12_sgpr13
                                        ; implicit-def: $sgpr14_sgpr15
                                        ; implicit-def: $sgpr16_sgpr17
	s_waitcnt lgkmcnt(0)
	v_ashrrev_i32_e32 v5, 31, v4
	s_branch .LBB47_316
.LBB47_314:                             ;   in Loop: Header=BB47_316 Depth=1
	s_or_b64 exec, exec, s[22:23]
	s_andn2_b64 s[16:17], s[16:17], exec
	s_and_b64 s[2:3], s[2:3], exec
	s_or_b64 s[16:17], s[16:17], s[2:3]
	s_andn2_b64 s[2:3], s[14:15], exec
	s_and_b64 s[14:15], s[20:21], exec
	s_or_b64 s[14:15], s[2:3], s[14:15]
.LBB47_315:                             ;   in Loop: Header=BB47_316 Depth=1
	s_or_b64 exec, exec, s[18:19]
	s_and_b64 s[2:3], exec, s[14:15]
	s_or_b64 s[8:9], s[2:3], s[8:9]
	s_andn2_b64 s[2:3], s[12:13], exec
	s_and_b64 s[12:13], s[16:17], exec
	s_or_b64 s[12:13], s[2:3], s[12:13]
	s_andn2_b64 exec, exec, s[8:9]
	s_cbranch_execz .LBB47_319
.LBB47_316:                             ; =>This Inner Loop Header: Depth=1
	v_mov_b64_e32 v[2:3], v[0:1]
	v_cmp_lt_i64_e32 vcc, v[2:3], v[4:5]
	s_or_b64 s[16:17], s[16:17], exec
	s_or_b64 s[14:15], s[14:15], exec
                                        ; implicit-def: $vgpr0_vgpr1
	s_and_saveexec_b64 s[18:19], vcc
	s_cbranch_execz .LBB47_315
; %bb.317:                              ;   in Loop: Header=BB47_316 Depth=1
	global_load_dwordx2 v[0:1], v[16:17], off
	s_mov_b64 s[20:21], -1
	s_waitcnt vmcnt(0)
	v_cmp_o_f64_e64 s[2:3], v[0:1], v[0:1]
	v_cmp_neq_f64_e32 vcc, v[0:1], v[6:7]
	s_or_b64 s[2:3], s[2:3], s[10:11]
	s_and_b64 s[24:25], vcc, s[2:3]
	s_mov_b64 s[2:3], 0
                                        ; implicit-def: $vgpr0_vgpr1
	s_and_saveexec_b64 s[22:23], s[24:25]
	s_cbranch_execz .LBB47_314
; %bb.318:                              ;   in Loop: Header=BB47_316 Depth=1
	v_lshl_add_u64 v[0:1], v[2:3], 0, s[76:77]
	v_cmp_le_i64_e32 vcc, s[56:57], v[0:1]
	s_mov_b64 s[2:3], exec
	v_lshl_add_u64 v[16:17], v[16:17], 0, s[80:81]
	s_orn2_b64 s[20:21], vcc, exec
	s_branch .LBB47_314
.LBB47_319:
	s_or_b64 exec, exec, s[8:9]
	s_xor_b64 s[2:3], s[12:13], -1
	s_and_saveexec_b64 s[8:9], s[2:3]
	s_xor_b64 s[8:9], exec, s[8:9]
	s_cbranch_execz .LBB47_324
; %bb.320:
	s_mov_b64 s[2:3], exec
	s_brev_b32 s8, -2
.LBB47_321:                             ; =>This Inner Loop Header: Depth=1
	s_ff1_i32_b64 s9, s[2:3]
	v_readlane_b32 s12, v2, s9
	s_lshl_b64 s[10:11], 1, s9
	s_min_i32 s8, s8, s12
	s_andn2_b64 s[2:3], s[2:3], s[10:11]
	s_cmp_lg_u64 s[2:3], 0
	s_cbranch_scc1 .LBB47_321
; %bb.322:
	v_mbcnt_lo_u32_b32 v0, exec_lo, 0
	v_mbcnt_hi_u32_b32 v0, exec_hi, v0
	v_cmp_eq_u32_e32 vcc, 0, v0
	s_and_saveexec_b64 s[2:3], vcc
	s_xor_b64 s[2:3], exec, s[2:3]
; %bb.323:
	v_mov_b32_e32 v0, 0
	v_mov_b32_e32 v1, s8
	ds_min_i32 v0, v1 offset:5140
.LBB47_324:
	s_or_b64 exec, exec, s[6:7]
	s_waitcnt lgkmcnt(0)
	s_barrier
	s_mov_b64 s[2:3], exec
	v_readlane_b32 s6, v76, 8
	v_readlane_b32 s7, v76, 9
	s_and_b64 s[6:7], s[2:3], s[6:7]
	s_mov_b64 exec, s[6:7]
	s_cbranch_execz .LBB47_326
; %bb.325:
	v_readlane_b32 s8, v76, 0
	v_readlane_b32 s9, v76, 1
	s_mul_i32 s6, s8, s61
	s_mul_hi_u32 s7, s8, s60
	s_add_i32 s6, s7, s6
	s_mul_i32 s7, s9, s60
	v_readlane_b32 s10, v76, 2
	s_add_i32 s7, s6, s7
	s_mul_i32 s6, s8, s60
	v_readlane_b32 s11, v76, 3
	s_mul_i32 s8, s10, s69
	s_mul_hi_u32 s9, s10, s68
	s_add_i32 s8, s9, s8
	s_mul_i32 s9, s11, s68
	s_add_i32 s9, s8, s9
	s_mul_i32 s8, s10, s68
	s_lshl_b64 s[6:7], s[6:7], 3
	v_readlane_b32 s10, v76, 4
	v_readlane_b32 s11, v76, 5
	s_add_u32 s10, s10, s6
	s_addc_u32 s11, s11, s7
	s_lshl_b64 s[6:7], s[54:55], 3
	v_mov_b32_e32 v2, 0
	s_add_u32 s6, s10, s6
	ds_read_b32 v0, v2 offset:5140
	s_addc_u32 s7, s11, s7
	s_lshl_b64 s[8:9], s[8:9], 3
	v_readlane_b32 s10, v76, 6
	v_readlane_b32 s11, v76, 7
	s_add_u32 s10, s10, s8
	s_addc_u32 s11, s11, s9
	s_lshl_b64 s[8:9], s[64:65], 3
	s_add_u32 s8, s10, s8
	s_addc_u32 s9, s11, s9
	s_waitcnt lgkmcnt(0)
	v_ashrrev_i32_e32 v1, 31, v0
	global_store_dwordx2 v2, v[0:1], s[8:9]
	global_store_dwordx2 v2, v[6:7], s[6:7]
.LBB47_326:
	s_or_b64 exec, exec, s[2:3]
.LBB47_327:
	s_or_saveexec_b64 s[2:3], s[4:5]
	s_mov_b64 s[4:5], 0
	s_xor_b64 exec, exec, s[2:3]
	s_cbranch_execnz .LBB47_330
.LBB47_328:
	s_or_b64 exec, exec, s[2:3]
	s_and_b64 s[2:3], s[4:5], exec
	s_andn2_saveexec_b64 s[0:1], s[0:1]
	s_cbranch_execz .LBB47_304
.LBB47_329:
	s_or_b64 s[2:3], s[2:3], exec
	s_trap 2
	s_or_b64 exec, exec, s[0:1]
	s_and_saveexec_b64 s[0:1], s[2:3]
	s_cbranch_execnz .LBB47_305
	s_branch .LBB47_306
.LBB47_330:
	s_mov_b64 s[4:5], exec
	s_trap 2
	s_branch .LBB47_328
	.section	.rodata,"a",@progbits
	.p2align	6, 0x0
	.amdhsa_kernel _ZN2at6native12_GLOBAL__N_114gatherKthValueIdlLin1EEEvNS_4cuda6detail10TensorInfoIKT_T0_EES8_S8_S8_S8_NS5_IS6_S8_EENS5_IlS8_EE
		.amdhsa_group_segment_fixed_size 5144
		.amdhsa_private_segment_fixed_size 0
		.amdhsa_kernarg_size 1536
		.amdhsa_user_sgpr_count 2
		.amdhsa_user_sgpr_dispatch_ptr 0
		.amdhsa_user_sgpr_queue_ptr 0
		.amdhsa_user_sgpr_kernarg_segment_ptr 1
		.amdhsa_user_sgpr_dispatch_id 0
		.amdhsa_user_sgpr_kernarg_preload_length 0
		.amdhsa_user_sgpr_kernarg_preload_offset 0
		.amdhsa_user_sgpr_private_segment_size 0
		.amdhsa_uses_dynamic_stack 0
		.amdhsa_enable_private_segment 0
		.amdhsa_system_sgpr_workgroup_id_x 1
		.amdhsa_system_sgpr_workgroup_id_y 1
		.amdhsa_system_sgpr_workgroup_id_z 1
		.amdhsa_system_sgpr_workgroup_info 0
		.amdhsa_system_vgpr_workitem_id 0
		.amdhsa_next_free_vgpr 77
		.amdhsa_next_free_sgpr 100
		.amdhsa_accum_offset 80
		.amdhsa_reserve_vcc 1
		.amdhsa_float_round_mode_32 0
		.amdhsa_float_round_mode_16_64 0
		.amdhsa_float_denorm_mode_32 3
		.amdhsa_float_denorm_mode_16_64 3
		.amdhsa_dx10_clamp 1
		.amdhsa_ieee_mode 1
		.amdhsa_fp16_overflow 0
		.amdhsa_tg_split 0
		.amdhsa_exception_fp_ieee_invalid_op 0
		.amdhsa_exception_fp_denorm_src 0
		.amdhsa_exception_fp_ieee_div_zero 0
		.amdhsa_exception_fp_ieee_overflow 0
		.amdhsa_exception_fp_ieee_underflow 0
		.amdhsa_exception_fp_ieee_inexact 0
		.amdhsa_exception_int_div_zero 0
	.end_amdhsa_kernel
	.section	.text._ZN2at6native12_GLOBAL__N_114gatherKthValueIdlLin1EEEvNS_4cuda6detail10TensorInfoIKT_T0_EES8_S8_S8_S8_NS5_IS6_S8_EENS5_IlS8_EE,"axG",@progbits,_ZN2at6native12_GLOBAL__N_114gatherKthValueIdlLin1EEEvNS_4cuda6detail10TensorInfoIKT_T0_EES8_S8_S8_S8_NS5_IS6_S8_EENS5_IlS8_EE,comdat
.Lfunc_end47:
	.size	_ZN2at6native12_GLOBAL__N_114gatherKthValueIdlLin1EEEvNS_4cuda6detail10TensorInfoIKT_T0_EES8_S8_S8_S8_NS5_IS6_S8_EENS5_IlS8_EE, .Lfunc_end47-_ZN2at6native12_GLOBAL__N_114gatherKthValueIdlLin1EEEvNS_4cuda6detail10TensorInfoIKT_T0_EES8_S8_S8_S8_NS5_IS6_S8_EENS5_IlS8_EE
                                        ; -- End function
	.set _ZN2at6native12_GLOBAL__N_114gatherKthValueIdlLin1EEEvNS_4cuda6detail10TensorInfoIKT_T0_EES8_S8_S8_S8_NS5_IS6_S8_EENS5_IlS8_EE.num_vgpr, 77
	.set _ZN2at6native12_GLOBAL__N_114gatherKthValueIdlLin1EEEvNS_4cuda6detail10TensorInfoIKT_T0_EES8_S8_S8_S8_NS5_IS6_S8_EENS5_IlS8_EE.num_agpr, 0
	.set _ZN2at6native12_GLOBAL__N_114gatherKthValueIdlLin1EEEvNS_4cuda6detail10TensorInfoIKT_T0_EES8_S8_S8_S8_NS5_IS6_S8_EENS5_IlS8_EE.numbered_sgpr, 100
	.set _ZN2at6native12_GLOBAL__N_114gatherKthValueIdlLin1EEEvNS_4cuda6detail10TensorInfoIKT_T0_EES8_S8_S8_S8_NS5_IS6_S8_EENS5_IlS8_EE.num_named_barrier, 0
	.set _ZN2at6native12_GLOBAL__N_114gatherKthValueIdlLin1EEEvNS_4cuda6detail10TensorInfoIKT_T0_EES8_S8_S8_S8_NS5_IS6_S8_EENS5_IlS8_EE.private_seg_size, 0
	.set _ZN2at6native12_GLOBAL__N_114gatherKthValueIdlLin1EEEvNS_4cuda6detail10TensorInfoIKT_T0_EES8_S8_S8_S8_NS5_IS6_S8_EENS5_IlS8_EE.uses_vcc, 1
	.set _ZN2at6native12_GLOBAL__N_114gatherKthValueIdlLin1EEEvNS_4cuda6detail10TensorInfoIKT_T0_EES8_S8_S8_S8_NS5_IS6_S8_EENS5_IlS8_EE.uses_flat_scratch, 0
	.set _ZN2at6native12_GLOBAL__N_114gatherKthValueIdlLin1EEEvNS_4cuda6detail10TensorInfoIKT_T0_EES8_S8_S8_S8_NS5_IS6_S8_EENS5_IlS8_EE.has_dyn_sized_stack, 0
	.set _ZN2at6native12_GLOBAL__N_114gatherKthValueIdlLin1EEEvNS_4cuda6detail10TensorInfoIKT_T0_EES8_S8_S8_S8_NS5_IS6_S8_EENS5_IlS8_EE.has_recursion, 0
	.set _ZN2at6native12_GLOBAL__N_114gatherKthValueIdlLin1EEEvNS_4cuda6detail10TensorInfoIKT_T0_EES8_S8_S8_S8_NS5_IS6_S8_EENS5_IlS8_EE.has_indirect_call, 0
	.section	.AMDGPU.csdata,"",@progbits
; Kernel info:
; codeLenInByte = 19464
; TotalNumSgprs: 106
; NumVgprs: 77
; NumAgprs: 0
; TotalNumVgprs: 77
; ScratchSize: 0
; MemoryBound: 0
; FloatMode: 240
; IeeeMode: 1
; LDSByteSize: 5144 bytes/workgroup (compile time only)
; SGPRBlocks: 13
; VGPRBlocks: 9
; NumSGPRsForWavesPerEU: 106
; NumVGPRsForWavesPerEU: 77
; AccumOffset: 80
; Occupancy: 6
; WaveLimiterHint : 1
; COMPUTE_PGM_RSRC2:SCRATCH_EN: 0
; COMPUTE_PGM_RSRC2:USER_SGPR: 2
; COMPUTE_PGM_RSRC2:TRAP_HANDLER: 0
; COMPUTE_PGM_RSRC2:TGID_X_EN: 1
; COMPUTE_PGM_RSRC2:TGID_Y_EN: 1
; COMPUTE_PGM_RSRC2:TGID_Z_EN: 1
; COMPUTE_PGM_RSRC2:TIDIG_COMP_CNT: 0
; COMPUTE_PGM_RSRC3_GFX90A:ACCUM_OFFSET: 19
; COMPUTE_PGM_RSRC3_GFX90A:TG_SPLIT: 0
	.section	.text._ZN2at6native12_GLOBAL__N_114gatherKthValueIfiLi1EEEvNS_4cuda6detail10TensorInfoIKT_T0_EES8_S8_S8_S8_NS5_IS6_S8_EENS5_IlS8_EE,"axG",@progbits,_ZN2at6native12_GLOBAL__N_114gatherKthValueIfiLi1EEEvNS_4cuda6detail10TensorInfoIKT_T0_EES8_S8_S8_S8_NS5_IS6_S8_EENS5_IlS8_EE,comdat
	.globl	_ZN2at6native12_GLOBAL__N_114gatherKthValueIfiLi1EEEvNS_4cuda6detail10TensorInfoIKT_T0_EES8_S8_S8_S8_NS5_IS6_S8_EENS5_IlS8_EE ; -- Begin function _ZN2at6native12_GLOBAL__N_114gatherKthValueIfiLi1EEEvNS_4cuda6detail10TensorInfoIKT_T0_EES8_S8_S8_S8_NS5_IS6_S8_EENS5_IlS8_EE
	.p2align	8
	.type	_ZN2at6native12_GLOBAL__N_114gatherKthValueIfiLi1EEEvNS_4cuda6detail10TensorInfoIKT_T0_EES8_S8_S8_S8_NS5_IS6_S8_EENS5_IlS8_EE,@function
_ZN2at6native12_GLOBAL__N_114gatherKthValueIfiLi1EEEvNS_4cuda6detail10TensorInfoIKT_T0_EES8_S8_S8_S8_NS5_IS6_S8_EENS5_IlS8_EE: ; @_ZN2at6native12_GLOBAL__N_114gatherKthValueIfiLi1EEEvNS_4cuda6detail10TensorInfoIKT_T0_EES8_S8_S8_S8_NS5_IS6_S8_EENS5_IlS8_EE
; %bb.0:
	s_load_dwordx2 s[12:13], s[0:1], 0x298
	s_load_dwordx4 s[60:63], s[0:1], 0xd8
	s_add_u32 s10, s0, 0x298
	s_addc_u32 s11, s1, 0
	s_waitcnt lgkmcnt(0)
	s_mul_i32 s4, s13, s4
	s_add_i32 s3, s4, s3
	s_mul_i32 s3, s3, s12
	s_add_i32 s13, s3, s2
	s_cmp_ge_i32 s13, s62
	s_cbranch_scc1 .LBB48_246
; %bb.1:
	s_load_dwordx2 s[4:5], s[0:1], 0x1c0
                                        ; implicit-def: $vgpr54 : SGPR spill to VGPR lane
	v_cmp_eq_u32_e64 s[18:19], 0, v0
	s_waitcnt lgkmcnt(0)
	v_writelane_b32 v54, s4, 0
	s_nop 1
	v_writelane_b32 v54, s5, 1
	s_load_dwordx2 s[4:5], s[0:1], 0xe8
	s_waitcnt lgkmcnt(0)
	v_writelane_b32 v54, s4, 2
	s_nop 1
	v_writelane_b32 v54, s5, 3
	s_load_dword s3, s[0:1], 0x6c
	s_load_dwordx2 s[4:5], s[0:1], 0x0
	s_and_saveexec_b64 s[6:7], s[18:19]
; %bb.2:
	v_mov_b32_e32 v2, 0
	v_mov_b32_e32 v3, s60
	;; [unrolled: 1-line block ×3, first 2 shown]
	ds_write_b96 v2, v[2:4] offset:4096
; %bb.3:
	s_or_b64 exec, exec, s[6:7]
	s_load_dword s6, s[0:1], 0x22c
                                        ; kill: killed $sgpr0 killed $sgpr1
	s_waitcnt lgkmcnt(0)
	s_barrier
	v_mbcnt_lo_u32_b32 v1, -1, 0
	v_writelane_b32 v54, s6, 4
	s_load_dword s6, s[0:1], 0x154
	s_mul_i32 s0, s3, s13
	s_load_dword s3, s[10:11], 0xc
	s_ashr_i32 s1, s0, 31
	s_lshl_b64 s[0:1], s[0:1], 2
	s_add_u32 s68, s4, s0
	s_addc_u32 s69, s5, s1
	s_waitcnt lgkmcnt(0)
	s_and_b32 s62, s3, 0xffff
	v_mbcnt_hi_u32_b32 v24, -1, v1
	v_cmp_gt_u32_e32 vcc, 64, v0
	v_cmp_gt_i32_e64 s[4:5], 4, v24
	s_add_i32 s71, s62, -1
	s_lshl_b32 s70, s62, 2
	s_and_b64 s[72:73], vcc, s[4:5]
	s_add_i32 s79, s71, s60
	s_cmpk_gt_i32 s60, 0x300
	v_writelane_b32 v54, s6, 5
	s_cselect_b64 s[74:75], -1, 0
	s_cmp_gt_u32 s62, 63
	v_writelane_b32 v54, s13, 6
	v_cmp_gt_i32_e64 s[8:9], s60, v0
	s_cselect_b64 s[76:77], -1, 0
	s_cmp_lt_u32 s2, s12
	v_writelane_b32 v54, s8, 7
	s_cselect_b32 s2, 12, 18
	v_lshlrev_b64 v[2:3], v24, -1
	v_writelane_b32 v54, s9, 8
	s_add_u32 s8, s10, s2
	s_addc_u32 s9, s11, 0
	v_writelane_b32 v54, s8, 9
	v_not_b32_e32 v12, v2
	v_lshrrev_b32_e32 v2, 2, v0
	v_writelane_b32 v54, s9, 10
	s_bfe_u32 s8, s3, 0xa0006
	s_add_i32 s2, s8, -2
	s_lshr_b32 s3, s2, 1
	s_add_i32 s3, s3, 1
	s_cmpk_gt_u32 s62, 0x7f
	v_and_b32_e32 v2, 0xf0, v2
	s_cselect_b64 s[10:11], -1, 0
	v_or_b32_e32 v26, 0xc00, v2
	v_writelane_b32 v54, s10, 11
	v_cvt_f32_u32_e32 v2, s70
	s_and_b32 s9, s8, 0x3fe
	v_writelane_b32 v54, s11, 12
	s_and_b32 s10, s3, 7
	s_cmp_gt_u32 s2, 13
	s_cselect_b64 s[12:13], -1, 0
	v_writelane_b32 v54, s12, 13
	v_rcp_iflag_f32_e32 v2, v2
	s_and_b32 s2, s3, -8
	v_writelane_b32 v54, s13, 14
	v_writelane_b32 v54, s2, 15
	s_cmp_lg_u32 s10, 0
	v_writelane_b32 v54, s10, 16
	s_cselect_b64 s[2:3], -1, 0
	v_writelane_b32 v54, s2, 17
	v_mul_f32_e32 v2, 0x4f7ffffe, v2
	v_cvt_u32_f32_e32 v2, v2
	v_writelane_b32 v54, s3, 18
	v_writelane_b32 v54, s8, 19
	s_cmp_lg_u32 s9, s8
	v_writelane_b32 v54, s9, 20
	s_cselect_b64 s[2:3], -1, 0
	v_writelane_b32 v54, s2, 21
	v_not_b32_e32 v1, v3
	v_cvt_f32_u32_e32 v3, s62
	v_writelane_b32 v54, s3, 22
	s_sub_i32 s2, 0, s70
	v_readfirstlane_b32 s3, v2
	s_mul_i32 s2, s2, s3
	s_mul_hi_u32 s2, s3, s2
	s_add_i32 s8, s3, s2
	s_mul_hi_u32 s2, s60, s8
	s_mul_i32 s2, s2, s70
	s_sub_i32 s2, s60, s2
	s_sub_i32 s3, s2, s70
	s_cmp_ge_u32 s2, s70
	s_cselect_b32 s2, s3, s2
	s_sub_i32 s3, s2, s70
	s_cmp_ge_u32 s2, s70
	s_cselect_b32 s2, s3, s2
	s_sub_i32 s9, s60, s2
	v_rcp_iflag_f32_e32 v5, v3
	v_add_u32_e32 v27, s9, v0
	v_mul_lo_u32 v2, v27, s63
	v_ashrrev_i32_e32 v3, 31, v2
	v_lshl_add_u64 v[14:15], v[2:3], 2, s[68:69]
	v_mul_f32_e32 v2, 0x4f7ffffe, v5
	v_cvt_u32_f32_e32 v2, v2
	s_sub_i32 s17, 0, s62
	s_abs_i32 s16, s79
	s_ashr_i32 s3, s79, 31
	v_readfirstlane_b32 s20, v2
	s_mul_i32 s17, s17, s20
	s_mul_hi_u32 s17, s20, s17
	s_add_i32 s78, s20, s17
	s_mul_hi_u32 s17, s16, s78
	s_mul_i32 s17, s17, s62
	s_sub_i32 s16, s16, s17
	s_sub_i32 s17, s16, s62
	s_cmp_ge_u32 s16, s62
	s_cselect_b32 s16, s17, s16
	s_sub_i32 s17, s16, s62
	s_cmp_ge_u32 s16, s62
	s_cselect_b32 s16, s17, s16
	v_lshlrev_b32_e32 v13, 2, v0
	s_xor_b32 s16, s16, s3
	s_sub_i32 s3, s3, s16
	v_mul_lo_u32 v2, s63, v13
	s_add_i32 s79, s79, s3
	v_add_u32_e32 v28, s63, v2
	v_or_b32_e32 v2, 2, v13
	v_cmp_gt_i32_e64 s[16:17], s79, v0
	v_mul_lo_u32 v29, s63, v2
	v_or_b32_e32 v2, 3, v13
	s_add_i32 s3, s62, s60
	v_mov_b32_e32 v9, 0
	v_writelane_b32 v54, s16, 23
	v_mul_lo_u32 v30, s63, v2
	v_add_u32_e32 v2, s3, v0
	v_mul_lo_u32 v6, s63, v0
	v_mov_b32_e32 v7, v9
	v_lshlrev_b32_e32 v4, 2, v24
	s_mov_b32 s22, 0
	s_mov_b32 s23, 1
	v_writelane_b32 v54, s17, 24
	s_mul_i32 s33, s63, s62
	v_subrev_u32_e32 v2, s2, v2
	v_cmp_eq_u32_e64 s[0:1], 0, v24
	v_cmp_gt_u32_e64 s[4:5], 2, v0
	v_add_u32_e32 v25, 0xc00, v13
	v_cmp_gt_u32_e64 s[6:7], s60, v0
	v_lshl_add_u64 v[10:11], v[6:7], 2, s[68:69]
	v_and_b32_e32 v7, 0x100, v4
	v_cmp_gt_i32_e64 s[10:11], s9, v13
	v_cmp_gt_u32_e64 s[12:13], s60, v27
	v_cmp_gt_i32_e64 s[14:15], s60, v27
	s_lshl_b32 s80, s33, 2
	v_lshlrev_b32_e32 v32, 2, v6
	v_mul_lo_u32 v33, s63, v2
	v_lshlrev_b32_e32 v34, 4, v0
	s_lshl_b32 s81, s62, 4
	v_or_b32_e32 v35, 0xc00, v4
	s_mov_b64 s[88:89], 0
	v_mov_b32_e32 v37, 30
	v_mov_b32_e32 v40, s61
	;; [unrolled: 1-line block ×3, first 2 shown]
	v_mov_b32_e32 v16, 1.0
	v_bfrev_b32_e32 v36, 1
	v_mov_b32_e32 v38, 0xc00
	v_mov_b32_e32 v19, 0
	v_writelane_b32 v54, s22, 25
	s_mov_b32 s61, s22
	v_mov_b32_e32 v31, 0
	v_mov_b32_e32 v39, 0
                                        ; implicit-def: $sgpr90_sgpr91
                                        ; implicit-def: $sgpr94_sgpr95
                                        ; implicit-def: $sgpr92_sgpr93
                                        ; implicit-def: $sgpr98_sgpr99
                                        ; implicit-def: $sgpr64_sgpr65
                                        ; implicit-def: $sgpr96_sgpr97
	v_writelane_b32 v54, s23, 26
	s_branch .LBB48_7
.LBB48_4:                               ;   in Loop: Header=BB48_7 Depth=1
	s_or_b64 exec, exec, s[30:31]
	s_and_b64 s[30:31], s[28:29], exec
	s_andn2_b64 s[26:27], s[26:27], exec
	s_andn2_b64 s[24:25], s[24:25], exec
	s_orn2_b64 s[20:21], s[20:21], exec
.LBB48_5:                               ;   in Loop: Header=BB48_7 Depth=1
	s_or_b64 exec, exec, s[22:23]
	s_andn2_b64 s[16:17], s[96:97], exec
	s_and_b64 s[22:23], s[30:31], exec
	s_or_b64 s[96:97], s[16:17], s[22:23]
	s_andn2_b64 s[16:17], s[64:65], exec
	s_and_b64 s[22:23], s[26:27], exec
	s_or_b64 s[64:65], s[16:17], s[22:23]
	;; [unrolled: 3-line block ×3, first 2 shown]
	s_orn2_b64 s[20:21], s[20:21], exec
.LBB48_6:                               ;   in Loop: Header=BB48_7 Depth=1
	s_or_b64 exec, exec, s[2:3]
	s_and_b64 s[2:3], exec, s[20:21]
	s_or_b64 s[88:89], s[2:3], s[88:89]
	s_andn2_b64 s[2:3], s[92:93], exec
	s_and_b64 s[16:17], s[96:97], exec
	s_or_b64 s[92:93], s[2:3], s[16:17]
	s_andn2_b64 s[2:3], s[94:95], exec
	s_and_b64 s[16:17], s[64:65], exec
	;; [unrolled: 3-line block ×3, first 2 shown]
	s_or_b64 s[90:91], s[2:3], s[16:17]
	s_mov_b32 s61, s34
	v_mov_b32_e32 v40, v20
	s_andn2_b64 exec, exec, s[88:89]
	s_cbranch_execz .LBB48_242
.LBB48_7:                               ; =>This Loop Header: Depth=1
                                        ;     Child Loop BB48_13 Depth 2
                                        ;     Child Loop BB48_28 Depth 2
	;; [unrolled: 1-line block ×17, first 2 shown]
	ds_read_b64 v[2:3], v9 offset:4096
	s_waitcnt lgkmcnt(0)
	v_readfirstlane_b32 s16, v2
	s_cmp_gt_i32 s16, 0
	s_cbranch_scc1 .LBB48_35
; %bb.8:                                ;   in Loop: Header=BB48_7 Depth=1
	s_and_b64 vcc, exec, s[74:75]
	s_cbranch_vccz .LBB48_21
; %bb.9:                                ;   in Loop: Header=BB48_7 Depth=1
	s_movk_i32 s2, 0x301
	v_cmp_gt_i32_e32 vcc, s2, v3
	s_mov_b64 s[20:21], 0
	s_mov_b64 s[2:3], 0
	s_cbranch_vccz .LBB48_22
; %bb.10:                               ;   in Loop: Header=BB48_7 Depth=1
	s_and_saveexec_b64 s[22:23], s[6:7]
	s_cbranch_execz .LBB48_67
; %bb.11:                               ;   in Loop: Header=BB48_7 Depth=1
	v_readlane_b32 s2, v54, 9
	v_readlane_b32 s3, v54, 10
	s_nop 4
	global_load_ushort v2, v9, s[2:3]
	global_load_dword v4, v[10:11], off
	s_mov_b64 s[24:25], 0
	s_waitcnt vmcnt(1)
	v_add_u32_e32 v5, v0, v2
	v_mul_lo_u32 v3, s63, v2
	v_mul_lo_u32 v8, s63, v5
	v_mov_b32_e32 v5, v0
	s_branch .LBB48_13
.LBB48_12:                              ;   in Loop: Header=BB48_13 Depth=2
	s_or_b64 exec, exec, s[2:3]
	v_cmp_le_i32_e32 vcc, s60, v5
	v_add_u32_e32 v8, v8, v3
	s_or_b64 s[24:25], vcc, s[24:25]
	v_mov_b32_e32 v4, v17
	s_andn2_b64 exec, exec, s[24:25]
	s_cbranch_execz .LBB48_67
.LBB48_13:                              ;   Parent Loop BB48_7 Depth=1
                                        ; =>  This Inner Loop Header: Depth=2
	v_add_u32_e32 v5, v5, v2
	v_cmp_gt_u32_e32 vcc, s60, v5
	s_waitcnt lgkmcnt(0)
	v_mov_b32_e32 v18, 0
	v_mov_b32_e32 v17, 0
	s_and_saveexec_b64 s[2:3], vcc
	s_cbranch_execz .LBB48_15
; %bb.14:                               ;   in Loop: Header=BB48_13 Depth=2
	v_lshl_add_u64 v[20:21], v[8:9], 2, s[68:69]
	global_load_dword v17, v[20:21], off
.LBB48_15:                              ;   in Loop: Header=BB48_13 Depth=2
	s_or_b64 exec, exec, s[2:3]
	s_waitcnt vmcnt(0)
	v_cmp_lt_i32_e32 vcc, -1, v4
	s_nop 1
	v_cndmask_b32_e32 v20, -1, v36, vcc
	v_xor_b32_e32 v20, v20, v4
	v_cmp_o_f32_e32 vcc, v4, v4
	s_nop 1
	v_cndmask_b32_e32 v20, -1, v20, vcc
	v_and_b32_e32 v20, v20, v39
	v_cmp_eq_u32_e32 vcc, v20, v31
	s_cmp_lg_u64 vcc, 0
	s_cselect_b64 s[2:3], -1, 0
	s_and_b64 s[2:3], s[0:1], s[2:3]
	s_and_saveexec_b64 s[26:27], s[2:3]
	s_cbranch_execz .LBB48_19
; %bb.16:                               ;   in Loop: Header=BB48_13 Depth=2
	s_mov_b64 s[30:31], exec
	v_mbcnt_lo_u32_b32 v18, s30, 0
	v_mbcnt_hi_u32_b32 v18, s31, v18
	s_bcnt1_i32_b64 s17, vcc
	v_cmp_eq_u32_e64 s[2:3], 0, v18
                                        ; implicit-def: $vgpr20
	s_and_saveexec_b64 s[28:29], s[2:3]
; %bb.17:                               ;   in Loop: Header=BB48_13 Depth=2
	s_bcnt1_i32_b64 s2, s[30:31]
	s_mul_i32 s2, s17, s2
	v_mov_b32_e32 v20, s2
	ds_add_rtn_u32 v20, v9, v20 offset:4104
; %bb.18:                               ;   in Loop: Header=BB48_13 Depth=2
	s_or_b64 exec, exec, s[28:29]
	s_waitcnt lgkmcnt(0)
	v_readfirstlane_b32 s2, v20
	s_nop 1
	v_mov_b32_e32 v20, s2
	v_mad_u32_u24 v18, s17, v18, v20
.LBB48_19:                              ;   in Loop: Header=BB48_13 Depth=2
	s_or_b64 exec, exec, s[26:27]
	ds_bpermute_b32 v18, v7, v18
	s_and_saveexec_b64 s[2:3], vcc
	s_cbranch_execz .LBB48_12
; %bb.20:                               ;   in Loop: Header=BB48_13 Depth=2
	v_and_b32_e32 v21, vcc_lo, v12
	v_and_b32_e32 v20, vcc_hi, v1
	v_bcnt_u32_b32 v21, v21, 0
	v_bcnt_u32_b32 v20, v20, v21
	v_lshlrev_b32_e32 v20, 2, v20
	s_waitcnt lgkmcnt(0)
	v_lshl_add_u32 v18, v18, 2, v20
	ds_write_b32 v18, v4
	s_branch .LBB48_12
.LBB48_21:                              ;   in Loop: Header=BB48_7 Depth=1
	s_mov_b64 s[20:21], -1
	s_mov_b64 s[2:3], 0
.LBB48_22:                              ;   in Loop: Header=BB48_7 Depth=1
	s_and_b64 vcc, exec, s[20:21]
	s_cbranch_vccz .LBB48_33
.LBB48_23:                              ;   in Loop: Header=BB48_7 Depth=1
	v_mov_b32_e32 v2, 0
	s_and_saveexec_b64 s[2:3], s[6:7]
	s_cbranch_execz .LBB48_25
; %bb.24:                               ;   in Loop: Header=BB48_7 Depth=1
	global_load_dword v2, v[10:11], off
.LBB48_25:                              ;   in Loop: Header=BB48_7 Depth=1
	s_or_b64 exec, exec, s[2:3]
	s_mov_b64 s[2:3], exec
	v_readlane_b32 s20, v54, 7
	v_readlane_b32 s21, v54, 8
	s_and_b64 s[20:21], s[2:3], s[20:21]
	s_mov_b64 exec, s[20:21]
	s_cbranch_execz .LBB48_30
; %bb.26:                               ;   in Loop: Header=BB48_7 Depth=1
	v_readlane_b32 s20, v54, 9
	v_readlane_b32 s21, v54, 10
	v_mov_b32_e32 v4, v13
	v_mov_b32_e32 v18, v0
	s_nop 2
	global_load_ushort v3, v9, s[20:21]
	s_mov_b64 s[20:21], 0
	s_waitcnt vmcnt(0)
	v_add_u32_e32 v8, v0, v3
	v_lshlrev_b32_e32 v5, 2, v3
	v_mul_lo_u32 v17, s63, v3
	v_mul_lo_u32 v8, s63, v8
	s_branch .LBB48_28
.LBB48_27:                              ;   in Loop: Header=BB48_28 Depth=2
	s_or_b64 exec, exec, s[22:23]
	v_cmp_le_i32_e32 vcc, s60, v18
	ds_write_b32 v4, v2
	v_add_u32_e32 v4, v4, v5
	v_add_u32_e32 v8, v8, v17
	s_or_b64 s[20:21], vcc, s[20:21]
	s_waitcnt vmcnt(0)
	v_mov_b32_e32 v2, v20
	s_andn2_b64 exec, exec, s[20:21]
	s_cbranch_execz .LBB48_30
.LBB48_28:                              ;   Parent Loop BB48_7 Depth=1
                                        ; =>  This Inner Loop Header: Depth=2
	v_add_u32_e32 v18, v18, v3
	v_cmp_gt_u32_e32 vcc, s60, v18
	v_mov_b32_e32 v20, 0
	s_and_saveexec_b64 s[22:23], vcc
	s_cbranch_execz .LBB48_27
; %bb.29:                               ;   in Loop: Header=BB48_28 Depth=2
	v_lshl_add_u64 v[20:21], v[8:9], 2, s[68:69]
	global_load_dword v20, v[20:21], off
	s_branch .LBB48_27
.LBB48_30:                              ;   in Loop: Header=BB48_7 Depth=1
	s_or_b64 exec, exec, s[2:3]
	s_waitcnt lgkmcnt(0)
	s_barrier
	s_and_saveexec_b64 s[2:3], s[18:19]
; %bb.31:                               ;   in Loop: Header=BB48_7 Depth=1
	ds_write_b32 v9, v41 offset:4096
; %bb.32:                               ;   in Loop: Header=BB48_7 Depth=1
	s_or_b64 exec, exec, s[2:3]
	s_mov_b64 s[2:3], -1
	s_waitcnt lgkmcnt(0)
	s_barrier
.LBB48_33:                              ;   in Loop: Header=BB48_7 Depth=1
	s_and_b64 vcc, exec, s[2:3]
	s_cbranch_vccz .LBB48_35
; %bb.34:                               ;   in Loop: Header=BB48_7 Depth=1
	s_waitcnt vmcnt(0)
	ds_read_b32 v2, v9 offset:4096
	s_waitcnt lgkmcnt(0)
	v_readfirstlane_b32 s16, v2
.LBB48_35:                              ;   in Loop: Header=BB48_7 Depth=1
	s_cmp_lt_i32 s16, 1
	s_mov_b64 s[2:3], -1
                                        ; implicit-def: $vgpr4_vgpr5
	s_cbranch_scc1 .LBB48_45
; %bb.36:                               ;   in Loop: Header=BB48_7 Depth=1
	s_and_b64 vcc, exec, s[2:3]
	s_cbranch_vccnz .LBB48_58
.LBB48_37:                              ;   in Loop: Header=BB48_7 Depth=1
	s_lshl_b32 s16, s61, 6
	s_and_saveexec_b64 s[2:3], s[0:1]
	s_cbranch_execz .LBB48_39
.LBB48_38:                              ;   in Loop: Header=BB48_7 Depth=1
	v_lshl_add_u32 v8, s16, 2, v26
	s_waitcnt vmcnt(0)
	ds_write_b128 v8, v[2:5]
.LBB48_39:                              ;   in Loop: Header=BB48_7 Depth=1
	s_or_b64 exec, exec, s[2:3]
	s_waitcnt lgkmcnt(0)
	s_barrier
	s_and_saveexec_b64 s[2:3], s[72:73]
	s_cbranch_execz .LBB48_78
; %bb.40:                               ;   in Loop: Header=BB48_7 Depth=1
	v_add_u32_e32 v4, s16, v24
	s_andn2_b64 vcc, exec, s[76:77]
	s_waitcnt vmcnt(0)
	v_mov_b32_e32 v2, 0
	s_cbranch_vccnz .LBB48_77
; %bb.41:                               ;   in Loop: Header=BB48_7 Depth=1
	v_readlane_b32 s20, v54, 11
	v_readlane_b32 s21, v54, 12
	s_andn2_b64 vcc, exec, s[20:21]
	s_cbranch_vccnz .LBB48_70
; %bb.42:                               ;   in Loop: Header=BB48_7 Depth=1
	v_readlane_b32 s20, v54, 13
	v_readlane_b32 s21, v54, 14
	s_andn2_b64 vcc, exec, s[20:21]
	v_lshl_add_u32 v5, v4, 2, v38
	s_cbranch_vccnz .LBB48_71
; %bb.43:                               ;   in Loop: Header=BB48_7 Depth=1
	s_mov_b32 s21, 1
	s_mov_b32 s20, 0
	v_mov_b32_e32 v2, 0
	v_mov_b32_e32 v3, 0
	v_readlane_b32 s17, v54, 15
.LBB48_44:                              ;   Parent Loop BB48_7 Depth=1
                                        ; =>  This Inner Loop Header: Depth=2
	v_lshl_add_u32 v8, s20, 4, v5
	v_lshl_add_u32 v17, s21, 4, v5
	ds_read2_b32 v[20:21], v8 offset1:8
	ds_read2_b32 v[22:23], v17 offset1:8
	ds_read2_b32 v[42:43], v8 offset0:16 offset1:24
	ds_read2_b32 v[44:45], v17 offset0:16 offset1:24
	ds_read2_b32 v[46:47], v8 offset0:32 offset1:40
	ds_read2_b32 v[48:49], v17 offset0:32 offset1:40
	ds_read2_b32 v[50:51], v8 offset0:48 offset1:56
	ds_read2_b32 v[52:53], v17 offset0:48 offset1:56
	s_waitcnt lgkmcnt(7)
	v_add3_u32 v2, v20, v2, v21
	s_waitcnt lgkmcnt(6)
	v_add3_u32 v3, v22, v3, v23
	;; [unrolled: 2-line block ×3, first 2 shown]
	v_add3_u32 v2, v42, v2, v43
	s_add_i32 s21, s21, 16
	s_add_i32 s20, s20, 16
	s_add_i32 s17, s17, -8
	s_waitcnt lgkmcnt(3)
	v_add3_u32 v2, v46, v2, v47
	s_waitcnt lgkmcnt(2)
	v_add3_u32 v3, v48, v3, v49
	s_cmp_lg_u32 s17, 0
	s_waitcnt lgkmcnt(0)
	v_add3_u32 v3, v52, v3, v53
	v_add3_u32 v2, v50, v2, v51
	s_cbranch_scc1 .LBB48_44
	s_branch .LBB48_72
.LBB48_45:                              ;   in Loop: Header=BB48_7 Depth=1
	v_mov_b32_e32 v8, v9
	v_mov_b64_e32 v[4:5], v[8:9]
	s_waitcnt vmcnt(0)
	v_mov_b64_e32 v[2:3], v[8:9]
	s_and_saveexec_b64 s[66:67], s[10:11]
	s_cbranch_execnz .LBB48_48
; %bb.46:                               ;   in Loop: Header=BB48_7 Depth=1
	s_or_b64 exec, exec, s[66:67]
	v_mov_b32_e32 v17, 0
	s_and_saveexec_b64 s[2:3], s[12:13]
	s_cbranch_execnz .LBB48_51
.LBB48_47:                              ;   in Loop: Header=BB48_7 Depth=1
	s_or_b64 exec, exec, s[2:3]
	s_and_saveexec_b64 s[20:21], s[14:15]
	s_cbranch_execnz .LBB48_52
	s_branch .LBB48_57
.LBB48_48:                              ;   in Loop: Header=BB48_7 Depth=1
	s_mov_b32 s17, 0
	s_mov_b64 s[82:83], 0
	v_mov_b32_e32 v8, v13
	s_mov_b32 s84, 0
	s_mov_b32 s85, s17
	;; [unrolled: 1-line block ×4, first 2 shown]
.LBB48_49:                              ;   Parent Loop BB48_7 Depth=1
                                        ; =>  This Inner Loop Header: Depth=2
	v_add_u32_e32 v2, s17, v32
	v_add_u32_e32 v4, s17, v28
	v_add_u32_e32 v20, s17, v29
	v_add_u32_e32 v22, s17, v30
	v_ashrrev_i32_e32 v3, 31, v2
	v_ashrrev_i32_e32 v5, 31, v4
	;; [unrolled: 1-line block ×4, first 2 shown]
	v_lshl_add_u64 v[2:3], v[2:3], 2, s[68:69]
	v_lshl_add_u64 v[4:5], v[4:5], 2, s[68:69]
	;; [unrolled: 1-line block ×4, first 2 shown]
	global_load_dword v2, v[2:3], off
	s_nop 0
	global_load_dword v3, v[4:5], off
	s_nop 0
	global_load_dword v4, v[20:21], off
	global_load_dword v5, v[22:23], off
	v_add_u32_e32 v8, s70, v8
	s_add_i32 s17, s17, s80
	v_cmp_le_i32_e32 vcc, s9, v8
	s_waitcnt vmcnt(3)
	v_cmp_lt_i32_e64 s[2:3], -1, v2
	s_nop 1
	v_cndmask_b32_e64 v17, -1, v36, s[2:3]
	s_waitcnt vmcnt(2)
	v_cmp_lt_i32_e64 s[2:3], -1, v3
	s_waitcnt vmcnt(1)
	v_cmp_o_f32_e64 s[20:21], v4, v4
	s_waitcnt vmcnt(0)
	v_cmp_o_f32_e64 s[22:23], v5, v5
	v_cndmask_b32_e64 v18, -1, v36, s[2:3]
	v_cmp_lt_i32_e64 s[2:3], -1, v4
	v_xor_b32_e32 v18, v18, v3
	v_cmp_o_f32_e64 s[24:25], v2, v2
	v_cndmask_b32_e64 v20, -1, v36, s[2:3]
	v_cmp_lt_i32_e64 s[2:3], -1, v5
	s_nop 1
	v_cndmask_b32_e64 v21, -1, v36, s[2:3]
	v_cmp_o_f32_e64 s[2:3], v3, v3
	v_xor_b32_e32 v3, v20, v4
	v_xor_b32_e32 v4, v21, v5
	;; [unrolled: 1-line block ×3, first 2 shown]
	v_cndmask_b32_e64 v2, -1, v5, s[24:25]
	v_cndmask_b32_e64 v5, -1, v18, s[2:3]
	v_and_b32_e32 v17, v2, v39
	v_bfe_u32 v2, v2, v37, 2
	v_cndmask_b32_e64 v3, -1, v3, s[20:21]
	v_and_b32_e32 v18, v5, v39
	v_bfe_u32 v5, v5, v37, 2
	v_cmp_eq_u32_e64 s[2:3], v17, v31
	v_cmp_eq_u32_e64 s[26:27], 0, v2
	v_cndmask_b32_e64 v4, -1, v4, s[22:23]
	v_and_b32_e32 v20, v3, v39
	v_bfe_u32 v3, v3, v37, 2
	v_cmp_eq_u32_e64 s[20:21], v18, v31
	v_cmp_eq_u32_e64 s[28:29], 0, v5
	s_and_b64 s[26:27], s[2:3], s[26:27]
	v_and_b32_e32 v21, v4, v39
	v_bfe_u32 v4, v4, v37, 2
	v_cmp_eq_u32_e64 s[22:23], v20, v31
	v_cmp_eq_u32_e64 s[30:31], 0, v3
	;; [unrolled: 1-line block ×5, first 2 shown]
	v_cndmask_b32_e64 v2, 0, 1, s[26:27]
	s_and_b64 s[26:27], s[20:21], s[28:29]
	v_cmp_eq_u32_e64 s[24:25], v21, v31
	v_cmp_eq_u32_e64 s[34:35], 0, v4
	;; [unrolled: 1-line block ×5, first 2 shown]
	v_cndmask_b32_e64 v3, 0, 1, s[26:27]
	s_and_b64 s[26:27], s[22:23], s[30:31]
	v_cmp_eq_u32_e64 s[42:43], 1, v4
	v_cmp_eq_u32_e64 s[50:51], 2, v4
	;; [unrolled: 1-line block ×3, first 2 shown]
	v_cndmask_b32_e64 v4, 0, 1, s[26:27]
	s_and_b64 s[26:27], s[24:25], s[34:35]
	v_cmp_eq_u32_e64 s[38:39], 1, v5
	v_cmp_eq_u32_e64 s[46:47], 2, v5
	;; [unrolled: 1-line block ×3, first 2 shown]
	v_cndmask_b32_e64 v5, 0, 1, s[26:27]
	s_and_b64 s[26:27], s[2:3], s[36:37]
	v_cndmask_b32_e64 v17, 0, 1, s[26:27]
	s_and_b64 s[26:27], s[20:21], s[38:39]
	;; [unrolled: 2-line block ×5, first 2 shown]
	s_and_b64 s[2:3], s[2:3], s[52:53]
	v_cndmask_b32_e64 v22, 0, 1, s[26:27]
	s_and_b64 s[26:27], s[20:21], s[46:47]
	v_cndmask_b32_e64 v44, 0, 1, s[2:3]
	;; [unrolled: 2-line block ×7, first 2 shown]
	v_cndmask_b32_e64 v47, 0, 1, s[2:3]
	v_cmp_ne_u32_e64 s[2:3], 0, v2
	v_cmp_ne_u32_e64 s[20:21], 0, v3
	;; [unrolled: 1-line block ×11, first 2 shown]
	s_bcnt1_i32_b64 s2, s[2:3]
	s_bcnt1_i32_b64 s3, s[20:21]
	;; [unrolled: 1-line block ×8, first 2 shown]
	v_cmp_ne_u32_e64 s[34:35], 0, v21
	v_cmp_ne_u32_e64 s[40:41], 0, v42
	;; [unrolled: 1-line block ×3, first 2 shown]
	s_bcnt1_i32_b64 s23, s[28:29]
	s_bcnt1_i32_b64 s27, s[38:39]
	;; [unrolled: 1-line block ×3, first 2 shown]
	s_add_i32 s2, s84, s2
	s_add_i32 s22, s85, s22
	;; [unrolled: 1-line block ×4, first 2 shown]
	v_cmp_ne_u32_e64 s[42:43], 0, v43
	v_cmp_ne_u32_e64 s[50:51], 0, v47
	s_bcnt1_i32_b64 s25, s[34:35]
	s_bcnt1_i32_b64 s28, s[40:41]
	;; [unrolled: 1-line block ×3, first 2 shown]
	s_add_i32 s22, s22, s23
	s_add_i32 s2, s2, s3
	s_add_i32 s3, s30, s31
	s_add_i32 s23, s26, s27
	s_bcnt1_i32_b64 s29, s[42:43]
	s_bcnt1_i32_b64 s35, s[50:51]
	s_add_i32 s2, s2, s20
	s_add_i32 s20, s22, s24
	;; [unrolled: 1-line block ×8, first 2 shown]
	s_or_b64 s[82:83], vcc, s[82:83]
	v_mov_b64_e32 v[2:3], s[84:85]
	v_mov_b64_e32 v[4:5], s[86:87]
	s_andn2_b64 exec, exec, s[82:83]
	s_cbranch_execnz .LBB48_49
; %bb.50:                               ;   in Loop: Header=BB48_7 Depth=1
	s_or_b64 exec, exec, s[82:83]
	s_or_b64 exec, exec, s[66:67]
	v_mov_b32_e32 v17, 0
	s_and_saveexec_b64 s[2:3], s[12:13]
	s_cbranch_execz .LBB48_47
.LBB48_51:                              ;   in Loop: Header=BB48_7 Depth=1
	global_load_dword v17, v[14:15], off
	s_or_b64 exec, exec, s[2:3]
	s_and_saveexec_b64 s[20:21], s[14:15]
	s_cbranch_execz .LBB48_57
.LBB48_52:                              ;   in Loop: Header=BB48_7 Depth=1
	s_mov_b64 s[22:23], 0
	v_mov_b32_e32 v20, v33
	v_mov_b32_e32 v8, v27
	s_branch .LBB48_54
.LBB48_53:                              ;   in Loop: Header=BB48_54 Depth=2
	s_or_b64 exec, exec, s[2:3]
	s_waitcnt vmcnt(0)
	v_cmp_lt_i32_e32 vcc, -1, v17
	v_add_u32_e32 v20, s33, v20
	s_nop 0
	v_cndmask_b32_e32 v21, -1, v36, vcc
	v_xor_b32_e32 v21, v21, v17
	v_cmp_o_f32_e32 vcc, v17, v17
	s_nop 1
	v_cndmask_b32_e32 v17, -1, v21, vcc
	v_and_b32_e32 v21, v17, v39
	v_bfe_u32 v17, v17, v37, 2
	v_cmp_eq_u32_e32 vcc, v21, v31
	v_cmp_eq_u32_e64 s[2:3], 0, v17
	s_and_b64 s[2:3], vcc, s[2:3]
	s_nop 0
	v_cndmask_b32_e64 v21, 0, 1, s[2:3]
	v_cmp_ne_u32_e64 s[2:3], 0, v21
	s_bcnt1_i32_b64 s17, s[2:3]
	v_cmp_eq_u32_e64 s[2:3], 1, v17
	s_and_b64 s[2:3], vcc, s[2:3]
	v_add_u32_e32 v2, s17, v2
	v_cndmask_b32_e64 v21, 0, 1, s[2:3]
	v_cmp_ne_u32_e64 s[2:3], 0, v21
	s_bcnt1_i32_b64 s2, s[2:3]
	s_nop 0
	v_add_u32_e32 v3, s2, v3
	v_cmp_eq_u32_e64 s[2:3], 2, v17
	s_and_b64 s[2:3], vcc, s[2:3]
	s_nop 0
	v_cndmask_b32_e64 v21, 0, 1, s[2:3]
	v_cmp_ne_u32_e64 s[2:3], 0, v21
	s_bcnt1_i32_b64 s17, s[2:3]
	v_cmp_eq_u32_e64 s[2:3], 3, v17
	s_and_b64 s[2:3], vcc, s[2:3]
	v_add_u32_e32 v4, s17, v4
	v_cndmask_b32_e64 v17, 0, 1, s[2:3]
	v_cmp_ne_u32_e32 vcc, 0, v17
	s_bcnt1_i32_b64 s2, vcc
	v_cmp_le_i32_e32 vcc, s60, v8
	v_add_u32_e32 v5, s2, v5
	s_or_b64 s[22:23], vcc, s[22:23]
	v_mov_b32_e32 v17, v18
	s_andn2_b64 exec, exec, s[22:23]
	s_cbranch_execz .LBB48_56
.LBB48_54:                              ;   Parent Loop BB48_7 Depth=1
                                        ; =>  This Inner Loop Header: Depth=2
	v_add_u32_e32 v8, s62, v8
	v_cmp_gt_u32_e32 vcc, s60, v8
	v_mov_b32_e32 v18, 0
	s_and_saveexec_b64 s[2:3], vcc
	s_cbranch_execz .LBB48_53
; %bb.55:                               ;   in Loop: Header=BB48_54 Depth=2
	v_ashrrev_i32_e32 v21, 31, v20
	v_lshl_add_u64 v[22:23], v[20:21], 2, s[68:69]
	global_load_dword v18, v[22:23], off
	s_branch .LBB48_53
.LBB48_56:                              ;   in Loop: Header=BB48_7 Depth=1
	s_or_b64 exec, exec, s[22:23]
.LBB48_57:                              ;   in Loop: Header=BB48_7 Depth=1
	s_or_b64 exec, exec, s[20:21]
	s_branch .LBB48_37
.LBB48_58:                              ;   in Loop: Header=BB48_7 Depth=1
	s_mul_hi_u32 s2, s16, s8
	s_mul_i32 s2, s2, s70
	s_sub_i32 s2, s16, s2
	s_sub_i32 s3, s2, s70
	s_cmp_ge_u32 s2, s70
	s_cselect_b32 s2, s3, s2
	s_sub_i32 s3, s2, s70
	s_cmp_ge_u32 s2, s70
	s_cselect_b32 s2, s3, s2
	s_sub_i32 s17, s16, s2
	v_mov_b32_e32 v8, v9
	v_cmp_gt_u32_e32 vcc, s17, v13
	v_mov_b64_e32 v[4:5], v[8:9]
	s_waitcnt vmcnt(0)
	v_mov_b64_e32 v[2:3], v[8:9]
	s_and_saveexec_b64 s[66:67], vcc
	s_cbranch_execz .LBB48_62
; %bb.59:                               ;   in Loop: Header=BB48_7 Depth=1
	s_mov_b32 s84, 0
	s_mov_b64 s[82:83], 0
	v_mov_b32_e32 v8, v34
	v_mov_b32_e32 v17, v13
	s_mov_b32 s85, s84
	s_mov_b32 s86, s84
	;; [unrolled: 1-line block ×3, first 2 shown]
.LBB48_60:                              ;   Parent Loop BB48_7 Depth=1
                                        ; =>  This Inner Loop Header: Depth=2
	ds_read_b128 v[2:5], v8
	v_add_u32_e32 v17, s70, v17
	v_cmp_le_i32_e32 vcc, s17, v17
	v_add_u32_e32 v8, s81, v8
	s_waitcnt lgkmcnt(0)
	v_cmp_lt_i32_e64 s[2:3], -1, v3
	v_cmp_o_f32_e64 s[20:21], v4, v4
	s_nop 0
	v_cndmask_b32_e64 v18, -1, v36, s[2:3]
	v_cmp_lt_i32_e64 s[2:3], -1, v2
	v_cmp_o_f32_e64 s[22:23], v5, v5
	v_cmp_o_f32_e64 s[24:25], v3, v3
	v_cndmask_b32_e64 v20, -1, v36, s[2:3]
	v_cmp_lt_i32_e64 s[2:3], -1, v5
	v_xor_b32_e32 v20, v20, v2
	s_nop 0
	v_cndmask_b32_e64 v21, -1, v36, s[2:3]
	v_cmp_lt_i32_e64 s[2:3], -1, v4
	s_nop 1
	v_cndmask_b32_e64 v22, -1, v36, s[2:3]
	v_cmp_o_f32_e64 s[2:3], v2, v2
	v_xor_b32_e32 v2, v22, v4
	v_xor_b32_e32 v4, v21, v5
	;; [unrolled: 1-line block ×3, first 2 shown]
	v_cndmask_b32_e64 v3, -1, v5, s[24:25]
	v_cndmask_b32_e64 v5, -1, v20, s[2:3]
	v_and_b32_e32 v18, v5, v39
	v_lshrrev_b32_e32 v5, v37, v5
	v_cndmask_b32_e64 v2, -1, v2, s[20:21]
	v_and_b32_e32 v20, v3, v39
	v_lshrrev_b32_e32 v3, v37, v3
	v_and_b32_e32 v5, 3, v5
	v_and_b32_e32 v21, v2, v39
	v_lshrrev_b32_e32 v2, v37, v2
	v_cmp_eq_u32_e64 s[2:3], v18, v31
	v_and_b32_e32 v3, 3, v3
	v_cmp_eq_u32_e64 s[26:27], 0, v5
	v_cndmask_b32_e64 v4, -1, v4, s[22:23]
	v_cmp_eq_u32_e64 s[20:21], v20, v31
	v_and_b32_e32 v2, 3, v2
	v_cmp_eq_u32_e64 s[28:29], 0, v3
	s_and_b64 s[26:27], s[2:3], s[26:27]
	v_and_b32_e32 v22, v4, v39
	v_lshrrev_b32_e32 v4, v37, v4
	v_cmp_eq_u32_e64 s[30:31], 1, v5
	v_cmp_eq_u32_e64 s[44:45], 0, v2
	v_cmp_eq_u32_e64 s[48:49], 1, v2
	v_cmp_eq_u32_e64 s[52:53], 2, v2
	v_cmp_eq_u32_e64 s[58:59], 3, v2
	v_cndmask_b32_e64 v2, 0, 1, s[26:27]
	s_and_b64 s[26:27], s[20:21], s[28:29]
	v_and_b32_e32 v4, 3, v4
	v_cmp_eq_u32_e64 s[34:35], 1, v3
	v_cmp_eq_u32_e64 s[38:39], 2, v3
	;; [unrolled: 1-line block ×3, first 2 shown]
	v_cndmask_b32_e64 v3, 0, 1, s[26:27]
	s_and_b64 s[26:27], s[2:3], s[30:31]
	v_cmp_eq_u32_e64 s[36:37], 2, v5
	v_cmp_eq_u32_e64 s[46:47], 0, v4
	;; [unrolled: 1-line block ×5, first 2 shown]
	v_cndmask_b32_e64 v4, 0, 1, s[26:27]
	s_and_b64 s[26:27], s[20:21], s[34:35]
	v_cmp_eq_u32_e64 s[42:43], 3, v5
	v_cndmask_b32_e64 v5, 0, 1, s[26:27]
	s_and_b64 s[26:27], s[2:3], s[36:37]
	v_cmp_eq_u32_e64 s[22:23], v21, v31
	;; [unrolled: 3-line block ×3, first 2 shown]
	v_cndmask_b32_e64 v20, 0, 1, s[26:27]
	s_and_b64 s[26:27], s[22:23], s[44:45]
	v_cndmask_b32_e64 v21, 0, 1, s[26:27]
	s_and_b64 s[26:27], s[24:25], s[46:47]
	;; [unrolled: 2-line block ×3, first 2 shown]
	s_and_b64 s[2:3], s[2:3], s[42:43]
	v_cndmask_b32_e64 v23, 0, 1, s[26:27]
	s_and_b64 s[26:27], s[24:25], s[50:51]
	v_cndmask_b32_e64 v45, 0, 1, s[2:3]
	;; [unrolled: 2-line block ×7, first 2 shown]
	v_cndmask_b32_e64 v48, 0, 1, s[2:3]
	v_cmp_ne_u32_e64 s[2:3], 0, v2
	v_cmp_ne_u32_e64 s[20:21], 0, v3
	;; [unrolled: 1-line block ×9, first 2 shown]
	s_bcnt1_i32_b64 s2, s[2:3]
	s_bcnt1_i32_b64 s3, s[20:21]
	;; [unrolled: 1-line block ×7, first 2 shown]
	v_cmp_ne_u32_e64 s[34:35], 0, v22
	v_cmp_ne_u32_e64 s[36:37], 0, v23
	;; [unrolled: 1-line block ×4, first 2 shown]
	s_bcnt1_i32_b64 s23, s[28:29]
	s_bcnt1_i32_b64 s31, s[46:47]
	s_add_i32 s2, s84, s2
	s_add_i32 s20, s85, s20
	;; [unrolled: 1-line block ×4, first 2 shown]
	v_cmp_ne_u32_e64 s[38:39], 0, v42
	v_cmp_ne_u32_e64 s[42:43], 0, v44
	;; [unrolled: 1-line block ×3, first 2 shown]
	s_bcnt1_i32_b64 s25, s[34:35]
	s_bcnt1_i32_b64 s26, s[36:37]
	;; [unrolled: 1-line block ×4, first 2 shown]
	s_add_i32 s20, s20, s21
	s_add_i32 s2, s2, s3
	;; [unrolled: 1-line block ×4, first 2 shown]
	s_bcnt1_i32_b64 s27, s[38:39]
	s_bcnt1_i32_b64 s29, s[42:43]
	;; [unrolled: 1-line block ×3, first 2 shown]
	s_add_i32 s2, s2, s24
	s_add_i32 s20, s20, s26
	s_add_i32 s21, s21, s28
	s_add_i32 s3, s3, s34
	s_add_i32 s85, s20, s27
	s_add_i32 s84, s2, s25
	s_add_i32 s87, s3, s35
	s_add_i32 s86, s21, s29
	s_or_b64 s[82:83], vcc, s[82:83]
	v_mov_b64_e32 v[2:3], s[84:85]
	v_mov_b64_e32 v[4:5], s[86:87]
	s_andn2_b64 exec, exec, s[82:83]
	s_cbranch_execnz .LBB48_60
; %bb.61:                               ;   in Loop: Header=BB48_7 Depth=1
	s_or_b64 exec, exec, s[82:83]
.LBB48_62:                              ;   in Loop: Header=BB48_7 Depth=1
	s_or_b64 exec, exec, s[66:67]
	v_add_u32_e32 v8, s17, v0
	v_cmp_gt_i32_e32 vcc, s16, v8
	s_and_saveexec_b64 s[28:29], vcc
	s_cbranch_execz .LBB48_66
; %bb.63:                               ;   in Loop: Header=BB48_7 Depth=1
	v_lshlrev_b32_e32 v17, 2, v8
	s_mov_b64 s[30:31], 0
.LBB48_64:                              ;   Parent Loop BB48_7 Depth=1
                                        ; =>  This Inner Loop Header: Depth=2
	ds_read_b32 v18, v17
	v_add_u32_e32 v8, s62, v8
	v_cmp_le_i32_e32 vcc, s16, v8
	v_add_u32_e32 v17, s70, v17
	s_waitcnt lgkmcnt(0)
	v_cmp_lt_i32_e64 s[2:3], -1, v18
	s_nop 1
	v_cndmask_b32_e64 v20, -1, v36, s[2:3]
	v_xor_b32_e32 v20, v20, v18
	v_cmp_o_f32_e64 s[2:3], v18, v18
	s_nop 1
	v_cndmask_b32_e64 v18, -1, v20, s[2:3]
	v_and_b32_e32 v20, v18, v39
	v_bfe_u32 v18, v18, v37, 2
	v_cmp_eq_u32_e64 s[2:3], v20, v31
	v_cmp_eq_u32_e64 s[20:21], 0, v18
	;; [unrolled: 1-line block ×3, first 2 shown]
	s_and_b64 s[20:21], s[2:3], s[20:21]
	v_cmp_eq_u32_e64 s[24:25], 2, v18
	v_cmp_eq_u32_e64 s[26:27], 3, v18
	v_cndmask_b32_e64 v18, 0, 1, s[20:21]
	s_and_b64 s[20:21], s[2:3], s[22:23]
	v_cndmask_b32_e64 v20, 0, 1, s[20:21]
	s_and_b64 s[20:21], s[2:3], s[24:25]
	s_and_b64 s[2:3], s[2:3], s[26:27]
	v_cndmask_b32_e64 v21, 0, 1, s[20:21]
	v_cndmask_b32_e64 v22, 0, 1, s[2:3]
	v_cmp_ne_u32_e64 s[2:3], 0, v18
	v_cmp_ne_u32_e64 s[20:21], 0, v20
	;; [unrolled: 1-line block ×4, first 2 shown]
	s_bcnt1_i32_b64 s2, s[2:3]
	s_bcnt1_i32_b64 s3, s[20:21]
	;; [unrolled: 1-line block ×4, first 2 shown]
	v_add_u32_e32 v3, s3, v3
	v_add_u32_e32 v2, s2, v2
	;; [unrolled: 1-line block ×3, first 2 shown]
	s_or_b64 s[30:31], vcc, s[30:31]
	v_add_u32_e32 v4, s17, v4
	s_andn2_b64 exec, exec, s[30:31]
	s_cbranch_execnz .LBB48_64
; %bb.65:                               ;   in Loop: Header=BB48_7 Depth=1
	s_or_b64 exec, exec, s[30:31]
.LBB48_66:                              ;   in Loop: Header=BB48_7 Depth=1
	s_or_b64 exec, exec, s[28:29]
	s_lshl_b32 s16, s61, 6
	s_and_saveexec_b64 s[2:3], s[0:1]
	s_cbranch_execnz .LBB48_38
	s_branch .LBB48_39
.LBB48_67:                              ;   in Loop: Header=BB48_7 Depth=1
	s_or_b64 exec, exec, s[22:23]
	s_waitcnt lgkmcnt(0)
	s_barrier
	s_and_saveexec_b64 s[2:3], s[18:19]
	s_cbranch_execz .LBB48_69
; %bb.68:                               ;   in Loop: Header=BB48_7 Depth=1
	ds_read_b32 v2, v9 offset:4104
	s_waitcnt lgkmcnt(0)
	ds_write_b32 v9, v2 offset:4096
.LBB48_69:                              ;   in Loop: Header=BB48_7 Depth=1
	s_or_b64 exec, exec, s[2:3]
	s_waitcnt lgkmcnt(0)
	s_barrier
	s_mov_b64 s[2:3], -1
	s_and_b64 vcc, exec, s[20:21]
	s_cbranch_vccnz .LBB48_23
	s_branch .LBB48_33
.LBB48_70:                              ;   in Loop: Header=BB48_7 Depth=1
	v_mov_b32_e32 v2, 0
	s_mov_b32 s17, 0
	s_cbranch_execnz .LBB48_75
	s_branch .LBB48_77
.LBB48_71:                              ;   in Loop: Header=BB48_7 Depth=1
	v_mov_b32_e32 v8, v9
	v_readlane_b32 s20, v54, 25
	v_mov_b64_e32 v[2:3], v[8:9]
	v_readlane_b32 s21, v54, 26
.LBB48_72:                              ;   in Loop: Header=BB48_7 Depth=1
	v_readlane_b32 s22, v54, 17
	v_readlane_b32 s23, v54, 18
	s_andn2_b64 vcc, exec, s[22:23]
	v_readlane_b32 s17, v54, 16
	s_cbranch_vccnz .LBB48_74
.LBB48_73:                              ;   Parent Loop BB48_7 Depth=1
                                        ; =>  This Inner Loop Header: Depth=2
	v_lshl_add_u32 v8, s20, 4, v5
	v_lshl_add_u32 v17, s21, 4, v5
	ds_read_b32 v17, v17
	ds_read_b32 v8, v8
	s_add_i32 s21, s21, 2
	s_add_i32 s20, s20, 2
	s_add_i32 s17, s17, -1
	s_cmp_lg_u32 s17, 0
	s_waitcnt lgkmcnt(1)
	v_add_u32_e32 v3, v17, v3
	s_waitcnt lgkmcnt(0)
	v_add_u32_e32 v2, v8, v2
	s_cbranch_scc1 .LBB48_73
.LBB48_74:                              ;   in Loop: Header=BB48_7 Depth=1
	v_readlane_b32 s20, v54, 21
	v_add_u32_e32 v2, v2, v3
	v_readlane_b32 s17, v54, 20
	v_readlane_b32 s21, v54, 22
	s_and_b64 vcc, exec, s[20:21]
	s_cbranch_vccz .LBB48_77
.LBB48_75:                              ;   in Loop: Header=BB48_7 Depth=1
	s_lshl_b32 s20, s61, 8
	s_lshl_b32 s21, s17, 4
	s_add_i32 s20, s20, s21
	v_add_u32_e32 v3, s20, v35
	v_readlane_b32 s20, v54, 19
	s_sub_i32 s17, s20, s17
.LBB48_76:                              ;   Parent Loop BB48_7 Depth=1
                                        ; =>  This Inner Loop Header: Depth=2
	ds_read_b32 v5, v3
	s_add_i32 s17, s17, -1
	v_add_u32_e32 v3, 16, v3
	s_cmp_eq_u32 s17, 0
	s_waitcnt lgkmcnt(0)
	v_add_u32_e32 v2, v5, v2
	s_cbranch_scc0 .LBB48_76
.LBB48_77:                              ;   in Loop: Header=BB48_7 Depth=1
	v_lshlrev_b32_e32 v3, 2, v4
	ds_write_b32 v3, v2 offset:3072
.LBB48_78:                              ;   in Loop: Header=BB48_7 Depth=1
	s_or_b64 exec, exec, s[2:3]
	s_lshl_b32 s2, s16, 2
	s_waitcnt vmcnt(0)
	v_mov_b32_e32 v2, s2
	s_waitcnt lgkmcnt(0)
	s_barrier
	ds_read_b128 v[2:5], v2 offset:3072
	v_cmp_eq_u32_e32 vcc, 1, v40
	s_mov_b64 s[20:21], -1
	s_mov_b64 s[28:29], -1
                                        ; implicit-def: $sgpr26_sgpr27
                                        ; implicit-def: $sgpr24_sgpr25
	s_waitcnt lgkmcnt(0)
	v_readfirstlane_b32 s17, v2
	s_cmp_eq_u32 s17, 1
	v_readfirstlane_b32 s54, v4
	v_lshlrev_b32_e64 v4, v37, 3
	s_cselect_b64 s[2:3], -1, 0
	v_readfirstlane_b32 s16, v3
	v_readfirstlane_b32 s82, v5
	v_not_b32_e32 v8, v4
	s_and_b64 s[22:23], s[2:3], vcc
	s_and_saveexec_b64 s[2:3], s[22:23]
	s_cbranch_execz .LBB48_106
; %bb.79:                               ;   in Loop: Header=BB48_7 Depth=1
	ds_read_b32 v2, v9 offset:4096
	s_waitcnt lgkmcnt(0)
	s_barrier
	v_readfirstlane_b32 s42, v2
	s_and_saveexec_b64 s[24:25], s[4:5]
; %bb.80:                               ;   in Loop: Header=BB48_7 Depth=1
	ds_write_b32 v25, v9
; %bb.81:                               ;   in Loop: Header=BB48_7 Depth=1
	s_or_b64 exec, exec, s[24:25]
	v_and_b32_e32 v31, v31, v8
	v_or_b32_e32 v39, v39, v4
	s_mov_b64 s[24:25], -1
	s_mov_b64 s[26:27], 0
	s_cmp_lt_i32 s42, 1
	s_mov_b64 s[28:29], 0
	s_mov_b64 s[30:31], -1
	s_waitcnt lgkmcnt(0)
	s_barrier
                                        ; implicit-def: $vgpr19
	s_cbranch_scc0 .LBB48_93
; %bb.82:                               ;   in Loop: Header=BB48_7 Depth=1
	s_mov_b64 s[30:31], 0
                                        ; implicit-def: $vgpr19
	s_mov_b64 s[34:35], exec
	v_readlane_b32 s36, v54, 23
	v_readlane_b32 s37, v54, 24
	s_and_b64 s[36:37], s[34:35], s[36:37]
	s_mov_b64 exec, s[36:37]
	s_cbranch_execz .LBB48_92
; %bb.83:                               ;   in Loop: Header=BB48_7 Depth=1
	v_mov_b32_e32 v2, v6
	v_mov_b32_e32 v5, v0
                                        ; implicit-def: $sgpr36_sgpr37
	s_branch .LBB48_87
.LBB48_84:                              ;   in Loop: Header=BB48_87 Depth=2
	s_or_b64 exec, exec, s[38:39]
	s_waitcnt lgkmcnt(0)
	s_barrier
	ds_read_b64 v[18:19], v9 offset:3072
	s_waitcnt lgkmcnt(0)
	s_barrier
	v_cmp_neq_f32_e32 vcc, 0, v18
	s_cbranch_vccnz .LBB48_90
; %bb.85:                               ;   in Loop: Header=BB48_87 Depth=2
	v_add_u32_e32 v5, s62, v5
	v_cmp_le_i32_e32 vcc, s79, v5
	v_add_u32_e32 v2, s33, v2
	s_mov_b64 s[38:39], 0
	s_orn2_b64 s[40:41], vcc, exec
.LBB48_86:                              ;   in Loop: Header=BB48_87 Depth=2
	s_and_b64 s[40:41], exec, s[40:41]
	s_or_b64 s[28:29], s[40:41], s[28:29]
	s_andn2_b64 s[36:37], s[36:37], exec
	s_and_b64 s[38:39], s[38:39], exec
	s_or_b64 s[36:37], s[36:37], s[38:39]
	s_andn2_b64 exec, exec, s[28:29]
	s_cbranch_execz .LBB48_91
.LBB48_87:                              ;   Parent Loop BB48_7 Depth=1
                                        ; =>  This Inner Loop Header: Depth=2
	v_cmp_gt_i32_e32 vcc, s60, v5
	s_and_saveexec_b64 s[38:39], vcc
	s_cbranch_execz .LBB48_84
; %bb.88:                               ;   in Loop: Header=BB48_87 Depth=2
	v_ashrrev_i32_e32 v3, 31, v2
	v_lshl_add_u64 v[18:19], v[2:3], 2, s[68:69]
	global_load_dword v17, v[18:19], off
	s_waitcnt vmcnt(0)
	v_cmp_lt_i32_e32 vcc, -1, v17
	s_nop 1
	v_cndmask_b32_e32 v3, -1, v36, vcc
	v_xor_b32_e32 v3, v3, v17
	v_cmp_o_f32_e32 vcc, v17, v17
	s_nop 1
	v_cndmask_b32_e32 v3, -1, v3, vcc
	v_and_b32_e32 v3, v3, v39
	v_cmp_eq_u32_e32 vcc, v3, v31
	s_and_b64 exec, exec, vcc
	s_cbranch_execz .LBB48_84
; %bb.89:                               ;   in Loop: Header=BB48_87 Depth=2
	ds_write_b64 v9, v[16:17] offset:3072
	s_branch .LBB48_84
.LBB48_90:                              ;   in Loop: Header=BB48_87 Depth=2
	s_mov_b64 s[40:41], -1
                                        ; implicit-def: $vgpr5
                                        ; implicit-def: $vgpr2
	s_mov_b64 s[38:39], -1
	s_branch .LBB48_86
.LBB48_91:                              ;   in Loop: Header=BB48_7 Depth=1
	s_or_b64 exec, exec, s[28:29]
	s_and_b64 s[28:29], s[36:37], exec
.LBB48_92:                              ;   in Loop: Header=BB48_7 Depth=1
	s_or_b64 exec, exec, s[34:35]
.LBB48_93:                              ;   in Loop: Header=BB48_7 Depth=1
	s_and_b64 vcc, exec, s[30:31]
	s_cbranch_vccz .LBB48_105
; %bb.94:                               ;   in Loop: Header=BB48_7 Depth=1
	s_add_i32 s38, s42, s71
	s_abs_i32 s25, s38
	s_mul_hi_u32 s26, s25, s78
	s_mul_i32 s26, s26, s62
	s_sub_i32 s25, s25, s26
	s_ashr_i32 s24, s38, 31
	s_sub_i32 s26, s25, s62
	s_cmp_ge_u32 s25, s62
	s_cselect_b32 s25, s26, s25
	s_sub_i32 s26, s25, s62
	s_cmp_ge_u32 s25, s62
	s_cselect_b32 s25, s26, s25
	s_xor_b32 s25, s25, s24
	s_sub_i32 s24, s24, s25
	s_add_i32 s38, s38, s24
	v_cmp_gt_i32_e32 vcc, s38, v0
                                        ; implicit-def: $vgpr19
	s_and_saveexec_b64 s[24:25], vcc
	s_cbranch_execz .LBB48_104
; %bb.95:                               ;   in Loop: Header=BB48_7 Depth=1
	s_mov_b64 s[26:27], 0
	v_mov_b32_e32 v2, v13
	v_mov_b32_e32 v3, v0
                                        ; implicit-def: $sgpr30_sgpr31
	s_branch .LBB48_99
.LBB48_96:                              ;   in Loop: Header=BB48_99 Depth=2
	s_or_b64 exec, exec, s[34:35]
	s_waitcnt lgkmcnt(0)
	s_barrier
	ds_read_b64 v[18:19], v9 offset:3072
	s_waitcnt lgkmcnt(0)
	s_barrier
	v_cmp_neq_f32_e32 vcc, 0, v18
	s_cbranch_vccnz .LBB48_102
; %bb.97:                               ;   in Loop: Header=BB48_99 Depth=2
	v_add_u32_e32 v3, s62, v3
	v_cmp_le_i32_e32 vcc, s38, v3
	v_add_u32_e32 v2, s70, v2
	s_mov_b64 s[34:35], 0
	s_orn2_b64 s[36:37], vcc, exec
.LBB48_98:                              ;   in Loop: Header=BB48_99 Depth=2
	s_and_b64 s[36:37], exec, s[36:37]
	s_or_b64 s[26:27], s[36:37], s[26:27]
	s_andn2_b64 s[30:31], s[30:31], exec
	s_and_b64 s[34:35], s[34:35], exec
	s_or_b64 s[30:31], s[30:31], s[34:35]
	s_andn2_b64 exec, exec, s[26:27]
	s_cbranch_execz .LBB48_103
.LBB48_99:                              ;   Parent Loop BB48_7 Depth=1
                                        ; =>  This Inner Loop Header: Depth=2
	v_cmp_gt_i32_e32 vcc, s42, v3
	s_and_saveexec_b64 s[34:35], vcc
	s_cbranch_execz .LBB48_96
; %bb.100:                              ;   in Loop: Header=BB48_99 Depth=2
	ds_read_b32 v17, v2
	s_waitcnt lgkmcnt(0)
	v_cmp_lt_i32_e32 vcc, -1, v17
	s_nop 1
	v_cndmask_b32_e32 v5, -1, v36, vcc
	v_xor_b32_e32 v5, v5, v17
	v_cmp_o_f32_e32 vcc, v17, v17
	s_nop 1
	v_cndmask_b32_e32 v5, -1, v5, vcc
	v_and_b32_e32 v5, v5, v39
	v_cmp_eq_u32_e32 vcc, v5, v31
	s_and_b64 exec, exec, vcc
	s_cbranch_execz .LBB48_96
; %bb.101:                              ;   in Loop: Header=BB48_99 Depth=2
	ds_write_b64 v9, v[16:17] offset:3072
	s_branch .LBB48_96
.LBB48_102:                             ;   in Loop: Header=BB48_99 Depth=2
	s_mov_b64 s[36:37], -1
                                        ; implicit-def: $vgpr3
                                        ; implicit-def: $vgpr2
	s_mov_b64 s[34:35], -1
	s_branch .LBB48_98
.LBB48_103:                             ;   in Loop: Header=BB48_7 Depth=1
	s_or_b64 exec, exec, s[26:27]
	s_andn2_b64 s[26:27], s[28:29], exec
	s_and_b64 s[28:29], s[30:31], exec
	s_or_b64 s[28:29], s[26:27], s[28:29]
.LBB48_104:                             ;   in Loop: Header=BB48_7 Depth=1
	s_or_b64 exec, exec, s[24:25]
	s_mov_b64 s[24:25], 0
	s_mov_b64 s[26:27], -1
.LBB48_105:                             ;   in Loop: Header=BB48_7 Depth=1
	s_orn2_b64 s[28:29], s[28:29], exec
.LBB48_106:                             ;   in Loop: Header=BB48_7 Depth=1
	s_or_b64 exec, exec, s[2:3]
	s_andn2_b64 s[2:3], s[64:65], exec
	s_and_b64 s[26:27], s[26:27], exec
	s_or_b64 s[64:65], s[2:3], s[26:27]
	s_andn2_b64 s[2:3], s[98:99], exec
	s_and_b64 s[24:25], s[24:25], exec
	v_readfirstlane_b32 s34, v0
	s_andn2_b64 s[96:97], s[96:97], exec
	s_or_b64 s[98:99], s[2:3], s[24:25]
                                        ; implicit-def: $vgpr20
	s_and_saveexec_b64 s[2:3], s[28:29]
	s_cbranch_execz .LBB48_6
; %bb.107:                              ;   in Loop: Header=BB48_7 Depth=1
	s_xor_b64 s[24:25], s[22:23], -1
	s_mov_b64 s[22:23], 0
	v_mov_b32_e32 v20, 1
	v_mov_b32_e32 v5, 1
	s_and_saveexec_b64 s[20:21], s[24:25]
	s_cbranch_execz .LBB48_116
; %bb.108:                              ;   in Loop: Header=BB48_7 Depth=1
	v_cmp_ge_i32_e32 vcc, s17, v40
	s_and_saveexec_b64 s[22:23], vcc
	s_xor_b64 s[22:23], exec, s[22:23]
	s_cbranch_execz .LBB48_113
; %bb.109:                              ;   in Loop: Header=BB48_7 Depth=1
	ds_read_b32 v2, v9 offset:4096
	v_and_b32_e32 v31, v31, v8
	v_or_b32_e32 v39, v39, v4
	s_waitcnt lgkmcnt(0)
	v_cmp_ne_u32_e32 vcc, 0, v2
	s_cbranch_vccnz .LBB48_113
; %bb.110:                              ;   in Loop: Header=BB48_7 Depth=1
	s_and_saveexec_b64 s[24:25], s[18:19]
; %bb.111:                              ;   in Loop: Header=BB48_7 Depth=1
	v_mov_b32_e32 v2, s17
	ds_write_b32 v9, v2 offset:4100
; %bb.112:                              ;   in Loop: Header=BB48_7 Depth=1
	s_or_b64 exec, exec, s[24:25]
	s_waitcnt lgkmcnt(0)
	s_barrier
.LBB48_113:                             ;   in Loop: Header=BB48_7 Depth=1
	s_or_saveexec_b64 s[22:23], s[22:23]
	s_mov_b64 s[24:25], 0
	v_mov_b32_e32 v5, 8
	s_xor_b64 exec, exec, s[22:23]
; %bb.114:                              ;   in Loop: Header=BB48_7 Depth=1
	s_mov_b64 s[24:25], exec
	v_subrev_u32_e32 v40, s17, v40
	v_mov_b32_e32 v5, 0
; %bb.115:                              ;   in Loop: Header=BB48_7 Depth=1
	s_or_b64 exec, exec, s[22:23]
	s_and_b64 s[22:23], s[24:25], exec
	v_mov_b32_e32 v20, v40
.LBB48_116:                             ;   in Loop: Header=BB48_7 Depth=1
	s_or_b64 exec, exec, s[20:21]
	s_mov_b64 s[20:21], -1
	s_mov_b64 s[28:29], -1
                                        ; implicit-def: $sgpr24_sgpr25
                                        ; implicit-def: $sgpr26_sgpr27
	s_and_saveexec_b64 s[30:31], s[22:23]
	s_xor_b64 s[22:23], exec, s[30:31]
	s_cbranch_execz .LBB48_239
; %bb.117:                              ;   in Loop: Header=BB48_7 Depth=1
	s_cmp_eq_u32 s16, 1
	s_cselect_b64 s[24:25], -1, 0
	v_cmp_eq_u32_e32 vcc, 1, v20
	s_and_b64 s[30:31], s[24:25], vcc
	s_mov_b64 s[34:35], -1
                                        ; implicit-def: $sgpr26_sgpr27
                                        ; implicit-def: $sgpr24_sgpr25
	s_and_saveexec_b64 s[28:29], s[30:31]
	s_cbranch_execz .LBB48_145
; %bb.118:                              ;   in Loop: Header=BB48_7 Depth=1
	ds_read_b32 v2, v9 offset:4096
	s_waitcnt lgkmcnt(0)
	s_barrier
	v_readfirstlane_b32 s17, v2
	s_and_saveexec_b64 s[24:25], s[4:5]
; %bb.119:                              ;   in Loop: Header=BB48_7 Depth=1
	ds_write_b32 v25, v9
; %bb.120:                              ;   in Loop: Header=BB48_7 Depth=1
	s_or_b64 exec, exec, s[24:25]
	v_and_b32_e32 v2, v31, v8
	v_lshl_or_b32 v31, 1, v37, v2
	v_or_b32_e32 v39, v39, v4
	s_mov_b64 s[24:25], -1
	s_mov_b64 s[26:27], 0
	s_cmp_gt_i32 s17, 0
	s_mov_b64 s[34:35], 0
	s_mov_b64 s[36:37], -1
	s_waitcnt lgkmcnt(0)
	s_barrier
                                        ; implicit-def: $vgpr19
	s_cbranch_scc1 .LBB48_132
; %bb.121:                              ;   in Loop: Header=BB48_7 Depth=1
	s_mov_b64 s[36:37], 0
                                        ; implicit-def: $vgpr19
	s_mov_b64 s[38:39], exec
	v_readlane_b32 s40, v54, 23
	v_readlane_b32 s41, v54, 24
	s_and_b64 s[40:41], s[38:39], s[40:41]
	s_mov_b64 exec, s[40:41]
	s_cbranch_execz .LBB48_131
; %bb.122:                              ;   in Loop: Header=BB48_7 Depth=1
	v_mov_b32_e32 v2, v6
	v_mov_b32_e32 v21, v0
                                        ; implicit-def: $sgpr40_sgpr41
	s_branch .LBB48_126
.LBB48_123:                             ;   in Loop: Header=BB48_126 Depth=2
	s_or_b64 exec, exec, s[42:43]
	s_waitcnt lgkmcnt(0)
	s_barrier
	ds_read_b64 v[18:19], v9 offset:3072
	s_waitcnt lgkmcnt(0)
	s_barrier
	v_cmp_neq_f32_e32 vcc, 0, v18
	s_cbranch_vccnz .LBB48_129
; %bb.124:                              ;   in Loop: Header=BB48_126 Depth=2
	v_add_u32_e32 v21, s62, v21
	v_cmp_le_i32_e32 vcc, s79, v21
	v_add_u32_e32 v2, s33, v2
	s_mov_b64 s[42:43], 0
	s_orn2_b64 s[44:45], vcc, exec
.LBB48_125:                             ;   in Loop: Header=BB48_126 Depth=2
	s_and_b64 s[44:45], exec, s[44:45]
	s_or_b64 s[34:35], s[44:45], s[34:35]
	s_andn2_b64 s[40:41], s[40:41], exec
	s_and_b64 s[42:43], s[42:43], exec
	s_or_b64 s[40:41], s[40:41], s[42:43]
	s_andn2_b64 exec, exec, s[34:35]
	s_cbranch_execz .LBB48_130
.LBB48_126:                             ;   Parent Loop BB48_7 Depth=1
                                        ; =>  This Inner Loop Header: Depth=2
	v_cmp_gt_i32_e32 vcc, s60, v21
	s_and_saveexec_b64 s[42:43], vcc
	s_cbranch_execz .LBB48_123
; %bb.127:                              ;   in Loop: Header=BB48_126 Depth=2
	v_ashrrev_i32_e32 v3, 31, v2
	v_lshl_add_u64 v[18:19], v[2:3], 2, s[68:69]
	global_load_dword v17, v[18:19], off
	s_waitcnt vmcnt(0)
	v_cmp_lt_i32_e32 vcc, -1, v17
	s_nop 1
	v_cndmask_b32_e32 v3, -1, v36, vcc
	v_xor_b32_e32 v3, v3, v17
	v_cmp_o_f32_e32 vcc, v17, v17
	s_nop 1
	v_cndmask_b32_e32 v3, -1, v3, vcc
	v_and_b32_e32 v3, v3, v39
	v_cmp_eq_u32_e32 vcc, v3, v31
	s_and_b64 exec, exec, vcc
	s_cbranch_execz .LBB48_123
; %bb.128:                              ;   in Loop: Header=BB48_126 Depth=2
	ds_write_b64 v9, v[16:17] offset:3072
	s_branch .LBB48_123
.LBB48_129:                             ;   in Loop: Header=BB48_126 Depth=2
	s_mov_b64 s[44:45], -1
                                        ; implicit-def: $vgpr21
                                        ; implicit-def: $vgpr2
	s_mov_b64 s[42:43], -1
	s_branch .LBB48_125
.LBB48_130:                             ;   in Loop: Header=BB48_7 Depth=1
	s_or_b64 exec, exec, s[34:35]
	s_and_b64 s[34:35], s[40:41], exec
.LBB48_131:                             ;   in Loop: Header=BB48_7 Depth=1
	s_or_b64 exec, exec, s[38:39]
.LBB48_132:                             ;   in Loop: Header=BB48_7 Depth=1
	s_and_b64 vcc, exec, s[36:37]
	s_cbranch_vccz .LBB48_144
; %bb.133:                              ;   in Loop: Header=BB48_7 Depth=1
	s_add_i32 s42, s17, s71
	s_abs_i32 s25, s42
	s_mul_hi_u32 s26, s25, s78
	s_mul_i32 s26, s26, s62
	s_sub_i32 s25, s25, s26
	s_ashr_i32 s24, s42, 31
	s_sub_i32 s26, s25, s62
	s_cmp_ge_u32 s25, s62
	s_cselect_b32 s25, s26, s25
	s_sub_i32 s26, s25, s62
	s_cmp_ge_u32 s25, s62
	s_cselect_b32 s25, s26, s25
	s_xor_b32 s25, s25, s24
	s_sub_i32 s24, s24, s25
	s_add_i32 s42, s42, s24
	v_cmp_gt_i32_e32 vcc, s42, v0
                                        ; implicit-def: $vgpr19
	s_and_saveexec_b64 s[24:25], vcc
	s_cbranch_execz .LBB48_143
; %bb.134:                              ;   in Loop: Header=BB48_7 Depth=1
	s_mov_b64 s[26:27], 0
	v_mov_b32_e32 v2, v13
	v_mov_b32_e32 v3, v0
                                        ; implicit-def: $sgpr36_sgpr37
	s_branch .LBB48_138
.LBB48_135:                             ;   in Loop: Header=BB48_138 Depth=2
	s_or_b64 exec, exec, s[38:39]
	s_waitcnt lgkmcnt(0)
	s_barrier
	ds_read_b64 v[18:19], v9 offset:3072
	s_waitcnt lgkmcnt(0)
	s_barrier
	v_cmp_eq_f32_e32 vcc, 0, v18
	s_cbranch_vccz .LBB48_141
; %bb.136:                              ;   in Loop: Header=BB48_138 Depth=2
	v_add_u32_e32 v3, s62, v3
	v_cmp_le_i32_e32 vcc, s42, v3
	v_add_u32_e32 v2, s70, v2
	s_mov_b64 s[38:39], 0
	s_orn2_b64 s[40:41], vcc, exec
.LBB48_137:                             ;   in Loop: Header=BB48_138 Depth=2
	s_and_b64 s[40:41], exec, s[40:41]
	s_or_b64 s[26:27], s[40:41], s[26:27]
	s_andn2_b64 s[36:37], s[36:37], exec
	s_and_b64 s[38:39], s[38:39], exec
	s_or_b64 s[36:37], s[36:37], s[38:39]
	s_andn2_b64 exec, exec, s[26:27]
	s_cbranch_execz .LBB48_142
.LBB48_138:                             ;   Parent Loop BB48_7 Depth=1
                                        ; =>  This Inner Loop Header: Depth=2
	v_cmp_gt_i32_e32 vcc, s17, v3
	s_and_saveexec_b64 s[38:39], vcc
	s_cbranch_execz .LBB48_135
; %bb.139:                              ;   in Loop: Header=BB48_138 Depth=2
	ds_read_b32 v17, v2
	s_waitcnt lgkmcnt(0)
	v_cmp_lt_i32_e32 vcc, -1, v17
	s_nop 1
	v_cndmask_b32_e32 v18, -1, v36, vcc
	v_xor_b32_e32 v18, v18, v17
	v_cmp_o_f32_e32 vcc, v17, v17
	s_nop 1
	v_cndmask_b32_e32 v18, -1, v18, vcc
	v_and_b32_e32 v18, v18, v39
	v_cmp_eq_u32_e32 vcc, v18, v31
	s_and_b64 exec, exec, vcc
	s_cbranch_execz .LBB48_135
; %bb.140:                              ;   in Loop: Header=BB48_138 Depth=2
	ds_write_b64 v9, v[16:17] offset:3072
	s_branch .LBB48_135
.LBB48_141:                             ;   in Loop: Header=BB48_138 Depth=2
	s_mov_b64 s[40:41], -1
                                        ; implicit-def: $vgpr3
                                        ; implicit-def: $vgpr2
	s_mov_b64 s[38:39], -1
	s_branch .LBB48_137
.LBB48_142:                             ;   in Loop: Header=BB48_7 Depth=1
	s_or_b64 exec, exec, s[26:27]
	s_andn2_b64 s[26:27], s[34:35], exec
	s_and_b64 s[34:35], s[36:37], exec
	s_or_b64 s[34:35], s[26:27], s[34:35]
.LBB48_143:                             ;   in Loop: Header=BB48_7 Depth=1
	s_or_b64 exec, exec, s[24:25]
	s_mov_b64 s[24:25], 0
	s_mov_b64 s[26:27], -1
.LBB48_144:                             ;   in Loop: Header=BB48_7 Depth=1
	s_orn2_b64 s[34:35], s[34:35], exec
.LBB48_145:                             ;   in Loop: Header=BB48_7 Depth=1
	s_or_b64 exec, exec, s[28:29]
	s_mov_b64 s[36:37], 0
	s_and_saveexec_b64 s[28:29], s[34:35]
	s_cbranch_execz .LBB48_238
; %bb.146:                              ;   in Loop: Header=BB48_7 Depth=1
	s_xor_b64 s[34:35], s[30:31], -1
	s_mov_b64 s[40:41], 0
	v_mov_b32_e32 v21, 1
	v_mov_b32_e32 v5, 1
	s_and_saveexec_b64 s[30:31], s[34:35]
	s_cbranch_execz .LBB48_155
; %bb.147:                              ;   in Loop: Header=BB48_7 Depth=1
	v_cmp_ge_i32_e32 vcc, s16, v20
	s_and_saveexec_b64 s[34:35], vcc
	s_xor_b64 s[34:35], exec, s[34:35]
	s_cbranch_execz .LBB48_152
; %bb.148:                              ;   in Loop: Header=BB48_7 Depth=1
	ds_read_b32 v2, v9 offset:4096
	v_and_b32_e32 v3, v31, v8
	v_lshl_or_b32 v31, 1, v37, v3
	v_or_b32_e32 v39, v39, v4
	s_waitcnt lgkmcnt(0)
	v_cmp_ne_u32_e32 vcc, 0, v2
	s_cbranch_vccnz .LBB48_152
; %bb.149:                              ;   in Loop: Header=BB48_7 Depth=1
	s_and_saveexec_b64 s[36:37], s[18:19]
; %bb.150:                              ;   in Loop: Header=BB48_7 Depth=1
	v_mov_b32_e32 v2, s16
	ds_write_b32 v9, v2 offset:4100
; %bb.151:                              ;   in Loop: Header=BB48_7 Depth=1
	s_or_b64 exec, exec, s[36:37]
	s_waitcnt lgkmcnt(0)
	s_barrier
.LBB48_152:                             ;   in Loop: Header=BB48_7 Depth=1
	s_or_saveexec_b64 s[34:35], s[34:35]
	s_mov_b64 s[36:37], 0
	v_mov_b32_e32 v5, 8
	s_xor_b64 exec, exec, s[34:35]
; %bb.153:                              ;   in Loop: Header=BB48_7 Depth=1
	s_mov_b64 s[36:37], exec
	v_subrev_u32_e32 v20, s16, v20
	v_mov_b32_e32 v5, 0
; %bb.154:                              ;   in Loop: Header=BB48_7 Depth=1
	s_or_b64 exec, exec, s[34:35]
	s_and_b64 s[40:41], s[36:37], exec
	v_mov_b32_e32 v21, v20
.LBB48_155:                             ;   in Loop: Header=BB48_7 Depth=1
	s_or_b64 exec, exec, s[30:31]
	s_mov_b64 s[38:39], -1
                                        ; implicit-def: $sgpr34_sgpr35
                                        ; implicit-def: $sgpr36_sgpr37
	s_and_saveexec_b64 s[30:31], s[40:41]
	s_cbranch_execz .LBB48_237
; %bb.156:                              ;   in Loop: Header=BB48_7 Depth=1
	s_cmp_eq_u32 s54, 1
	s_cselect_b64 s[16:17], -1, 0
	v_cmp_eq_u32_e32 vcc, 1, v21
	s_and_b64 s[40:41], s[16:17], vcc
	s_mov_b64 s[42:43], -1
                                        ; implicit-def: $sgpr36_sgpr37
                                        ; implicit-def: $sgpr34_sgpr35
	s_and_saveexec_b64 s[38:39], s[40:41]
	s_cbranch_execz .LBB48_184
; %bb.157:                              ;   in Loop: Header=BB48_7 Depth=1
	ds_read_b32 v2, v9 offset:4096
	s_waitcnt lgkmcnt(0)
	s_barrier
	v_readfirstlane_b32 s16, v2
	s_and_saveexec_b64 s[34:35], s[4:5]
; %bb.158:                              ;   in Loop: Header=BB48_7 Depth=1
	ds_write_b32 v25, v9
; %bb.159:                              ;   in Loop: Header=BB48_7 Depth=1
	s_or_b64 exec, exec, s[34:35]
	v_and_b32_e32 v2, v31, v8
	v_lshl_or_b32 v31, 2, v37, v2
	v_or_b32_e32 v39, v39, v4
	s_mov_b64 s[34:35], -1
	s_mov_b64 s[36:37], 0
	s_cmp_gt_i32 s16, 0
	s_mov_b64 s[42:43], 0
	s_mov_b64 s[44:45], -1
	s_waitcnt lgkmcnt(0)
	s_barrier
                                        ; implicit-def: $vgpr19
	s_cbranch_scc1 .LBB48_171
; %bb.160:                              ;   in Loop: Header=BB48_7 Depth=1
	s_mov_b64 s[44:45], 0
                                        ; implicit-def: $vgpr19
	s_mov_b64 s[46:47], exec
	v_readlane_b32 s48, v54, 23
	v_readlane_b32 s49, v54, 24
	s_and_b64 s[48:49], s[46:47], s[48:49]
	s_mov_b64 exec, s[48:49]
	s_cbranch_execz .LBB48_170
; %bb.161:                              ;   in Loop: Header=BB48_7 Depth=1
	v_mov_b32_e32 v2, v6
	v_mov_b32_e32 v20, v0
                                        ; implicit-def: $sgpr48_sgpr49
	s_branch .LBB48_165
.LBB48_162:                             ;   in Loop: Header=BB48_165 Depth=2
	s_or_b64 exec, exec, s[50:51]
	s_waitcnt lgkmcnt(0)
	s_barrier
	ds_read_b64 v[18:19], v9 offset:3072
	s_waitcnt lgkmcnt(0)
	s_barrier
	v_cmp_neq_f32_e32 vcc, 0, v18
	s_cbranch_vccnz .LBB48_168
; %bb.163:                              ;   in Loop: Header=BB48_165 Depth=2
	v_add_u32_e32 v20, s62, v20
	v_cmp_le_i32_e32 vcc, s79, v20
	v_add_u32_e32 v2, s33, v2
	s_mov_b64 s[50:51], 0
	s_orn2_b64 s[52:53], vcc, exec
.LBB48_164:                             ;   in Loop: Header=BB48_165 Depth=2
	s_and_b64 s[52:53], exec, s[52:53]
	s_or_b64 s[42:43], s[52:53], s[42:43]
	s_andn2_b64 s[48:49], s[48:49], exec
	s_and_b64 s[50:51], s[50:51], exec
	s_or_b64 s[48:49], s[48:49], s[50:51]
	s_andn2_b64 exec, exec, s[42:43]
	s_cbranch_execz .LBB48_169
.LBB48_165:                             ;   Parent Loop BB48_7 Depth=1
                                        ; =>  This Inner Loop Header: Depth=2
	v_cmp_gt_i32_e32 vcc, s60, v20
	s_and_saveexec_b64 s[50:51], vcc
	s_cbranch_execz .LBB48_162
; %bb.166:                              ;   in Loop: Header=BB48_165 Depth=2
	v_ashrrev_i32_e32 v3, 31, v2
	v_lshl_add_u64 v[18:19], v[2:3], 2, s[68:69]
	global_load_dword v17, v[18:19], off
	s_waitcnt vmcnt(0)
	v_cmp_lt_i32_e32 vcc, -1, v17
	s_nop 1
	v_cndmask_b32_e32 v3, -1, v36, vcc
	v_xor_b32_e32 v3, v3, v17
	v_cmp_o_f32_e32 vcc, v17, v17
	s_nop 1
	v_cndmask_b32_e32 v3, -1, v3, vcc
	v_and_b32_e32 v3, v3, v39
	v_cmp_eq_u32_e32 vcc, v3, v31
	s_and_b64 exec, exec, vcc
	s_cbranch_execz .LBB48_162
; %bb.167:                              ;   in Loop: Header=BB48_165 Depth=2
	ds_write_b64 v9, v[16:17] offset:3072
	s_branch .LBB48_162
.LBB48_168:                             ;   in Loop: Header=BB48_165 Depth=2
	s_mov_b64 s[52:53], -1
                                        ; implicit-def: $vgpr20
                                        ; implicit-def: $vgpr2
	s_mov_b64 s[50:51], -1
	s_branch .LBB48_164
.LBB48_169:                             ;   in Loop: Header=BB48_7 Depth=1
	s_or_b64 exec, exec, s[42:43]
	s_and_b64 s[42:43], s[48:49], exec
.LBB48_170:                             ;   in Loop: Header=BB48_7 Depth=1
	s_or_b64 exec, exec, s[46:47]
.LBB48_171:                             ;   in Loop: Header=BB48_7 Depth=1
	s_and_b64 vcc, exec, s[44:45]
	s_cbranch_vccz .LBB48_183
; %bb.172:                              ;   in Loop: Header=BB48_7 Depth=1
	s_add_i32 s17, s16, s71
	s_abs_i32 s35, s17
	s_mul_hi_u32 s36, s35, s78
	s_mul_i32 s36, s36, s62
	s_sub_i32 s35, s35, s36
	s_ashr_i32 s34, s17, 31
	s_sub_i32 s36, s35, s62
	s_cmp_ge_u32 s35, s62
	s_cselect_b32 s35, s36, s35
	s_sub_i32 s36, s35, s62
	s_cmp_ge_u32 s35, s62
	s_cselect_b32 s35, s36, s35
	s_xor_b32 s35, s35, s34
	s_sub_i32 s34, s34, s35
	s_add_i32 s17, s17, s34
	v_cmp_gt_i32_e32 vcc, s17, v0
                                        ; implicit-def: $vgpr19
	s_and_saveexec_b64 s[34:35], vcc
	s_cbranch_execz .LBB48_182
; %bb.173:                              ;   in Loop: Header=BB48_7 Depth=1
	s_mov_b64 s[36:37], 0
	v_mov_b32_e32 v2, v13
	v_mov_b32_e32 v3, v0
                                        ; implicit-def: $sgpr44_sgpr45
	s_branch .LBB48_177
.LBB48_174:                             ;   in Loop: Header=BB48_177 Depth=2
	s_or_b64 exec, exec, s[46:47]
	s_waitcnt lgkmcnt(0)
	s_barrier
	ds_read_b64 v[18:19], v9 offset:3072
	s_waitcnt lgkmcnt(0)
	s_barrier
	v_cmp_eq_f32_e32 vcc, 0, v18
	s_cbranch_vccz .LBB48_180
; %bb.175:                              ;   in Loop: Header=BB48_177 Depth=2
	v_add_u32_e32 v3, s62, v3
	v_cmp_le_i32_e32 vcc, s17, v3
	v_add_u32_e32 v2, s70, v2
	s_mov_b64 s[46:47], 0
	s_orn2_b64 s[48:49], vcc, exec
.LBB48_176:                             ;   in Loop: Header=BB48_177 Depth=2
	s_and_b64 s[48:49], exec, s[48:49]
	s_or_b64 s[36:37], s[48:49], s[36:37]
	s_andn2_b64 s[44:45], s[44:45], exec
	s_and_b64 s[46:47], s[46:47], exec
	s_or_b64 s[44:45], s[44:45], s[46:47]
	s_andn2_b64 exec, exec, s[36:37]
	s_cbranch_execz .LBB48_181
.LBB48_177:                             ;   Parent Loop BB48_7 Depth=1
                                        ; =>  This Inner Loop Header: Depth=2
	v_cmp_gt_i32_e32 vcc, s16, v3
	s_and_saveexec_b64 s[46:47], vcc
	s_cbranch_execz .LBB48_174
; %bb.178:                              ;   in Loop: Header=BB48_177 Depth=2
	ds_read_b32 v17, v2
	s_waitcnt lgkmcnt(0)
	v_cmp_lt_i32_e32 vcc, -1, v17
	s_nop 1
	v_cndmask_b32_e32 v18, -1, v36, vcc
	v_xor_b32_e32 v18, v18, v17
	v_cmp_o_f32_e32 vcc, v17, v17
	s_nop 1
	v_cndmask_b32_e32 v18, -1, v18, vcc
	v_and_b32_e32 v18, v18, v39
	v_cmp_eq_u32_e32 vcc, v18, v31
	s_and_b64 exec, exec, vcc
	s_cbranch_execz .LBB48_174
; %bb.179:                              ;   in Loop: Header=BB48_177 Depth=2
	ds_write_b64 v9, v[16:17] offset:3072
	s_branch .LBB48_174
.LBB48_180:                             ;   in Loop: Header=BB48_177 Depth=2
	s_mov_b64 s[48:49], -1
                                        ; implicit-def: $vgpr3
                                        ; implicit-def: $vgpr2
	s_mov_b64 s[46:47], -1
	s_branch .LBB48_176
.LBB48_181:                             ;   in Loop: Header=BB48_7 Depth=1
	s_or_b64 exec, exec, s[36:37]
	s_andn2_b64 s[16:17], s[42:43], exec
	s_and_b64 s[36:37], s[44:45], exec
	s_or_b64 s[42:43], s[16:17], s[36:37]
.LBB48_182:                             ;   in Loop: Header=BB48_7 Depth=1
	s_or_b64 exec, exec, s[34:35]
	s_mov_b64 s[34:35], 0
	s_mov_b64 s[36:37], -1
.LBB48_183:                             ;   in Loop: Header=BB48_7 Depth=1
	s_orn2_b64 s[42:43], s[42:43], exec
.LBB48_184:                             ;   in Loop: Header=BB48_7 Depth=1
	s_or_b64 exec, exec, s[38:39]
	s_mov_b64 s[44:45], 0
	s_and_saveexec_b64 s[38:39], s[42:43]
	s_cbranch_execz .LBB48_236
; %bb.185:                              ;   in Loop: Header=BB48_7 Depth=1
	s_xor_b64 s[16:17], s[40:41], -1
	s_mov_b64 s[48:49], 0
	v_mov_b32_e32 v20, 1
	v_mov_b32_e32 v5, 1
	s_and_saveexec_b64 s[40:41], s[16:17]
	s_cbranch_execz .LBB48_194
; %bb.186:                              ;   in Loop: Header=BB48_7 Depth=1
	v_cmp_ge_i32_e32 vcc, s54, v21
	s_and_saveexec_b64 s[16:17], vcc
	s_xor_b64 s[42:43], exec, s[16:17]
	s_cbranch_execz .LBB48_191
; %bb.187:                              ;   in Loop: Header=BB48_7 Depth=1
	ds_read_b32 v2, v9 offset:4096
	v_and_b32_e32 v3, v31, v8
	v_lshl_or_b32 v31, 2, v37, v3
	v_or_b32_e32 v39, v39, v4
	s_waitcnt lgkmcnt(0)
	v_cmp_ne_u32_e32 vcc, 0, v2
	s_cbranch_vccnz .LBB48_191
; %bb.188:                              ;   in Loop: Header=BB48_7 Depth=1
	s_and_saveexec_b64 s[44:45], s[18:19]
; %bb.189:                              ;   in Loop: Header=BB48_7 Depth=1
	v_mov_b32_e32 v2, s54
	ds_write_b32 v9, v2 offset:4100
; %bb.190:                              ;   in Loop: Header=BB48_7 Depth=1
	s_or_b64 exec, exec, s[44:45]
	s_waitcnt lgkmcnt(0)
	s_barrier
.LBB48_191:                             ;   in Loop: Header=BB48_7 Depth=1
	s_or_saveexec_b64 s[42:43], s[42:43]
	s_mov_b64 s[44:45], 0
	v_mov_b32_e32 v5, 8
	s_xor_b64 exec, exec, s[42:43]
; %bb.192:                              ;   in Loop: Header=BB48_7 Depth=1
	s_mov_b64 s[44:45], exec
	v_subrev_u32_e32 v21, s54, v21
	v_mov_b32_e32 v5, 0
; %bb.193:                              ;   in Loop: Header=BB48_7 Depth=1
	s_or_b64 exec, exec, s[42:43]
	s_and_b64 s[48:49], s[44:45], exec
	v_mov_b32_e32 v20, v21
.LBB48_194:                             ;   in Loop: Header=BB48_7 Depth=1
	s_or_b64 exec, exec, s[40:41]
	s_mov_b64 s[42:43], -1
                                        ; implicit-def: $sgpr46_sgpr47
                                        ; implicit-def: $sgpr44_sgpr45
	s_and_saveexec_b64 s[40:41], s[48:49]
	s_cbranch_execz .LBB48_235
; %bb.195:                              ;   in Loop: Header=BB48_7 Depth=1
	s_cmp_eq_u32 s82, 1
	s_cselect_b64 s[16:17], -1, 0
	v_cmp_eq_u32_e32 vcc, 1, v20
	s_and_b64 s[42:43], s[16:17], vcc
	s_mov_b64 s[50:51], -1
                                        ; implicit-def: $sgpr46_sgpr47
                                        ; implicit-def: $sgpr44_sgpr45
	s_and_saveexec_b64 s[48:49], s[42:43]
	s_cbranch_execz .LBB48_223
; %bb.196:                              ;   in Loop: Header=BB48_7 Depth=1
	ds_read_b32 v2, v9 offset:4096
	s_waitcnt lgkmcnt(0)
	s_barrier
	v_readfirstlane_b32 s16, v2
	s_and_saveexec_b64 s[44:45], s[4:5]
; %bb.197:                              ;   in Loop: Header=BB48_7 Depth=1
	ds_write_b32 v25, v9
; %bb.198:                              ;   in Loop: Header=BB48_7 Depth=1
	s_or_b64 exec, exec, s[44:45]
	v_or_b32_e32 v31, v31, v4
	v_or_b32_e32 v39, v39, v4
	s_mov_b64 s[44:45], -1
	s_mov_b64 s[46:47], 0
	s_cmp_gt_i32 s16, 0
	s_mov_b64 s[50:51], 0
	s_mov_b64 s[52:53], -1
	s_waitcnt lgkmcnt(0)
	s_barrier
                                        ; implicit-def: $vgpr19
	s_cbranch_scc1 .LBB48_210
; %bb.199:                              ;   in Loop: Header=BB48_7 Depth=1
	s_mov_b64 s[52:53], 0
                                        ; implicit-def: $vgpr19
	s_mov_b64 s[54:55], exec
	v_readlane_b32 s56, v54, 23
	v_readlane_b32 s57, v54, 24
	s_and_b64 s[56:57], s[54:55], s[56:57]
	s_mov_b64 exec, s[56:57]
	s_cbranch_execz .LBB48_209
; %bb.200:                              ;   in Loop: Header=BB48_7 Depth=1
	v_mov_b32_e32 v2, v6
	v_mov_b32_e32 v8, v0
                                        ; implicit-def: $sgpr56_sgpr57
	s_branch .LBB48_204
.LBB48_201:                             ;   in Loop: Header=BB48_204 Depth=2
	s_or_b64 exec, exec, s[58:59]
	s_waitcnt lgkmcnt(0)
	s_barrier
	ds_read_b64 v[18:19], v9 offset:3072
	s_waitcnt lgkmcnt(0)
	s_barrier
	v_cmp_neq_f32_e32 vcc, 0, v18
	s_cbranch_vccnz .LBB48_207
; %bb.202:                              ;   in Loop: Header=BB48_204 Depth=2
	v_add_u32_e32 v8, s62, v8
	v_cmp_le_i32_e32 vcc, s79, v8
	v_add_u32_e32 v2, s33, v2
	s_mov_b64 s[58:59], 0
	s_orn2_b64 s[66:67], vcc, exec
.LBB48_203:                             ;   in Loop: Header=BB48_204 Depth=2
	s_and_b64 s[66:67], exec, s[66:67]
	s_or_b64 s[50:51], s[66:67], s[50:51]
	s_andn2_b64 s[56:57], s[56:57], exec
	s_and_b64 s[58:59], s[58:59], exec
	s_or_b64 s[56:57], s[56:57], s[58:59]
	s_andn2_b64 exec, exec, s[50:51]
	s_cbranch_execz .LBB48_208
.LBB48_204:                             ;   Parent Loop BB48_7 Depth=1
                                        ; =>  This Inner Loop Header: Depth=2
	v_cmp_gt_i32_e32 vcc, s60, v8
	s_and_saveexec_b64 s[58:59], vcc
	s_cbranch_execz .LBB48_201
; %bb.205:                              ;   in Loop: Header=BB48_204 Depth=2
	v_ashrrev_i32_e32 v3, 31, v2
	v_lshl_add_u64 v[18:19], v[2:3], 2, s[68:69]
	global_load_dword v17, v[18:19], off
	s_waitcnt vmcnt(0)
	v_cmp_lt_i32_e32 vcc, -1, v17
	s_nop 1
	v_cndmask_b32_e32 v3, -1, v36, vcc
	v_xor_b32_e32 v3, v3, v17
	v_cmp_o_f32_e32 vcc, v17, v17
	s_nop 1
	v_cndmask_b32_e32 v3, -1, v3, vcc
	v_and_b32_e32 v3, v3, v39
	v_cmp_eq_u32_e32 vcc, v3, v31
	s_and_b64 exec, exec, vcc
	s_cbranch_execz .LBB48_201
; %bb.206:                              ;   in Loop: Header=BB48_204 Depth=2
	ds_write_b64 v9, v[16:17] offset:3072
	s_branch .LBB48_201
.LBB48_207:                             ;   in Loop: Header=BB48_204 Depth=2
	s_mov_b64 s[66:67], -1
                                        ; implicit-def: $vgpr8
                                        ; implicit-def: $vgpr2
	s_mov_b64 s[58:59], -1
	s_branch .LBB48_203
.LBB48_208:                             ;   in Loop: Header=BB48_7 Depth=1
	s_or_b64 exec, exec, s[50:51]
	s_and_b64 s[50:51], s[56:57], exec
.LBB48_209:                             ;   in Loop: Header=BB48_7 Depth=1
	s_or_b64 exec, exec, s[54:55]
.LBB48_210:                             ;   in Loop: Header=BB48_7 Depth=1
	s_and_b64 vcc, exec, s[52:53]
	s_cbranch_vccz .LBB48_222
; %bb.211:                              ;   in Loop: Header=BB48_7 Depth=1
	s_add_i32 s17, s16, s71
	s_abs_i32 s45, s17
	s_mul_hi_u32 s46, s45, s78
	s_mul_i32 s46, s46, s62
	s_sub_i32 s45, s45, s46
	s_ashr_i32 s44, s17, 31
	s_sub_i32 s46, s45, s62
	s_cmp_ge_u32 s45, s62
	s_cselect_b32 s45, s46, s45
	s_sub_i32 s46, s45, s62
	s_cmp_ge_u32 s45, s62
	s_cselect_b32 s45, s46, s45
	s_xor_b32 s45, s45, s44
	s_sub_i32 s44, s44, s45
	s_add_i32 s17, s17, s44
	v_cmp_gt_i32_e32 vcc, s17, v0
                                        ; implicit-def: $vgpr19
	s_and_saveexec_b64 s[44:45], vcc
	s_cbranch_execz .LBB48_221
; %bb.212:                              ;   in Loop: Header=BB48_7 Depth=1
	s_mov_b64 s[46:47], 0
	v_mov_b32_e32 v2, v13
	v_mov_b32_e32 v3, v0
                                        ; implicit-def: $sgpr52_sgpr53
	s_branch .LBB48_216
.LBB48_213:                             ;   in Loop: Header=BB48_216 Depth=2
	s_or_b64 exec, exec, s[54:55]
	s_waitcnt lgkmcnt(0)
	s_barrier
	ds_read_b64 v[18:19], v9 offset:3072
	s_waitcnt lgkmcnt(0)
	s_barrier
	v_cmp_eq_f32_e32 vcc, 0, v18
	s_cbranch_vccz .LBB48_219
; %bb.214:                              ;   in Loop: Header=BB48_216 Depth=2
	v_add_u32_e32 v3, s62, v3
	v_cmp_le_i32_e32 vcc, s17, v3
	v_add_u32_e32 v2, s70, v2
	s_mov_b64 s[54:55], 0
	s_orn2_b64 s[56:57], vcc, exec
.LBB48_215:                             ;   in Loop: Header=BB48_216 Depth=2
	s_and_b64 s[56:57], exec, s[56:57]
	s_or_b64 s[46:47], s[56:57], s[46:47]
	s_andn2_b64 s[52:53], s[52:53], exec
	s_and_b64 s[54:55], s[54:55], exec
	s_or_b64 s[52:53], s[52:53], s[54:55]
	s_andn2_b64 exec, exec, s[46:47]
	s_cbranch_execz .LBB48_220
.LBB48_216:                             ;   Parent Loop BB48_7 Depth=1
                                        ; =>  This Inner Loop Header: Depth=2
	v_cmp_gt_i32_e32 vcc, s16, v3
	s_and_saveexec_b64 s[54:55], vcc
	s_cbranch_execz .LBB48_213
; %bb.217:                              ;   in Loop: Header=BB48_216 Depth=2
	ds_read_b32 v17, v2
	s_waitcnt lgkmcnt(0)
	v_cmp_lt_i32_e32 vcc, -1, v17
	s_nop 1
	v_cndmask_b32_e32 v8, -1, v36, vcc
	v_xor_b32_e32 v8, v8, v17
	v_cmp_o_f32_e32 vcc, v17, v17
	s_nop 1
	v_cndmask_b32_e32 v8, -1, v8, vcc
	v_and_b32_e32 v8, v8, v39
	v_cmp_eq_u32_e32 vcc, v8, v31
	s_and_b64 exec, exec, vcc
	s_cbranch_execz .LBB48_213
; %bb.218:                              ;   in Loop: Header=BB48_216 Depth=2
	ds_write_b64 v9, v[16:17] offset:3072
	s_branch .LBB48_213
.LBB48_219:                             ;   in Loop: Header=BB48_216 Depth=2
	s_mov_b64 s[56:57], -1
                                        ; implicit-def: $vgpr3
                                        ; implicit-def: $vgpr2
	s_mov_b64 s[54:55], -1
	s_branch .LBB48_215
.LBB48_220:                             ;   in Loop: Header=BB48_7 Depth=1
	s_or_b64 exec, exec, s[46:47]
	s_andn2_b64 s[16:17], s[50:51], exec
	s_and_b64 s[46:47], s[52:53], exec
	s_or_b64 s[50:51], s[16:17], s[46:47]
.LBB48_221:                             ;   in Loop: Header=BB48_7 Depth=1
	s_or_b64 exec, exec, s[44:45]
	s_mov_b64 s[44:45], 0
	s_mov_b64 s[46:47], -1
.LBB48_222:                             ;   in Loop: Header=BB48_7 Depth=1
	s_orn2_b64 s[50:51], s[50:51], exec
.LBB48_223:                             ;   in Loop: Header=BB48_7 Depth=1
	s_or_b64 exec, exec, s[48:49]
	s_mov_b64 s[52:53], 0
	s_and_saveexec_b64 s[48:49], s[50:51]
	s_cbranch_execz .LBB48_234
; %bb.224:                              ;   in Loop: Header=BB48_7 Depth=1
	s_xor_b64 s[16:17], s[42:43], -1
	v_mov_b32_e32 v5, 1
	v_mov_b32_e32 v2, 1
	s_and_saveexec_b64 s[42:43], s[16:17]
	s_cbranch_execz .LBB48_233
; %bb.225:                              ;   in Loop: Header=BB48_7 Depth=1
	v_cmp_ge_i32_e32 vcc, s82, v20
	s_and_saveexec_b64 s[16:17], vcc
	s_xor_b64 s[50:51], exec, s[16:17]
	s_cbranch_execz .LBB48_230
; %bb.226:                              ;   in Loop: Header=BB48_7 Depth=1
	ds_read_b32 v2, v9 offset:4096
	v_or_b32_e32 v31, v31, v4
	v_or_b32_e32 v39, v39, v4
	s_waitcnt lgkmcnt(0)
	v_cmp_ne_u32_e32 vcc, 0, v2
	s_cbranch_vccnz .LBB48_230
; %bb.227:                              ;   in Loop: Header=BB48_7 Depth=1
	s_and_saveexec_b64 s[52:53], s[18:19]
; %bb.228:                              ;   in Loop: Header=BB48_7 Depth=1
	v_mov_b32_e32 v2, s82
	ds_write_b32 v9, v2 offset:4100
; %bb.229:                              ;   in Loop: Header=BB48_7 Depth=1
	s_or_b64 exec, exec, s[52:53]
	s_waitcnt lgkmcnt(0)
	s_barrier
.LBB48_230:                             ;   in Loop: Header=BB48_7 Depth=1
	s_andn2_saveexec_b64 s[50:51], s[50:51]
; %bb.231:                              ;   in Loop: Header=BB48_7 Depth=1
	v_subrev_u32_e32 v20, s82, v20
; %bb.232:                              ;   in Loop: Header=BB48_7 Depth=1
	s_or_b64 exec, exec, s[50:51]
	v_mov_b32_e32 v5, 8
	v_mov_b32_e32 v2, v20
.LBB48_233:                             ;   in Loop: Header=BB48_7 Depth=1
	s_or_b64 exec, exec, s[42:43]
	s_mov_b64 s[52:53], exec
	v_mov_b32_e32 v20, v2
.LBB48_234:                             ;   in Loop: Header=BB48_7 Depth=1
	s_or_b64 exec, exec, s[48:49]
	s_orn2_b64 s[42:43], s[52:53], exec
.LBB48_235:                             ;   in Loop: Header=BB48_7 Depth=1
	s_or_b64 exec, exec, s[40:41]
	s_andn2_b64 s[16:17], s[36:37], exec
	s_and_b64 s[36:37], s[46:47], exec
	s_or_b64 s[36:37], s[16:17], s[36:37]
	s_andn2_b64 s[16:17], s[34:35], exec
	s_and_b64 s[34:35], s[44:45], exec
	s_or_b64 s[34:35], s[16:17], s[34:35]
	s_and_b64 s[44:45], s[42:43], exec
	v_mov_b32_e32 v21, v20
.LBB48_236:                             ;   in Loop: Header=BB48_7 Depth=1
	s_or_b64 exec, exec, s[38:39]
	s_orn2_b64 s[38:39], s[44:45], exec
.LBB48_237:                             ;   in Loop: Header=BB48_7 Depth=1
	s_or_b64 exec, exec, s[30:31]
	s_andn2_b64 s[16:17], s[26:27], exec
	s_and_b64 s[26:27], s[36:37], exec
	s_or_b64 s[26:27], s[16:17], s[26:27]
	s_andn2_b64 s[16:17], s[24:25], exec
	s_and_b64 s[24:25], s[34:35], exec
	s_or_b64 s[24:25], s[16:17], s[24:25]
	s_and_b64 s[36:37], s[38:39], exec
	v_mov_b32_e32 v20, v21
.LBB48_238:                             ;   in Loop: Header=BB48_7 Depth=1
	s_or_b64 exec, exec, s[28:29]
	s_orn2_b64 s[28:29], s[36:37], exec
.LBB48_239:                             ;   in Loop: Header=BB48_7 Depth=1
	s_or_b64 exec, exec, s[22:23]
	s_mov_b64 s[30:31], 0
                                        ; implicit-def: $sgpr34
	s_and_saveexec_b64 s[16:17], s[28:29]
	s_xor_b64 s[22:23], exec, s[16:17]
	s_cbranch_execz .LBB48_5
; %bb.240:                              ;   in Loop: Header=BB48_7 Depth=1
	v_and_b32_e32 v2, 7, v5
	v_cmp_eq_u32_e32 vcc, 0, v2
	s_mov_b64 s[20:21], -1
	s_mov_b64 s[28:29], -1
                                        ; implicit-def: $sgpr34
	s_and_saveexec_b64 s[30:31], vcc
	s_cbranch_execz .LBB48_4
; %bb.241:                              ;   in Loop: Header=BB48_7 Depth=1
	v_add_u32_e32 v2, -2, v37
	v_cmp_eq_u32_e32 vcc, 0, v37
	s_xor_b32 s34, s61, 1
	s_xor_b64 s[28:29], exec, -1
	s_orn2_b64 s[20:21], vcc, exec
	v_mov_b32_e32 v37, v2
	s_branch .LBB48_4
.LBB48_242:
	s_or_b64 exec, exec, s[88:89]
	s_xor_b64 s[4:5], s[94:95], -1
	s_xor_b64 s[2:3], s[90:91], -1
	;; [unrolled: 1-line block ×3, first 2 shown]
	s_mov_b64 s[0:1], 0
	s_and_saveexec_b64 s[8:9], s[2:3]
	s_xor_b64 s[2:3], exec, s[8:9]
	s_cbranch_execnz .LBB48_247
; %bb.243:
	s_andn2_saveexec_b64 s[2:3], s[2:3]
	s_cbranch_execnz .LBB48_267
.LBB48_244:
	s_or_b64 exec, exec, s[2:3]
	s_and_saveexec_b64 s[2:3], s[0:1]
.LBB48_245:
	; divergent unreachable
.LBB48_246:
	s_endpgm
.LBB48_247:
	s_and_saveexec_b64 s[0:1], s[4:5]
	s_xor_b64 s[4:5], exec, s[0:1]
	s_cbranch_execz .LBB48_265
; %bb.248:
	s_and_saveexec_b64 s[0:1], s[6:7]
	s_xor_b64 s[0:1], exec, s[0:1]
; %bb.249:
	v_bfrev_b32_e32 v1, 1
	v_cmp_lt_i32_e32 vcc, -1, v31
	s_nop 1
	v_cndmask_b32_e64 v1, v1, -1, vcc
	v_xor_b32_e32 v19, v1, v31
; %bb.250:
	s_or_b64 exec, exec, s[0:1]
	s_and_saveexec_b64 s[0:1], s[18:19]
	v_readlane_b32 s22, v54, 6
; %bb.251:
	v_mov_b32_e32 v1, 0
	v_mov_b32_e32 v2, s60
	ds_write_b32 v1, v2 offset:4108
; %bb.252:
	s_or_b64 exec, exec, s[0:1]
	v_mov_b32_e32 v1, 0
	s_waitcnt lgkmcnt(0)
	s_barrier
	ds_read_b32 v1, v1 offset:4108
	s_waitcnt lgkmcnt(0)
	v_min_i32_e32 v2, s60, v1
	v_cmp_lt_i32_e32 vcc, v0, v2
	s_and_saveexec_b64 s[6:7], vcc
	s_cbranch_execz .LBB48_262
; %bb.253:
	v_cmp_u_f32_e32 vcc, v19, v19
	s_mov_b64 s[8:9], 0
	s_xor_b64 s[12:13], vcc, -1
                                        ; implicit-def: $sgpr10_sgpr11
                                        ; implicit-def: $sgpr16_sgpr17
                                        ; implicit-def: $sgpr14_sgpr15
	s_branch .LBB48_255
.LBB48_254:                             ;   in Loop: Header=BB48_255 Depth=1
	s_or_b64 exec, exec, s[0:1]
	s_and_b64 s[0:1], exec, s[16:17]
	s_or_b64 s[8:9], s[0:1], s[8:9]
	s_andn2_b64 s[0:1], s[10:11], exec
	s_and_b64 s[10:11], s[14:15], exec
	s_or_b64 s[10:11], s[0:1], s[10:11]
	s_andn2_b64 exec, exec, s[8:9]
	s_cbranch_execz .LBB48_257
.LBB48_255:                             ; =>This Inner Loop Header: Depth=1
	v_ashrrev_i32_e32 v7, 31, v6
	v_lshl_add_u64 v[4:5], v[6:7], 2, s[68:69]
	global_load_dword v3, v[4:5], off
	v_mov_b32_e32 v1, v0
	s_or_b64 s[14:15], s[14:15], exec
	s_or_b64 s[16:17], s[16:17], exec
                                        ; implicit-def: $vgpr0
	s_waitcnt vmcnt(0)
	v_cmp_o_f32_e64 s[0:1], v3, v3
	v_cmp_neq_f32_e32 vcc, v3, v19
	s_or_b64 s[0:1], s[0:1], s[12:13]
	s_and_b64 s[20:21], vcc, s[0:1]
	s_and_saveexec_b64 s[0:1], s[20:21]
	s_cbranch_execz .LBB48_254
; %bb.256:                              ;   in Loop: Header=BB48_255 Depth=1
	v_add_u32_e32 v0, s62, v1
	v_cmp_ge_i32_e32 vcc, v0, v2
	s_andn2_b64 s[16:17], s[16:17], exec
	s_and_b64 s[20:21], vcc, exec
	v_add_u32_e32 v6, s33, v6
	s_andn2_b64 s[14:15], s[14:15], exec
	s_or_b64 s[16:17], s[16:17], s[20:21]
	s_branch .LBB48_254
.LBB48_257:
	s_or_b64 exec, exec, s[8:9]
	s_and_saveexec_b64 s[0:1], s[10:11]
	s_xor_b64 s[0:1], exec, s[0:1]
	s_cbranch_execz .LBB48_262
; %bb.258:
	s_mov_b64 s[0:1], exec
	s_brev_b32 s8, -2
.LBB48_259:                             ; =>This Inner Loop Header: Depth=1
	s_ff1_i32_b64 s9, s[0:1]
	v_readlane_b32 s12, v1, s9
	s_lshl_b64 s[10:11], 1, s9
	s_min_i32 s8, s8, s12
	s_andn2_b64 s[0:1], s[0:1], s[10:11]
	s_cmp_lg_u64 s[0:1], 0
	s_cbranch_scc1 .LBB48_259
; %bb.260:
	v_mbcnt_lo_u32_b32 v0, exec_lo, 0
	v_mbcnt_hi_u32_b32 v0, exec_hi, v0
	v_cmp_eq_u32_e32 vcc, 0, v0
	s_and_saveexec_b64 s[0:1], vcc
	s_xor_b64 s[0:1], exec, s[0:1]
; %bb.261:
	v_mov_b32_e32 v0, 0
	v_mov_b32_e32 v1, s8
	ds_min_i32 v0, v1 offset:4108
.LBB48_262:
	s_or_b64 exec, exec, s[6:7]
	s_waitcnt lgkmcnt(0)
	s_barrier
	s_and_saveexec_b64 s[0:1], s[18:19]
	s_cbranch_execz .LBB48_264
; %bb.263:
	v_readlane_b32 s6, v54, 5
	s_mul_i32 s6, s6, s22
	v_readlane_b32 s7, v54, 4
	s_mul_i32 s8, s7, s22
	s_ashr_i32 s7, s6, 31
	v_mov_b32_e32 v2, 0
	s_lshl_b64 s[6:7], s[6:7], 2
	v_readlane_b32 s10, v54, 2
	ds_read_b32 v0, v2 offset:4108
	v_readlane_b32 s11, v54, 3
	s_add_u32 s6, s10, s6
	s_addc_u32 s7, s11, s7
	s_ashr_i32 s9, s8, 31
	s_lshl_b64 s[8:9], s[8:9], 3
	v_readlane_b32 s10, v54, 0
	v_readlane_b32 s11, v54, 1
	s_add_u32 s8, s10, s8
	s_addc_u32 s9, s11, s9
	s_waitcnt lgkmcnt(0)
	v_ashrrev_i32_e32 v1, 31, v0
	global_store_dwordx2 v2, v[0:1], s[8:9]
	global_store_dword v2, v19, s[6:7]
.LBB48_264:
	s_or_b64 exec, exec, s[0:1]
.LBB48_265:
	s_or_saveexec_b64 s[0:1], s[4:5]
	s_mov_b64 s[4:5], 0
	s_xor_b64 exec, exec, s[0:1]
	s_cbranch_execnz .LBB48_268
.LBB48_266:
	s_or_b64 exec, exec, s[0:1]
	s_and_b64 s[0:1], s[4:5], exec
	s_andn2_saveexec_b64 s[2:3], s[2:3]
	s_cbranch_execz .LBB48_244
.LBB48_267:
	s_or_b64 s[0:1], s[0:1], exec
	s_trap 2
	s_or_b64 exec, exec, s[2:3]
	s_and_saveexec_b64 s[2:3], s[0:1]
	s_cbranch_execnz .LBB48_245
	s_branch .LBB48_246
.LBB48_268:
	s_mov_b64 s[4:5], exec
	s_trap 2
	s_branch .LBB48_266
	.section	.rodata,"a",@progbits
	.p2align	6, 0x0
	.amdhsa_kernel _ZN2at6native12_GLOBAL__N_114gatherKthValueIfiLi1EEEvNS_4cuda6detail10TensorInfoIKT_T0_EES8_S8_S8_S8_NS5_IS6_S8_EENS5_IlS8_EE
		.amdhsa_group_segment_fixed_size 4112
		.amdhsa_private_segment_fixed_size 0
		.amdhsa_kernarg_size 920
		.amdhsa_user_sgpr_count 2
		.amdhsa_user_sgpr_dispatch_ptr 0
		.amdhsa_user_sgpr_queue_ptr 0
		.amdhsa_user_sgpr_kernarg_segment_ptr 1
		.amdhsa_user_sgpr_dispatch_id 0
		.amdhsa_user_sgpr_kernarg_preload_length 0
		.amdhsa_user_sgpr_kernarg_preload_offset 0
		.amdhsa_user_sgpr_private_segment_size 0
		.amdhsa_uses_dynamic_stack 0
		.amdhsa_enable_private_segment 0
		.amdhsa_system_sgpr_workgroup_id_x 1
		.amdhsa_system_sgpr_workgroup_id_y 1
		.amdhsa_system_sgpr_workgroup_id_z 1
		.amdhsa_system_sgpr_workgroup_info 0
		.amdhsa_system_vgpr_workitem_id 0
		.amdhsa_next_free_vgpr 55
		.amdhsa_next_free_sgpr 100
		.amdhsa_accum_offset 56
		.amdhsa_reserve_vcc 1
		.amdhsa_float_round_mode_32 0
		.amdhsa_float_round_mode_16_64 0
		.amdhsa_float_denorm_mode_32 3
		.amdhsa_float_denorm_mode_16_64 3
		.amdhsa_dx10_clamp 1
		.amdhsa_ieee_mode 1
		.amdhsa_fp16_overflow 0
		.amdhsa_tg_split 0
		.amdhsa_exception_fp_ieee_invalid_op 0
		.amdhsa_exception_fp_denorm_src 0
		.amdhsa_exception_fp_ieee_div_zero 0
		.amdhsa_exception_fp_ieee_overflow 0
		.amdhsa_exception_fp_ieee_underflow 0
		.amdhsa_exception_fp_ieee_inexact 0
		.amdhsa_exception_int_div_zero 0
	.end_amdhsa_kernel
	.section	.text._ZN2at6native12_GLOBAL__N_114gatherKthValueIfiLi1EEEvNS_4cuda6detail10TensorInfoIKT_T0_EES8_S8_S8_S8_NS5_IS6_S8_EENS5_IlS8_EE,"axG",@progbits,_ZN2at6native12_GLOBAL__N_114gatherKthValueIfiLi1EEEvNS_4cuda6detail10TensorInfoIKT_T0_EES8_S8_S8_S8_NS5_IS6_S8_EENS5_IlS8_EE,comdat
.Lfunc_end48:
	.size	_ZN2at6native12_GLOBAL__N_114gatherKthValueIfiLi1EEEvNS_4cuda6detail10TensorInfoIKT_T0_EES8_S8_S8_S8_NS5_IS6_S8_EENS5_IlS8_EE, .Lfunc_end48-_ZN2at6native12_GLOBAL__N_114gatherKthValueIfiLi1EEEvNS_4cuda6detail10TensorInfoIKT_T0_EES8_S8_S8_S8_NS5_IS6_S8_EENS5_IlS8_EE
                                        ; -- End function
	.set _ZN2at6native12_GLOBAL__N_114gatherKthValueIfiLi1EEEvNS_4cuda6detail10TensorInfoIKT_T0_EES8_S8_S8_S8_NS5_IS6_S8_EENS5_IlS8_EE.num_vgpr, 55
	.set _ZN2at6native12_GLOBAL__N_114gatherKthValueIfiLi1EEEvNS_4cuda6detail10TensorInfoIKT_T0_EES8_S8_S8_S8_NS5_IS6_S8_EENS5_IlS8_EE.num_agpr, 0
	.set _ZN2at6native12_GLOBAL__N_114gatherKthValueIfiLi1EEEvNS_4cuda6detail10TensorInfoIKT_T0_EES8_S8_S8_S8_NS5_IS6_S8_EENS5_IlS8_EE.numbered_sgpr, 100
	.set _ZN2at6native12_GLOBAL__N_114gatherKthValueIfiLi1EEEvNS_4cuda6detail10TensorInfoIKT_T0_EES8_S8_S8_S8_NS5_IS6_S8_EENS5_IlS8_EE.num_named_barrier, 0
	.set _ZN2at6native12_GLOBAL__N_114gatherKthValueIfiLi1EEEvNS_4cuda6detail10TensorInfoIKT_T0_EES8_S8_S8_S8_NS5_IS6_S8_EENS5_IlS8_EE.private_seg_size, 0
	.set _ZN2at6native12_GLOBAL__N_114gatherKthValueIfiLi1EEEvNS_4cuda6detail10TensorInfoIKT_T0_EES8_S8_S8_S8_NS5_IS6_S8_EENS5_IlS8_EE.uses_vcc, 1
	.set _ZN2at6native12_GLOBAL__N_114gatherKthValueIfiLi1EEEvNS_4cuda6detail10TensorInfoIKT_T0_EES8_S8_S8_S8_NS5_IS6_S8_EENS5_IlS8_EE.uses_flat_scratch, 0
	.set _ZN2at6native12_GLOBAL__N_114gatherKthValueIfiLi1EEEvNS_4cuda6detail10TensorInfoIKT_T0_EES8_S8_S8_S8_NS5_IS6_S8_EENS5_IlS8_EE.has_dyn_sized_stack, 0
	.set _ZN2at6native12_GLOBAL__N_114gatherKthValueIfiLi1EEEvNS_4cuda6detail10TensorInfoIKT_T0_EES8_S8_S8_S8_NS5_IS6_S8_EENS5_IlS8_EE.has_recursion, 0
	.set _ZN2at6native12_GLOBAL__N_114gatherKthValueIfiLi1EEEvNS_4cuda6detail10TensorInfoIKT_T0_EES8_S8_S8_S8_NS5_IS6_S8_EENS5_IlS8_EE.has_indirect_call, 0
	.section	.AMDGPU.csdata,"",@progbits
; Kernel info:
; codeLenInByte = 9424
; TotalNumSgprs: 106
; NumVgprs: 55
; NumAgprs: 0
; TotalNumVgprs: 55
; ScratchSize: 0
; MemoryBound: 0
; FloatMode: 240
; IeeeMode: 1
; LDSByteSize: 4112 bytes/workgroup (compile time only)
; SGPRBlocks: 13
; VGPRBlocks: 6
; NumSGPRsForWavesPerEU: 106
; NumVGPRsForWavesPerEU: 55
; AccumOffset: 56
; Occupancy: 7
; WaveLimiterHint : 1
; COMPUTE_PGM_RSRC2:SCRATCH_EN: 0
; COMPUTE_PGM_RSRC2:USER_SGPR: 2
; COMPUTE_PGM_RSRC2:TRAP_HANDLER: 0
; COMPUTE_PGM_RSRC2:TGID_X_EN: 1
; COMPUTE_PGM_RSRC2:TGID_Y_EN: 1
; COMPUTE_PGM_RSRC2:TGID_Z_EN: 1
; COMPUTE_PGM_RSRC2:TIDIG_COMP_CNT: 0
; COMPUTE_PGM_RSRC3_GFX90A:ACCUM_OFFSET: 13
; COMPUTE_PGM_RSRC3_GFX90A:TG_SPLIT: 0
	.section	.text._ZN2at6native12_GLOBAL__N_114gatherKthValueIfiLi2EEEvNS_4cuda6detail10TensorInfoIKT_T0_EES8_S8_S8_S8_NS5_IS6_S8_EENS5_IlS8_EE,"axG",@progbits,_ZN2at6native12_GLOBAL__N_114gatherKthValueIfiLi2EEEvNS_4cuda6detail10TensorInfoIKT_T0_EES8_S8_S8_S8_NS5_IS6_S8_EENS5_IlS8_EE,comdat
	.globl	_ZN2at6native12_GLOBAL__N_114gatherKthValueIfiLi2EEEvNS_4cuda6detail10TensorInfoIKT_T0_EES8_S8_S8_S8_NS5_IS6_S8_EENS5_IlS8_EE ; -- Begin function _ZN2at6native12_GLOBAL__N_114gatherKthValueIfiLi2EEEvNS_4cuda6detail10TensorInfoIKT_T0_EES8_S8_S8_S8_NS5_IS6_S8_EENS5_IlS8_EE
	.p2align	8
	.type	_ZN2at6native12_GLOBAL__N_114gatherKthValueIfiLi2EEEvNS_4cuda6detail10TensorInfoIKT_T0_EES8_S8_S8_S8_NS5_IS6_S8_EENS5_IlS8_EE,@function
_ZN2at6native12_GLOBAL__N_114gatherKthValueIfiLi2EEEvNS_4cuda6detail10TensorInfoIKT_T0_EES8_S8_S8_S8_NS5_IS6_S8_EENS5_IlS8_EE: ; @_ZN2at6native12_GLOBAL__N_114gatherKthValueIfiLi2EEEvNS_4cuda6detail10TensorInfoIKT_T0_EES8_S8_S8_S8_NS5_IS6_S8_EENS5_IlS8_EE
; %bb.0:
	s_load_dwordx2 s[12:13], s[0:1], 0x298
	s_load_dwordx4 s[60:63], s[0:1], 0xd8
	s_add_u32 s10, s0, 0x298
	s_addc_u32 s11, s1, 0
	s_waitcnt lgkmcnt(0)
	s_mul_i32 s4, s13, s4
	s_add_i32 s3, s4, s3
	s_mul_i32 s3, s3, s12
	s_add_i32 s18, s3, s2
	s_cmp_ge_i32 s18, s62
	s_cbranch_scc1 .LBB49_246
; %bb.1:
	s_load_dword s3, s[0:1], 0xc
	s_load_dwordx2 s[4:5], s[0:1], 0xe8
                                        ; implicit-def: $vgpr54 : SGPR spill to VGPR lane
                                        ; kill: killed $sgpr0 killed $sgpr1
	s_abs_i32 s21, s18
	s_ashr_i32 s20, s18, 31
	s_load_dword s22, s[0:1], 0xf4
	s_waitcnt lgkmcnt(0)
	s_abs_i32 s13, s3
	v_writelane_b32 v54, s4, 0
	v_cvt_f32_u32_e32 v1, s13
	s_ashr_i32 s14, s3, 31
	v_writelane_b32 v54, s5, 1
	s_load_dwordx2 s[6:7], s[0:1], 0x6c
	s_load_dwordx2 s[4:5], s[0:1], 0x0
	;; [unrolled: 1-line block ×3, first 2 shown]
	v_rcp_iflag_f32_e32 v1, v1
	s_waitcnt lgkmcnt(0)
	v_writelane_b32 v54, s8, 2
	s_nop 1
	v_writelane_b32 v54, s9, 3
	s_load_dword s19, s[0:1], 0x1cc
	s_load_dwordx2 s[8:9], s[0:1], 0x1c0
	v_mul_f32_e32 v1, 0x4f7ffffe, v1
	v_cvt_u32_f32_e32 v1, v1
	s_waitcnt lgkmcnt(0)
	v_writelane_b32 v54, s8, 4
	s_nop 1
	v_writelane_b32 v54, s9, 5
	s_load_dwordx2 s[8:9], s[0:1], 0x154
	v_readfirstlane_b32 s1, v1
	s_sub_i32 s0, 0, s13
	s_mul_i32 s0, s0, s1
	s_mul_hi_u32 s0, s1, s0
	s_waitcnt lgkmcnt(0)
	v_writelane_b32 v54, s8, 6
	s_add_i32 s1, s1, s0
	s_mul_hi_u32 s15, s21, s1
	v_writelane_b32 v54, s9, 7
	s_abs_i32 s9, s22
	v_cvt_f32_u32_e32 v2, s9
	s_abs_i32 s8, s19
	s_sub_i32 s0, 0, s9
	v_writelane_b32 v54, s9, 8
	v_rcp_iflag_f32_e32 v1, v2
	v_cvt_f32_u32_e32 v2, s8
	v_mul_f32_e32 v1, 0x4f7ffffe, v1
	v_cvt_u32_f32_e32 v1, v1
	v_rcp_iflag_f32_e32 v2, v2
	v_readfirstlane_b32 s1, v1
	v_mul_f32_e32 v1, 0x4f7ffffe, v2
	s_mul_i32 s0, s0, s1
	v_cvt_u32_f32_e32 v1, v1
	s_mul_hi_u32 s0, s1, s0
	s_add_i32 s1, s1, s0
	s_mul_hi_u32 s0, s21, s1
	v_writelane_b32 v54, s0, 9
	s_sub_i32 s0, 0, s8
	v_readfirstlane_b32 s1, v1
	s_mul_i32 s0, s0, s1
	s_mul_hi_u32 s0, s1, s0
	s_add_i32 s1, s1, s0
	v_writelane_b32 v54, s8, 10
	s_mul_hi_u32 s0, s21, s1
	v_writelane_b32 v54, s0, 11
	v_cmp_eq_u32_e64 s[0:1], 0, v0
	s_and_saveexec_b64 s[8:9], s[0:1]
; %bb.2:
	v_mov_b32_e32 v2, 0
	v_mov_b32_e32 v3, s60
	;; [unrolled: 1-line block ×3, first 2 shown]
	ds_write_b96 v2, v[2:4] offset:4096
; %bb.3:
	s_or_b64 exec, exec, s[8:9]
	v_writelane_b32 v54, s22, 12
	s_ashr_i32 s8, s22, 31
	v_writelane_b32 v54, s8, 13
	s_mul_i32 s9, s15, s13
	v_writelane_b32 v54, s19, 14
	s_ashr_i32 s8, s19, 31
	s_sub_i32 s9, s21, s9
	v_writelane_b32 v54, s8, 15
	s_xor_b32 s8, s20, s14
	s_add_i32 s14, s15, 1
	s_sub_i32 s16, s9, s13
	s_cmp_ge_u32 s9, s13
	s_cselect_b32 s14, s14, s15
	s_cselect_b32 s9, s16, s9
	s_add_i32 s15, s14, 1
	s_cmp_ge_u32 s9, s13
	s_cselect_b32 s9, s15, s14
	s_xor_b32 s9, s9, s8
	s_sub_i32 s8, s9, s8
	s_mul_i32 s3, s8, s3
	s_sub_i32 s3, s18, s3
	s_mul_i32 s3, s3, s7
	s_mul_i32 s6, s8, s6
	s_add_i32 s6, s6, s3
	s_waitcnt lgkmcnt(0)
	s_barrier
	s_load_dword s3, s[10:11], 0xc
	s_ashr_i32 s7, s6, 31
	s_lshl_b64 s[6:7], s[6:7], 2
	s_add_u32 s72, s4, s6
	v_mbcnt_lo_u32_b32 v1, -1, 0
	s_addc_u32 s73, s5, s7
	s_waitcnt lgkmcnt(0)
	s_and_b32 s62, s3, 0xffff
	v_mbcnt_hi_u32_b32 v24, -1, v1
	v_cmp_gt_u32_e32 vcc, 64, v0
	v_cmp_gt_i32_e64 s[4:5], 4, v24
	s_add_i32 s33, s62, -1
	s_lshl_b32 s75, s62, 2
	s_and_b64 s[76:77], vcc, s[4:5]
	s_add_i32 s83, s33, s60
	v_writelane_b32 v54, s20, 16
	s_cmpk_gt_i32 s60, 0x300
	v_writelane_b32 v54, s21, 17
	s_cselect_b64 s[78:79], -1, 0
	s_cmp_gt_u32 s62, 63
	v_writelane_b32 v54, s18, 18
	v_cmp_gt_i32_e64 s[8:9], s60, v0
	s_cselect_b64 s[80:81], -1, 0
	s_cmp_lt_u32 s2, s12
	v_writelane_b32 v54, s8, 19
	s_cselect_b32 s2, 12, 18
	v_lshlrev_b64 v[2:3], v24, -1
	v_writelane_b32 v54, s9, 20
	s_add_u32 s8, s10, s2
	s_addc_u32 s9, s11, 0
	v_writelane_b32 v54, s8, 21
	v_not_b32_e32 v12, v2
	v_lshrrev_b32_e32 v2, 2, v0
	v_writelane_b32 v54, s9, 22
	s_bfe_u32 s8, s3, 0xa0006
	s_add_i32 s2, s8, -2
	s_lshr_b32 s3, s2, 1
	s_add_i32 s3, s3, 1
	s_cmpk_gt_u32 s62, 0x7f
	v_and_b32_e32 v2, 0xf0, v2
	s_cselect_b64 s[10:11], -1, 0
	v_or_b32_e32 v26, 0xc00, v2
	v_writelane_b32 v54, s10, 23
	v_cvt_f32_u32_e32 v2, s75
	s_and_b32 s9, s8, 0x3fe
	v_writelane_b32 v54, s11, 24
	s_and_b32 s10, s3, 7
	s_cmp_gt_u32 s2, 13
	s_cselect_b64 s[12:13], -1, 0
	v_writelane_b32 v54, s12, 25
	v_rcp_iflag_f32_e32 v2, v2
	s_and_b32 s2, s3, -8
	v_writelane_b32 v54, s13, 26
	v_writelane_b32 v54, s2, 27
	s_cmp_lg_u32 s10, 0
	v_writelane_b32 v54, s10, 28
	s_cselect_b64 s[2:3], -1, 0
	v_writelane_b32 v54, s2, 29
	v_mul_f32_e32 v2, 0x4f7ffffe, v2
	v_cvt_u32_f32_e32 v2, v2
	v_writelane_b32 v54, s3, 30
	v_writelane_b32 v54, s8, 31
	s_cmp_lg_u32 s9, s8
	v_writelane_b32 v54, s9, 32
	s_cselect_b64 s[2:3], -1, 0
	v_writelane_b32 v54, s2, 33
	v_not_b32_e32 v1, v3
	v_cvt_f32_u32_e32 v3, s62
	v_writelane_b32 v54, s3, 34
	s_sub_i32 s2, 0, s75
	v_readfirstlane_b32 s3, v2
	s_mul_i32 s2, s2, s3
	s_mul_hi_u32 s2, s3, s2
	s_add_i32 s8, s3, s2
	s_mul_hi_u32 s2, s60, s8
	s_mul_i32 s2, s2, s75
	s_sub_i32 s2, s60, s2
	s_sub_i32 s3, s2, s75
	s_cmp_ge_u32 s2, s75
	s_cselect_b32 s2, s3, s2
	s_sub_i32 s3, s2, s75
	s_cmp_ge_u32 s2, s75
	s_cselect_b32 s2, s3, s2
	s_sub_i32 s9, s60, s2
	v_rcp_iflag_f32_e32 v5, v3
	v_add_u32_e32 v27, s9, v0
	v_mul_lo_u32 v2, v27, s63
	v_ashrrev_i32_e32 v3, 31, v2
	v_lshl_add_u64 v[14:15], v[2:3], 2, s[72:73]
	v_mul_f32_e32 v2, 0x4f7ffffe, v5
	v_cvt_u32_f32_e32 v2, v2
	s_sub_i32 s17, 0, s62
	s_abs_i32 s16, s83
	s_ashr_i32 s3, s83, 31
	v_readfirstlane_b32 s20, v2
	s_mul_i32 s17, s17, s20
	s_mul_hi_u32 s17, s20, s17
	s_add_i32 s82, s20, s17
	s_mul_hi_u32 s17, s16, s82
	s_mul_i32 s17, s17, s62
	s_sub_i32 s16, s16, s17
	s_sub_i32 s17, s16, s62
	s_cmp_ge_u32 s16, s62
	s_cselect_b32 s16, s17, s16
	s_sub_i32 s17, s16, s62
	s_cmp_ge_u32 s16, s62
	s_cselect_b32 s16, s17, s16
	v_lshlrev_b32_e32 v13, 2, v0
	s_xor_b32 s16, s16, s3
	s_sub_i32 s3, s3, s16
	v_mul_lo_u32 v2, s63, v13
	s_add_i32 s83, s83, s3
	v_add_u32_e32 v28, s63, v2
	v_or_b32_e32 v2, 2, v13
	v_cmp_gt_i32_e64 s[16:17], s83, v0
	v_mul_lo_u32 v29, s63, v2
	v_or_b32_e32 v2, 3, v13
	s_add_i32 s3, s62, s60
	v_mov_b32_e32 v9, 0
	v_writelane_b32 v54, s16, 35
	v_mul_lo_u32 v31, s63, v2
	v_add_u32_e32 v2, s3, v0
	s_mov_b32 s22, 0
	s_mov_b32 s23, 1
	v_mul_lo_u32 v6, s63, v0
	v_mov_b32_e32 v7, v9
	v_lshlrev_b32_e32 v4, 2, v24
	v_writelane_b32 v54, s17, 36
	s_mul_i32 s74, s63, s62
	v_subrev_u32_e32 v2, s2, v2
	v_cmp_eq_u32_e64 s[18:19], 0, v24
	v_cmp_gt_u32_e64 s[4:5], 2, v0
	v_add_u32_e32 v25, 0xc00, v13
	v_cmp_gt_u32_e64 s[6:7], s60, v0
	v_lshl_add_u64 v[10:11], v[6:7], 2, s[72:73]
	v_and_b32_e32 v7, 0x100, v4
	v_cmp_gt_i32_e64 s[10:11], s9, v13
	v_cmp_gt_u32_e64 s[12:13], s60, v27
	v_cmp_gt_i32_e64 s[14:15], s60, v27
	s_lshl_b32 s84, s74, 2
	v_lshlrev_b32_e32 v32, 2, v6
	v_mul_lo_u32 v33, s63, v2
	v_lshlrev_b32_e32 v34, 4, v0
	s_lshl_b32 s85, s62, 4
	v_or_b32_e32 v35, 0xc00, v4
	s_mov_b64 s[92:93], 0
	v_mov_b32_e32 v37, 30
	v_mov_b32_e32 v40, s61
	;; [unrolled: 1-line block ×3, first 2 shown]
	v_mov_b32_e32 v16, 1.0
	v_bfrev_b32_e32 v36, 1
	v_mov_b32_e32 v38, 0xc00
	v_mov_b32_e32 v19, 0
	;; [unrolled: 1-line block ×4, first 2 shown]
	v_writelane_b32 v54, s22, 37
	s_mov_b32 s61, s22
                                        ; implicit-def: $sgpr94_sgpr95
                                        ; implicit-def: $sgpr98_sgpr99
                                        ; implicit-def: $sgpr96_sgpr97
                                        ; implicit-def: $sgpr66_sgpr67
                                        ; implicit-def: $sgpr68_sgpr69
                                        ; implicit-def: $sgpr64_sgpr65
	s_nop 0
	v_writelane_b32 v54, s23, 38
	s_branch .LBB49_7
.LBB49_4:                               ;   in Loop: Header=BB49_7 Depth=1
	s_or_b64 exec, exec, s[30:31]
	s_and_b64 s[30:31], s[28:29], exec
	s_andn2_b64 s[26:27], s[26:27], exec
	s_andn2_b64 s[24:25], s[24:25], exec
	s_orn2_b64 s[20:21], s[20:21], exec
.LBB49_5:                               ;   in Loop: Header=BB49_7 Depth=1
	s_or_b64 exec, exec, s[22:23]
	s_andn2_b64 s[16:17], s[64:65], exec
	s_and_b64 s[22:23], s[30:31], exec
	s_or_b64 s[64:65], s[16:17], s[22:23]
	s_andn2_b64 s[16:17], s[68:69], exec
	s_and_b64 s[22:23], s[26:27], exec
	s_or_b64 s[68:69], s[16:17], s[22:23]
	;; [unrolled: 3-line block ×3, first 2 shown]
	s_orn2_b64 s[20:21], s[20:21], exec
.LBB49_6:                               ;   in Loop: Header=BB49_7 Depth=1
	s_or_b64 exec, exec, s[2:3]
	s_and_b64 s[2:3], exec, s[20:21]
	s_or_b64 s[92:93], s[2:3], s[92:93]
	s_andn2_b64 s[2:3], s[96:97], exec
	s_and_b64 s[16:17], s[64:65], exec
	s_or_b64 s[96:97], s[2:3], s[16:17]
	s_andn2_b64 s[2:3], s[98:99], exec
	s_and_b64 s[16:17], s[68:69], exec
	;; [unrolled: 3-line block ×3, first 2 shown]
	s_or_b64 s[94:95], s[2:3], s[16:17]
	s_mov_b32 s61, s34
	v_mov_b32_e32 v40, v20
	s_andn2_b64 exec, exec, s[92:93]
	s_cbranch_execz .LBB49_242
.LBB49_7:                               ; =>This Loop Header: Depth=1
                                        ;     Child Loop BB49_13 Depth 2
                                        ;     Child Loop BB49_28 Depth 2
	;; [unrolled: 1-line block ×17, first 2 shown]
	ds_read_b64 v[2:3], v9 offset:4096
	s_waitcnt lgkmcnt(0)
	v_readfirstlane_b32 s16, v2
	s_cmp_gt_i32 s16, 0
	s_cbranch_scc1 .LBB49_35
; %bb.8:                                ;   in Loop: Header=BB49_7 Depth=1
	s_and_b64 vcc, exec, s[78:79]
	s_cbranch_vccz .LBB49_21
; %bb.9:                                ;   in Loop: Header=BB49_7 Depth=1
	s_movk_i32 s2, 0x301
	v_cmp_gt_i32_e32 vcc, s2, v3
	s_mov_b64 s[20:21], 0
	s_mov_b64 s[2:3], 0
	s_cbranch_vccz .LBB49_22
; %bb.10:                               ;   in Loop: Header=BB49_7 Depth=1
	s_and_saveexec_b64 s[22:23], s[6:7]
	s_cbranch_execz .LBB49_67
; %bb.11:                               ;   in Loop: Header=BB49_7 Depth=1
	v_readlane_b32 s2, v54, 21
	v_readlane_b32 s3, v54, 22
	s_nop 4
	global_load_ushort v2, v9, s[2:3]
	global_load_dword v4, v[10:11], off
	s_mov_b64 s[24:25], 0
	s_waitcnt vmcnt(1)
	v_add_u32_e32 v5, v0, v2
	v_mul_lo_u32 v3, s63, v2
	v_mul_lo_u32 v8, s63, v5
	v_mov_b32_e32 v5, v0
	s_branch .LBB49_13
.LBB49_12:                              ;   in Loop: Header=BB49_13 Depth=2
	s_or_b64 exec, exec, s[2:3]
	v_cmp_le_i32_e32 vcc, s60, v5
	v_add_u32_e32 v8, v8, v3
	s_or_b64 s[24:25], vcc, s[24:25]
	v_mov_b32_e32 v4, v17
	s_andn2_b64 exec, exec, s[24:25]
	s_cbranch_execz .LBB49_67
.LBB49_13:                              ;   Parent Loop BB49_7 Depth=1
                                        ; =>  This Inner Loop Header: Depth=2
	v_add_u32_e32 v5, v5, v2
	v_cmp_gt_u32_e32 vcc, s60, v5
	s_waitcnt lgkmcnt(0)
	v_mov_b32_e32 v18, 0
	v_mov_b32_e32 v17, 0
	s_and_saveexec_b64 s[2:3], vcc
	s_cbranch_execz .LBB49_15
; %bb.14:                               ;   in Loop: Header=BB49_13 Depth=2
	v_lshl_add_u64 v[20:21], v[8:9], 2, s[72:73]
	global_load_dword v17, v[20:21], off
.LBB49_15:                              ;   in Loop: Header=BB49_13 Depth=2
	s_or_b64 exec, exec, s[2:3]
	s_waitcnt vmcnt(0)
	v_cmp_lt_i32_e32 vcc, -1, v4
	s_nop 1
	v_cndmask_b32_e32 v20, -1, v36, vcc
	v_xor_b32_e32 v20, v20, v4
	v_cmp_o_f32_e32 vcc, v4, v4
	s_nop 1
	v_cndmask_b32_e32 v20, -1, v20, vcc
	v_and_b32_e32 v20, v20, v39
	v_cmp_eq_u32_e32 vcc, v20, v30
	s_cmp_lg_u64 vcc, 0
	s_cselect_b64 s[2:3], -1, 0
	s_and_b64 s[2:3], s[18:19], s[2:3]
	s_and_saveexec_b64 s[26:27], s[2:3]
	s_cbranch_execz .LBB49_19
; %bb.16:                               ;   in Loop: Header=BB49_13 Depth=2
	s_mov_b64 s[30:31], exec
	v_mbcnt_lo_u32_b32 v18, s30, 0
	v_mbcnt_hi_u32_b32 v18, s31, v18
	s_bcnt1_i32_b64 s17, vcc
	v_cmp_eq_u32_e64 s[2:3], 0, v18
                                        ; implicit-def: $vgpr20
	s_and_saveexec_b64 s[28:29], s[2:3]
; %bb.17:                               ;   in Loop: Header=BB49_13 Depth=2
	s_bcnt1_i32_b64 s2, s[30:31]
	s_mul_i32 s2, s17, s2
	v_mov_b32_e32 v20, s2
	ds_add_rtn_u32 v20, v9, v20 offset:4104
; %bb.18:                               ;   in Loop: Header=BB49_13 Depth=2
	s_or_b64 exec, exec, s[28:29]
	s_waitcnt lgkmcnt(0)
	v_readfirstlane_b32 s2, v20
	s_nop 1
	v_mov_b32_e32 v20, s2
	v_mad_u32_u24 v18, s17, v18, v20
.LBB49_19:                              ;   in Loop: Header=BB49_13 Depth=2
	s_or_b64 exec, exec, s[26:27]
	ds_bpermute_b32 v18, v7, v18
	s_and_saveexec_b64 s[2:3], vcc
	s_cbranch_execz .LBB49_12
; %bb.20:                               ;   in Loop: Header=BB49_13 Depth=2
	v_and_b32_e32 v21, vcc_lo, v12
	v_and_b32_e32 v20, vcc_hi, v1
	v_bcnt_u32_b32 v21, v21, 0
	v_bcnt_u32_b32 v20, v20, v21
	v_lshlrev_b32_e32 v20, 2, v20
	s_waitcnt lgkmcnt(0)
	v_lshl_add_u32 v18, v18, 2, v20
	ds_write_b32 v18, v4
	s_branch .LBB49_12
.LBB49_21:                              ;   in Loop: Header=BB49_7 Depth=1
	s_mov_b64 s[20:21], -1
	s_mov_b64 s[2:3], 0
.LBB49_22:                              ;   in Loop: Header=BB49_7 Depth=1
	s_and_b64 vcc, exec, s[20:21]
	s_cbranch_vccz .LBB49_33
.LBB49_23:                              ;   in Loop: Header=BB49_7 Depth=1
	v_mov_b32_e32 v2, 0
	s_and_saveexec_b64 s[2:3], s[6:7]
	s_cbranch_execz .LBB49_25
; %bb.24:                               ;   in Loop: Header=BB49_7 Depth=1
	global_load_dword v2, v[10:11], off
.LBB49_25:                              ;   in Loop: Header=BB49_7 Depth=1
	s_or_b64 exec, exec, s[2:3]
	s_mov_b64 s[2:3], exec
	v_readlane_b32 s20, v54, 19
	v_readlane_b32 s21, v54, 20
	s_and_b64 s[20:21], s[2:3], s[20:21]
	s_mov_b64 exec, s[20:21]
	s_cbranch_execz .LBB49_30
; %bb.26:                               ;   in Loop: Header=BB49_7 Depth=1
	v_readlane_b32 s20, v54, 21
	v_readlane_b32 s21, v54, 22
	v_mov_b32_e32 v4, v13
	v_mov_b32_e32 v18, v0
	s_nop 2
	global_load_ushort v3, v9, s[20:21]
	s_mov_b64 s[20:21], 0
	s_waitcnt vmcnt(0)
	v_add_u32_e32 v8, v0, v3
	v_lshlrev_b32_e32 v5, 2, v3
	v_mul_lo_u32 v17, s63, v3
	v_mul_lo_u32 v8, s63, v8
	s_branch .LBB49_28
.LBB49_27:                              ;   in Loop: Header=BB49_28 Depth=2
	s_or_b64 exec, exec, s[22:23]
	v_cmp_le_i32_e32 vcc, s60, v18
	ds_write_b32 v4, v2
	v_add_u32_e32 v4, v4, v5
	v_add_u32_e32 v8, v8, v17
	s_or_b64 s[20:21], vcc, s[20:21]
	s_waitcnt vmcnt(0)
	v_mov_b32_e32 v2, v20
	s_andn2_b64 exec, exec, s[20:21]
	s_cbranch_execz .LBB49_30
.LBB49_28:                              ;   Parent Loop BB49_7 Depth=1
                                        ; =>  This Inner Loop Header: Depth=2
	v_add_u32_e32 v18, v18, v3
	v_cmp_gt_u32_e32 vcc, s60, v18
	v_mov_b32_e32 v20, 0
	s_and_saveexec_b64 s[22:23], vcc
	s_cbranch_execz .LBB49_27
; %bb.29:                               ;   in Loop: Header=BB49_28 Depth=2
	v_lshl_add_u64 v[20:21], v[8:9], 2, s[72:73]
	global_load_dword v20, v[20:21], off
	s_branch .LBB49_27
.LBB49_30:                              ;   in Loop: Header=BB49_7 Depth=1
	s_or_b64 exec, exec, s[2:3]
	s_waitcnt lgkmcnt(0)
	s_barrier
	s_and_saveexec_b64 s[2:3], s[0:1]
; %bb.31:                               ;   in Loop: Header=BB49_7 Depth=1
	ds_write_b32 v9, v41 offset:4096
; %bb.32:                               ;   in Loop: Header=BB49_7 Depth=1
	s_or_b64 exec, exec, s[2:3]
	s_mov_b64 s[2:3], -1
	s_waitcnt lgkmcnt(0)
	s_barrier
.LBB49_33:                              ;   in Loop: Header=BB49_7 Depth=1
	s_and_b64 vcc, exec, s[2:3]
	s_cbranch_vccz .LBB49_35
; %bb.34:                               ;   in Loop: Header=BB49_7 Depth=1
	s_waitcnt vmcnt(0)
	ds_read_b32 v2, v9 offset:4096
	s_waitcnt lgkmcnt(0)
	v_readfirstlane_b32 s16, v2
.LBB49_35:                              ;   in Loop: Header=BB49_7 Depth=1
	s_cmp_lt_i32 s16, 1
	s_mov_b64 s[2:3], -1
                                        ; implicit-def: $vgpr4_vgpr5
	s_cbranch_scc1 .LBB49_45
; %bb.36:                               ;   in Loop: Header=BB49_7 Depth=1
	s_and_b64 vcc, exec, s[2:3]
	s_cbranch_vccnz .LBB49_58
.LBB49_37:                              ;   in Loop: Header=BB49_7 Depth=1
	s_lshl_b32 s16, s61, 6
	s_and_saveexec_b64 s[2:3], s[18:19]
	s_cbranch_execz .LBB49_39
.LBB49_38:                              ;   in Loop: Header=BB49_7 Depth=1
	v_lshl_add_u32 v8, s16, 2, v26
	s_waitcnt vmcnt(0)
	ds_write_b128 v8, v[2:5]
.LBB49_39:                              ;   in Loop: Header=BB49_7 Depth=1
	s_or_b64 exec, exec, s[2:3]
	s_waitcnt lgkmcnt(0)
	s_barrier
	s_and_saveexec_b64 s[2:3], s[76:77]
	s_cbranch_execz .LBB49_78
; %bb.40:                               ;   in Loop: Header=BB49_7 Depth=1
	v_add_u32_e32 v4, s16, v24
	s_andn2_b64 vcc, exec, s[80:81]
	s_waitcnt vmcnt(0)
	v_mov_b32_e32 v2, 0
	s_cbranch_vccnz .LBB49_77
; %bb.41:                               ;   in Loop: Header=BB49_7 Depth=1
	v_readlane_b32 s20, v54, 23
	v_readlane_b32 s21, v54, 24
	s_andn2_b64 vcc, exec, s[20:21]
	s_cbranch_vccnz .LBB49_70
; %bb.42:                               ;   in Loop: Header=BB49_7 Depth=1
	v_readlane_b32 s20, v54, 25
	v_readlane_b32 s21, v54, 26
	s_andn2_b64 vcc, exec, s[20:21]
	v_lshl_add_u32 v5, v4, 2, v38
	s_cbranch_vccnz .LBB49_71
; %bb.43:                               ;   in Loop: Header=BB49_7 Depth=1
	s_mov_b32 s21, 1
	s_mov_b32 s20, 0
	v_mov_b32_e32 v2, 0
	v_mov_b32_e32 v3, 0
	v_readlane_b32 s17, v54, 27
.LBB49_44:                              ;   Parent Loop BB49_7 Depth=1
                                        ; =>  This Inner Loop Header: Depth=2
	v_lshl_add_u32 v8, s20, 4, v5
	v_lshl_add_u32 v17, s21, 4, v5
	ds_read2_b32 v[20:21], v8 offset1:8
	ds_read2_b32 v[22:23], v17 offset1:8
	ds_read2_b32 v[42:43], v8 offset0:16 offset1:24
	ds_read2_b32 v[44:45], v17 offset0:16 offset1:24
	;; [unrolled: 1-line block ×6, first 2 shown]
	s_waitcnt lgkmcnt(7)
	v_add3_u32 v2, v20, v2, v21
	s_waitcnt lgkmcnt(6)
	v_add3_u32 v3, v22, v3, v23
	s_waitcnt lgkmcnt(4)
	v_add3_u32 v3, v44, v3, v45
	v_add3_u32 v2, v42, v2, v43
	s_add_i32 s21, s21, 16
	s_add_i32 s20, s20, 16
	s_add_i32 s17, s17, -8
	s_waitcnt lgkmcnt(3)
	v_add3_u32 v2, v46, v2, v47
	s_waitcnt lgkmcnt(2)
	v_add3_u32 v3, v48, v3, v49
	s_cmp_lg_u32 s17, 0
	s_waitcnt lgkmcnt(0)
	v_add3_u32 v3, v52, v3, v53
	v_add3_u32 v2, v50, v2, v51
	s_cbranch_scc1 .LBB49_44
	s_branch .LBB49_72
.LBB49_45:                              ;   in Loop: Header=BB49_7 Depth=1
	v_mov_b32_e32 v8, v9
	v_mov_b64_e32 v[4:5], v[8:9]
	s_waitcnt vmcnt(0)
	v_mov_b64_e32 v[2:3], v[8:9]
	s_and_saveexec_b64 s[70:71], s[10:11]
	s_cbranch_execnz .LBB49_48
; %bb.46:                               ;   in Loop: Header=BB49_7 Depth=1
	s_or_b64 exec, exec, s[70:71]
	v_mov_b32_e32 v17, 0
	s_and_saveexec_b64 s[2:3], s[12:13]
	s_cbranch_execnz .LBB49_51
.LBB49_47:                              ;   in Loop: Header=BB49_7 Depth=1
	s_or_b64 exec, exec, s[2:3]
	s_and_saveexec_b64 s[20:21], s[14:15]
	s_cbranch_execnz .LBB49_52
	s_branch .LBB49_57
.LBB49_48:                              ;   in Loop: Header=BB49_7 Depth=1
	s_mov_b32 s17, 0
	s_mov_b64 s[86:87], 0
	v_mov_b32_e32 v8, v13
	s_mov_b32 s88, 0
	s_mov_b32 s89, s17
	;; [unrolled: 1-line block ×4, first 2 shown]
.LBB49_49:                              ;   Parent Loop BB49_7 Depth=1
                                        ; =>  This Inner Loop Header: Depth=2
	v_add_u32_e32 v2, s17, v32
	v_add_u32_e32 v4, s17, v28
	;; [unrolled: 1-line block ×4, first 2 shown]
	v_ashrrev_i32_e32 v3, 31, v2
	v_ashrrev_i32_e32 v5, 31, v4
	;; [unrolled: 1-line block ×4, first 2 shown]
	v_lshl_add_u64 v[2:3], v[2:3], 2, s[72:73]
	v_lshl_add_u64 v[4:5], v[4:5], 2, s[72:73]
	;; [unrolled: 1-line block ×4, first 2 shown]
	global_load_dword v2, v[2:3], off
	s_nop 0
	global_load_dword v3, v[4:5], off
	s_nop 0
	global_load_dword v4, v[20:21], off
	global_load_dword v5, v[22:23], off
	v_add_u32_e32 v8, s75, v8
	s_add_i32 s17, s17, s84
	v_cmp_le_i32_e32 vcc, s9, v8
	s_waitcnt vmcnt(3)
	v_cmp_lt_i32_e64 s[2:3], -1, v2
	s_nop 1
	v_cndmask_b32_e64 v17, -1, v36, s[2:3]
	s_waitcnt vmcnt(2)
	v_cmp_lt_i32_e64 s[2:3], -1, v3
	s_waitcnt vmcnt(1)
	v_cmp_o_f32_e64 s[20:21], v4, v4
	s_waitcnt vmcnt(0)
	v_cmp_o_f32_e64 s[22:23], v5, v5
	v_cndmask_b32_e64 v18, -1, v36, s[2:3]
	v_cmp_lt_i32_e64 s[2:3], -1, v4
	v_xor_b32_e32 v18, v18, v3
	v_cmp_o_f32_e64 s[24:25], v2, v2
	v_cndmask_b32_e64 v20, -1, v36, s[2:3]
	v_cmp_lt_i32_e64 s[2:3], -1, v5
	s_nop 1
	v_cndmask_b32_e64 v21, -1, v36, s[2:3]
	v_cmp_o_f32_e64 s[2:3], v3, v3
	v_xor_b32_e32 v3, v20, v4
	v_xor_b32_e32 v4, v21, v5
	;; [unrolled: 1-line block ×3, first 2 shown]
	v_cndmask_b32_e64 v2, -1, v5, s[24:25]
	v_cndmask_b32_e64 v5, -1, v18, s[2:3]
	v_and_b32_e32 v17, v2, v39
	v_bfe_u32 v2, v2, v37, 2
	v_cndmask_b32_e64 v3, -1, v3, s[20:21]
	v_and_b32_e32 v18, v5, v39
	v_bfe_u32 v5, v5, v37, 2
	v_cmp_eq_u32_e64 s[2:3], v17, v30
	v_cmp_eq_u32_e64 s[26:27], 0, v2
	v_cndmask_b32_e64 v4, -1, v4, s[22:23]
	v_and_b32_e32 v20, v3, v39
	v_bfe_u32 v3, v3, v37, 2
	v_cmp_eq_u32_e64 s[20:21], v18, v30
	v_cmp_eq_u32_e64 s[28:29], 0, v5
	s_and_b64 s[26:27], s[2:3], s[26:27]
	v_and_b32_e32 v21, v4, v39
	v_bfe_u32 v4, v4, v37, 2
	v_cmp_eq_u32_e64 s[22:23], v20, v30
	v_cmp_eq_u32_e64 s[30:31], 0, v3
	;; [unrolled: 1-line block ×5, first 2 shown]
	v_cndmask_b32_e64 v2, 0, 1, s[26:27]
	s_and_b64 s[26:27], s[20:21], s[28:29]
	v_cmp_eq_u32_e64 s[24:25], v21, v30
	v_cmp_eq_u32_e64 s[34:35], 0, v4
	;; [unrolled: 1-line block ×5, first 2 shown]
	v_cndmask_b32_e64 v3, 0, 1, s[26:27]
	s_and_b64 s[26:27], s[22:23], s[30:31]
	v_cmp_eq_u32_e64 s[42:43], 1, v4
	v_cmp_eq_u32_e64 s[50:51], 2, v4
	;; [unrolled: 1-line block ×3, first 2 shown]
	v_cndmask_b32_e64 v4, 0, 1, s[26:27]
	s_and_b64 s[26:27], s[24:25], s[34:35]
	v_cmp_eq_u32_e64 s[38:39], 1, v5
	v_cmp_eq_u32_e64 s[46:47], 2, v5
	;; [unrolled: 1-line block ×3, first 2 shown]
	v_cndmask_b32_e64 v5, 0, 1, s[26:27]
	s_and_b64 s[26:27], s[2:3], s[36:37]
	v_cndmask_b32_e64 v17, 0, 1, s[26:27]
	s_and_b64 s[26:27], s[20:21], s[38:39]
	;; [unrolled: 2-line block ×5, first 2 shown]
	s_and_b64 s[2:3], s[2:3], s[52:53]
	v_cndmask_b32_e64 v22, 0, 1, s[26:27]
	s_and_b64 s[26:27], s[20:21], s[46:47]
	v_cndmask_b32_e64 v44, 0, 1, s[2:3]
	;; [unrolled: 2-line block ×7, first 2 shown]
	v_cndmask_b32_e64 v47, 0, 1, s[2:3]
	v_cmp_ne_u32_e64 s[2:3], 0, v2
	v_cmp_ne_u32_e64 s[20:21], 0, v3
	;; [unrolled: 1-line block ×11, first 2 shown]
	s_bcnt1_i32_b64 s2, s[2:3]
	s_bcnt1_i32_b64 s3, s[20:21]
	;; [unrolled: 1-line block ×8, first 2 shown]
	v_cmp_ne_u32_e64 s[34:35], 0, v21
	v_cmp_ne_u32_e64 s[40:41], 0, v42
	;; [unrolled: 1-line block ×3, first 2 shown]
	s_bcnt1_i32_b64 s23, s[28:29]
	s_bcnt1_i32_b64 s27, s[38:39]
	;; [unrolled: 1-line block ×3, first 2 shown]
	s_add_i32 s2, s88, s2
	s_add_i32 s22, s89, s22
	;; [unrolled: 1-line block ×4, first 2 shown]
	v_cmp_ne_u32_e64 s[42:43], 0, v43
	v_cmp_ne_u32_e64 s[50:51], 0, v47
	s_bcnt1_i32_b64 s25, s[34:35]
	s_bcnt1_i32_b64 s28, s[40:41]
	;; [unrolled: 1-line block ×3, first 2 shown]
	s_add_i32 s22, s22, s23
	s_add_i32 s2, s2, s3
	;; [unrolled: 1-line block ×4, first 2 shown]
	s_bcnt1_i32_b64 s29, s[42:43]
	s_bcnt1_i32_b64 s35, s[50:51]
	s_add_i32 s2, s2, s20
	s_add_i32 s20, s22, s24
	;; [unrolled: 1-line block ×8, first 2 shown]
	s_or_b64 s[86:87], vcc, s[86:87]
	v_mov_b64_e32 v[2:3], s[88:89]
	v_mov_b64_e32 v[4:5], s[90:91]
	s_andn2_b64 exec, exec, s[86:87]
	s_cbranch_execnz .LBB49_49
; %bb.50:                               ;   in Loop: Header=BB49_7 Depth=1
	s_or_b64 exec, exec, s[86:87]
	s_or_b64 exec, exec, s[70:71]
	v_mov_b32_e32 v17, 0
	s_and_saveexec_b64 s[2:3], s[12:13]
	s_cbranch_execz .LBB49_47
.LBB49_51:                              ;   in Loop: Header=BB49_7 Depth=1
	global_load_dword v17, v[14:15], off
	s_or_b64 exec, exec, s[2:3]
	s_and_saveexec_b64 s[20:21], s[14:15]
	s_cbranch_execz .LBB49_57
.LBB49_52:                              ;   in Loop: Header=BB49_7 Depth=1
	s_mov_b64 s[22:23], 0
	v_mov_b32_e32 v20, v33
	v_mov_b32_e32 v8, v27
	s_branch .LBB49_54
.LBB49_53:                              ;   in Loop: Header=BB49_54 Depth=2
	s_or_b64 exec, exec, s[2:3]
	s_waitcnt vmcnt(0)
	v_cmp_lt_i32_e32 vcc, -1, v17
	v_add_u32_e32 v20, s74, v20
	s_nop 0
	v_cndmask_b32_e32 v21, -1, v36, vcc
	v_xor_b32_e32 v21, v21, v17
	v_cmp_o_f32_e32 vcc, v17, v17
	s_nop 1
	v_cndmask_b32_e32 v17, -1, v21, vcc
	v_and_b32_e32 v21, v17, v39
	v_bfe_u32 v17, v17, v37, 2
	v_cmp_eq_u32_e32 vcc, v21, v30
	v_cmp_eq_u32_e64 s[2:3], 0, v17
	s_and_b64 s[2:3], vcc, s[2:3]
	s_nop 0
	v_cndmask_b32_e64 v21, 0, 1, s[2:3]
	v_cmp_ne_u32_e64 s[2:3], 0, v21
	s_bcnt1_i32_b64 s17, s[2:3]
	v_cmp_eq_u32_e64 s[2:3], 1, v17
	s_and_b64 s[2:3], vcc, s[2:3]
	v_add_u32_e32 v2, s17, v2
	v_cndmask_b32_e64 v21, 0, 1, s[2:3]
	v_cmp_ne_u32_e64 s[2:3], 0, v21
	s_bcnt1_i32_b64 s2, s[2:3]
	s_nop 0
	v_add_u32_e32 v3, s2, v3
	v_cmp_eq_u32_e64 s[2:3], 2, v17
	s_and_b64 s[2:3], vcc, s[2:3]
	s_nop 0
	v_cndmask_b32_e64 v21, 0, 1, s[2:3]
	v_cmp_ne_u32_e64 s[2:3], 0, v21
	s_bcnt1_i32_b64 s17, s[2:3]
	v_cmp_eq_u32_e64 s[2:3], 3, v17
	s_and_b64 s[2:3], vcc, s[2:3]
	v_add_u32_e32 v4, s17, v4
	v_cndmask_b32_e64 v17, 0, 1, s[2:3]
	v_cmp_ne_u32_e32 vcc, 0, v17
	s_bcnt1_i32_b64 s2, vcc
	v_cmp_le_i32_e32 vcc, s60, v8
	v_add_u32_e32 v5, s2, v5
	s_or_b64 s[22:23], vcc, s[22:23]
	v_mov_b32_e32 v17, v18
	s_andn2_b64 exec, exec, s[22:23]
	s_cbranch_execz .LBB49_56
.LBB49_54:                              ;   Parent Loop BB49_7 Depth=1
                                        ; =>  This Inner Loop Header: Depth=2
	v_add_u32_e32 v8, s62, v8
	v_cmp_gt_u32_e32 vcc, s60, v8
	v_mov_b32_e32 v18, 0
	s_and_saveexec_b64 s[2:3], vcc
	s_cbranch_execz .LBB49_53
; %bb.55:                               ;   in Loop: Header=BB49_54 Depth=2
	v_ashrrev_i32_e32 v21, 31, v20
	v_lshl_add_u64 v[22:23], v[20:21], 2, s[72:73]
	global_load_dword v18, v[22:23], off
	s_branch .LBB49_53
.LBB49_56:                              ;   in Loop: Header=BB49_7 Depth=1
	s_or_b64 exec, exec, s[22:23]
.LBB49_57:                              ;   in Loop: Header=BB49_7 Depth=1
	s_or_b64 exec, exec, s[20:21]
	s_branch .LBB49_37
.LBB49_58:                              ;   in Loop: Header=BB49_7 Depth=1
	s_mul_hi_u32 s2, s16, s8
	s_mul_i32 s2, s2, s75
	s_sub_i32 s2, s16, s2
	s_sub_i32 s3, s2, s75
	s_cmp_ge_u32 s2, s75
	s_cselect_b32 s2, s3, s2
	s_sub_i32 s3, s2, s75
	s_cmp_ge_u32 s2, s75
	s_cselect_b32 s2, s3, s2
	s_sub_i32 s17, s16, s2
	v_mov_b32_e32 v8, v9
	v_cmp_gt_u32_e32 vcc, s17, v13
	v_mov_b64_e32 v[4:5], v[8:9]
	s_waitcnt vmcnt(0)
	v_mov_b64_e32 v[2:3], v[8:9]
	s_and_saveexec_b64 s[70:71], vcc
	s_cbranch_execz .LBB49_62
; %bb.59:                               ;   in Loop: Header=BB49_7 Depth=1
	s_mov_b32 s88, 0
	s_mov_b64 s[86:87], 0
	v_mov_b32_e32 v8, v34
	v_mov_b32_e32 v17, v13
	s_mov_b32 s89, s88
	s_mov_b32 s90, s88
	;; [unrolled: 1-line block ×3, first 2 shown]
.LBB49_60:                              ;   Parent Loop BB49_7 Depth=1
                                        ; =>  This Inner Loop Header: Depth=2
	ds_read_b128 v[2:5], v8
	v_add_u32_e32 v17, s75, v17
	v_cmp_le_i32_e32 vcc, s17, v17
	v_add_u32_e32 v8, s85, v8
	s_waitcnt lgkmcnt(0)
	v_cmp_lt_i32_e64 s[2:3], -1, v3
	v_cmp_o_f32_e64 s[20:21], v4, v4
	s_nop 0
	v_cndmask_b32_e64 v18, -1, v36, s[2:3]
	v_cmp_lt_i32_e64 s[2:3], -1, v2
	v_cmp_o_f32_e64 s[22:23], v5, v5
	v_cmp_o_f32_e64 s[24:25], v3, v3
	v_cndmask_b32_e64 v20, -1, v36, s[2:3]
	v_cmp_lt_i32_e64 s[2:3], -1, v5
	v_xor_b32_e32 v20, v20, v2
	s_nop 0
	v_cndmask_b32_e64 v21, -1, v36, s[2:3]
	v_cmp_lt_i32_e64 s[2:3], -1, v4
	s_nop 1
	v_cndmask_b32_e64 v22, -1, v36, s[2:3]
	v_cmp_o_f32_e64 s[2:3], v2, v2
	v_xor_b32_e32 v2, v22, v4
	v_xor_b32_e32 v4, v21, v5
	;; [unrolled: 1-line block ×3, first 2 shown]
	v_cndmask_b32_e64 v3, -1, v5, s[24:25]
	v_cndmask_b32_e64 v5, -1, v20, s[2:3]
	v_and_b32_e32 v18, v5, v39
	v_lshrrev_b32_e32 v5, v37, v5
	v_cndmask_b32_e64 v2, -1, v2, s[20:21]
	v_and_b32_e32 v20, v3, v39
	v_lshrrev_b32_e32 v3, v37, v3
	v_and_b32_e32 v5, 3, v5
	v_and_b32_e32 v21, v2, v39
	v_lshrrev_b32_e32 v2, v37, v2
	v_cmp_eq_u32_e64 s[2:3], v18, v30
	v_and_b32_e32 v3, 3, v3
	v_cmp_eq_u32_e64 s[26:27], 0, v5
	v_cndmask_b32_e64 v4, -1, v4, s[22:23]
	v_cmp_eq_u32_e64 s[20:21], v20, v30
	v_and_b32_e32 v2, 3, v2
	v_cmp_eq_u32_e64 s[28:29], 0, v3
	s_and_b64 s[26:27], s[2:3], s[26:27]
	v_and_b32_e32 v22, v4, v39
	v_lshrrev_b32_e32 v4, v37, v4
	v_cmp_eq_u32_e64 s[30:31], 1, v5
	v_cmp_eq_u32_e64 s[44:45], 0, v2
	;; [unrolled: 1-line block ×5, first 2 shown]
	v_cndmask_b32_e64 v2, 0, 1, s[26:27]
	s_and_b64 s[26:27], s[20:21], s[28:29]
	v_and_b32_e32 v4, 3, v4
	v_cmp_eq_u32_e64 s[34:35], 1, v3
	v_cmp_eq_u32_e64 s[38:39], 2, v3
	v_cmp_eq_u32_e64 s[40:41], 3, v3
	v_cndmask_b32_e64 v3, 0, 1, s[26:27]
	s_and_b64 s[26:27], s[2:3], s[30:31]
	v_cmp_eq_u32_e64 s[36:37], 2, v5
	v_cmp_eq_u32_e64 s[46:47], 0, v4
	v_cmp_eq_u32_e64 s[50:51], 1, v4
	v_cmp_eq_u32_e64 s[54:55], 2, v4
	v_cmp_eq_u32_e64 s[56:57], 3, v4
	v_cndmask_b32_e64 v4, 0, 1, s[26:27]
	s_and_b64 s[26:27], s[20:21], s[34:35]
	v_cmp_eq_u32_e64 s[42:43], 3, v5
	v_cndmask_b32_e64 v5, 0, 1, s[26:27]
	s_and_b64 s[26:27], s[2:3], s[36:37]
	v_cmp_eq_u32_e64 s[22:23], v21, v30
	;; [unrolled: 3-line block ×3, first 2 shown]
	v_cndmask_b32_e64 v20, 0, 1, s[26:27]
	s_and_b64 s[26:27], s[22:23], s[44:45]
	v_cndmask_b32_e64 v21, 0, 1, s[26:27]
	s_and_b64 s[26:27], s[24:25], s[46:47]
	;; [unrolled: 2-line block ×3, first 2 shown]
	s_and_b64 s[2:3], s[2:3], s[42:43]
	v_cndmask_b32_e64 v23, 0, 1, s[26:27]
	s_and_b64 s[26:27], s[24:25], s[50:51]
	v_cndmask_b32_e64 v45, 0, 1, s[2:3]
	;; [unrolled: 2-line block ×7, first 2 shown]
	v_cndmask_b32_e64 v48, 0, 1, s[2:3]
	v_cmp_ne_u32_e64 s[2:3], 0, v2
	v_cmp_ne_u32_e64 s[20:21], 0, v3
	;; [unrolled: 1-line block ×9, first 2 shown]
	s_bcnt1_i32_b64 s2, s[2:3]
	s_bcnt1_i32_b64 s3, s[20:21]
	;; [unrolled: 1-line block ×7, first 2 shown]
	v_cmp_ne_u32_e64 s[34:35], 0, v22
	v_cmp_ne_u32_e64 s[36:37], 0, v23
	;; [unrolled: 1-line block ×4, first 2 shown]
	s_bcnt1_i32_b64 s23, s[28:29]
	s_bcnt1_i32_b64 s31, s[46:47]
	s_add_i32 s2, s88, s2
	s_add_i32 s20, s89, s20
	;; [unrolled: 1-line block ×4, first 2 shown]
	v_cmp_ne_u32_e64 s[38:39], 0, v42
	v_cmp_ne_u32_e64 s[42:43], 0, v44
	;; [unrolled: 1-line block ×3, first 2 shown]
	s_bcnt1_i32_b64 s25, s[34:35]
	s_bcnt1_i32_b64 s26, s[36:37]
	;; [unrolled: 1-line block ×4, first 2 shown]
	s_add_i32 s20, s20, s21
	s_add_i32 s2, s2, s3
	;; [unrolled: 1-line block ×4, first 2 shown]
	s_bcnt1_i32_b64 s27, s[38:39]
	s_bcnt1_i32_b64 s29, s[42:43]
	;; [unrolled: 1-line block ×3, first 2 shown]
	s_add_i32 s2, s2, s24
	s_add_i32 s20, s20, s26
	;; [unrolled: 1-line block ×8, first 2 shown]
	s_or_b64 s[86:87], vcc, s[86:87]
	v_mov_b64_e32 v[2:3], s[88:89]
	v_mov_b64_e32 v[4:5], s[90:91]
	s_andn2_b64 exec, exec, s[86:87]
	s_cbranch_execnz .LBB49_60
; %bb.61:                               ;   in Loop: Header=BB49_7 Depth=1
	s_or_b64 exec, exec, s[86:87]
.LBB49_62:                              ;   in Loop: Header=BB49_7 Depth=1
	s_or_b64 exec, exec, s[70:71]
	v_add_u32_e32 v8, s17, v0
	v_cmp_gt_i32_e32 vcc, s16, v8
	s_and_saveexec_b64 s[28:29], vcc
	s_cbranch_execz .LBB49_66
; %bb.63:                               ;   in Loop: Header=BB49_7 Depth=1
	v_lshlrev_b32_e32 v17, 2, v8
	s_mov_b64 s[30:31], 0
.LBB49_64:                              ;   Parent Loop BB49_7 Depth=1
                                        ; =>  This Inner Loop Header: Depth=2
	ds_read_b32 v18, v17
	v_add_u32_e32 v8, s62, v8
	v_cmp_le_i32_e32 vcc, s16, v8
	v_add_u32_e32 v17, s75, v17
	s_waitcnt lgkmcnt(0)
	v_cmp_lt_i32_e64 s[2:3], -1, v18
	s_nop 1
	v_cndmask_b32_e64 v20, -1, v36, s[2:3]
	v_xor_b32_e32 v20, v20, v18
	v_cmp_o_f32_e64 s[2:3], v18, v18
	s_nop 1
	v_cndmask_b32_e64 v18, -1, v20, s[2:3]
	v_and_b32_e32 v20, v18, v39
	v_bfe_u32 v18, v18, v37, 2
	v_cmp_eq_u32_e64 s[2:3], v20, v30
	v_cmp_eq_u32_e64 s[20:21], 0, v18
	;; [unrolled: 1-line block ×3, first 2 shown]
	s_and_b64 s[20:21], s[2:3], s[20:21]
	v_cmp_eq_u32_e64 s[24:25], 2, v18
	v_cmp_eq_u32_e64 s[26:27], 3, v18
	v_cndmask_b32_e64 v18, 0, 1, s[20:21]
	s_and_b64 s[20:21], s[2:3], s[22:23]
	v_cndmask_b32_e64 v20, 0, 1, s[20:21]
	s_and_b64 s[20:21], s[2:3], s[24:25]
	s_and_b64 s[2:3], s[2:3], s[26:27]
	v_cndmask_b32_e64 v21, 0, 1, s[20:21]
	v_cndmask_b32_e64 v22, 0, 1, s[2:3]
	v_cmp_ne_u32_e64 s[2:3], 0, v18
	v_cmp_ne_u32_e64 s[20:21], 0, v20
	;; [unrolled: 1-line block ×4, first 2 shown]
	s_bcnt1_i32_b64 s2, s[2:3]
	s_bcnt1_i32_b64 s3, s[20:21]
	;; [unrolled: 1-line block ×4, first 2 shown]
	v_add_u32_e32 v3, s3, v3
	v_add_u32_e32 v2, s2, v2
	;; [unrolled: 1-line block ×3, first 2 shown]
	s_or_b64 s[30:31], vcc, s[30:31]
	v_add_u32_e32 v4, s17, v4
	s_andn2_b64 exec, exec, s[30:31]
	s_cbranch_execnz .LBB49_64
; %bb.65:                               ;   in Loop: Header=BB49_7 Depth=1
	s_or_b64 exec, exec, s[30:31]
.LBB49_66:                              ;   in Loop: Header=BB49_7 Depth=1
	s_or_b64 exec, exec, s[28:29]
	s_lshl_b32 s16, s61, 6
	s_and_saveexec_b64 s[2:3], s[18:19]
	s_cbranch_execnz .LBB49_38
	s_branch .LBB49_39
.LBB49_67:                              ;   in Loop: Header=BB49_7 Depth=1
	s_or_b64 exec, exec, s[22:23]
	s_waitcnt lgkmcnt(0)
	s_barrier
	s_and_saveexec_b64 s[2:3], s[0:1]
	s_cbranch_execz .LBB49_69
; %bb.68:                               ;   in Loop: Header=BB49_7 Depth=1
	ds_read_b32 v2, v9 offset:4104
	s_waitcnt lgkmcnt(0)
	ds_write_b32 v9, v2 offset:4096
.LBB49_69:                              ;   in Loop: Header=BB49_7 Depth=1
	s_or_b64 exec, exec, s[2:3]
	s_waitcnt lgkmcnt(0)
	s_barrier
	s_mov_b64 s[2:3], -1
	s_and_b64 vcc, exec, s[20:21]
	s_cbranch_vccnz .LBB49_23
	s_branch .LBB49_33
.LBB49_70:                              ;   in Loop: Header=BB49_7 Depth=1
	v_mov_b32_e32 v2, 0
	s_mov_b32 s17, 0
	s_cbranch_execnz .LBB49_75
	s_branch .LBB49_77
.LBB49_71:                              ;   in Loop: Header=BB49_7 Depth=1
	v_mov_b32_e32 v8, v9
	v_readlane_b32 s20, v54, 37
	v_mov_b64_e32 v[2:3], v[8:9]
	v_readlane_b32 s21, v54, 38
.LBB49_72:                              ;   in Loop: Header=BB49_7 Depth=1
	v_readlane_b32 s22, v54, 29
	v_readlane_b32 s23, v54, 30
	s_andn2_b64 vcc, exec, s[22:23]
	v_readlane_b32 s17, v54, 28
	s_cbranch_vccnz .LBB49_74
.LBB49_73:                              ;   Parent Loop BB49_7 Depth=1
                                        ; =>  This Inner Loop Header: Depth=2
	v_lshl_add_u32 v8, s20, 4, v5
	v_lshl_add_u32 v17, s21, 4, v5
	ds_read_b32 v17, v17
	ds_read_b32 v8, v8
	s_add_i32 s21, s21, 2
	s_add_i32 s20, s20, 2
	s_add_i32 s17, s17, -1
	s_cmp_lg_u32 s17, 0
	s_waitcnt lgkmcnt(1)
	v_add_u32_e32 v3, v17, v3
	s_waitcnt lgkmcnt(0)
	v_add_u32_e32 v2, v8, v2
	s_cbranch_scc1 .LBB49_73
.LBB49_74:                              ;   in Loop: Header=BB49_7 Depth=1
	v_readlane_b32 s20, v54, 33
	v_add_u32_e32 v2, v2, v3
	v_readlane_b32 s17, v54, 32
	v_readlane_b32 s21, v54, 34
	s_and_b64 vcc, exec, s[20:21]
	s_cbranch_vccz .LBB49_77
.LBB49_75:                              ;   in Loop: Header=BB49_7 Depth=1
	s_lshl_b32 s20, s61, 8
	s_lshl_b32 s21, s17, 4
	s_add_i32 s20, s20, s21
	v_add_u32_e32 v3, s20, v35
	v_readlane_b32 s20, v54, 31
	s_sub_i32 s17, s20, s17
.LBB49_76:                              ;   Parent Loop BB49_7 Depth=1
                                        ; =>  This Inner Loop Header: Depth=2
	ds_read_b32 v5, v3
	s_add_i32 s17, s17, -1
	v_add_u32_e32 v3, 16, v3
	s_cmp_eq_u32 s17, 0
	s_waitcnt lgkmcnt(0)
	v_add_u32_e32 v2, v5, v2
	s_cbranch_scc0 .LBB49_76
.LBB49_77:                              ;   in Loop: Header=BB49_7 Depth=1
	v_lshlrev_b32_e32 v3, 2, v4
	ds_write_b32 v3, v2 offset:3072
.LBB49_78:                              ;   in Loop: Header=BB49_7 Depth=1
	s_or_b64 exec, exec, s[2:3]
	s_lshl_b32 s2, s16, 2
	s_waitcnt vmcnt(0)
	v_mov_b32_e32 v2, s2
	s_waitcnt lgkmcnt(0)
	s_barrier
	ds_read_b128 v[2:5], v2 offset:3072
	v_cmp_eq_u32_e32 vcc, 1, v40
	s_mov_b64 s[20:21], -1
	s_mov_b64 s[28:29], -1
                                        ; implicit-def: $sgpr26_sgpr27
                                        ; implicit-def: $sgpr24_sgpr25
	s_waitcnt lgkmcnt(0)
	v_readfirstlane_b32 s17, v2
	s_cmp_eq_u32 s17, 1
	v_readfirstlane_b32 s54, v4
	v_lshlrev_b32_e64 v4, v37, 3
	s_cselect_b64 s[2:3], -1, 0
	v_readfirstlane_b32 s16, v3
	v_readfirstlane_b32 s86, v5
	v_not_b32_e32 v8, v4
	s_and_b64 s[22:23], s[2:3], vcc
	s_and_saveexec_b64 s[2:3], s[22:23]
	s_cbranch_execz .LBB49_106
; %bb.79:                               ;   in Loop: Header=BB49_7 Depth=1
	ds_read_b32 v2, v9 offset:4096
	s_waitcnt lgkmcnt(0)
	s_barrier
	v_readfirstlane_b32 s42, v2
	s_and_saveexec_b64 s[24:25], s[4:5]
; %bb.80:                               ;   in Loop: Header=BB49_7 Depth=1
	ds_write_b32 v25, v9
; %bb.81:                               ;   in Loop: Header=BB49_7 Depth=1
	s_or_b64 exec, exec, s[24:25]
	v_and_b32_e32 v30, v30, v8
	v_or_b32_e32 v39, v39, v4
	s_mov_b64 s[24:25], -1
	s_mov_b64 s[26:27], 0
	s_cmp_lt_i32 s42, 1
	s_mov_b64 s[28:29], 0
	s_mov_b64 s[30:31], -1
	s_waitcnt lgkmcnt(0)
	s_barrier
                                        ; implicit-def: $vgpr19
	s_cbranch_scc0 .LBB49_93
; %bb.82:                               ;   in Loop: Header=BB49_7 Depth=1
	s_mov_b64 s[30:31], 0
                                        ; implicit-def: $vgpr19
	s_mov_b64 s[34:35], exec
	v_readlane_b32 s36, v54, 35
	v_readlane_b32 s37, v54, 36
	s_and_b64 s[36:37], s[34:35], s[36:37]
	s_mov_b64 exec, s[36:37]
	s_cbranch_execz .LBB49_92
; %bb.83:                               ;   in Loop: Header=BB49_7 Depth=1
	v_mov_b32_e32 v2, v6
	v_mov_b32_e32 v5, v0
                                        ; implicit-def: $sgpr36_sgpr37
	s_branch .LBB49_87
.LBB49_84:                              ;   in Loop: Header=BB49_87 Depth=2
	s_or_b64 exec, exec, s[38:39]
	s_waitcnt lgkmcnt(0)
	s_barrier
	ds_read_b64 v[18:19], v9 offset:3072
	s_waitcnt lgkmcnt(0)
	s_barrier
	v_cmp_neq_f32_e32 vcc, 0, v18
	s_cbranch_vccnz .LBB49_90
; %bb.85:                               ;   in Loop: Header=BB49_87 Depth=2
	v_add_u32_e32 v5, s62, v5
	v_cmp_le_i32_e32 vcc, s83, v5
	v_add_u32_e32 v2, s74, v2
	s_mov_b64 s[38:39], 0
	s_orn2_b64 s[40:41], vcc, exec
.LBB49_86:                              ;   in Loop: Header=BB49_87 Depth=2
	s_and_b64 s[40:41], exec, s[40:41]
	s_or_b64 s[28:29], s[40:41], s[28:29]
	s_andn2_b64 s[36:37], s[36:37], exec
	s_and_b64 s[38:39], s[38:39], exec
	s_or_b64 s[36:37], s[36:37], s[38:39]
	s_andn2_b64 exec, exec, s[28:29]
	s_cbranch_execz .LBB49_91
.LBB49_87:                              ;   Parent Loop BB49_7 Depth=1
                                        ; =>  This Inner Loop Header: Depth=2
	v_cmp_gt_i32_e32 vcc, s60, v5
	s_and_saveexec_b64 s[38:39], vcc
	s_cbranch_execz .LBB49_84
; %bb.88:                               ;   in Loop: Header=BB49_87 Depth=2
	v_ashrrev_i32_e32 v3, 31, v2
	v_lshl_add_u64 v[18:19], v[2:3], 2, s[72:73]
	global_load_dword v17, v[18:19], off
	s_waitcnt vmcnt(0)
	v_cmp_lt_i32_e32 vcc, -1, v17
	s_nop 1
	v_cndmask_b32_e32 v3, -1, v36, vcc
	v_xor_b32_e32 v3, v3, v17
	v_cmp_o_f32_e32 vcc, v17, v17
	s_nop 1
	v_cndmask_b32_e32 v3, -1, v3, vcc
	v_and_b32_e32 v3, v3, v39
	v_cmp_eq_u32_e32 vcc, v3, v30
	s_and_b64 exec, exec, vcc
	s_cbranch_execz .LBB49_84
; %bb.89:                               ;   in Loop: Header=BB49_87 Depth=2
	ds_write_b64 v9, v[16:17] offset:3072
	s_branch .LBB49_84
.LBB49_90:                              ;   in Loop: Header=BB49_87 Depth=2
	s_mov_b64 s[40:41], -1
                                        ; implicit-def: $vgpr5
                                        ; implicit-def: $vgpr2
	s_mov_b64 s[38:39], -1
	s_branch .LBB49_86
.LBB49_91:                              ;   in Loop: Header=BB49_7 Depth=1
	s_or_b64 exec, exec, s[28:29]
	s_and_b64 s[28:29], s[36:37], exec
.LBB49_92:                              ;   in Loop: Header=BB49_7 Depth=1
	s_or_b64 exec, exec, s[34:35]
.LBB49_93:                              ;   in Loop: Header=BB49_7 Depth=1
	s_and_b64 vcc, exec, s[30:31]
	s_cbranch_vccz .LBB49_105
; %bb.94:                               ;   in Loop: Header=BB49_7 Depth=1
	s_add_i32 s38, s42, s33
	s_abs_i32 s25, s38
	s_mul_hi_u32 s26, s25, s82
	s_mul_i32 s26, s26, s62
	s_sub_i32 s25, s25, s26
	s_ashr_i32 s24, s38, 31
	s_sub_i32 s26, s25, s62
	s_cmp_ge_u32 s25, s62
	s_cselect_b32 s25, s26, s25
	s_sub_i32 s26, s25, s62
	s_cmp_ge_u32 s25, s62
	s_cselect_b32 s25, s26, s25
	s_xor_b32 s25, s25, s24
	s_sub_i32 s24, s24, s25
	s_add_i32 s38, s38, s24
	v_cmp_gt_i32_e32 vcc, s38, v0
                                        ; implicit-def: $vgpr19
	s_and_saveexec_b64 s[24:25], vcc
	s_cbranch_execz .LBB49_104
; %bb.95:                               ;   in Loop: Header=BB49_7 Depth=1
	s_mov_b64 s[26:27], 0
	v_mov_b32_e32 v2, v13
	v_mov_b32_e32 v3, v0
                                        ; implicit-def: $sgpr30_sgpr31
	s_branch .LBB49_99
.LBB49_96:                              ;   in Loop: Header=BB49_99 Depth=2
	s_or_b64 exec, exec, s[34:35]
	s_waitcnt lgkmcnt(0)
	s_barrier
	ds_read_b64 v[18:19], v9 offset:3072
	s_waitcnt lgkmcnt(0)
	s_barrier
	v_cmp_neq_f32_e32 vcc, 0, v18
	s_cbranch_vccnz .LBB49_102
; %bb.97:                               ;   in Loop: Header=BB49_99 Depth=2
	v_add_u32_e32 v3, s62, v3
	v_cmp_le_i32_e32 vcc, s38, v3
	v_add_u32_e32 v2, s75, v2
	s_mov_b64 s[34:35], 0
	s_orn2_b64 s[36:37], vcc, exec
.LBB49_98:                              ;   in Loop: Header=BB49_99 Depth=2
	s_and_b64 s[36:37], exec, s[36:37]
	s_or_b64 s[26:27], s[36:37], s[26:27]
	s_andn2_b64 s[30:31], s[30:31], exec
	s_and_b64 s[34:35], s[34:35], exec
	s_or_b64 s[30:31], s[30:31], s[34:35]
	s_andn2_b64 exec, exec, s[26:27]
	s_cbranch_execz .LBB49_103
.LBB49_99:                              ;   Parent Loop BB49_7 Depth=1
                                        ; =>  This Inner Loop Header: Depth=2
	v_cmp_gt_i32_e32 vcc, s42, v3
	s_and_saveexec_b64 s[34:35], vcc
	s_cbranch_execz .LBB49_96
; %bb.100:                              ;   in Loop: Header=BB49_99 Depth=2
	ds_read_b32 v17, v2
	s_waitcnt lgkmcnt(0)
	v_cmp_lt_i32_e32 vcc, -1, v17
	s_nop 1
	v_cndmask_b32_e32 v5, -1, v36, vcc
	v_xor_b32_e32 v5, v5, v17
	v_cmp_o_f32_e32 vcc, v17, v17
	s_nop 1
	v_cndmask_b32_e32 v5, -1, v5, vcc
	v_and_b32_e32 v5, v5, v39
	v_cmp_eq_u32_e32 vcc, v5, v30
	s_and_b64 exec, exec, vcc
	s_cbranch_execz .LBB49_96
; %bb.101:                              ;   in Loop: Header=BB49_99 Depth=2
	ds_write_b64 v9, v[16:17] offset:3072
	s_branch .LBB49_96
.LBB49_102:                             ;   in Loop: Header=BB49_99 Depth=2
	s_mov_b64 s[36:37], -1
                                        ; implicit-def: $vgpr3
                                        ; implicit-def: $vgpr2
	s_mov_b64 s[34:35], -1
	s_branch .LBB49_98
.LBB49_103:                             ;   in Loop: Header=BB49_7 Depth=1
	s_or_b64 exec, exec, s[26:27]
	s_andn2_b64 s[26:27], s[28:29], exec
	s_and_b64 s[28:29], s[30:31], exec
	s_or_b64 s[28:29], s[26:27], s[28:29]
.LBB49_104:                             ;   in Loop: Header=BB49_7 Depth=1
	s_or_b64 exec, exec, s[24:25]
	s_mov_b64 s[24:25], 0
	s_mov_b64 s[26:27], -1
.LBB49_105:                             ;   in Loop: Header=BB49_7 Depth=1
	s_orn2_b64 s[28:29], s[28:29], exec
.LBB49_106:                             ;   in Loop: Header=BB49_7 Depth=1
	s_or_b64 exec, exec, s[2:3]
	s_andn2_b64 s[2:3], s[68:69], exec
	s_and_b64 s[26:27], s[26:27], exec
	s_or_b64 s[68:69], s[2:3], s[26:27]
	s_andn2_b64 s[2:3], s[66:67], exec
	s_and_b64 s[24:25], s[24:25], exec
	v_readfirstlane_b32 s34, v0
	s_andn2_b64 s[64:65], s[64:65], exec
	s_or_b64 s[66:67], s[2:3], s[24:25]
                                        ; implicit-def: $vgpr20
	s_and_saveexec_b64 s[2:3], s[28:29]
	s_cbranch_execz .LBB49_6
; %bb.107:                              ;   in Loop: Header=BB49_7 Depth=1
	s_xor_b64 s[24:25], s[22:23], -1
	s_mov_b64 s[22:23], 0
	v_mov_b32_e32 v20, 1
	v_mov_b32_e32 v5, 1
	s_and_saveexec_b64 s[20:21], s[24:25]
	s_cbranch_execz .LBB49_116
; %bb.108:                              ;   in Loop: Header=BB49_7 Depth=1
	v_cmp_ge_i32_e32 vcc, s17, v40
	s_and_saveexec_b64 s[22:23], vcc
	s_xor_b64 s[22:23], exec, s[22:23]
	s_cbranch_execz .LBB49_113
; %bb.109:                              ;   in Loop: Header=BB49_7 Depth=1
	ds_read_b32 v2, v9 offset:4096
	v_and_b32_e32 v30, v30, v8
	v_or_b32_e32 v39, v39, v4
	s_waitcnt lgkmcnt(0)
	v_cmp_ne_u32_e32 vcc, 0, v2
	s_cbranch_vccnz .LBB49_113
; %bb.110:                              ;   in Loop: Header=BB49_7 Depth=1
	s_and_saveexec_b64 s[24:25], s[0:1]
; %bb.111:                              ;   in Loop: Header=BB49_7 Depth=1
	v_mov_b32_e32 v2, s17
	ds_write_b32 v9, v2 offset:4100
; %bb.112:                              ;   in Loop: Header=BB49_7 Depth=1
	s_or_b64 exec, exec, s[24:25]
	s_waitcnt lgkmcnt(0)
	s_barrier
.LBB49_113:                             ;   in Loop: Header=BB49_7 Depth=1
	s_or_saveexec_b64 s[22:23], s[22:23]
	s_mov_b64 s[24:25], 0
	v_mov_b32_e32 v5, 8
	s_xor_b64 exec, exec, s[22:23]
; %bb.114:                              ;   in Loop: Header=BB49_7 Depth=1
	s_mov_b64 s[24:25], exec
	v_subrev_u32_e32 v40, s17, v40
	v_mov_b32_e32 v5, 0
; %bb.115:                              ;   in Loop: Header=BB49_7 Depth=1
	s_or_b64 exec, exec, s[22:23]
	s_and_b64 s[22:23], s[24:25], exec
	v_mov_b32_e32 v20, v40
.LBB49_116:                             ;   in Loop: Header=BB49_7 Depth=1
	s_or_b64 exec, exec, s[20:21]
	s_mov_b64 s[20:21], -1
	s_mov_b64 s[28:29], -1
                                        ; implicit-def: $sgpr24_sgpr25
                                        ; implicit-def: $sgpr26_sgpr27
	s_and_saveexec_b64 s[30:31], s[22:23]
	s_xor_b64 s[22:23], exec, s[30:31]
	s_cbranch_execz .LBB49_239
; %bb.117:                              ;   in Loop: Header=BB49_7 Depth=1
	s_cmp_eq_u32 s16, 1
	s_cselect_b64 s[24:25], -1, 0
	v_cmp_eq_u32_e32 vcc, 1, v20
	s_and_b64 s[30:31], s[24:25], vcc
	s_mov_b64 s[34:35], -1
                                        ; implicit-def: $sgpr26_sgpr27
                                        ; implicit-def: $sgpr24_sgpr25
	s_and_saveexec_b64 s[28:29], s[30:31]
	s_cbranch_execz .LBB49_145
; %bb.118:                              ;   in Loop: Header=BB49_7 Depth=1
	ds_read_b32 v2, v9 offset:4096
	s_waitcnt lgkmcnt(0)
	s_barrier
	v_readfirstlane_b32 s17, v2
	s_and_saveexec_b64 s[24:25], s[4:5]
; %bb.119:                              ;   in Loop: Header=BB49_7 Depth=1
	ds_write_b32 v25, v9
; %bb.120:                              ;   in Loop: Header=BB49_7 Depth=1
	s_or_b64 exec, exec, s[24:25]
	v_and_b32_e32 v2, v30, v8
	v_lshl_or_b32 v30, 1, v37, v2
	v_or_b32_e32 v39, v39, v4
	s_mov_b64 s[24:25], -1
	s_mov_b64 s[26:27], 0
	s_cmp_gt_i32 s17, 0
	s_mov_b64 s[34:35], 0
	s_mov_b64 s[36:37], -1
	s_waitcnt lgkmcnt(0)
	s_barrier
                                        ; implicit-def: $vgpr19
	s_cbranch_scc1 .LBB49_132
; %bb.121:                              ;   in Loop: Header=BB49_7 Depth=1
	s_mov_b64 s[36:37], 0
                                        ; implicit-def: $vgpr19
	s_mov_b64 s[38:39], exec
	v_readlane_b32 s40, v54, 35
	v_readlane_b32 s41, v54, 36
	s_and_b64 s[40:41], s[38:39], s[40:41]
	s_mov_b64 exec, s[40:41]
	s_cbranch_execz .LBB49_131
; %bb.122:                              ;   in Loop: Header=BB49_7 Depth=1
	v_mov_b32_e32 v2, v6
	v_mov_b32_e32 v21, v0
                                        ; implicit-def: $sgpr40_sgpr41
	s_branch .LBB49_126
.LBB49_123:                             ;   in Loop: Header=BB49_126 Depth=2
	s_or_b64 exec, exec, s[42:43]
	s_waitcnt lgkmcnt(0)
	s_barrier
	ds_read_b64 v[18:19], v9 offset:3072
	s_waitcnt lgkmcnt(0)
	s_barrier
	v_cmp_neq_f32_e32 vcc, 0, v18
	s_cbranch_vccnz .LBB49_129
; %bb.124:                              ;   in Loop: Header=BB49_126 Depth=2
	v_add_u32_e32 v21, s62, v21
	v_cmp_le_i32_e32 vcc, s83, v21
	v_add_u32_e32 v2, s74, v2
	s_mov_b64 s[42:43], 0
	s_orn2_b64 s[44:45], vcc, exec
.LBB49_125:                             ;   in Loop: Header=BB49_126 Depth=2
	s_and_b64 s[44:45], exec, s[44:45]
	s_or_b64 s[34:35], s[44:45], s[34:35]
	s_andn2_b64 s[40:41], s[40:41], exec
	s_and_b64 s[42:43], s[42:43], exec
	s_or_b64 s[40:41], s[40:41], s[42:43]
	s_andn2_b64 exec, exec, s[34:35]
	s_cbranch_execz .LBB49_130
.LBB49_126:                             ;   Parent Loop BB49_7 Depth=1
                                        ; =>  This Inner Loop Header: Depth=2
	v_cmp_gt_i32_e32 vcc, s60, v21
	s_and_saveexec_b64 s[42:43], vcc
	s_cbranch_execz .LBB49_123
; %bb.127:                              ;   in Loop: Header=BB49_126 Depth=2
	v_ashrrev_i32_e32 v3, 31, v2
	v_lshl_add_u64 v[18:19], v[2:3], 2, s[72:73]
	global_load_dword v17, v[18:19], off
	s_waitcnt vmcnt(0)
	v_cmp_lt_i32_e32 vcc, -1, v17
	s_nop 1
	v_cndmask_b32_e32 v3, -1, v36, vcc
	v_xor_b32_e32 v3, v3, v17
	v_cmp_o_f32_e32 vcc, v17, v17
	s_nop 1
	v_cndmask_b32_e32 v3, -1, v3, vcc
	v_and_b32_e32 v3, v3, v39
	v_cmp_eq_u32_e32 vcc, v3, v30
	s_and_b64 exec, exec, vcc
	s_cbranch_execz .LBB49_123
; %bb.128:                              ;   in Loop: Header=BB49_126 Depth=2
	ds_write_b64 v9, v[16:17] offset:3072
	s_branch .LBB49_123
.LBB49_129:                             ;   in Loop: Header=BB49_126 Depth=2
	s_mov_b64 s[44:45], -1
                                        ; implicit-def: $vgpr21
                                        ; implicit-def: $vgpr2
	s_mov_b64 s[42:43], -1
	s_branch .LBB49_125
.LBB49_130:                             ;   in Loop: Header=BB49_7 Depth=1
	s_or_b64 exec, exec, s[34:35]
	s_and_b64 s[34:35], s[40:41], exec
.LBB49_131:                             ;   in Loop: Header=BB49_7 Depth=1
	s_or_b64 exec, exec, s[38:39]
.LBB49_132:                             ;   in Loop: Header=BB49_7 Depth=1
	s_and_b64 vcc, exec, s[36:37]
	s_cbranch_vccz .LBB49_144
; %bb.133:                              ;   in Loop: Header=BB49_7 Depth=1
	s_add_i32 s42, s17, s33
	s_abs_i32 s25, s42
	s_mul_hi_u32 s26, s25, s82
	s_mul_i32 s26, s26, s62
	s_sub_i32 s25, s25, s26
	s_ashr_i32 s24, s42, 31
	s_sub_i32 s26, s25, s62
	s_cmp_ge_u32 s25, s62
	s_cselect_b32 s25, s26, s25
	s_sub_i32 s26, s25, s62
	s_cmp_ge_u32 s25, s62
	s_cselect_b32 s25, s26, s25
	s_xor_b32 s25, s25, s24
	s_sub_i32 s24, s24, s25
	s_add_i32 s42, s42, s24
	v_cmp_gt_i32_e32 vcc, s42, v0
                                        ; implicit-def: $vgpr19
	s_and_saveexec_b64 s[24:25], vcc
	s_cbranch_execz .LBB49_143
; %bb.134:                              ;   in Loop: Header=BB49_7 Depth=1
	s_mov_b64 s[26:27], 0
	v_mov_b32_e32 v2, v13
	v_mov_b32_e32 v3, v0
                                        ; implicit-def: $sgpr36_sgpr37
	s_branch .LBB49_138
.LBB49_135:                             ;   in Loop: Header=BB49_138 Depth=2
	s_or_b64 exec, exec, s[38:39]
	s_waitcnt lgkmcnt(0)
	s_barrier
	ds_read_b64 v[18:19], v9 offset:3072
	s_waitcnt lgkmcnt(0)
	s_barrier
	v_cmp_eq_f32_e32 vcc, 0, v18
	s_cbranch_vccz .LBB49_141
; %bb.136:                              ;   in Loop: Header=BB49_138 Depth=2
	v_add_u32_e32 v3, s62, v3
	v_cmp_le_i32_e32 vcc, s42, v3
	v_add_u32_e32 v2, s75, v2
	s_mov_b64 s[38:39], 0
	s_orn2_b64 s[40:41], vcc, exec
.LBB49_137:                             ;   in Loop: Header=BB49_138 Depth=2
	s_and_b64 s[40:41], exec, s[40:41]
	s_or_b64 s[26:27], s[40:41], s[26:27]
	s_andn2_b64 s[36:37], s[36:37], exec
	s_and_b64 s[38:39], s[38:39], exec
	s_or_b64 s[36:37], s[36:37], s[38:39]
	s_andn2_b64 exec, exec, s[26:27]
	s_cbranch_execz .LBB49_142
.LBB49_138:                             ;   Parent Loop BB49_7 Depth=1
                                        ; =>  This Inner Loop Header: Depth=2
	v_cmp_gt_i32_e32 vcc, s17, v3
	s_and_saveexec_b64 s[38:39], vcc
	s_cbranch_execz .LBB49_135
; %bb.139:                              ;   in Loop: Header=BB49_138 Depth=2
	ds_read_b32 v17, v2
	s_waitcnt lgkmcnt(0)
	v_cmp_lt_i32_e32 vcc, -1, v17
	s_nop 1
	v_cndmask_b32_e32 v18, -1, v36, vcc
	v_xor_b32_e32 v18, v18, v17
	v_cmp_o_f32_e32 vcc, v17, v17
	s_nop 1
	v_cndmask_b32_e32 v18, -1, v18, vcc
	v_and_b32_e32 v18, v18, v39
	v_cmp_eq_u32_e32 vcc, v18, v30
	s_and_b64 exec, exec, vcc
	s_cbranch_execz .LBB49_135
; %bb.140:                              ;   in Loop: Header=BB49_138 Depth=2
	ds_write_b64 v9, v[16:17] offset:3072
	s_branch .LBB49_135
.LBB49_141:                             ;   in Loop: Header=BB49_138 Depth=2
	s_mov_b64 s[40:41], -1
                                        ; implicit-def: $vgpr3
                                        ; implicit-def: $vgpr2
	s_mov_b64 s[38:39], -1
	s_branch .LBB49_137
.LBB49_142:                             ;   in Loop: Header=BB49_7 Depth=1
	s_or_b64 exec, exec, s[26:27]
	s_andn2_b64 s[26:27], s[34:35], exec
	s_and_b64 s[34:35], s[36:37], exec
	s_or_b64 s[34:35], s[26:27], s[34:35]
.LBB49_143:                             ;   in Loop: Header=BB49_7 Depth=1
	s_or_b64 exec, exec, s[24:25]
	s_mov_b64 s[24:25], 0
	s_mov_b64 s[26:27], -1
.LBB49_144:                             ;   in Loop: Header=BB49_7 Depth=1
	s_orn2_b64 s[34:35], s[34:35], exec
.LBB49_145:                             ;   in Loop: Header=BB49_7 Depth=1
	s_or_b64 exec, exec, s[28:29]
	s_mov_b64 s[36:37], 0
	s_and_saveexec_b64 s[28:29], s[34:35]
	s_cbranch_execz .LBB49_238
; %bb.146:                              ;   in Loop: Header=BB49_7 Depth=1
	s_xor_b64 s[34:35], s[30:31], -1
	s_mov_b64 s[40:41], 0
	v_mov_b32_e32 v21, 1
	v_mov_b32_e32 v5, 1
	s_and_saveexec_b64 s[30:31], s[34:35]
	s_cbranch_execz .LBB49_155
; %bb.147:                              ;   in Loop: Header=BB49_7 Depth=1
	v_cmp_ge_i32_e32 vcc, s16, v20
	s_and_saveexec_b64 s[34:35], vcc
	s_xor_b64 s[34:35], exec, s[34:35]
	s_cbranch_execz .LBB49_152
; %bb.148:                              ;   in Loop: Header=BB49_7 Depth=1
	ds_read_b32 v2, v9 offset:4096
	v_and_b32_e32 v3, v30, v8
	v_lshl_or_b32 v30, 1, v37, v3
	v_or_b32_e32 v39, v39, v4
	s_waitcnt lgkmcnt(0)
	v_cmp_ne_u32_e32 vcc, 0, v2
	s_cbranch_vccnz .LBB49_152
; %bb.149:                              ;   in Loop: Header=BB49_7 Depth=1
	s_and_saveexec_b64 s[36:37], s[0:1]
; %bb.150:                              ;   in Loop: Header=BB49_7 Depth=1
	v_mov_b32_e32 v2, s16
	ds_write_b32 v9, v2 offset:4100
; %bb.151:                              ;   in Loop: Header=BB49_7 Depth=1
	s_or_b64 exec, exec, s[36:37]
	s_waitcnt lgkmcnt(0)
	s_barrier
.LBB49_152:                             ;   in Loop: Header=BB49_7 Depth=1
	s_or_saveexec_b64 s[34:35], s[34:35]
	s_mov_b64 s[36:37], 0
	v_mov_b32_e32 v5, 8
	s_xor_b64 exec, exec, s[34:35]
; %bb.153:                              ;   in Loop: Header=BB49_7 Depth=1
	s_mov_b64 s[36:37], exec
	v_subrev_u32_e32 v20, s16, v20
	v_mov_b32_e32 v5, 0
; %bb.154:                              ;   in Loop: Header=BB49_7 Depth=1
	s_or_b64 exec, exec, s[34:35]
	s_and_b64 s[40:41], s[36:37], exec
	v_mov_b32_e32 v21, v20
.LBB49_155:                             ;   in Loop: Header=BB49_7 Depth=1
	s_or_b64 exec, exec, s[30:31]
	s_mov_b64 s[38:39], -1
                                        ; implicit-def: $sgpr34_sgpr35
                                        ; implicit-def: $sgpr36_sgpr37
	s_and_saveexec_b64 s[30:31], s[40:41]
	s_cbranch_execz .LBB49_237
; %bb.156:                              ;   in Loop: Header=BB49_7 Depth=1
	s_cmp_eq_u32 s54, 1
	s_cselect_b64 s[16:17], -1, 0
	v_cmp_eq_u32_e32 vcc, 1, v21
	s_and_b64 s[40:41], s[16:17], vcc
	s_mov_b64 s[42:43], -1
                                        ; implicit-def: $sgpr36_sgpr37
                                        ; implicit-def: $sgpr34_sgpr35
	s_and_saveexec_b64 s[38:39], s[40:41]
	s_cbranch_execz .LBB49_184
; %bb.157:                              ;   in Loop: Header=BB49_7 Depth=1
	ds_read_b32 v2, v9 offset:4096
	s_waitcnt lgkmcnt(0)
	s_barrier
	v_readfirstlane_b32 s16, v2
	s_and_saveexec_b64 s[34:35], s[4:5]
; %bb.158:                              ;   in Loop: Header=BB49_7 Depth=1
	ds_write_b32 v25, v9
; %bb.159:                              ;   in Loop: Header=BB49_7 Depth=1
	s_or_b64 exec, exec, s[34:35]
	v_and_b32_e32 v2, v30, v8
	v_lshl_or_b32 v30, 2, v37, v2
	v_or_b32_e32 v39, v39, v4
	s_mov_b64 s[34:35], -1
	s_mov_b64 s[36:37], 0
	s_cmp_gt_i32 s16, 0
	s_mov_b64 s[42:43], 0
	s_mov_b64 s[44:45], -1
	s_waitcnt lgkmcnt(0)
	s_barrier
                                        ; implicit-def: $vgpr19
	s_cbranch_scc1 .LBB49_171
; %bb.160:                              ;   in Loop: Header=BB49_7 Depth=1
	s_mov_b64 s[44:45], 0
                                        ; implicit-def: $vgpr19
	s_mov_b64 s[46:47], exec
	v_readlane_b32 s48, v54, 35
	v_readlane_b32 s49, v54, 36
	s_and_b64 s[48:49], s[46:47], s[48:49]
	s_mov_b64 exec, s[48:49]
	s_cbranch_execz .LBB49_170
; %bb.161:                              ;   in Loop: Header=BB49_7 Depth=1
	v_mov_b32_e32 v2, v6
	v_mov_b32_e32 v20, v0
                                        ; implicit-def: $sgpr48_sgpr49
	s_branch .LBB49_165
.LBB49_162:                             ;   in Loop: Header=BB49_165 Depth=2
	s_or_b64 exec, exec, s[50:51]
	s_waitcnt lgkmcnt(0)
	s_barrier
	ds_read_b64 v[18:19], v9 offset:3072
	s_waitcnt lgkmcnt(0)
	s_barrier
	v_cmp_neq_f32_e32 vcc, 0, v18
	s_cbranch_vccnz .LBB49_168
; %bb.163:                              ;   in Loop: Header=BB49_165 Depth=2
	v_add_u32_e32 v20, s62, v20
	v_cmp_le_i32_e32 vcc, s83, v20
	v_add_u32_e32 v2, s74, v2
	s_mov_b64 s[50:51], 0
	s_orn2_b64 s[52:53], vcc, exec
.LBB49_164:                             ;   in Loop: Header=BB49_165 Depth=2
	s_and_b64 s[52:53], exec, s[52:53]
	s_or_b64 s[42:43], s[52:53], s[42:43]
	s_andn2_b64 s[48:49], s[48:49], exec
	s_and_b64 s[50:51], s[50:51], exec
	s_or_b64 s[48:49], s[48:49], s[50:51]
	s_andn2_b64 exec, exec, s[42:43]
	s_cbranch_execz .LBB49_169
.LBB49_165:                             ;   Parent Loop BB49_7 Depth=1
                                        ; =>  This Inner Loop Header: Depth=2
	v_cmp_gt_i32_e32 vcc, s60, v20
	s_and_saveexec_b64 s[50:51], vcc
	s_cbranch_execz .LBB49_162
; %bb.166:                              ;   in Loop: Header=BB49_165 Depth=2
	v_ashrrev_i32_e32 v3, 31, v2
	v_lshl_add_u64 v[18:19], v[2:3], 2, s[72:73]
	global_load_dword v17, v[18:19], off
	s_waitcnt vmcnt(0)
	v_cmp_lt_i32_e32 vcc, -1, v17
	s_nop 1
	v_cndmask_b32_e32 v3, -1, v36, vcc
	v_xor_b32_e32 v3, v3, v17
	v_cmp_o_f32_e32 vcc, v17, v17
	s_nop 1
	v_cndmask_b32_e32 v3, -1, v3, vcc
	v_and_b32_e32 v3, v3, v39
	v_cmp_eq_u32_e32 vcc, v3, v30
	s_and_b64 exec, exec, vcc
	s_cbranch_execz .LBB49_162
; %bb.167:                              ;   in Loop: Header=BB49_165 Depth=2
	ds_write_b64 v9, v[16:17] offset:3072
	s_branch .LBB49_162
.LBB49_168:                             ;   in Loop: Header=BB49_165 Depth=2
	s_mov_b64 s[52:53], -1
                                        ; implicit-def: $vgpr20
                                        ; implicit-def: $vgpr2
	s_mov_b64 s[50:51], -1
	s_branch .LBB49_164
.LBB49_169:                             ;   in Loop: Header=BB49_7 Depth=1
	s_or_b64 exec, exec, s[42:43]
	s_and_b64 s[42:43], s[48:49], exec
.LBB49_170:                             ;   in Loop: Header=BB49_7 Depth=1
	s_or_b64 exec, exec, s[46:47]
.LBB49_171:                             ;   in Loop: Header=BB49_7 Depth=1
	s_and_b64 vcc, exec, s[44:45]
	s_cbranch_vccz .LBB49_183
; %bb.172:                              ;   in Loop: Header=BB49_7 Depth=1
	s_add_i32 s17, s16, s33
	s_abs_i32 s35, s17
	s_mul_hi_u32 s36, s35, s82
	s_mul_i32 s36, s36, s62
	s_sub_i32 s35, s35, s36
	s_ashr_i32 s34, s17, 31
	s_sub_i32 s36, s35, s62
	s_cmp_ge_u32 s35, s62
	s_cselect_b32 s35, s36, s35
	s_sub_i32 s36, s35, s62
	s_cmp_ge_u32 s35, s62
	s_cselect_b32 s35, s36, s35
	s_xor_b32 s35, s35, s34
	s_sub_i32 s34, s34, s35
	s_add_i32 s17, s17, s34
	v_cmp_gt_i32_e32 vcc, s17, v0
                                        ; implicit-def: $vgpr19
	s_and_saveexec_b64 s[34:35], vcc
	s_cbranch_execz .LBB49_182
; %bb.173:                              ;   in Loop: Header=BB49_7 Depth=1
	s_mov_b64 s[36:37], 0
	v_mov_b32_e32 v2, v13
	v_mov_b32_e32 v3, v0
                                        ; implicit-def: $sgpr44_sgpr45
	s_branch .LBB49_177
.LBB49_174:                             ;   in Loop: Header=BB49_177 Depth=2
	s_or_b64 exec, exec, s[46:47]
	s_waitcnt lgkmcnt(0)
	s_barrier
	ds_read_b64 v[18:19], v9 offset:3072
	s_waitcnt lgkmcnt(0)
	s_barrier
	v_cmp_eq_f32_e32 vcc, 0, v18
	s_cbranch_vccz .LBB49_180
; %bb.175:                              ;   in Loop: Header=BB49_177 Depth=2
	v_add_u32_e32 v3, s62, v3
	v_cmp_le_i32_e32 vcc, s17, v3
	v_add_u32_e32 v2, s75, v2
	s_mov_b64 s[46:47], 0
	s_orn2_b64 s[48:49], vcc, exec
.LBB49_176:                             ;   in Loop: Header=BB49_177 Depth=2
	s_and_b64 s[48:49], exec, s[48:49]
	s_or_b64 s[36:37], s[48:49], s[36:37]
	s_andn2_b64 s[44:45], s[44:45], exec
	s_and_b64 s[46:47], s[46:47], exec
	s_or_b64 s[44:45], s[44:45], s[46:47]
	s_andn2_b64 exec, exec, s[36:37]
	s_cbranch_execz .LBB49_181
.LBB49_177:                             ;   Parent Loop BB49_7 Depth=1
                                        ; =>  This Inner Loop Header: Depth=2
	v_cmp_gt_i32_e32 vcc, s16, v3
	s_and_saveexec_b64 s[46:47], vcc
	s_cbranch_execz .LBB49_174
; %bb.178:                              ;   in Loop: Header=BB49_177 Depth=2
	ds_read_b32 v17, v2
	s_waitcnt lgkmcnt(0)
	v_cmp_lt_i32_e32 vcc, -1, v17
	s_nop 1
	v_cndmask_b32_e32 v18, -1, v36, vcc
	v_xor_b32_e32 v18, v18, v17
	v_cmp_o_f32_e32 vcc, v17, v17
	s_nop 1
	v_cndmask_b32_e32 v18, -1, v18, vcc
	v_and_b32_e32 v18, v18, v39
	v_cmp_eq_u32_e32 vcc, v18, v30
	s_and_b64 exec, exec, vcc
	s_cbranch_execz .LBB49_174
; %bb.179:                              ;   in Loop: Header=BB49_177 Depth=2
	ds_write_b64 v9, v[16:17] offset:3072
	s_branch .LBB49_174
.LBB49_180:                             ;   in Loop: Header=BB49_177 Depth=2
	s_mov_b64 s[48:49], -1
                                        ; implicit-def: $vgpr3
                                        ; implicit-def: $vgpr2
	s_mov_b64 s[46:47], -1
	s_branch .LBB49_176
.LBB49_181:                             ;   in Loop: Header=BB49_7 Depth=1
	s_or_b64 exec, exec, s[36:37]
	s_andn2_b64 s[16:17], s[42:43], exec
	s_and_b64 s[36:37], s[44:45], exec
	s_or_b64 s[42:43], s[16:17], s[36:37]
.LBB49_182:                             ;   in Loop: Header=BB49_7 Depth=1
	s_or_b64 exec, exec, s[34:35]
	s_mov_b64 s[34:35], 0
	s_mov_b64 s[36:37], -1
.LBB49_183:                             ;   in Loop: Header=BB49_7 Depth=1
	s_orn2_b64 s[42:43], s[42:43], exec
.LBB49_184:                             ;   in Loop: Header=BB49_7 Depth=1
	s_or_b64 exec, exec, s[38:39]
	s_mov_b64 s[44:45], 0
	s_and_saveexec_b64 s[38:39], s[42:43]
	s_cbranch_execz .LBB49_236
; %bb.185:                              ;   in Loop: Header=BB49_7 Depth=1
	s_xor_b64 s[16:17], s[40:41], -1
	s_mov_b64 s[48:49], 0
	v_mov_b32_e32 v20, 1
	v_mov_b32_e32 v5, 1
	s_and_saveexec_b64 s[40:41], s[16:17]
	s_cbranch_execz .LBB49_194
; %bb.186:                              ;   in Loop: Header=BB49_7 Depth=1
	v_cmp_ge_i32_e32 vcc, s54, v21
	s_and_saveexec_b64 s[16:17], vcc
	s_xor_b64 s[42:43], exec, s[16:17]
	s_cbranch_execz .LBB49_191
; %bb.187:                              ;   in Loop: Header=BB49_7 Depth=1
	ds_read_b32 v2, v9 offset:4096
	v_and_b32_e32 v3, v30, v8
	v_lshl_or_b32 v30, 2, v37, v3
	v_or_b32_e32 v39, v39, v4
	s_waitcnt lgkmcnt(0)
	v_cmp_ne_u32_e32 vcc, 0, v2
	s_cbranch_vccnz .LBB49_191
; %bb.188:                              ;   in Loop: Header=BB49_7 Depth=1
	s_and_saveexec_b64 s[44:45], s[0:1]
; %bb.189:                              ;   in Loop: Header=BB49_7 Depth=1
	v_mov_b32_e32 v2, s54
	ds_write_b32 v9, v2 offset:4100
; %bb.190:                              ;   in Loop: Header=BB49_7 Depth=1
	s_or_b64 exec, exec, s[44:45]
	s_waitcnt lgkmcnt(0)
	s_barrier
.LBB49_191:                             ;   in Loop: Header=BB49_7 Depth=1
	s_or_saveexec_b64 s[42:43], s[42:43]
	s_mov_b64 s[44:45], 0
	v_mov_b32_e32 v5, 8
	s_xor_b64 exec, exec, s[42:43]
; %bb.192:                              ;   in Loop: Header=BB49_7 Depth=1
	s_mov_b64 s[44:45], exec
	v_subrev_u32_e32 v21, s54, v21
	v_mov_b32_e32 v5, 0
; %bb.193:                              ;   in Loop: Header=BB49_7 Depth=1
	s_or_b64 exec, exec, s[42:43]
	s_and_b64 s[48:49], s[44:45], exec
	v_mov_b32_e32 v20, v21
.LBB49_194:                             ;   in Loop: Header=BB49_7 Depth=1
	s_or_b64 exec, exec, s[40:41]
	s_mov_b64 s[42:43], -1
                                        ; implicit-def: $sgpr46_sgpr47
                                        ; implicit-def: $sgpr44_sgpr45
	s_and_saveexec_b64 s[40:41], s[48:49]
	s_cbranch_execz .LBB49_235
; %bb.195:                              ;   in Loop: Header=BB49_7 Depth=1
	s_cmp_eq_u32 s86, 1
	s_cselect_b64 s[16:17], -1, 0
	v_cmp_eq_u32_e32 vcc, 1, v20
	s_and_b64 s[42:43], s[16:17], vcc
	s_mov_b64 s[50:51], -1
                                        ; implicit-def: $sgpr46_sgpr47
                                        ; implicit-def: $sgpr44_sgpr45
	s_and_saveexec_b64 s[48:49], s[42:43]
	s_cbranch_execz .LBB49_223
; %bb.196:                              ;   in Loop: Header=BB49_7 Depth=1
	ds_read_b32 v2, v9 offset:4096
	s_waitcnt lgkmcnt(0)
	s_barrier
	v_readfirstlane_b32 s16, v2
	s_and_saveexec_b64 s[44:45], s[4:5]
; %bb.197:                              ;   in Loop: Header=BB49_7 Depth=1
	ds_write_b32 v25, v9
; %bb.198:                              ;   in Loop: Header=BB49_7 Depth=1
	s_or_b64 exec, exec, s[44:45]
	v_or_b32_e32 v30, v30, v4
	v_or_b32_e32 v39, v39, v4
	s_mov_b64 s[44:45], -1
	s_mov_b64 s[46:47], 0
	s_cmp_gt_i32 s16, 0
	s_mov_b64 s[50:51], 0
	s_mov_b64 s[52:53], -1
	s_waitcnt lgkmcnt(0)
	s_barrier
                                        ; implicit-def: $vgpr19
	s_cbranch_scc1 .LBB49_210
; %bb.199:                              ;   in Loop: Header=BB49_7 Depth=1
	s_mov_b64 s[52:53], 0
                                        ; implicit-def: $vgpr19
	s_mov_b64 s[54:55], exec
	v_readlane_b32 s56, v54, 35
	v_readlane_b32 s57, v54, 36
	s_and_b64 s[56:57], s[54:55], s[56:57]
	s_mov_b64 exec, s[56:57]
	s_cbranch_execz .LBB49_209
; %bb.200:                              ;   in Loop: Header=BB49_7 Depth=1
	v_mov_b32_e32 v2, v6
	v_mov_b32_e32 v8, v0
                                        ; implicit-def: $sgpr56_sgpr57
	s_branch .LBB49_204
.LBB49_201:                             ;   in Loop: Header=BB49_204 Depth=2
	s_or_b64 exec, exec, s[58:59]
	s_waitcnt lgkmcnt(0)
	s_barrier
	ds_read_b64 v[18:19], v9 offset:3072
	s_waitcnt lgkmcnt(0)
	s_barrier
	v_cmp_neq_f32_e32 vcc, 0, v18
	s_cbranch_vccnz .LBB49_207
; %bb.202:                              ;   in Loop: Header=BB49_204 Depth=2
	v_add_u32_e32 v8, s62, v8
	v_cmp_le_i32_e32 vcc, s83, v8
	v_add_u32_e32 v2, s74, v2
	s_mov_b64 s[58:59], 0
	s_orn2_b64 s[70:71], vcc, exec
.LBB49_203:                             ;   in Loop: Header=BB49_204 Depth=2
	s_and_b64 s[70:71], exec, s[70:71]
	s_or_b64 s[50:51], s[70:71], s[50:51]
	s_andn2_b64 s[56:57], s[56:57], exec
	s_and_b64 s[58:59], s[58:59], exec
	s_or_b64 s[56:57], s[56:57], s[58:59]
	s_andn2_b64 exec, exec, s[50:51]
	s_cbranch_execz .LBB49_208
.LBB49_204:                             ;   Parent Loop BB49_7 Depth=1
                                        ; =>  This Inner Loop Header: Depth=2
	v_cmp_gt_i32_e32 vcc, s60, v8
	s_and_saveexec_b64 s[58:59], vcc
	s_cbranch_execz .LBB49_201
; %bb.205:                              ;   in Loop: Header=BB49_204 Depth=2
	v_ashrrev_i32_e32 v3, 31, v2
	v_lshl_add_u64 v[18:19], v[2:3], 2, s[72:73]
	global_load_dword v17, v[18:19], off
	s_waitcnt vmcnt(0)
	v_cmp_lt_i32_e32 vcc, -1, v17
	s_nop 1
	v_cndmask_b32_e32 v3, -1, v36, vcc
	v_xor_b32_e32 v3, v3, v17
	v_cmp_o_f32_e32 vcc, v17, v17
	s_nop 1
	v_cndmask_b32_e32 v3, -1, v3, vcc
	v_and_b32_e32 v3, v3, v39
	v_cmp_eq_u32_e32 vcc, v3, v30
	s_and_b64 exec, exec, vcc
	s_cbranch_execz .LBB49_201
; %bb.206:                              ;   in Loop: Header=BB49_204 Depth=2
	ds_write_b64 v9, v[16:17] offset:3072
	s_branch .LBB49_201
.LBB49_207:                             ;   in Loop: Header=BB49_204 Depth=2
	s_mov_b64 s[70:71], -1
                                        ; implicit-def: $vgpr8
                                        ; implicit-def: $vgpr2
	s_mov_b64 s[58:59], -1
	s_branch .LBB49_203
.LBB49_208:                             ;   in Loop: Header=BB49_7 Depth=1
	s_or_b64 exec, exec, s[50:51]
	s_and_b64 s[50:51], s[56:57], exec
.LBB49_209:                             ;   in Loop: Header=BB49_7 Depth=1
	s_or_b64 exec, exec, s[54:55]
.LBB49_210:                             ;   in Loop: Header=BB49_7 Depth=1
	s_and_b64 vcc, exec, s[52:53]
	s_cbranch_vccz .LBB49_222
; %bb.211:                              ;   in Loop: Header=BB49_7 Depth=1
	s_add_i32 s17, s16, s33
	s_abs_i32 s45, s17
	s_mul_hi_u32 s46, s45, s82
	s_mul_i32 s46, s46, s62
	s_sub_i32 s45, s45, s46
	s_ashr_i32 s44, s17, 31
	s_sub_i32 s46, s45, s62
	s_cmp_ge_u32 s45, s62
	s_cselect_b32 s45, s46, s45
	s_sub_i32 s46, s45, s62
	s_cmp_ge_u32 s45, s62
	s_cselect_b32 s45, s46, s45
	s_xor_b32 s45, s45, s44
	s_sub_i32 s44, s44, s45
	s_add_i32 s17, s17, s44
	v_cmp_gt_i32_e32 vcc, s17, v0
                                        ; implicit-def: $vgpr19
	s_and_saveexec_b64 s[44:45], vcc
	s_cbranch_execz .LBB49_221
; %bb.212:                              ;   in Loop: Header=BB49_7 Depth=1
	s_mov_b64 s[46:47], 0
	v_mov_b32_e32 v2, v13
	v_mov_b32_e32 v3, v0
                                        ; implicit-def: $sgpr52_sgpr53
	s_branch .LBB49_216
.LBB49_213:                             ;   in Loop: Header=BB49_216 Depth=2
	s_or_b64 exec, exec, s[54:55]
	s_waitcnt lgkmcnt(0)
	s_barrier
	ds_read_b64 v[18:19], v9 offset:3072
	s_waitcnt lgkmcnt(0)
	s_barrier
	v_cmp_eq_f32_e32 vcc, 0, v18
	s_cbranch_vccz .LBB49_219
; %bb.214:                              ;   in Loop: Header=BB49_216 Depth=2
	v_add_u32_e32 v3, s62, v3
	v_cmp_le_i32_e32 vcc, s17, v3
	v_add_u32_e32 v2, s75, v2
	s_mov_b64 s[54:55], 0
	s_orn2_b64 s[56:57], vcc, exec
.LBB49_215:                             ;   in Loop: Header=BB49_216 Depth=2
	s_and_b64 s[56:57], exec, s[56:57]
	s_or_b64 s[46:47], s[56:57], s[46:47]
	s_andn2_b64 s[52:53], s[52:53], exec
	s_and_b64 s[54:55], s[54:55], exec
	s_or_b64 s[52:53], s[52:53], s[54:55]
	s_andn2_b64 exec, exec, s[46:47]
	s_cbranch_execz .LBB49_220
.LBB49_216:                             ;   Parent Loop BB49_7 Depth=1
                                        ; =>  This Inner Loop Header: Depth=2
	v_cmp_gt_i32_e32 vcc, s16, v3
	s_and_saveexec_b64 s[54:55], vcc
	s_cbranch_execz .LBB49_213
; %bb.217:                              ;   in Loop: Header=BB49_216 Depth=2
	ds_read_b32 v17, v2
	s_waitcnt lgkmcnt(0)
	v_cmp_lt_i32_e32 vcc, -1, v17
	s_nop 1
	v_cndmask_b32_e32 v8, -1, v36, vcc
	v_xor_b32_e32 v8, v8, v17
	v_cmp_o_f32_e32 vcc, v17, v17
	s_nop 1
	v_cndmask_b32_e32 v8, -1, v8, vcc
	v_and_b32_e32 v8, v8, v39
	v_cmp_eq_u32_e32 vcc, v8, v30
	s_and_b64 exec, exec, vcc
	s_cbranch_execz .LBB49_213
; %bb.218:                              ;   in Loop: Header=BB49_216 Depth=2
	ds_write_b64 v9, v[16:17] offset:3072
	s_branch .LBB49_213
.LBB49_219:                             ;   in Loop: Header=BB49_216 Depth=2
	s_mov_b64 s[56:57], -1
                                        ; implicit-def: $vgpr3
                                        ; implicit-def: $vgpr2
	s_mov_b64 s[54:55], -1
	s_branch .LBB49_215
.LBB49_220:                             ;   in Loop: Header=BB49_7 Depth=1
	s_or_b64 exec, exec, s[46:47]
	s_andn2_b64 s[16:17], s[50:51], exec
	s_and_b64 s[46:47], s[52:53], exec
	s_or_b64 s[50:51], s[16:17], s[46:47]
.LBB49_221:                             ;   in Loop: Header=BB49_7 Depth=1
	s_or_b64 exec, exec, s[44:45]
	s_mov_b64 s[44:45], 0
	s_mov_b64 s[46:47], -1
.LBB49_222:                             ;   in Loop: Header=BB49_7 Depth=1
	s_orn2_b64 s[50:51], s[50:51], exec
.LBB49_223:                             ;   in Loop: Header=BB49_7 Depth=1
	s_or_b64 exec, exec, s[48:49]
	s_mov_b64 s[52:53], 0
	s_and_saveexec_b64 s[48:49], s[50:51]
	s_cbranch_execz .LBB49_234
; %bb.224:                              ;   in Loop: Header=BB49_7 Depth=1
	s_xor_b64 s[16:17], s[42:43], -1
	v_mov_b32_e32 v5, 1
	v_mov_b32_e32 v2, 1
	s_and_saveexec_b64 s[42:43], s[16:17]
	s_cbranch_execz .LBB49_233
; %bb.225:                              ;   in Loop: Header=BB49_7 Depth=1
	v_cmp_ge_i32_e32 vcc, s86, v20
	s_and_saveexec_b64 s[16:17], vcc
	s_xor_b64 s[50:51], exec, s[16:17]
	s_cbranch_execz .LBB49_230
; %bb.226:                              ;   in Loop: Header=BB49_7 Depth=1
	ds_read_b32 v2, v9 offset:4096
	v_or_b32_e32 v30, v30, v4
	v_or_b32_e32 v39, v39, v4
	s_waitcnt lgkmcnt(0)
	v_cmp_ne_u32_e32 vcc, 0, v2
	s_cbranch_vccnz .LBB49_230
; %bb.227:                              ;   in Loop: Header=BB49_7 Depth=1
	s_and_saveexec_b64 s[52:53], s[0:1]
; %bb.228:                              ;   in Loop: Header=BB49_7 Depth=1
	v_mov_b32_e32 v2, s86
	ds_write_b32 v9, v2 offset:4100
; %bb.229:                              ;   in Loop: Header=BB49_7 Depth=1
	s_or_b64 exec, exec, s[52:53]
	s_waitcnt lgkmcnt(0)
	s_barrier
.LBB49_230:                             ;   in Loop: Header=BB49_7 Depth=1
	s_andn2_saveexec_b64 s[50:51], s[50:51]
; %bb.231:                              ;   in Loop: Header=BB49_7 Depth=1
	v_subrev_u32_e32 v20, s86, v20
; %bb.232:                              ;   in Loop: Header=BB49_7 Depth=1
	s_or_b64 exec, exec, s[50:51]
	v_mov_b32_e32 v5, 8
	v_mov_b32_e32 v2, v20
.LBB49_233:                             ;   in Loop: Header=BB49_7 Depth=1
	s_or_b64 exec, exec, s[42:43]
	s_mov_b64 s[52:53], exec
	v_mov_b32_e32 v20, v2
.LBB49_234:                             ;   in Loop: Header=BB49_7 Depth=1
	s_or_b64 exec, exec, s[48:49]
	s_orn2_b64 s[42:43], s[52:53], exec
.LBB49_235:                             ;   in Loop: Header=BB49_7 Depth=1
	s_or_b64 exec, exec, s[40:41]
	s_andn2_b64 s[16:17], s[36:37], exec
	s_and_b64 s[36:37], s[46:47], exec
	s_or_b64 s[36:37], s[16:17], s[36:37]
	s_andn2_b64 s[16:17], s[34:35], exec
	s_and_b64 s[34:35], s[44:45], exec
	s_or_b64 s[34:35], s[16:17], s[34:35]
	s_and_b64 s[44:45], s[42:43], exec
	v_mov_b32_e32 v21, v20
.LBB49_236:                             ;   in Loop: Header=BB49_7 Depth=1
	s_or_b64 exec, exec, s[38:39]
	s_orn2_b64 s[38:39], s[44:45], exec
.LBB49_237:                             ;   in Loop: Header=BB49_7 Depth=1
	s_or_b64 exec, exec, s[30:31]
	s_andn2_b64 s[16:17], s[26:27], exec
	s_and_b64 s[26:27], s[36:37], exec
	s_or_b64 s[26:27], s[16:17], s[26:27]
	s_andn2_b64 s[16:17], s[24:25], exec
	s_and_b64 s[24:25], s[34:35], exec
	s_or_b64 s[24:25], s[16:17], s[24:25]
	s_and_b64 s[36:37], s[38:39], exec
	v_mov_b32_e32 v20, v21
.LBB49_238:                             ;   in Loop: Header=BB49_7 Depth=1
	s_or_b64 exec, exec, s[28:29]
	s_orn2_b64 s[28:29], s[36:37], exec
.LBB49_239:                             ;   in Loop: Header=BB49_7 Depth=1
	s_or_b64 exec, exec, s[22:23]
	s_mov_b64 s[30:31], 0
                                        ; implicit-def: $sgpr34
	s_and_saveexec_b64 s[16:17], s[28:29]
	s_xor_b64 s[22:23], exec, s[16:17]
	s_cbranch_execz .LBB49_5
; %bb.240:                              ;   in Loop: Header=BB49_7 Depth=1
	v_and_b32_e32 v2, 7, v5
	v_cmp_eq_u32_e32 vcc, 0, v2
	s_mov_b64 s[20:21], -1
	s_mov_b64 s[28:29], -1
                                        ; implicit-def: $sgpr34
	s_and_saveexec_b64 s[30:31], vcc
	s_cbranch_execz .LBB49_4
; %bb.241:                              ;   in Loop: Header=BB49_7 Depth=1
	v_add_u32_e32 v2, -2, v37
	v_cmp_eq_u32_e32 vcc, 0, v37
	s_xor_b32 s34, s61, 1
	s_xor_b64 s[28:29], exec, -1
	s_orn2_b64 s[20:21], vcc, exec
	v_mov_b32_e32 v37, v2
	s_branch .LBB49_4
.LBB49_242:
	s_or_b64 exec, exec, s[92:93]
	s_xor_b64 s[6:7], s[98:99], -1
	s_xor_b64 s[4:5], s[94:95], -1
	;; [unrolled: 1-line block ×3, first 2 shown]
	s_mov_b64 s[2:3], 0
	s_and_saveexec_b64 s[10:11], s[4:5]
	s_xor_b64 s[4:5], exec, s[10:11]
	s_cbranch_execnz .LBB49_247
; %bb.243:
	s_andn2_saveexec_b64 s[0:1], s[4:5]
	s_cbranch_execnz .LBB49_267
.LBB49_244:
	s_or_b64 exec, exec, s[0:1]
	s_and_saveexec_b64 s[0:1], s[2:3]
.LBB49_245:
	; divergent unreachable
.LBB49_246:
	s_endpgm
.LBB49_247:
	s_and_saveexec_b64 s[2:3], s[6:7]
	s_xor_b64 s[6:7], exec, s[2:3]
	s_cbranch_execz .LBB49_265
; %bb.248:
	s_and_saveexec_b64 s[2:3], s[8:9]
	s_xor_b64 s[2:3], exec, s[2:3]
; %bb.249:
	v_bfrev_b32_e32 v1, 1
	v_cmp_lt_i32_e32 vcc, -1, v30
	s_nop 1
	v_cndmask_b32_e64 v1, v1, -1, vcc
	v_xor_b32_e32 v19, v1, v30
; %bb.250:
	s_or_b64 exec, exec, s[2:3]
	s_and_saveexec_b64 s[2:3], s[0:1]
	v_readlane_b32 s22, v54, 18
	v_readlane_b32 s23, v54, 14
	;; [unrolled: 1-line block ×5, first 2 shown]
; %bb.251:
	v_mov_b32_e32 v1, 0
	v_mov_b32_e32 v2, s60
	ds_write_b32 v1, v2 offset:4108
; %bb.252:
	s_or_b64 exec, exec, s[2:3]
	v_mov_b32_e32 v1, 0
	s_waitcnt lgkmcnt(0)
	s_barrier
	ds_read_b32 v1, v1 offset:4108
	s_waitcnt lgkmcnt(0)
	v_min_i32_e32 v2, s60, v1
	v_cmp_lt_i32_e32 vcc, v0, v2
	s_and_saveexec_b64 s[8:9], vcc
	s_cbranch_execz .LBB49_262
; %bb.253:
	v_cmp_u_f32_e32 vcc, v19, v19
	s_mov_b64 s[10:11], 0
	s_xor_b64 s[14:15], vcc, -1
                                        ; implicit-def: $sgpr12_sgpr13
                                        ; implicit-def: $sgpr18_sgpr19
                                        ; implicit-def: $sgpr16_sgpr17
	s_branch .LBB49_255
.LBB49_254:                             ;   in Loop: Header=BB49_255 Depth=1
	s_or_b64 exec, exec, s[2:3]
	s_and_b64 s[2:3], exec, s[18:19]
	s_or_b64 s[10:11], s[2:3], s[10:11]
	s_andn2_b64 s[2:3], s[12:13], exec
	s_and_b64 s[12:13], s[16:17], exec
	s_or_b64 s[12:13], s[2:3], s[12:13]
	s_andn2_b64 exec, exec, s[10:11]
	s_cbranch_execz .LBB49_257
.LBB49_255:                             ; =>This Inner Loop Header: Depth=1
	v_ashrrev_i32_e32 v7, 31, v6
	v_lshl_add_u64 v[4:5], v[6:7], 2, s[72:73]
	global_load_dword v3, v[4:5], off
	v_mov_b32_e32 v1, v0
	s_or_b64 s[16:17], s[16:17], exec
	s_or_b64 s[18:19], s[18:19], exec
                                        ; implicit-def: $vgpr0
	s_waitcnt vmcnt(0)
	v_cmp_o_f32_e64 s[2:3], v3, v3
	v_cmp_neq_f32_e32 vcc, v3, v19
	s_or_b64 s[2:3], s[2:3], s[14:15]
	s_and_b64 s[20:21], vcc, s[2:3]
	s_and_saveexec_b64 s[2:3], s[20:21]
	s_cbranch_execz .LBB49_254
; %bb.256:                              ;   in Loop: Header=BB49_255 Depth=1
	v_add_u32_e32 v0, s62, v1
	v_cmp_ge_i32_e32 vcc, v0, v2
	s_andn2_b64 s[18:19], s[18:19], exec
	s_and_b64 s[20:21], vcc, exec
	v_add_u32_e32 v6, s74, v6
	s_andn2_b64 s[16:17], s[16:17], exec
	s_or_b64 s[18:19], s[18:19], s[20:21]
	s_branch .LBB49_254
.LBB49_257:
	s_or_b64 exec, exec, s[10:11]
	s_and_saveexec_b64 s[2:3], s[12:13]
	s_xor_b64 s[2:3], exec, s[2:3]
	s_cbranch_execz .LBB49_262
; %bb.258:
	s_mov_b64 s[2:3], exec
	s_brev_b32 s10, -2
.LBB49_259:                             ; =>This Inner Loop Header: Depth=1
	s_ff1_i32_b64 s11, s[2:3]
	v_readlane_b32 s14, v1, s11
	s_lshl_b64 s[12:13], 1, s11
	s_min_i32 s10, s10, s14
	s_andn2_b64 s[2:3], s[2:3], s[12:13]
	s_cmp_lg_u64 s[2:3], 0
	s_cbranch_scc1 .LBB49_259
; %bb.260:
	v_mbcnt_lo_u32_b32 v0, exec_lo, 0
	v_mbcnt_hi_u32_b32 v0, exec_hi, v0
	v_cmp_eq_u32_e32 vcc, 0, v0
	s_and_saveexec_b64 s[2:3], vcc
	s_xor_b64 s[2:3], exec, s[2:3]
; %bb.261:
	v_mov_b32_e32 v0, 0
	v_mov_b32_e32 v1, s10
	ds_min_i32 v0, v1 offset:4108
.LBB49_262:
	s_or_b64 exec, exec, s[8:9]
	s_waitcnt lgkmcnt(0)
	s_barrier
	s_and_saveexec_b64 s[2:3], s[0:1]
	s_cbranch_execz .LBB49_264
; %bb.263:
	v_readlane_b32 s10, v54, 8
	v_readlane_b32 s11, v54, 9
	s_mul_i32 s1, s11, s10
	v_readlane_b32 s0, v54, 13
	s_sub_i32 s1, s25, s1
	s_xor_b32 s0, s24, s0
	s_add_i32 s8, s11, 1
	s_sub_i32 s9, s1, s10
	s_cmp_ge_u32 s1, s10
	s_cselect_b32 s8, s8, s11
	s_cselect_b32 s1, s9, s1
	s_add_i32 s9, s8, 1
	s_cmp_ge_u32 s1, s10
	s_cselect_b32 s1, s9, s8
	s_xor_b32 s1, s1, s0
	s_sub_i32 s0, s1, s0
	s_mul_i32 s1, s0, s26
	v_readlane_b32 s8, v54, 6
	s_sub_i32 s1, s22, s1
	v_readlane_b32 s9, v54, 7
	v_readlane_b32 s11, v54, 10
	;; [unrolled: 1-line block ×3, first 2 shown]
	s_mul_i32 s1, s1, s9
	s_mul_i32 s0, s0, s8
	;; [unrolled: 1-line block ×3, first 2 shown]
	s_add_i32 s0, s0, s1
	v_readlane_b32 s1, v54, 15
	s_sub_i32 s8, s25, s8
	s_xor_b32 s1, s24, s1
	s_add_i32 s9, s12, 1
	s_sub_i32 s10, s8, s11
	s_cmp_ge_u32 s8, s11
	s_cselect_b32 s9, s9, s12
	s_cselect_b32 s8, s10, s8
	s_add_i32 s10, s9, 1
	s_cmp_ge_u32 s8, s11
	s_cselect_b32 s8, s10, s9
	s_xor_b32 s8, s8, s1
	s_sub_i32 s1, s8, s1
	s_mul_i32 s8, s1, s23
	v_readlane_b32 s10, v54, 2
	s_sub_i32 s8, s22, s8
	v_readlane_b32 s11, v54, 3
	s_mul_i32 s8, s8, s11
	s_mul_i32 s1, s1, s10
	s_add_i32 s8, s1, s8
	s_ashr_i32 s1, s0, 31
	v_mov_b32_e32 v2, 0
	s_lshl_b64 s[0:1], s[0:1], 2
	v_readlane_b32 s10, v54, 0
	ds_read_b32 v0, v2 offset:4108
	v_readlane_b32 s11, v54, 1
	s_add_u32 s0, s10, s0
	s_addc_u32 s1, s11, s1
	s_ashr_i32 s9, s8, 31
	s_lshl_b64 s[8:9], s[8:9], 3
	v_readlane_b32 s10, v54, 4
	v_readlane_b32 s11, v54, 5
	s_add_u32 s8, s10, s8
	s_addc_u32 s9, s11, s9
	s_waitcnt lgkmcnt(0)
	v_ashrrev_i32_e32 v1, 31, v0
	global_store_dwordx2 v2, v[0:1], s[8:9]
	global_store_dword v2, v19, s[0:1]
.LBB49_264:
	s_or_b64 exec, exec, s[2:3]
.LBB49_265:
	s_or_saveexec_b64 s[0:1], s[6:7]
	s_mov_b64 s[2:3], 0
	s_xor_b64 exec, exec, s[0:1]
	s_cbranch_execnz .LBB49_268
.LBB49_266:
	s_or_b64 exec, exec, s[0:1]
	s_and_b64 s[2:3], s[2:3], exec
	s_andn2_saveexec_b64 s[0:1], s[4:5]
	s_cbranch_execz .LBB49_244
.LBB49_267:
	s_or_b64 s[2:3], s[2:3], exec
	s_trap 2
	s_or_b64 exec, exec, s[0:1]
	s_and_saveexec_b64 s[0:1], s[2:3]
	s_cbranch_execnz .LBB49_245
	s_branch .LBB49_246
.LBB49_268:
	s_mov_b64 s[2:3], exec
	s_trap 2
	s_branch .LBB49_266
	.section	.rodata,"a",@progbits
	.p2align	6, 0x0
	.amdhsa_kernel _ZN2at6native12_GLOBAL__N_114gatherKthValueIfiLi2EEEvNS_4cuda6detail10TensorInfoIKT_T0_EES8_S8_S8_S8_NS5_IS6_S8_EENS5_IlS8_EE
		.amdhsa_group_segment_fixed_size 4112
		.amdhsa_private_segment_fixed_size 0
		.amdhsa_kernarg_size 920
		.amdhsa_user_sgpr_count 2
		.amdhsa_user_sgpr_dispatch_ptr 0
		.amdhsa_user_sgpr_queue_ptr 0
		.amdhsa_user_sgpr_kernarg_segment_ptr 1
		.amdhsa_user_sgpr_dispatch_id 0
		.amdhsa_user_sgpr_kernarg_preload_length 0
		.amdhsa_user_sgpr_kernarg_preload_offset 0
		.amdhsa_user_sgpr_private_segment_size 0
		.amdhsa_uses_dynamic_stack 0
		.amdhsa_enable_private_segment 0
		.amdhsa_system_sgpr_workgroup_id_x 1
		.amdhsa_system_sgpr_workgroup_id_y 1
		.amdhsa_system_sgpr_workgroup_id_z 1
		.amdhsa_system_sgpr_workgroup_info 0
		.amdhsa_system_vgpr_workitem_id 0
		.amdhsa_next_free_vgpr 55
		.amdhsa_next_free_sgpr 100
		.amdhsa_accum_offset 56
		.amdhsa_reserve_vcc 1
		.amdhsa_float_round_mode_32 0
		.amdhsa_float_round_mode_16_64 0
		.amdhsa_float_denorm_mode_32 3
		.amdhsa_float_denorm_mode_16_64 3
		.amdhsa_dx10_clamp 1
		.amdhsa_ieee_mode 1
		.amdhsa_fp16_overflow 0
		.amdhsa_tg_split 0
		.amdhsa_exception_fp_ieee_invalid_op 0
		.amdhsa_exception_fp_denorm_src 0
		.amdhsa_exception_fp_ieee_div_zero 0
		.amdhsa_exception_fp_ieee_overflow 0
		.amdhsa_exception_fp_ieee_underflow 0
		.amdhsa_exception_fp_ieee_inexact 0
		.amdhsa_exception_int_div_zero 0
	.end_amdhsa_kernel
	.section	.text._ZN2at6native12_GLOBAL__N_114gatherKthValueIfiLi2EEEvNS_4cuda6detail10TensorInfoIKT_T0_EES8_S8_S8_S8_NS5_IS6_S8_EENS5_IlS8_EE,"axG",@progbits,_ZN2at6native12_GLOBAL__N_114gatherKthValueIfiLi2EEEvNS_4cuda6detail10TensorInfoIKT_T0_EES8_S8_S8_S8_NS5_IS6_S8_EENS5_IlS8_EE,comdat
.Lfunc_end49:
	.size	_ZN2at6native12_GLOBAL__N_114gatherKthValueIfiLi2EEEvNS_4cuda6detail10TensorInfoIKT_T0_EES8_S8_S8_S8_NS5_IS6_S8_EENS5_IlS8_EE, .Lfunc_end49-_ZN2at6native12_GLOBAL__N_114gatherKthValueIfiLi2EEEvNS_4cuda6detail10TensorInfoIKT_T0_EES8_S8_S8_S8_NS5_IS6_S8_EENS5_IlS8_EE
                                        ; -- End function
	.set _ZN2at6native12_GLOBAL__N_114gatherKthValueIfiLi2EEEvNS_4cuda6detail10TensorInfoIKT_T0_EES8_S8_S8_S8_NS5_IS6_S8_EENS5_IlS8_EE.num_vgpr, 55
	.set _ZN2at6native12_GLOBAL__N_114gatherKthValueIfiLi2EEEvNS_4cuda6detail10TensorInfoIKT_T0_EES8_S8_S8_S8_NS5_IS6_S8_EENS5_IlS8_EE.num_agpr, 0
	.set _ZN2at6native12_GLOBAL__N_114gatherKthValueIfiLi2EEEvNS_4cuda6detail10TensorInfoIKT_T0_EES8_S8_S8_S8_NS5_IS6_S8_EENS5_IlS8_EE.numbered_sgpr, 100
	.set _ZN2at6native12_GLOBAL__N_114gatherKthValueIfiLi2EEEvNS_4cuda6detail10TensorInfoIKT_T0_EES8_S8_S8_S8_NS5_IS6_S8_EENS5_IlS8_EE.num_named_barrier, 0
	.set _ZN2at6native12_GLOBAL__N_114gatherKthValueIfiLi2EEEvNS_4cuda6detail10TensorInfoIKT_T0_EES8_S8_S8_S8_NS5_IS6_S8_EENS5_IlS8_EE.private_seg_size, 0
	.set _ZN2at6native12_GLOBAL__N_114gatherKthValueIfiLi2EEEvNS_4cuda6detail10TensorInfoIKT_T0_EES8_S8_S8_S8_NS5_IS6_S8_EENS5_IlS8_EE.uses_vcc, 1
	.set _ZN2at6native12_GLOBAL__N_114gatherKthValueIfiLi2EEEvNS_4cuda6detail10TensorInfoIKT_T0_EES8_S8_S8_S8_NS5_IS6_S8_EENS5_IlS8_EE.uses_flat_scratch, 0
	.set _ZN2at6native12_GLOBAL__N_114gatherKthValueIfiLi2EEEvNS_4cuda6detail10TensorInfoIKT_T0_EES8_S8_S8_S8_NS5_IS6_S8_EENS5_IlS8_EE.has_dyn_sized_stack, 0
	.set _ZN2at6native12_GLOBAL__N_114gatherKthValueIfiLi2EEEvNS_4cuda6detail10TensorInfoIKT_T0_EES8_S8_S8_S8_NS5_IS6_S8_EENS5_IlS8_EE.has_recursion, 0
	.set _ZN2at6native12_GLOBAL__N_114gatherKthValueIfiLi2EEEvNS_4cuda6detail10TensorInfoIKT_T0_EES8_S8_S8_S8_NS5_IS6_S8_EENS5_IlS8_EE.has_indirect_call, 0
	.section	.AMDGPU.csdata,"",@progbits
; Kernel info:
; codeLenInByte = 10020
; TotalNumSgprs: 106
; NumVgprs: 55
; NumAgprs: 0
; TotalNumVgprs: 55
; ScratchSize: 0
; MemoryBound: 0
; FloatMode: 240
; IeeeMode: 1
; LDSByteSize: 4112 bytes/workgroup (compile time only)
; SGPRBlocks: 13
; VGPRBlocks: 6
; NumSGPRsForWavesPerEU: 106
; NumVGPRsForWavesPerEU: 55
; AccumOffset: 56
; Occupancy: 7
; WaveLimiterHint : 1
; COMPUTE_PGM_RSRC2:SCRATCH_EN: 0
; COMPUTE_PGM_RSRC2:USER_SGPR: 2
; COMPUTE_PGM_RSRC2:TRAP_HANDLER: 0
; COMPUTE_PGM_RSRC2:TGID_X_EN: 1
; COMPUTE_PGM_RSRC2:TGID_Y_EN: 1
; COMPUTE_PGM_RSRC2:TGID_Z_EN: 1
; COMPUTE_PGM_RSRC2:TIDIG_COMP_CNT: 0
; COMPUTE_PGM_RSRC3_GFX90A:ACCUM_OFFSET: 13
; COMPUTE_PGM_RSRC3_GFX90A:TG_SPLIT: 0
	.section	.text._ZN2at6native12_GLOBAL__N_114gatherKthValueIfiLi3EEEvNS_4cuda6detail10TensorInfoIKT_T0_EES8_S8_S8_S8_NS5_IS6_S8_EENS5_IlS8_EE,"axG",@progbits,_ZN2at6native12_GLOBAL__N_114gatherKthValueIfiLi3EEEvNS_4cuda6detail10TensorInfoIKT_T0_EES8_S8_S8_S8_NS5_IS6_S8_EENS5_IlS8_EE,comdat
	.globl	_ZN2at6native12_GLOBAL__N_114gatherKthValueIfiLi3EEEvNS_4cuda6detail10TensorInfoIKT_T0_EES8_S8_S8_S8_NS5_IS6_S8_EENS5_IlS8_EE ; -- Begin function _ZN2at6native12_GLOBAL__N_114gatherKthValueIfiLi3EEEvNS_4cuda6detail10TensorInfoIKT_T0_EES8_S8_S8_S8_NS5_IS6_S8_EENS5_IlS8_EE
	.p2align	8
	.type	_ZN2at6native12_GLOBAL__N_114gatherKthValueIfiLi3EEEvNS_4cuda6detail10TensorInfoIKT_T0_EES8_S8_S8_S8_NS5_IS6_S8_EENS5_IlS8_EE,@function
_ZN2at6native12_GLOBAL__N_114gatherKthValueIfiLi3EEEvNS_4cuda6detail10TensorInfoIKT_T0_EES8_S8_S8_S8_NS5_IS6_S8_EENS5_IlS8_EE: ; @_ZN2at6native12_GLOBAL__N_114gatherKthValueIfiLi3EEEvNS_4cuda6detail10TensorInfoIKT_T0_EES8_S8_S8_S8_NS5_IS6_S8_EENS5_IlS8_EE
; %bb.0:
	s_load_dwordx2 s[12:13], s[0:1], 0x298
	s_load_dwordx4 s[68:71], s[0:1], 0xd8
	s_add_u32 s10, s0, 0x298
	s_addc_u32 s11, s1, 0
	s_waitcnt lgkmcnt(0)
	s_mul_i32 s4, s13, s4
	s_add_i32 s3, s4, s3
	s_mul_i32 s3, s3, s12
	s_add_i32 s24, s3, s2
	s_cmp_ge_i32 s24, s70
	s_cbranch_scc1 .LBB50_246
; %bb.1:
	s_load_dwordx2 s[8:9], s[0:1], 0xc
	s_load_dwordx2 s[26:27], s[0:1], 0xf4
	s_abs_i32 s5, s24
	s_ashr_i32 s4, s24, 31
	s_load_dwordx4 s[28:31], s[0:1], 0x154
	s_waitcnt lgkmcnt(0)
	s_abs_i32 s3, s9
	v_cvt_f32_u32_e32 v1, s3
	s_sub_i32 s7, 0, s3
	s_ashr_i32 s6, s9, 31
	s_xor_b32 s6, s4, s6
	v_rcp_iflag_f32_e32 v1, v1
                                        ; implicit-def: $vgpr54 : SGPR spill to VGPR lane
                                        ; kill: killed $sgpr0 killed $sgpr1
	v_writelane_b32 v54, s28, 0
	v_mul_f32_e32 v1, 0x4f7ffffe, v1
	v_cvt_u32_f32_e32 v1, v1
	v_writelane_b32 v54, s29, 1
	v_writelane_b32 v54, s30, 2
	;; [unrolled: 1-line block ×3, first 2 shown]
	v_readfirstlane_b32 s13, v1
	s_mul_i32 s7, s7, s13
	s_mul_hi_u32 s7, s13, s7
	s_add_i32 s13, s13, s7
	s_mul_hi_u32 s7, s5, s13
	s_mul_i32 s13, s7, s3
	s_sub_i32 s13, s5, s13
	s_add_i32 s14, s7, 1
	s_sub_i32 s15, s13, s3
	s_cmp_ge_u32 s13, s3
	s_cselect_b32 s7, s14, s7
	s_cselect_b32 s13, s15, s13
	s_add_i32 s14, s7, 1
	s_cmp_ge_u32 s13, s3
	s_cselect_b32 s7, s14, s7
	s_abs_i32 s3, s8
	v_cvt_f32_u32_e32 v1, s3
	s_abs_i32 s15, s27
	v_cvt_f32_u32_e32 v2, s15
	s_xor_b32 s7, s7, s6
	v_rcp_iflag_f32_e32 v1, v1
	s_sub_i32 s16, 0, s3
	v_rcp_iflag_f32_e32 v2, v2
	s_sub_i32 s18, s7, s6
	v_mul_f32_e32 v1, 0x4f7ffffe, v1
	v_cvt_u32_f32_e32 v1, v1
	v_mul_f32_e32 v2, 0x4f7ffffe, v2
	v_cvt_u32_f32_e32 v2, v2
	s_ashr_i32 s14, s27, 31
	v_readfirstlane_b32 s6, v1
	s_mul_i32 s16, s16, s6
	s_mul_hi_u32 s7, s6, s16
	s_add_i32 s16, s6, s7
	s_sub_i32 s6, 0, s15
	v_readfirstlane_b32 s7, v2
	s_mul_i32 s6, s6, s7
	s_mul_hi_u32 s6, s7, s6
	s_add_i32 s7, s7, s6
	s_mul_hi_u32 s6, s5, s7
	s_mul_i32 s7, s6, s15
	s_sub_i32 s7, s5, s7
	s_ashr_i32 s13, s8, 31
	s_xor_b32 s17, s4, s14
	s_ashr_i32 s19, s18, 31
	s_abs_i32 s20, s18
	s_add_i32 s14, s6, 1
	s_sub_i32 s21, s7, s15
	s_cmp_ge_u32 s7, s15
	s_cselect_b32 s6, s14, s6
	s_cselect_b32 s7, s21, s7
	s_add_i32 s14, s6, 1
	s_cmp_ge_u32 s7, s15
	s_cselect_b32 s6, s14, s6
	s_load_dwordx2 s[14:15], s[0:1], 0x0
	s_load_dwordx4 s[28:31], s[0:1], 0x22c
	s_abs_i32 s7, s26
	v_cvt_f32_u32_e32 v1, s7
	s_xor_b32 s6, s6, s17
	s_sub_i32 s25, s6, s17
	s_waitcnt lgkmcnt(0)
	v_writelane_b32 v54, s28, 4
	v_rcp_iflag_f32_e32 v1, v1
	s_nop 0
	v_writelane_b32 v54, s29, 5
	v_writelane_b32 v54, s30, 6
	;; [unrolled: 1-line block ×3, first 2 shown]
	s_load_dwordx2 s[28:29], s[0:1], 0x1cc
	s_load_dwordx2 s[22:23], s[0:1], 0x1c0
	v_mul_f32_e32 v1, 0x4f7ffffe, v1
	v_cvt_u32_f32_e32 v1, v1
	s_waitcnt lgkmcnt(0)
	s_abs_i32 s6, s29
	v_cvt_f32_u32_e32 v2, s6
	v_readfirstlane_b32 s17, v1
	v_writelane_b32 v54, s22, 8
	v_rcp_iflag_f32_e32 v1, v2
	s_nop 0
	v_writelane_b32 v54, s23, 9
	v_writelane_b32 v54, s7, 10
	s_sub_i32 s7, 0, s7
	v_mul_f32_e32 v1, 0x4f7ffffe, v1
	v_cvt_u32_f32_e32 v1, v1
	s_mul_i32 s7, s7, s17
	s_mul_hi_u32 s7, s17, s7
	s_add_i32 s17, s17, s7
	s_ashr_i32 s7, s29, 31
	s_xor_b32 s21, s4, s7
	s_sub_i32 s4, 0, s6
	v_readfirstlane_b32 s7, v1
	s_mul_i32 s4, s4, s7
	s_mul_hi_u32 s4, s7, s4
	s_add_i32 s7, s7, s4
	s_mul_hi_u32 s4, s5, s7
	s_mul_i32 s7, s4, s6
	s_sub_i32 s5, s5, s7
	s_abs_i32 s23, s25
	s_add_i32 s7, s4, 1
	s_sub_i32 s22, s5, s6
	s_cmp_ge_u32 s5, s6
	s_cselect_b32 s4, s7, s4
	s_cselect_b32 s5, s22, s5
	s_add_i32 s7, s4, 1
	s_cmp_ge_u32 s5, s6
	s_cselect_b32 s22, s7, s4
	s_abs_i32 s30, s28
	v_cvt_f32_u32_e32 v1, s30
	s_load_dwordx2 s[4:5], s[0:1], 0xe8
	v_rcp_iflag_f32_e32 v1, v1
	s_waitcnt lgkmcnt(0)
	v_writelane_b32 v54, s4, 11
	v_mul_f32_e32 v1, 0x4f7ffffe, v1
	v_cvt_u32_f32_e32 v1, v1
	v_writelane_b32 v54, s5, 12
	s_load_dwordx4 s[4:7], s[0:1], 0x6c
	v_writelane_b32 v54, s23, 13
	s_mul_hi_u32 s0, s23, s17
	v_writelane_b32 v54, s0, 14
	s_xor_b32 s0, s22, s21
	s_sub_i32 s21, s0, s21
	s_sub_i32 s0, 0, s30
	v_readfirstlane_b32 s1, v1
	s_mul_i32 s0, s0, s1
	s_mul_hi_u32 s0, s1, s0
	s_waitcnt lgkmcnt(0)
	s_mul_hi_u32 s7, s20, s16
	s_abs_i32 s16, s21
	v_writelane_b32 v54, s30, 15
	s_add_i32 s1, s1, s0
	v_writelane_b32 v54, s16, 16
	s_mul_hi_u32 s0, s16, s1
	v_writelane_b32 v54, s0, 17
	v_cmp_eq_u32_e64 s[0:1], 0, v0
	s_and_saveexec_b64 s[16:17], s[0:1]
; %bb.2:
	v_mov_b32_e32 v2, 0
	v_mov_b32_e32 v3, s68
	;; [unrolled: 1-line block ×3, first 2 shown]
	ds_write_b96 v2, v[2:4] offset:4096
; %bb.3:
	s_or_b64 exec, exec, s[16:17]
	v_writelane_b32 v54, s25, 18
	s_ashr_i32 s16, s25, 31
	v_writelane_b32 v54, s16, 19
	v_writelane_b32 v54, s26, 20
	s_ashr_i32 s16, s26, 31
	s_mul_i32 s9, s18, s9
	v_writelane_b32 v54, s27, 21
	v_writelane_b32 v54, s16, 22
	;; [unrolled: 1-line block ×3, first 2 shown]
	s_ashr_i32 s16, s21, 31
	v_writelane_b32 v54, s16, 24
	s_sub_i32 s9, s24, s9
	v_writelane_b32 v54, s28, 25
	s_mul_i32 s9, s9, s6
	s_xor_b32 s6, s19, s13
	s_mul_i32 s13, s7, s3
	v_writelane_b32 v54, s29, 26
	s_ashr_i32 s16, s28, 31
	s_sub_i32 s13, s20, s13
	v_writelane_b32 v54, s16, 27
	s_add_i32 s16, s7, 1
	s_sub_i32 s17, s13, s3
	s_cmp_ge_u32 s13, s3
	s_cselect_b32 s7, s16, s7
	s_cselect_b32 s13, s17, s13
	s_add_i32 s16, s7, 1
	s_cmp_ge_u32 s13, s3
	s_cselect_b32 s3, s16, s7
	s_xor_b32 s3, s3, s6
	s_sub_i32 s3, s3, s6
	s_mul_i32 s6, s3, s8
	s_sub_i32 s6, s18, s6
	s_mul_i32 s5, s6, s5
	s_add_i32 s5, s5, s9
	s_mul_i32 s3, s3, s4
	s_add_i32 s4, s5, s3
	s_waitcnt lgkmcnt(0)
	s_barrier
	s_load_dword s3, s[10:11], 0xc
	s_ashr_i32 s5, s4, 31
	s_lshl_b64 s[4:5], s[4:5], 2
	s_add_u32 s80, s14, s4
	v_mbcnt_lo_u32_b32 v1, -1, 0
	s_addc_u32 s81, s15, s5
	s_waitcnt lgkmcnt(0)
	s_and_b32 s70, s3, 0xffff
	v_mbcnt_hi_u32_b32 v24, -1, v1
	v_cmp_gt_u32_e32 vcc, 64, v0
	v_cmp_gt_i32_e64 s[4:5], 4, v24
	s_add_i32 s33, s70, -1
	s_lshl_b32 s99, s70, 2
	s_and_b64 s[84:85], vcc, s[4:5]
	s_add_i32 s91, s33, s68
	s_cmpk_gt_i32 s68, 0x300
	s_cselect_b64 s[86:87], -1, 0
	s_cmp_gt_u32 s70, 63
	v_writelane_b32 v54, s24, 28
	v_cmp_gt_i32_e64 s[8:9], s68, v0
	s_cselect_b64 s[88:89], -1, 0
	s_cmp_lt_u32 s2, s12
	v_writelane_b32 v54, s8, 29
	s_cselect_b32 s2, 12, 18
	v_lshlrev_b64 v[2:3], v24, -1
	v_writelane_b32 v54, s9, 30
	s_add_u32 s8, s10, s2
	s_addc_u32 s9, s11, 0
	v_writelane_b32 v54, s8, 31
	v_not_b32_e32 v12, v2
	v_lshrrev_b32_e32 v2, 2, v0
	v_writelane_b32 v54, s9, 32
	s_bfe_u32 s8, s3, 0xa0006
	s_add_i32 s2, s8, -2
	s_lshr_b32 s3, s2, 1
	s_add_i32 s3, s3, 1
	s_cmpk_gt_u32 s70, 0x7f
	v_and_b32_e32 v2, 0xf0, v2
	s_cselect_b64 s[10:11], -1, 0
	v_or_b32_e32 v26, 0xc00, v2
	v_writelane_b32 v54, s10, 33
	v_cvt_f32_u32_e32 v2, s99
	s_and_b32 s9, s8, 0x3fe
	v_writelane_b32 v54, s11, 34
	s_and_b32 s10, s3, 7
	s_cmp_gt_u32 s2, 13
	s_cselect_b64 s[12:13], -1, 0
	v_writelane_b32 v54, s12, 35
	v_rcp_iflag_f32_e32 v2, v2
	s_and_b32 s2, s3, -8
	v_writelane_b32 v54, s13, 36
	v_writelane_b32 v54, s2, 37
	s_cmp_lg_u32 s10, 0
	v_writelane_b32 v54, s10, 38
	s_cselect_b64 s[2:3], -1, 0
	v_writelane_b32 v54, s2, 39
	v_mul_f32_e32 v2, 0x4f7ffffe, v2
	v_cvt_u32_f32_e32 v2, v2
	v_writelane_b32 v54, s3, 40
	v_writelane_b32 v54, s8, 41
	s_cmp_lg_u32 s9, s8
	v_writelane_b32 v54, s9, 42
	s_cselect_b64 s[2:3], -1, 0
	v_writelane_b32 v54, s2, 43
	v_not_b32_e32 v1, v3
	v_cvt_f32_u32_e32 v3, s70
	v_writelane_b32 v54, s3, 44
	s_sub_i32 s2, 0, s99
	v_readfirstlane_b32 s3, v2
	s_mul_i32 s2, s2, s3
	s_mul_hi_u32 s2, s3, s2
	s_add_i32 s8, s3, s2
	s_mul_hi_u32 s2, s68, s8
	s_mul_i32 s2, s2, s99
	s_sub_i32 s2, s68, s2
	s_sub_i32 s3, s2, s99
	s_cmp_ge_u32 s2, s99
	s_cselect_b32 s2, s3, s2
	s_sub_i32 s3, s2, s99
	s_cmp_ge_u32 s2, s99
	s_cselect_b32 s2, s3, s2
	s_sub_i32 s9, s68, s2
	v_rcp_iflag_f32_e32 v5, v3
	v_add_u32_e32 v27, s9, v0
	v_mul_lo_u32 v2, v27, s71
	v_ashrrev_i32_e32 v3, 31, v2
	v_lshl_add_u64 v[14:15], v[2:3], 2, s[80:81]
	v_mul_f32_e32 v2, 0x4f7ffffe, v5
	v_cvt_u32_f32_e32 v2, v2
	s_sub_i32 s17, 0, s70
	s_abs_i32 s16, s91
	s_ashr_i32 s3, s91, 31
	v_readfirstlane_b32 s20, v2
	s_mul_i32 s17, s17, s20
	s_mul_hi_u32 s17, s20, s17
	s_add_i32 s90, s20, s17
	s_mul_hi_u32 s17, s16, s90
	s_mul_i32 s17, s17, s70
	s_sub_i32 s16, s16, s17
	s_sub_i32 s17, s16, s70
	s_cmp_ge_u32 s16, s70
	s_cselect_b32 s16, s17, s16
	s_sub_i32 s17, s16, s70
	s_cmp_ge_u32 s16, s70
	v_lshlrev_b32_e32 v13, 2, v0
	s_cselect_b32 s16, s17, s16
	s_xor_b32 s16, s16, s3
	v_mul_lo_u32 v2, s71, v13
	s_sub_i32 s3, s3, s16
	v_add_u32_e32 v28, s71, v2
	v_or_b32_e32 v2, 2, v13
	s_add_i32 s91, s91, s3
	v_mul_lo_u32 v29, s71, v2
	v_or_b32_e32 v2, 3, v13
	s_add_i32 s3, s70, s68
	v_mov_b32_e32 v9, 0
	v_mul_lo_u32 v31, s71, v2
	v_add_u32_e32 v2, s3, v0
	v_mul_lo_u32 v6, s71, v0
	v_mov_b32_e32 v7, v9
	v_lshlrev_b32_e32 v4, 2, v24
	v_cmp_gt_i32_e64 s[16:17], s91, v0
	s_mul_i32 s98, s71, s70
	v_subrev_u32_e32 v2, s2, v2
	s_mov_b32 s2, 0
	v_cmp_eq_u32_e64 s[18:19], 0, v24
	v_cmp_gt_u32_e64 s[4:5], 2, v0
	v_add_u32_e32 v25, 0xc00, v13
	v_cmp_gt_u32_e64 s[6:7], s68, v0
	v_lshl_add_u64 v[10:11], v[6:7], 2, s[80:81]
	v_and_b32_e32 v7, 0x100, v4
	v_cmp_gt_i32_e64 s[10:11], s9, v13
	v_cmp_gt_u32_e64 s[12:13], s68, v27
	v_cmp_gt_i32_e64 s[14:15], s68, v27
	v_writelane_b32 v54, s16, 45
	s_lshl_b32 s92, s98, 2
	v_lshlrev_b32_e32 v32, 2, v6
	v_mul_lo_u32 v33, s71, v2
	v_lshlrev_b32_e32 v34, 4, v0
	s_lshl_b32 s93, s70, 4
	v_or_b32_e32 v35, 0xc00, v4
	s_mov_b64 s[74:75], 0
	v_mov_b32_e32 v37, 30
	v_mov_b32_e32 v40, s69
	v_mov_b32_e32 v41, s68
	v_mov_b32_e32 v16, 1.0
	v_bfrev_b32_e32 v36, 1
	v_mov_b32_e32 v38, 0xc00
	v_mov_b32_e32 v19, 0
	;; [unrolled: 1-line block ×4, first 2 shown]
	s_mov_b32 s3, 1
	s_mov_b32 s69, s2
	v_writelane_b32 v54, s17, 46
                                        ; implicit-def: $sgpr78_sgpr79
                                        ; implicit-def: $sgpr62_sgpr63
                                        ; implicit-def: $sgpr60_sgpr61
                                        ; implicit-def: $sgpr64_sgpr65
                                        ; implicit-def: $sgpr82_sgpr83
                                        ; implicit-def: $sgpr66_sgpr67
	s_branch .LBB50_7
.LBB50_4:                               ;   in Loop: Header=BB50_7 Depth=1
	s_or_b64 exec, exec, s[30:31]
	s_and_b64 s[30:31], s[28:29], exec
	s_andn2_b64 s[26:27], s[26:27], exec
	s_andn2_b64 s[24:25], s[24:25], exec
	s_orn2_b64 s[20:21], s[20:21], exec
.LBB50_5:                               ;   in Loop: Header=BB50_7 Depth=1
	s_or_b64 exec, exec, s[22:23]
	s_andn2_b64 s[16:17], s[66:67], exec
	s_and_b64 s[22:23], s[30:31], exec
	s_or_b64 s[66:67], s[16:17], s[22:23]
	s_andn2_b64 s[16:17], s[82:83], exec
	s_and_b64 s[22:23], s[26:27], exec
	s_or_b64 s[82:83], s[16:17], s[22:23]
	;; [unrolled: 3-line block ×3, first 2 shown]
	s_orn2_b64 s[20:21], s[20:21], exec
.LBB50_6:                               ;   in Loop: Header=BB50_7 Depth=1
	s_or_b64 exec, exec, s[2:3]
	s_and_b64 s[2:3], exec, s[20:21]
	s_or_b64 s[74:75], s[2:3], s[74:75]
	s_andn2_b64 s[2:3], s[60:61], exec
	s_and_b64 s[16:17], s[66:67], exec
	s_or_b64 s[60:61], s[2:3], s[16:17]
	s_andn2_b64 s[2:3], s[62:63], exec
	s_and_b64 s[16:17], s[82:83], exec
	;; [unrolled: 3-line block ×3, first 2 shown]
	s_or_b64 s[78:79], s[2:3], s[16:17]
	s_mov_b32 s69, s34
	v_mov_b32_e32 v40, v20
	s_andn2_b64 exec, exec, s[74:75]
	s_cbranch_execz .LBB50_242
.LBB50_7:                               ; =>This Loop Header: Depth=1
                                        ;     Child Loop BB50_13 Depth 2
                                        ;     Child Loop BB50_28 Depth 2
	;; [unrolled: 1-line block ×17, first 2 shown]
	ds_read_b64 v[2:3], v9 offset:4096
	s_waitcnt lgkmcnt(0)
	v_readfirstlane_b32 s16, v2
	s_cmp_gt_i32 s16, 0
	s_cbranch_scc1 .LBB50_35
; %bb.8:                                ;   in Loop: Header=BB50_7 Depth=1
	s_and_b64 vcc, exec, s[86:87]
	s_cbranch_vccz .LBB50_21
; %bb.9:                                ;   in Loop: Header=BB50_7 Depth=1
	s_movk_i32 s2, 0x301
	v_cmp_gt_i32_e32 vcc, s2, v3
	s_mov_b64 s[20:21], 0
	s_mov_b64 s[2:3], 0
	s_cbranch_vccz .LBB50_22
; %bb.10:                               ;   in Loop: Header=BB50_7 Depth=1
	s_and_saveexec_b64 s[22:23], s[6:7]
	s_cbranch_execz .LBB50_67
; %bb.11:                               ;   in Loop: Header=BB50_7 Depth=1
	v_readlane_b32 s2, v54, 31
	v_readlane_b32 s3, v54, 32
	s_nop 4
	global_load_ushort v2, v9, s[2:3]
	global_load_dword v4, v[10:11], off
	s_mov_b64 s[24:25], 0
	s_waitcnt vmcnt(1)
	v_add_u32_e32 v5, v0, v2
	v_mul_lo_u32 v3, s71, v2
	v_mul_lo_u32 v8, s71, v5
	v_mov_b32_e32 v5, v0
	s_branch .LBB50_13
.LBB50_12:                              ;   in Loop: Header=BB50_13 Depth=2
	s_or_b64 exec, exec, s[2:3]
	v_cmp_le_i32_e32 vcc, s68, v5
	v_add_u32_e32 v8, v8, v3
	s_or_b64 s[24:25], vcc, s[24:25]
	v_mov_b32_e32 v4, v17
	s_andn2_b64 exec, exec, s[24:25]
	s_cbranch_execz .LBB50_67
.LBB50_13:                              ;   Parent Loop BB50_7 Depth=1
                                        ; =>  This Inner Loop Header: Depth=2
	v_add_u32_e32 v5, v5, v2
	v_cmp_gt_u32_e32 vcc, s68, v5
	s_waitcnt lgkmcnt(0)
	v_mov_b32_e32 v18, 0
	v_mov_b32_e32 v17, 0
	s_and_saveexec_b64 s[2:3], vcc
	s_cbranch_execz .LBB50_15
; %bb.14:                               ;   in Loop: Header=BB50_13 Depth=2
	v_lshl_add_u64 v[20:21], v[8:9], 2, s[80:81]
	global_load_dword v17, v[20:21], off
.LBB50_15:                              ;   in Loop: Header=BB50_13 Depth=2
	s_or_b64 exec, exec, s[2:3]
	s_waitcnt vmcnt(0)
	v_cmp_lt_i32_e32 vcc, -1, v4
	s_nop 1
	v_cndmask_b32_e32 v20, -1, v36, vcc
	v_xor_b32_e32 v20, v20, v4
	v_cmp_o_f32_e32 vcc, v4, v4
	s_nop 1
	v_cndmask_b32_e32 v20, -1, v20, vcc
	v_and_b32_e32 v20, v20, v39
	v_cmp_eq_u32_e32 vcc, v20, v30
	s_cmp_lg_u64 vcc, 0
	s_cselect_b64 s[2:3], -1, 0
	s_and_b64 s[2:3], s[18:19], s[2:3]
	s_and_saveexec_b64 s[26:27], s[2:3]
	s_cbranch_execz .LBB50_19
; %bb.16:                               ;   in Loop: Header=BB50_13 Depth=2
	s_mov_b64 s[30:31], exec
	v_mbcnt_lo_u32_b32 v18, s30, 0
	v_mbcnt_hi_u32_b32 v18, s31, v18
	s_bcnt1_i32_b64 s17, vcc
	v_cmp_eq_u32_e64 s[2:3], 0, v18
                                        ; implicit-def: $vgpr20
	s_and_saveexec_b64 s[28:29], s[2:3]
; %bb.17:                               ;   in Loop: Header=BB50_13 Depth=2
	s_bcnt1_i32_b64 s2, s[30:31]
	s_mul_i32 s2, s17, s2
	v_mov_b32_e32 v20, s2
	ds_add_rtn_u32 v20, v9, v20 offset:4104
; %bb.18:                               ;   in Loop: Header=BB50_13 Depth=2
	s_or_b64 exec, exec, s[28:29]
	s_waitcnt lgkmcnt(0)
	v_readfirstlane_b32 s2, v20
	s_nop 1
	v_mov_b32_e32 v20, s2
	v_mad_u32_u24 v18, s17, v18, v20
.LBB50_19:                              ;   in Loop: Header=BB50_13 Depth=2
	s_or_b64 exec, exec, s[26:27]
	ds_bpermute_b32 v18, v7, v18
	s_and_saveexec_b64 s[2:3], vcc
	s_cbranch_execz .LBB50_12
; %bb.20:                               ;   in Loop: Header=BB50_13 Depth=2
	v_and_b32_e32 v21, vcc_lo, v12
	v_and_b32_e32 v20, vcc_hi, v1
	v_bcnt_u32_b32 v21, v21, 0
	v_bcnt_u32_b32 v20, v20, v21
	v_lshlrev_b32_e32 v20, 2, v20
	s_waitcnt lgkmcnt(0)
	v_lshl_add_u32 v18, v18, 2, v20
	ds_write_b32 v18, v4
	s_branch .LBB50_12
.LBB50_21:                              ;   in Loop: Header=BB50_7 Depth=1
	s_mov_b64 s[20:21], -1
	s_mov_b64 s[2:3], 0
.LBB50_22:                              ;   in Loop: Header=BB50_7 Depth=1
	s_and_b64 vcc, exec, s[20:21]
	s_cbranch_vccz .LBB50_33
.LBB50_23:                              ;   in Loop: Header=BB50_7 Depth=1
	v_mov_b32_e32 v2, 0
	s_and_saveexec_b64 s[2:3], s[6:7]
	s_cbranch_execz .LBB50_25
; %bb.24:                               ;   in Loop: Header=BB50_7 Depth=1
	global_load_dword v2, v[10:11], off
.LBB50_25:                              ;   in Loop: Header=BB50_7 Depth=1
	s_or_b64 exec, exec, s[2:3]
	s_mov_b64 s[2:3], exec
	v_readlane_b32 s20, v54, 29
	v_readlane_b32 s21, v54, 30
	s_and_b64 s[20:21], s[2:3], s[20:21]
	s_mov_b64 exec, s[20:21]
	s_cbranch_execz .LBB50_30
; %bb.26:                               ;   in Loop: Header=BB50_7 Depth=1
	v_readlane_b32 s20, v54, 31
	v_readlane_b32 s21, v54, 32
	v_mov_b32_e32 v4, v13
	v_mov_b32_e32 v18, v0
	s_nop 2
	global_load_ushort v3, v9, s[20:21]
	s_mov_b64 s[20:21], 0
	s_waitcnt vmcnt(0)
	v_add_u32_e32 v8, v0, v3
	v_lshlrev_b32_e32 v5, 2, v3
	v_mul_lo_u32 v17, s71, v3
	v_mul_lo_u32 v8, s71, v8
	s_branch .LBB50_28
.LBB50_27:                              ;   in Loop: Header=BB50_28 Depth=2
	s_or_b64 exec, exec, s[22:23]
	v_cmp_le_i32_e32 vcc, s68, v18
	ds_write_b32 v4, v2
	v_add_u32_e32 v4, v4, v5
	v_add_u32_e32 v8, v8, v17
	s_or_b64 s[20:21], vcc, s[20:21]
	s_waitcnt vmcnt(0)
	v_mov_b32_e32 v2, v20
	s_andn2_b64 exec, exec, s[20:21]
	s_cbranch_execz .LBB50_30
.LBB50_28:                              ;   Parent Loop BB50_7 Depth=1
                                        ; =>  This Inner Loop Header: Depth=2
	v_add_u32_e32 v18, v18, v3
	v_cmp_gt_u32_e32 vcc, s68, v18
	v_mov_b32_e32 v20, 0
	s_and_saveexec_b64 s[22:23], vcc
	s_cbranch_execz .LBB50_27
; %bb.29:                               ;   in Loop: Header=BB50_28 Depth=2
	v_lshl_add_u64 v[20:21], v[8:9], 2, s[80:81]
	global_load_dword v20, v[20:21], off
	s_branch .LBB50_27
.LBB50_30:                              ;   in Loop: Header=BB50_7 Depth=1
	s_or_b64 exec, exec, s[2:3]
	s_waitcnt lgkmcnt(0)
	s_barrier
	s_and_saveexec_b64 s[2:3], s[0:1]
; %bb.31:                               ;   in Loop: Header=BB50_7 Depth=1
	ds_write_b32 v9, v41 offset:4096
; %bb.32:                               ;   in Loop: Header=BB50_7 Depth=1
	s_or_b64 exec, exec, s[2:3]
	s_mov_b64 s[2:3], -1
	s_waitcnt lgkmcnt(0)
	s_barrier
.LBB50_33:                              ;   in Loop: Header=BB50_7 Depth=1
	s_and_b64 vcc, exec, s[2:3]
	s_cbranch_vccz .LBB50_35
; %bb.34:                               ;   in Loop: Header=BB50_7 Depth=1
	s_waitcnt vmcnt(0)
	ds_read_b32 v2, v9 offset:4096
	s_waitcnt lgkmcnt(0)
	v_readfirstlane_b32 s16, v2
.LBB50_35:                              ;   in Loop: Header=BB50_7 Depth=1
	s_cmp_lt_i32 s16, 1
	s_mov_b64 s[2:3], -1
                                        ; implicit-def: $vgpr4_vgpr5
	s_cbranch_scc1 .LBB50_45
; %bb.36:                               ;   in Loop: Header=BB50_7 Depth=1
	s_and_b64 vcc, exec, s[2:3]
	s_cbranch_vccnz .LBB50_58
.LBB50_37:                              ;   in Loop: Header=BB50_7 Depth=1
	s_lshl_b32 s16, s69, 6
	s_and_saveexec_b64 s[2:3], s[18:19]
	s_cbranch_execz .LBB50_39
.LBB50_38:                              ;   in Loop: Header=BB50_7 Depth=1
	v_lshl_add_u32 v8, s16, 2, v26
	s_waitcnt vmcnt(0)
	ds_write_b128 v8, v[2:5]
.LBB50_39:                              ;   in Loop: Header=BB50_7 Depth=1
	s_or_b64 exec, exec, s[2:3]
	s_waitcnt lgkmcnt(0)
	s_barrier
	s_and_saveexec_b64 s[2:3], s[84:85]
	s_cbranch_execz .LBB50_78
; %bb.40:                               ;   in Loop: Header=BB50_7 Depth=1
	v_add_u32_e32 v4, s16, v24
	s_andn2_b64 vcc, exec, s[88:89]
	s_waitcnt vmcnt(0)
	v_mov_b32_e32 v2, 0
	s_cbranch_vccnz .LBB50_77
; %bb.41:                               ;   in Loop: Header=BB50_7 Depth=1
	v_readlane_b32 s20, v54, 33
	v_readlane_b32 s21, v54, 34
	s_andn2_b64 vcc, exec, s[20:21]
	s_cbranch_vccnz .LBB50_70
; %bb.42:                               ;   in Loop: Header=BB50_7 Depth=1
	v_readlane_b32 s20, v54, 35
	v_readlane_b32 s21, v54, 36
	s_andn2_b64 vcc, exec, s[20:21]
	v_lshl_add_u32 v5, v4, 2, v38
	s_cbranch_vccnz .LBB50_71
; %bb.43:                               ;   in Loop: Header=BB50_7 Depth=1
	s_mov_b32 s21, 1
	s_mov_b32 s20, 0
	v_mov_b32_e32 v2, 0
	v_mov_b32_e32 v3, 0
	v_readlane_b32 s17, v54, 37
.LBB50_44:                              ;   Parent Loop BB50_7 Depth=1
                                        ; =>  This Inner Loop Header: Depth=2
	v_lshl_add_u32 v8, s20, 4, v5
	v_lshl_add_u32 v17, s21, 4, v5
	ds_read2_b32 v[20:21], v8 offset1:8
	ds_read2_b32 v[22:23], v17 offset1:8
	ds_read2_b32 v[42:43], v8 offset0:16 offset1:24
	ds_read2_b32 v[44:45], v17 offset0:16 offset1:24
	;; [unrolled: 1-line block ×6, first 2 shown]
	s_waitcnt lgkmcnt(7)
	v_add3_u32 v2, v20, v2, v21
	s_waitcnt lgkmcnt(6)
	v_add3_u32 v3, v22, v3, v23
	;; [unrolled: 2-line block ×3, first 2 shown]
	v_add3_u32 v2, v42, v2, v43
	s_add_i32 s21, s21, 16
	s_add_i32 s20, s20, 16
	s_add_i32 s17, s17, -8
	s_waitcnt lgkmcnt(3)
	v_add3_u32 v2, v46, v2, v47
	s_waitcnt lgkmcnt(2)
	v_add3_u32 v3, v48, v3, v49
	s_cmp_lg_u32 s17, 0
	s_waitcnt lgkmcnt(0)
	v_add3_u32 v3, v52, v3, v53
	v_add3_u32 v2, v50, v2, v51
	s_cbranch_scc1 .LBB50_44
	s_branch .LBB50_72
.LBB50_45:                              ;   in Loop: Header=BB50_7 Depth=1
	v_mov_b32_e32 v8, v9
	v_mov_b64_e32 v[4:5], v[8:9]
	s_waitcnt vmcnt(0)
	v_mov_b64_e32 v[2:3], v[8:9]
	s_and_saveexec_b64 s[72:73], s[10:11]
	s_cbranch_execnz .LBB50_48
; %bb.46:                               ;   in Loop: Header=BB50_7 Depth=1
	s_or_b64 exec, exec, s[72:73]
	v_mov_b32_e32 v17, 0
	s_and_saveexec_b64 s[2:3], s[12:13]
	s_cbranch_execnz .LBB50_51
.LBB50_47:                              ;   in Loop: Header=BB50_7 Depth=1
	s_or_b64 exec, exec, s[2:3]
	s_and_saveexec_b64 s[20:21], s[14:15]
	s_cbranch_execnz .LBB50_52
	s_branch .LBB50_57
.LBB50_48:                              ;   in Loop: Header=BB50_7 Depth=1
	s_mov_b32 s17, 0
	s_mov_b64 s[76:77], 0
	v_mov_b32_e32 v8, v13
	s_mov_b32 s94, 0
	s_mov_b32 s95, s17
	;; [unrolled: 1-line block ×4, first 2 shown]
.LBB50_49:                              ;   Parent Loop BB50_7 Depth=1
                                        ; =>  This Inner Loop Header: Depth=2
	v_add_u32_e32 v2, s17, v32
	v_add_u32_e32 v4, s17, v28
	;; [unrolled: 1-line block ×4, first 2 shown]
	v_ashrrev_i32_e32 v3, 31, v2
	v_ashrrev_i32_e32 v5, 31, v4
	;; [unrolled: 1-line block ×4, first 2 shown]
	v_lshl_add_u64 v[2:3], v[2:3], 2, s[80:81]
	v_lshl_add_u64 v[4:5], v[4:5], 2, s[80:81]
	;; [unrolled: 1-line block ×4, first 2 shown]
	global_load_dword v2, v[2:3], off
	s_nop 0
	global_load_dword v3, v[4:5], off
	s_nop 0
	global_load_dword v4, v[20:21], off
	global_load_dword v5, v[22:23], off
	v_add_u32_e32 v8, s99, v8
	s_add_i32 s17, s17, s92
	v_cmp_le_i32_e32 vcc, s9, v8
	s_waitcnt vmcnt(3)
	v_cmp_lt_i32_e64 s[2:3], -1, v2
	s_nop 1
	v_cndmask_b32_e64 v17, -1, v36, s[2:3]
	s_waitcnt vmcnt(2)
	v_cmp_lt_i32_e64 s[2:3], -1, v3
	s_waitcnt vmcnt(1)
	v_cmp_o_f32_e64 s[20:21], v4, v4
	s_waitcnt vmcnt(0)
	v_cmp_o_f32_e64 s[22:23], v5, v5
	v_cndmask_b32_e64 v18, -1, v36, s[2:3]
	v_cmp_lt_i32_e64 s[2:3], -1, v4
	v_xor_b32_e32 v18, v18, v3
	v_cmp_o_f32_e64 s[24:25], v2, v2
	v_cndmask_b32_e64 v20, -1, v36, s[2:3]
	v_cmp_lt_i32_e64 s[2:3], -1, v5
	s_nop 1
	v_cndmask_b32_e64 v21, -1, v36, s[2:3]
	v_cmp_o_f32_e64 s[2:3], v3, v3
	v_xor_b32_e32 v3, v20, v4
	v_xor_b32_e32 v4, v21, v5
	;; [unrolled: 1-line block ×3, first 2 shown]
	v_cndmask_b32_e64 v2, -1, v5, s[24:25]
	v_cndmask_b32_e64 v5, -1, v18, s[2:3]
	v_and_b32_e32 v17, v2, v39
	v_bfe_u32 v2, v2, v37, 2
	v_cndmask_b32_e64 v3, -1, v3, s[20:21]
	v_and_b32_e32 v18, v5, v39
	v_bfe_u32 v5, v5, v37, 2
	v_cmp_eq_u32_e64 s[2:3], v17, v30
	v_cmp_eq_u32_e64 s[26:27], 0, v2
	v_cndmask_b32_e64 v4, -1, v4, s[22:23]
	v_and_b32_e32 v20, v3, v39
	v_bfe_u32 v3, v3, v37, 2
	v_cmp_eq_u32_e64 s[20:21], v18, v30
	v_cmp_eq_u32_e64 s[28:29], 0, v5
	s_and_b64 s[26:27], s[2:3], s[26:27]
	v_and_b32_e32 v21, v4, v39
	v_bfe_u32 v4, v4, v37, 2
	v_cmp_eq_u32_e64 s[22:23], v20, v30
	v_cmp_eq_u32_e64 s[30:31], 0, v3
	;; [unrolled: 1-line block ×5, first 2 shown]
	v_cndmask_b32_e64 v2, 0, 1, s[26:27]
	s_and_b64 s[26:27], s[20:21], s[28:29]
	v_cmp_eq_u32_e64 s[24:25], v21, v30
	v_cmp_eq_u32_e64 s[34:35], 0, v4
	;; [unrolled: 1-line block ×5, first 2 shown]
	v_cndmask_b32_e64 v3, 0, 1, s[26:27]
	s_and_b64 s[26:27], s[22:23], s[30:31]
	v_cmp_eq_u32_e64 s[42:43], 1, v4
	v_cmp_eq_u32_e64 s[50:51], 2, v4
	;; [unrolled: 1-line block ×3, first 2 shown]
	v_cndmask_b32_e64 v4, 0, 1, s[26:27]
	s_and_b64 s[26:27], s[24:25], s[34:35]
	v_cmp_eq_u32_e64 s[38:39], 1, v5
	v_cmp_eq_u32_e64 s[46:47], 2, v5
	;; [unrolled: 1-line block ×3, first 2 shown]
	v_cndmask_b32_e64 v5, 0, 1, s[26:27]
	s_and_b64 s[26:27], s[2:3], s[36:37]
	v_cndmask_b32_e64 v17, 0, 1, s[26:27]
	s_and_b64 s[26:27], s[20:21], s[38:39]
	;; [unrolled: 2-line block ×5, first 2 shown]
	s_and_b64 s[2:3], s[2:3], s[52:53]
	v_cndmask_b32_e64 v22, 0, 1, s[26:27]
	s_and_b64 s[26:27], s[20:21], s[46:47]
	v_cndmask_b32_e64 v44, 0, 1, s[2:3]
	;; [unrolled: 2-line block ×7, first 2 shown]
	v_cndmask_b32_e64 v47, 0, 1, s[2:3]
	v_cmp_ne_u32_e64 s[2:3], 0, v2
	v_cmp_ne_u32_e64 s[20:21], 0, v3
	;; [unrolled: 1-line block ×11, first 2 shown]
	s_bcnt1_i32_b64 s2, s[2:3]
	s_bcnt1_i32_b64 s3, s[20:21]
	;; [unrolled: 1-line block ×8, first 2 shown]
	v_cmp_ne_u32_e64 s[34:35], 0, v21
	v_cmp_ne_u32_e64 s[40:41], 0, v42
	;; [unrolled: 1-line block ×3, first 2 shown]
	s_bcnt1_i32_b64 s23, s[28:29]
	s_bcnt1_i32_b64 s27, s[38:39]
	;; [unrolled: 1-line block ×3, first 2 shown]
	s_add_i32 s2, s94, s2
	s_add_i32 s22, s95, s22
	;; [unrolled: 1-line block ×4, first 2 shown]
	v_cmp_ne_u32_e64 s[42:43], 0, v43
	v_cmp_ne_u32_e64 s[50:51], 0, v47
	s_bcnt1_i32_b64 s25, s[34:35]
	s_bcnt1_i32_b64 s28, s[40:41]
	;; [unrolled: 1-line block ×3, first 2 shown]
	s_add_i32 s22, s22, s23
	s_add_i32 s2, s2, s3
	;; [unrolled: 1-line block ×4, first 2 shown]
	s_bcnt1_i32_b64 s29, s[42:43]
	s_bcnt1_i32_b64 s35, s[50:51]
	s_add_i32 s2, s2, s20
	s_add_i32 s20, s22, s24
	;; [unrolled: 1-line block ×8, first 2 shown]
	s_or_b64 s[76:77], vcc, s[76:77]
	v_mov_b64_e32 v[2:3], s[94:95]
	v_mov_b64_e32 v[4:5], s[96:97]
	s_andn2_b64 exec, exec, s[76:77]
	s_cbranch_execnz .LBB50_49
; %bb.50:                               ;   in Loop: Header=BB50_7 Depth=1
	s_or_b64 exec, exec, s[76:77]
	s_or_b64 exec, exec, s[72:73]
	v_mov_b32_e32 v17, 0
	s_and_saveexec_b64 s[2:3], s[12:13]
	s_cbranch_execz .LBB50_47
.LBB50_51:                              ;   in Loop: Header=BB50_7 Depth=1
	global_load_dword v17, v[14:15], off
	s_or_b64 exec, exec, s[2:3]
	s_and_saveexec_b64 s[20:21], s[14:15]
	s_cbranch_execz .LBB50_57
.LBB50_52:                              ;   in Loop: Header=BB50_7 Depth=1
	s_mov_b64 s[22:23], 0
	v_mov_b32_e32 v20, v33
	v_mov_b32_e32 v8, v27
	s_branch .LBB50_54
.LBB50_53:                              ;   in Loop: Header=BB50_54 Depth=2
	s_or_b64 exec, exec, s[2:3]
	s_waitcnt vmcnt(0)
	v_cmp_lt_i32_e32 vcc, -1, v17
	v_add_u32_e32 v20, s98, v20
	s_nop 0
	v_cndmask_b32_e32 v21, -1, v36, vcc
	v_xor_b32_e32 v21, v21, v17
	v_cmp_o_f32_e32 vcc, v17, v17
	s_nop 1
	v_cndmask_b32_e32 v17, -1, v21, vcc
	v_and_b32_e32 v21, v17, v39
	v_bfe_u32 v17, v17, v37, 2
	v_cmp_eq_u32_e32 vcc, v21, v30
	v_cmp_eq_u32_e64 s[2:3], 0, v17
	s_and_b64 s[2:3], vcc, s[2:3]
	s_nop 0
	v_cndmask_b32_e64 v21, 0, 1, s[2:3]
	v_cmp_ne_u32_e64 s[2:3], 0, v21
	s_bcnt1_i32_b64 s17, s[2:3]
	v_cmp_eq_u32_e64 s[2:3], 1, v17
	s_and_b64 s[2:3], vcc, s[2:3]
	v_add_u32_e32 v2, s17, v2
	v_cndmask_b32_e64 v21, 0, 1, s[2:3]
	v_cmp_ne_u32_e64 s[2:3], 0, v21
	s_bcnt1_i32_b64 s2, s[2:3]
	s_nop 0
	v_add_u32_e32 v3, s2, v3
	v_cmp_eq_u32_e64 s[2:3], 2, v17
	s_and_b64 s[2:3], vcc, s[2:3]
	s_nop 0
	v_cndmask_b32_e64 v21, 0, 1, s[2:3]
	v_cmp_ne_u32_e64 s[2:3], 0, v21
	s_bcnt1_i32_b64 s17, s[2:3]
	v_cmp_eq_u32_e64 s[2:3], 3, v17
	s_and_b64 s[2:3], vcc, s[2:3]
	v_add_u32_e32 v4, s17, v4
	v_cndmask_b32_e64 v17, 0, 1, s[2:3]
	v_cmp_ne_u32_e32 vcc, 0, v17
	s_bcnt1_i32_b64 s2, vcc
	v_cmp_le_i32_e32 vcc, s68, v8
	v_add_u32_e32 v5, s2, v5
	s_or_b64 s[22:23], vcc, s[22:23]
	v_mov_b32_e32 v17, v18
	s_andn2_b64 exec, exec, s[22:23]
	s_cbranch_execz .LBB50_56
.LBB50_54:                              ;   Parent Loop BB50_7 Depth=1
                                        ; =>  This Inner Loop Header: Depth=2
	v_add_u32_e32 v8, s70, v8
	v_cmp_gt_u32_e32 vcc, s68, v8
	v_mov_b32_e32 v18, 0
	s_and_saveexec_b64 s[2:3], vcc
	s_cbranch_execz .LBB50_53
; %bb.55:                               ;   in Loop: Header=BB50_54 Depth=2
	v_ashrrev_i32_e32 v21, 31, v20
	v_lshl_add_u64 v[22:23], v[20:21], 2, s[80:81]
	global_load_dword v18, v[22:23], off
	s_branch .LBB50_53
.LBB50_56:                              ;   in Loop: Header=BB50_7 Depth=1
	s_or_b64 exec, exec, s[22:23]
.LBB50_57:                              ;   in Loop: Header=BB50_7 Depth=1
	s_or_b64 exec, exec, s[20:21]
	s_branch .LBB50_37
.LBB50_58:                              ;   in Loop: Header=BB50_7 Depth=1
	s_mul_hi_u32 s2, s16, s8
	s_mul_i32 s2, s2, s99
	s_sub_i32 s2, s16, s2
	s_sub_i32 s3, s2, s99
	s_cmp_ge_u32 s2, s99
	s_cselect_b32 s2, s3, s2
	s_sub_i32 s3, s2, s99
	s_cmp_ge_u32 s2, s99
	s_cselect_b32 s2, s3, s2
	s_sub_i32 s17, s16, s2
	v_mov_b32_e32 v8, v9
	v_cmp_gt_u32_e32 vcc, s17, v13
	v_mov_b64_e32 v[4:5], v[8:9]
	s_waitcnt vmcnt(0)
	v_mov_b64_e32 v[2:3], v[8:9]
	s_and_saveexec_b64 s[72:73], vcc
	s_cbranch_execz .LBB50_62
; %bb.59:                               ;   in Loop: Header=BB50_7 Depth=1
	s_mov_b32 s94, 0
	s_mov_b64 s[76:77], 0
	v_mov_b32_e32 v8, v34
	v_mov_b32_e32 v17, v13
	s_mov_b32 s95, s94
	s_mov_b32 s96, s94
	s_mov_b32 s97, s94
.LBB50_60:                              ;   Parent Loop BB50_7 Depth=1
                                        ; =>  This Inner Loop Header: Depth=2
	ds_read_b128 v[2:5], v8
	v_add_u32_e32 v17, s99, v17
	v_cmp_le_i32_e32 vcc, s17, v17
	v_add_u32_e32 v8, s93, v8
	s_waitcnt lgkmcnt(0)
	v_cmp_lt_i32_e64 s[2:3], -1, v3
	v_cmp_o_f32_e64 s[20:21], v4, v4
	s_nop 0
	v_cndmask_b32_e64 v18, -1, v36, s[2:3]
	v_cmp_lt_i32_e64 s[2:3], -1, v2
	v_cmp_o_f32_e64 s[22:23], v5, v5
	v_cmp_o_f32_e64 s[24:25], v3, v3
	v_cndmask_b32_e64 v20, -1, v36, s[2:3]
	v_cmp_lt_i32_e64 s[2:3], -1, v5
	v_xor_b32_e32 v20, v20, v2
	s_nop 0
	v_cndmask_b32_e64 v21, -1, v36, s[2:3]
	v_cmp_lt_i32_e64 s[2:3], -1, v4
	s_nop 1
	v_cndmask_b32_e64 v22, -1, v36, s[2:3]
	v_cmp_o_f32_e64 s[2:3], v2, v2
	v_xor_b32_e32 v2, v22, v4
	v_xor_b32_e32 v4, v21, v5
	;; [unrolled: 1-line block ×3, first 2 shown]
	v_cndmask_b32_e64 v3, -1, v5, s[24:25]
	v_cndmask_b32_e64 v5, -1, v20, s[2:3]
	v_and_b32_e32 v18, v5, v39
	v_lshrrev_b32_e32 v5, v37, v5
	v_cndmask_b32_e64 v2, -1, v2, s[20:21]
	v_and_b32_e32 v20, v3, v39
	v_lshrrev_b32_e32 v3, v37, v3
	v_and_b32_e32 v5, 3, v5
	v_and_b32_e32 v21, v2, v39
	v_lshrrev_b32_e32 v2, v37, v2
	v_cmp_eq_u32_e64 s[2:3], v18, v30
	v_and_b32_e32 v3, 3, v3
	v_cmp_eq_u32_e64 s[26:27], 0, v5
	v_cndmask_b32_e64 v4, -1, v4, s[22:23]
	v_cmp_eq_u32_e64 s[20:21], v20, v30
	v_and_b32_e32 v2, 3, v2
	v_cmp_eq_u32_e64 s[28:29], 0, v3
	s_and_b64 s[26:27], s[2:3], s[26:27]
	v_and_b32_e32 v22, v4, v39
	v_lshrrev_b32_e32 v4, v37, v4
	v_cmp_eq_u32_e64 s[30:31], 1, v5
	v_cmp_eq_u32_e64 s[44:45], 0, v2
	;; [unrolled: 1-line block ×5, first 2 shown]
	v_cndmask_b32_e64 v2, 0, 1, s[26:27]
	s_and_b64 s[26:27], s[20:21], s[28:29]
	v_and_b32_e32 v4, 3, v4
	v_cmp_eq_u32_e64 s[34:35], 1, v3
	v_cmp_eq_u32_e64 s[38:39], 2, v3
	;; [unrolled: 1-line block ×3, first 2 shown]
	v_cndmask_b32_e64 v3, 0, 1, s[26:27]
	s_and_b64 s[26:27], s[2:3], s[30:31]
	v_cmp_eq_u32_e64 s[36:37], 2, v5
	v_cmp_eq_u32_e64 s[46:47], 0, v4
	;; [unrolled: 1-line block ×5, first 2 shown]
	v_cndmask_b32_e64 v4, 0, 1, s[26:27]
	s_and_b64 s[26:27], s[20:21], s[34:35]
	v_cmp_eq_u32_e64 s[42:43], 3, v5
	v_cndmask_b32_e64 v5, 0, 1, s[26:27]
	s_and_b64 s[26:27], s[2:3], s[36:37]
	v_cmp_eq_u32_e64 s[22:23], v21, v30
	v_cndmask_b32_e64 v18, 0, 1, s[26:27]
	s_and_b64 s[26:27], s[20:21], s[38:39]
	v_cmp_eq_u32_e64 s[24:25], v22, v30
	v_cndmask_b32_e64 v20, 0, 1, s[26:27]
	s_and_b64 s[26:27], s[22:23], s[44:45]
	v_cndmask_b32_e64 v21, 0, 1, s[26:27]
	s_and_b64 s[26:27], s[24:25], s[46:47]
	;; [unrolled: 2-line block ×3, first 2 shown]
	s_and_b64 s[2:3], s[2:3], s[42:43]
	v_cndmask_b32_e64 v23, 0, 1, s[26:27]
	s_and_b64 s[26:27], s[24:25], s[50:51]
	v_cndmask_b32_e64 v45, 0, 1, s[2:3]
	;; [unrolled: 2-line block ×7, first 2 shown]
	v_cndmask_b32_e64 v48, 0, 1, s[2:3]
	v_cmp_ne_u32_e64 s[2:3], 0, v2
	v_cmp_ne_u32_e64 s[20:21], 0, v3
	;; [unrolled: 1-line block ×9, first 2 shown]
	s_bcnt1_i32_b64 s2, s[2:3]
	s_bcnt1_i32_b64 s3, s[20:21]
	;; [unrolled: 1-line block ×7, first 2 shown]
	v_cmp_ne_u32_e64 s[34:35], 0, v22
	v_cmp_ne_u32_e64 s[36:37], 0, v23
	;; [unrolled: 1-line block ×4, first 2 shown]
	s_bcnt1_i32_b64 s23, s[28:29]
	s_bcnt1_i32_b64 s31, s[46:47]
	s_add_i32 s2, s94, s2
	s_add_i32 s20, s95, s20
	;; [unrolled: 1-line block ×4, first 2 shown]
	v_cmp_ne_u32_e64 s[38:39], 0, v42
	v_cmp_ne_u32_e64 s[42:43], 0, v44
	;; [unrolled: 1-line block ×3, first 2 shown]
	s_bcnt1_i32_b64 s25, s[34:35]
	s_bcnt1_i32_b64 s26, s[36:37]
	;; [unrolled: 1-line block ×4, first 2 shown]
	s_add_i32 s20, s20, s21
	s_add_i32 s2, s2, s3
	;; [unrolled: 1-line block ×4, first 2 shown]
	s_bcnt1_i32_b64 s27, s[38:39]
	s_bcnt1_i32_b64 s29, s[42:43]
	;; [unrolled: 1-line block ×3, first 2 shown]
	s_add_i32 s2, s2, s24
	s_add_i32 s20, s20, s26
	;; [unrolled: 1-line block ×8, first 2 shown]
	s_or_b64 s[76:77], vcc, s[76:77]
	v_mov_b64_e32 v[2:3], s[94:95]
	v_mov_b64_e32 v[4:5], s[96:97]
	s_andn2_b64 exec, exec, s[76:77]
	s_cbranch_execnz .LBB50_60
; %bb.61:                               ;   in Loop: Header=BB50_7 Depth=1
	s_or_b64 exec, exec, s[76:77]
.LBB50_62:                              ;   in Loop: Header=BB50_7 Depth=1
	s_or_b64 exec, exec, s[72:73]
	v_add_u32_e32 v8, s17, v0
	v_cmp_gt_i32_e32 vcc, s16, v8
	s_and_saveexec_b64 s[28:29], vcc
	s_cbranch_execz .LBB50_66
; %bb.63:                               ;   in Loop: Header=BB50_7 Depth=1
	v_lshlrev_b32_e32 v17, 2, v8
	s_mov_b64 s[30:31], 0
.LBB50_64:                              ;   Parent Loop BB50_7 Depth=1
                                        ; =>  This Inner Loop Header: Depth=2
	ds_read_b32 v18, v17
	v_add_u32_e32 v8, s70, v8
	v_cmp_le_i32_e32 vcc, s16, v8
	v_add_u32_e32 v17, s99, v17
	s_waitcnt lgkmcnt(0)
	v_cmp_lt_i32_e64 s[2:3], -1, v18
	s_nop 1
	v_cndmask_b32_e64 v20, -1, v36, s[2:3]
	v_xor_b32_e32 v20, v20, v18
	v_cmp_o_f32_e64 s[2:3], v18, v18
	s_nop 1
	v_cndmask_b32_e64 v18, -1, v20, s[2:3]
	v_and_b32_e32 v20, v18, v39
	v_bfe_u32 v18, v18, v37, 2
	v_cmp_eq_u32_e64 s[2:3], v20, v30
	v_cmp_eq_u32_e64 s[20:21], 0, v18
	;; [unrolled: 1-line block ×3, first 2 shown]
	s_and_b64 s[20:21], s[2:3], s[20:21]
	v_cmp_eq_u32_e64 s[24:25], 2, v18
	v_cmp_eq_u32_e64 s[26:27], 3, v18
	v_cndmask_b32_e64 v18, 0, 1, s[20:21]
	s_and_b64 s[20:21], s[2:3], s[22:23]
	v_cndmask_b32_e64 v20, 0, 1, s[20:21]
	s_and_b64 s[20:21], s[2:3], s[24:25]
	s_and_b64 s[2:3], s[2:3], s[26:27]
	v_cndmask_b32_e64 v21, 0, 1, s[20:21]
	v_cndmask_b32_e64 v22, 0, 1, s[2:3]
	v_cmp_ne_u32_e64 s[2:3], 0, v18
	v_cmp_ne_u32_e64 s[20:21], 0, v20
	;; [unrolled: 1-line block ×4, first 2 shown]
	s_bcnt1_i32_b64 s2, s[2:3]
	s_bcnt1_i32_b64 s3, s[20:21]
	;; [unrolled: 1-line block ×4, first 2 shown]
	v_add_u32_e32 v3, s3, v3
	v_add_u32_e32 v2, s2, v2
	;; [unrolled: 1-line block ×3, first 2 shown]
	s_or_b64 s[30:31], vcc, s[30:31]
	v_add_u32_e32 v4, s17, v4
	s_andn2_b64 exec, exec, s[30:31]
	s_cbranch_execnz .LBB50_64
; %bb.65:                               ;   in Loop: Header=BB50_7 Depth=1
	s_or_b64 exec, exec, s[30:31]
.LBB50_66:                              ;   in Loop: Header=BB50_7 Depth=1
	s_or_b64 exec, exec, s[28:29]
	s_lshl_b32 s16, s69, 6
	s_and_saveexec_b64 s[2:3], s[18:19]
	s_cbranch_execnz .LBB50_38
	s_branch .LBB50_39
.LBB50_67:                              ;   in Loop: Header=BB50_7 Depth=1
	s_or_b64 exec, exec, s[22:23]
	s_waitcnt lgkmcnt(0)
	s_barrier
	s_and_saveexec_b64 s[2:3], s[0:1]
	s_cbranch_execz .LBB50_69
; %bb.68:                               ;   in Loop: Header=BB50_7 Depth=1
	ds_read_b32 v2, v9 offset:4104
	s_waitcnt lgkmcnt(0)
	ds_write_b32 v9, v2 offset:4096
.LBB50_69:                              ;   in Loop: Header=BB50_7 Depth=1
	s_or_b64 exec, exec, s[2:3]
	s_waitcnt lgkmcnt(0)
	s_barrier
	s_mov_b64 s[2:3], -1
	s_and_b64 vcc, exec, s[20:21]
	s_cbranch_vccnz .LBB50_23
	s_branch .LBB50_33
.LBB50_70:                              ;   in Loop: Header=BB50_7 Depth=1
	v_mov_b32_e32 v2, 0
	s_mov_b32 s17, 0
	s_cbranch_execnz .LBB50_75
	s_branch .LBB50_77
.LBB50_71:                              ;   in Loop: Header=BB50_7 Depth=1
	v_mov_b32_e32 v8, v9
	s_mov_b32 s20, 0
	v_mov_b64_e32 v[2:3], v[8:9]
	s_mov_b32 s21, 1
.LBB50_72:                              ;   in Loop: Header=BB50_7 Depth=1
	v_readlane_b32 s22, v54, 39
	v_readlane_b32 s23, v54, 40
	s_andn2_b64 vcc, exec, s[22:23]
	v_readlane_b32 s17, v54, 38
	s_cbranch_vccnz .LBB50_74
.LBB50_73:                              ;   Parent Loop BB50_7 Depth=1
                                        ; =>  This Inner Loop Header: Depth=2
	v_lshl_add_u32 v8, s20, 4, v5
	v_lshl_add_u32 v17, s21, 4, v5
	ds_read_b32 v17, v17
	ds_read_b32 v8, v8
	s_add_i32 s21, s21, 2
	s_add_i32 s20, s20, 2
	s_add_i32 s17, s17, -1
	s_cmp_lg_u32 s17, 0
	s_waitcnt lgkmcnt(1)
	v_add_u32_e32 v3, v17, v3
	s_waitcnt lgkmcnt(0)
	v_add_u32_e32 v2, v8, v2
	s_cbranch_scc1 .LBB50_73
.LBB50_74:                              ;   in Loop: Header=BB50_7 Depth=1
	v_readlane_b32 s20, v54, 43
	v_add_u32_e32 v2, v2, v3
	v_readlane_b32 s17, v54, 42
	v_readlane_b32 s21, v54, 44
	s_and_b64 vcc, exec, s[20:21]
	s_cbranch_vccz .LBB50_77
.LBB50_75:                              ;   in Loop: Header=BB50_7 Depth=1
	s_lshl_b32 s20, s69, 8
	s_lshl_b32 s21, s17, 4
	s_add_i32 s20, s20, s21
	v_add_u32_e32 v3, s20, v35
	v_readlane_b32 s20, v54, 41
	s_sub_i32 s17, s20, s17
.LBB50_76:                              ;   Parent Loop BB50_7 Depth=1
                                        ; =>  This Inner Loop Header: Depth=2
	ds_read_b32 v5, v3
	s_add_i32 s17, s17, -1
	v_add_u32_e32 v3, 16, v3
	s_cmp_eq_u32 s17, 0
	s_waitcnt lgkmcnt(0)
	v_add_u32_e32 v2, v5, v2
	s_cbranch_scc0 .LBB50_76
.LBB50_77:                              ;   in Loop: Header=BB50_7 Depth=1
	v_lshlrev_b32_e32 v3, 2, v4
	ds_write_b32 v3, v2 offset:3072
.LBB50_78:                              ;   in Loop: Header=BB50_7 Depth=1
	s_or_b64 exec, exec, s[2:3]
	s_lshl_b32 s2, s16, 2
	s_waitcnt vmcnt(0)
	v_mov_b32_e32 v2, s2
	s_waitcnt lgkmcnt(0)
	s_barrier
	ds_read_b128 v[2:5], v2 offset:3072
	v_cmp_eq_u32_e32 vcc, 1, v40
	s_mov_b64 s[20:21], -1
	s_mov_b64 s[28:29], -1
                                        ; implicit-def: $sgpr26_sgpr27
                                        ; implicit-def: $sgpr24_sgpr25
	s_waitcnt lgkmcnt(0)
	v_readfirstlane_b32 s17, v2
	s_cmp_eq_u32 s17, 1
	v_readfirstlane_b32 s54, v4
	v_lshlrev_b32_e64 v4, v37, 3
	s_cselect_b64 s[2:3], -1, 0
	v_readfirstlane_b32 s16, v3
	v_readfirstlane_b32 s76, v5
	v_not_b32_e32 v8, v4
	s_and_b64 s[22:23], s[2:3], vcc
	s_and_saveexec_b64 s[2:3], s[22:23]
	s_cbranch_execz .LBB50_106
; %bb.79:                               ;   in Loop: Header=BB50_7 Depth=1
	ds_read_b32 v2, v9 offset:4096
	s_waitcnt lgkmcnt(0)
	s_barrier
	v_readfirstlane_b32 s42, v2
	s_and_saveexec_b64 s[24:25], s[4:5]
; %bb.80:                               ;   in Loop: Header=BB50_7 Depth=1
	ds_write_b32 v25, v9
; %bb.81:                               ;   in Loop: Header=BB50_7 Depth=1
	s_or_b64 exec, exec, s[24:25]
	v_and_b32_e32 v30, v30, v8
	v_or_b32_e32 v39, v39, v4
	s_mov_b64 s[24:25], -1
	s_mov_b64 s[26:27], 0
	s_cmp_lt_i32 s42, 1
	s_mov_b64 s[28:29], 0
	s_mov_b64 s[30:31], -1
	s_waitcnt lgkmcnt(0)
	s_barrier
                                        ; implicit-def: $vgpr19
	s_cbranch_scc0 .LBB50_93
; %bb.82:                               ;   in Loop: Header=BB50_7 Depth=1
	s_mov_b64 s[30:31], 0
                                        ; implicit-def: $vgpr19
	s_mov_b64 s[34:35], exec
	v_readlane_b32 s36, v54, 45
	v_readlane_b32 s37, v54, 46
	s_and_b64 s[36:37], s[34:35], s[36:37]
	s_mov_b64 exec, s[36:37]
	s_cbranch_execz .LBB50_92
; %bb.83:                               ;   in Loop: Header=BB50_7 Depth=1
	v_mov_b32_e32 v2, v6
	v_mov_b32_e32 v5, v0
                                        ; implicit-def: $sgpr36_sgpr37
	s_branch .LBB50_87
.LBB50_84:                              ;   in Loop: Header=BB50_87 Depth=2
	s_or_b64 exec, exec, s[38:39]
	s_waitcnt lgkmcnt(0)
	s_barrier
	ds_read_b64 v[18:19], v9 offset:3072
	s_waitcnt lgkmcnt(0)
	s_barrier
	v_cmp_neq_f32_e32 vcc, 0, v18
	s_cbranch_vccnz .LBB50_90
; %bb.85:                               ;   in Loop: Header=BB50_87 Depth=2
	v_add_u32_e32 v5, s70, v5
	v_cmp_le_i32_e32 vcc, s91, v5
	v_add_u32_e32 v2, s98, v2
	s_mov_b64 s[38:39], 0
	s_orn2_b64 s[40:41], vcc, exec
.LBB50_86:                              ;   in Loop: Header=BB50_87 Depth=2
	s_and_b64 s[40:41], exec, s[40:41]
	s_or_b64 s[28:29], s[40:41], s[28:29]
	s_andn2_b64 s[36:37], s[36:37], exec
	s_and_b64 s[38:39], s[38:39], exec
	s_or_b64 s[36:37], s[36:37], s[38:39]
	s_andn2_b64 exec, exec, s[28:29]
	s_cbranch_execz .LBB50_91
.LBB50_87:                              ;   Parent Loop BB50_7 Depth=1
                                        ; =>  This Inner Loop Header: Depth=2
	v_cmp_gt_i32_e32 vcc, s68, v5
	s_and_saveexec_b64 s[38:39], vcc
	s_cbranch_execz .LBB50_84
; %bb.88:                               ;   in Loop: Header=BB50_87 Depth=2
	v_ashrrev_i32_e32 v3, 31, v2
	v_lshl_add_u64 v[18:19], v[2:3], 2, s[80:81]
	global_load_dword v17, v[18:19], off
	s_waitcnt vmcnt(0)
	v_cmp_lt_i32_e32 vcc, -1, v17
	s_nop 1
	v_cndmask_b32_e32 v3, -1, v36, vcc
	v_xor_b32_e32 v3, v3, v17
	v_cmp_o_f32_e32 vcc, v17, v17
	s_nop 1
	v_cndmask_b32_e32 v3, -1, v3, vcc
	v_and_b32_e32 v3, v3, v39
	v_cmp_eq_u32_e32 vcc, v3, v30
	s_and_b64 exec, exec, vcc
	s_cbranch_execz .LBB50_84
; %bb.89:                               ;   in Loop: Header=BB50_87 Depth=2
	ds_write_b64 v9, v[16:17] offset:3072
	s_branch .LBB50_84
.LBB50_90:                              ;   in Loop: Header=BB50_87 Depth=2
	s_mov_b64 s[40:41], -1
                                        ; implicit-def: $vgpr5
                                        ; implicit-def: $vgpr2
	s_mov_b64 s[38:39], -1
	s_branch .LBB50_86
.LBB50_91:                              ;   in Loop: Header=BB50_7 Depth=1
	s_or_b64 exec, exec, s[28:29]
	s_and_b64 s[28:29], s[36:37], exec
.LBB50_92:                              ;   in Loop: Header=BB50_7 Depth=1
	s_or_b64 exec, exec, s[34:35]
.LBB50_93:                              ;   in Loop: Header=BB50_7 Depth=1
	s_and_b64 vcc, exec, s[30:31]
	s_cbranch_vccz .LBB50_105
; %bb.94:                               ;   in Loop: Header=BB50_7 Depth=1
	s_add_i32 s38, s42, s33
	s_abs_i32 s25, s38
	s_mul_hi_u32 s26, s25, s90
	s_mul_i32 s26, s26, s70
	s_sub_i32 s25, s25, s26
	s_ashr_i32 s24, s38, 31
	s_sub_i32 s26, s25, s70
	s_cmp_ge_u32 s25, s70
	s_cselect_b32 s25, s26, s25
	s_sub_i32 s26, s25, s70
	s_cmp_ge_u32 s25, s70
	s_cselect_b32 s25, s26, s25
	s_xor_b32 s25, s25, s24
	s_sub_i32 s24, s24, s25
	s_add_i32 s38, s38, s24
	v_cmp_gt_i32_e32 vcc, s38, v0
                                        ; implicit-def: $vgpr19
	s_and_saveexec_b64 s[24:25], vcc
	s_cbranch_execz .LBB50_104
; %bb.95:                               ;   in Loop: Header=BB50_7 Depth=1
	s_mov_b64 s[26:27], 0
	v_mov_b32_e32 v2, v13
	v_mov_b32_e32 v3, v0
                                        ; implicit-def: $sgpr30_sgpr31
	s_branch .LBB50_99
.LBB50_96:                              ;   in Loop: Header=BB50_99 Depth=2
	s_or_b64 exec, exec, s[34:35]
	s_waitcnt lgkmcnt(0)
	s_barrier
	ds_read_b64 v[18:19], v9 offset:3072
	s_waitcnt lgkmcnt(0)
	s_barrier
	v_cmp_neq_f32_e32 vcc, 0, v18
	s_cbranch_vccnz .LBB50_102
; %bb.97:                               ;   in Loop: Header=BB50_99 Depth=2
	v_add_u32_e32 v3, s70, v3
	v_cmp_le_i32_e32 vcc, s38, v3
	v_add_u32_e32 v2, s99, v2
	s_mov_b64 s[34:35], 0
	s_orn2_b64 s[36:37], vcc, exec
.LBB50_98:                              ;   in Loop: Header=BB50_99 Depth=2
	s_and_b64 s[36:37], exec, s[36:37]
	s_or_b64 s[26:27], s[36:37], s[26:27]
	s_andn2_b64 s[30:31], s[30:31], exec
	s_and_b64 s[34:35], s[34:35], exec
	s_or_b64 s[30:31], s[30:31], s[34:35]
	s_andn2_b64 exec, exec, s[26:27]
	s_cbranch_execz .LBB50_103
.LBB50_99:                              ;   Parent Loop BB50_7 Depth=1
                                        ; =>  This Inner Loop Header: Depth=2
	v_cmp_gt_i32_e32 vcc, s42, v3
	s_and_saveexec_b64 s[34:35], vcc
	s_cbranch_execz .LBB50_96
; %bb.100:                              ;   in Loop: Header=BB50_99 Depth=2
	ds_read_b32 v17, v2
	s_waitcnt lgkmcnt(0)
	v_cmp_lt_i32_e32 vcc, -1, v17
	s_nop 1
	v_cndmask_b32_e32 v5, -1, v36, vcc
	v_xor_b32_e32 v5, v5, v17
	v_cmp_o_f32_e32 vcc, v17, v17
	s_nop 1
	v_cndmask_b32_e32 v5, -1, v5, vcc
	v_and_b32_e32 v5, v5, v39
	v_cmp_eq_u32_e32 vcc, v5, v30
	s_and_b64 exec, exec, vcc
	s_cbranch_execz .LBB50_96
; %bb.101:                              ;   in Loop: Header=BB50_99 Depth=2
	ds_write_b64 v9, v[16:17] offset:3072
	s_branch .LBB50_96
.LBB50_102:                             ;   in Loop: Header=BB50_99 Depth=2
	s_mov_b64 s[36:37], -1
                                        ; implicit-def: $vgpr3
                                        ; implicit-def: $vgpr2
	s_mov_b64 s[34:35], -1
	s_branch .LBB50_98
.LBB50_103:                             ;   in Loop: Header=BB50_7 Depth=1
	s_or_b64 exec, exec, s[26:27]
	s_andn2_b64 s[26:27], s[28:29], exec
	s_and_b64 s[28:29], s[30:31], exec
	s_or_b64 s[28:29], s[26:27], s[28:29]
.LBB50_104:                             ;   in Loop: Header=BB50_7 Depth=1
	s_or_b64 exec, exec, s[24:25]
	s_mov_b64 s[24:25], 0
	s_mov_b64 s[26:27], -1
.LBB50_105:                             ;   in Loop: Header=BB50_7 Depth=1
	s_orn2_b64 s[28:29], s[28:29], exec
.LBB50_106:                             ;   in Loop: Header=BB50_7 Depth=1
	s_or_b64 exec, exec, s[2:3]
	s_andn2_b64 s[2:3], s[82:83], exec
	s_and_b64 s[26:27], s[26:27], exec
	s_or_b64 s[82:83], s[2:3], s[26:27]
	s_andn2_b64 s[2:3], s[64:65], exec
	s_and_b64 s[24:25], s[24:25], exec
	v_readfirstlane_b32 s34, v0
	s_andn2_b64 s[66:67], s[66:67], exec
	s_or_b64 s[64:65], s[2:3], s[24:25]
                                        ; implicit-def: $vgpr20
	s_and_saveexec_b64 s[2:3], s[28:29]
	s_cbranch_execz .LBB50_6
; %bb.107:                              ;   in Loop: Header=BB50_7 Depth=1
	s_xor_b64 s[24:25], s[22:23], -1
	s_mov_b64 s[22:23], 0
	v_mov_b32_e32 v20, 1
	v_mov_b32_e32 v5, 1
	s_and_saveexec_b64 s[20:21], s[24:25]
	s_cbranch_execz .LBB50_116
; %bb.108:                              ;   in Loop: Header=BB50_7 Depth=1
	v_cmp_ge_i32_e32 vcc, s17, v40
	s_and_saveexec_b64 s[22:23], vcc
	s_xor_b64 s[22:23], exec, s[22:23]
	s_cbranch_execz .LBB50_113
; %bb.109:                              ;   in Loop: Header=BB50_7 Depth=1
	ds_read_b32 v2, v9 offset:4096
	v_and_b32_e32 v30, v30, v8
	v_or_b32_e32 v39, v39, v4
	s_waitcnt lgkmcnt(0)
	v_cmp_ne_u32_e32 vcc, 0, v2
	s_cbranch_vccnz .LBB50_113
; %bb.110:                              ;   in Loop: Header=BB50_7 Depth=1
	s_and_saveexec_b64 s[24:25], s[0:1]
; %bb.111:                              ;   in Loop: Header=BB50_7 Depth=1
	v_mov_b32_e32 v2, s17
	ds_write_b32 v9, v2 offset:4100
; %bb.112:                              ;   in Loop: Header=BB50_7 Depth=1
	s_or_b64 exec, exec, s[24:25]
	s_waitcnt lgkmcnt(0)
	s_barrier
.LBB50_113:                             ;   in Loop: Header=BB50_7 Depth=1
	s_or_saveexec_b64 s[22:23], s[22:23]
	s_mov_b64 s[24:25], 0
	v_mov_b32_e32 v5, 8
	s_xor_b64 exec, exec, s[22:23]
; %bb.114:                              ;   in Loop: Header=BB50_7 Depth=1
	s_mov_b64 s[24:25], exec
	v_subrev_u32_e32 v40, s17, v40
	v_mov_b32_e32 v5, 0
; %bb.115:                              ;   in Loop: Header=BB50_7 Depth=1
	s_or_b64 exec, exec, s[22:23]
	s_and_b64 s[22:23], s[24:25], exec
	v_mov_b32_e32 v20, v40
.LBB50_116:                             ;   in Loop: Header=BB50_7 Depth=1
	s_or_b64 exec, exec, s[20:21]
	s_mov_b64 s[20:21], -1
	s_mov_b64 s[28:29], -1
                                        ; implicit-def: $sgpr24_sgpr25
                                        ; implicit-def: $sgpr26_sgpr27
	s_and_saveexec_b64 s[30:31], s[22:23]
	s_xor_b64 s[22:23], exec, s[30:31]
	s_cbranch_execz .LBB50_239
; %bb.117:                              ;   in Loop: Header=BB50_7 Depth=1
	s_cmp_eq_u32 s16, 1
	s_cselect_b64 s[24:25], -1, 0
	v_cmp_eq_u32_e32 vcc, 1, v20
	s_and_b64 s[30:31], s[24:25], vcc
	s_mov_b64 s[34:35], -1
                                        ; implicit-def: $sgpr26_sgpr27
                                        ; implicit-def: $sgpr24_sgpr25
	s_and_saveexec_b64 s[28:29], s[30:31]
	s_cbranch_execz .LBB50_145
; %bb.118:                              ;   in Loop: Header=BB50_7 Depth=1
	ds_read_b32 v2, v9 offset:4096
	s_waitcnt lgkmcnt(0)
	s_barrier
	v_readfirstlane_b32 s17, v2
	s_and_saveexec_b64 s[24:25], s[4:5]
; %bb.119:                              ;   in Loop: Header=BB50_7 Depth=1
	ds_write_b32 v25, v9
; %bb.120:                              ;   in Loop: Header=BB50_7 Depth=1
	s_or_b64 exec, exec, s[24:25]
	v_and_b32_e32 v2, v30, v8
	v_lshl_or_b32 v30, 1, v37, v2
	v_or_b32_e32 v39, v39, v4
	s_mov_b64 s[24:25], -1
	s_mov_b64 s[26:27], 0
	s_cmp_gt_i32 s17, 0
	s_mov_b64 s[34:35], 0
	s_mov_b64 s[36:37], -1
	s_waitcnt lgkmcnt(0)
	s_barrier
                                        ; implicit-def: $vgpr19
	s_cbranch_scc1 .LBB50_132
; %bb.121:                              ;   in Loop: Header=BB50_7 Depth=1
	s_mov_b64 s[36:37], 0
                                        ; implicit-def: $vgpr19
	s_mov_b64 s[38:39], exec
	v_readlane_b32 s40, v54, 45
	v_readlane_b32 s41, v54, 46
	s_and_b64 s[40:41], s[38:39], s[40:41]
	s_mov_b64 exec, s[40:41]
	s_cbranch_execz .LBB50_131
; %bb.122:                              ;   in Loop: Header=BB50_7 Depth=1
	v_mov_b32_e32 v2, v6
	v_mov_b32_e32 v21, v0
                                        ; implicit-def: $sgpr40_sgpr41
	s_branch .LBB50_126
.LBB50_123:                             ;   in Loop: Header=BB50_126 Depth=2
	s_or_b64 exec, exec, s[42:43]
	s_waitcnt lgkmcnt(0)
	s_barrier
	ds_read_b64 v[18:19], v9 offset:3072
	s_waitcnt lgkmcnt(0)
	s_barrier
	v_cmp_neq_f32_e32 vcc, 0, v18
	s_cbranch_vccnz .LBB50_129
; %bb.124:                              ;   in Loop: Header=BB50_126 Depth=2
	v_add_u32_e32 v21, s70, v21
	v_cmp_le_i32_e32 vcc, s91, v21
	v_add_u32_e32 v2, s98, v2
	s_mov_b64 s[42:43], 0
	s_orn2_b64 s[44:45], vcc, exec
.LBB50_125:                             ;   in Loop: Header=BB50_126 Depth=2
	s_and_b64 s[44:45], exec, s[44:45]
	s_or_b64 s[34:35], s[44:45], s[34:35]
	s_andn2_b64 s[40:41], s[40:41], exec
	s_and_b64 s[42:43], s[42:43], exec
	s_or_b64 s[40:41], s[40:41], s[42:43]
	s_andn2_b64 exec, exec, s[34:35]
	s_cbranch_execz .LBB50_130
.LBB50_126:                             ;   Parent Loop BB50_7 Depth=1
                                        ; =>  This Inner Loop Header: Depth=2
	v_cmp_gt_i32_e32 vcc, s68, v21
	s_and_saveexec_b64 s[42:43], vcc
	s_cbranch_execz .LBB50_123
; %bb.127:                              ;   in Loop: Header=BB50_126 Depth=2
	v_ashrrev_i32_e32 v3, 31, v2
	v_lshl_add_u64 v[18:19], v[2:3], 2, s[80:81]
	global_load_dword v17, v[18:19], off
	s_waitcnt vmcnt(0)
	v_cmp_lt_i32_e32 vcc, -1, v17
	s_nop 1
	v_cndmask_b32_e32 v3, -1, v36, vcc
	v_xor_b32_e32 v3, v3, v17
	v_cmp_o_f32_e32 vcc, v17, v17
	s_nop 1
	v_cndmask_b32_e32 v3, -1, v3, vcc
	v_and_b32_e32 v3, v3, v39
	v_cmp_eq_u32_e32 vcc, v3, v30
	s_and_b64 exec, exec, vcc
	s_cbranch_execz .LBB50_123
; %bb.128:                              ;   in Loop: Header=BB50_126 Depth=2
	ds_write_b64 v9, v[16:17] offset:3072
	s_branch .LBB50_123
.LBB50_129:                             ;   in Loop: Header=BB50_126 Depth=2
	s_mov_b64 s[44:45], -1
                                        ; implicit-def: $vgpr21
                                        ; implicit-def: $vgpr2
	s_mov_b64 s[42:43], -1
	s_branch .LBB50_125
.LBB50_130:                             ;   in Loop: Header=BB50_7 Depth=1
	s_or_b64 exec, exec, s[34:35]
	s_and_b64 s[34:35], s[40:41], exec
.LBB50_131:                             ;   in Loop: Header=BB50_7 Depth=1
	s_or_b64 exec, exec, s[38:39]
.LBB50_132:                             ;   in Loop: Header=BB50_7 Depth=1
	s_and_b64 vcc, exec, s[36:37]
	s_cbranch_vccz .LBB50_144
; %bb.133:                              ;   in Loop: Header=BB50_7 Depth=1
	s_add_i32 s42, s17, s33
	s_abs_i32 s25, s42
	s_mul_hi_u32 s26, s25, s90
	s_mul_i32 s26, s26, s70
	s_sub_i32 s25, s25, s26
	s_ashr_i32 s24, s42, 31
	s_sub_i32 s26, s25, s70
	s_cmp_ge_u32 s25, s70
	s_cselect_b32 s25, s26, s25
	s_sub_i32 s26, s25, s70
	s_cmp_ge_u32 s25, s70
	s_cselect_b32 s25, s26, s25
	s_xor_b32 s25, s25, s24
	s_sub_i32 s24, s24, s25
	s_add_i32 s42, s42, s24
	v_cmp_gt_i32_e32 vcc, s42, v0
                                        ; implicit-def: $vgpr19
	s_and_saveexec_b64 s[24:25], vcc
	s_cbranch_execz .LBB50_143
; %bb.134:                              ;   in Loop: Header=BB50_7 Depth=1
	s_mov_b64 s[26:27], 0
	v_mov_b32_e32 v2, v13
	v_mov_b32_e32 v3, v0
                                        ; implicit-def: $sgpr36_sgpr37
	s_branch .LBB50_138
.LBB50_135:                             ;   in Loop: Header=BB50_138 Depth=2
	s_or_b64 exec, exec, s[38:39]
	s_waitcnt lgkmcnt(0)
	s_barrier
	ds_read_b64 v[18:19], v9 offset:3072
	s_waitcnt lgkmcnt(0)
	s_barrier
	v_cmp_eq_f32_e32 vcc, 0, v18
	s_cbranch_vccz .LBB50_141
; %bb.136:                              ;   in Loop: Header=BB50_138 Depth=2
	v_add_u32_e32 v3, s70, v3
	v_cmp_le_i32_e32 vcc, s42, v3
	v_add_u32_e32 v2, s99, v2
	s_mov_b64 s[38:39], 0
	s_orn2_b64 s[40:41], vcc, exec
.LBB50_137:                             ;   in Loop: Header=BB50_138 Depth=2
	s_and_b64 s[40:41], exec, s[40:41]
	s_or_b64 s[26:27], s[40:41], s[26:27]
	s_andn2_b64 s[36:37], s[36:37], exec
	s_and_b64 s[38:39], s[38:39], exec
	s_or_b64 s[36:37], s[36:37], s[38:39]
	s_andn2_b64 exec, exec, s[26:27]
	s_cbranch_execz .LBB50_142
.LBB50_138:                             ;   Parent Loop BB50_7 Depth=1
                                        ; =>  This Inner Loop Header: Depth=2
	v_cmp_gt_i32_e32 vcc, s17, v3
	s_and_saveexec_b64 s[38:39], vcc
	s_cbranch_execz .LBB50_135
; %bb.139:                              ;   in Loop: Header=BB50_138 Depth=2
	ds_read_b32 v17, v2
	s_waitcnt lgkmcnt(0)
	v_cmp_lt_i32_e32 vcc, -1, v17
	s_nop 1
	v_cndmask_b32_e32 v18, -1, v36, vcc
	v_xor_b32_e32 v18, v18, v17
	v_cmp_o_f32_e32 vcc, v17, v17
	s_nop 1
	v_cndmask_b32_e32 v18, -1, v18, vcc
	v_and_b32_e32 v18, v18, v39
	v_cmp_eq_u32_e32 vcc, v18, v30
	s_and_b64 exec, exec, vcc
	s_cbranch_execz .LBB50_135
; %bb.140:                              ;   in Loop: Header=BB50_138 Depth=2
	ds_write_b64 v9, v[16:17] offset:3072
	s_branch .LBB50_135
.LBB50_141:                             ;   in Loop: Header=BB50_138 Depth=2
	s_mov_b64 s[40:41], -1
                                        ; implicit-def: $vgpr3
                                        ; implicit-def: $vgpr2
	s_mov_b64 s[38:39], -1
	s_branch .LBB50_137
.LBB50_142:                             ;   in Loop: Header=BB50_7 Depth=1
	s_or_b64 exec, exec, s[26:27]
	s_andn2_b64 s[26:27], s[34:35], exec
	s_and_b64 s[34:35], s[36:37], exec
	s_or_b64 s[34:35], s[26:27], s[34:35]
.LBB50_143:                             ;   in Loop: Header=BB50_7 Depth=1
	s_or_b64 exec, exec, s[24:25]
	s_mov_b64 s[24:25], 0
	s_mov_b64 s[26:27], -1
.LBB50_144:                             ;   in Loop: Header=BB50_7 Depth=1
	s_orn2_b64 s[34:35], s[34:35], exec
.LBB50_145:                             ;   in Loop: Header=BB50_7 Depth=1
	s_or_b64 exec, exec, s[28:29]
	s_mov_b64 s[36:37], 0
	s_and_saveexec_b64 s[28:29], s[34:35]
	s_cbranch_execz .LBB50_238
; %bb.146:                              ;   in Loop: Header=BB50_7 Depth=1
	s_xor_b64 s[34:35], s[30:31], -1
	s_mov_b64 s[40:41], 0
	v_mov_b32_e32 v21, 1
	v_mov_b32_e32 v5, 1
	s_and_saveexec_b64 s[30:31], s[34:35]
	s_cbranch_execz .LBB50_155
; %bb.147:                              ;   in Loop: Header=BB50_7 Depth=1
	v_cmp_ge_i32_e32 vcc, s16, v20
	s_and_saveexec_b64 s[34:35], vcc
	s_xor_b64 s[34:35], exec, s[34:35]
	s_cbranch_execz .LBB50_152
; %bb.148:                              ;   in Loop: Header=BB50_7 Depth=1
	ds_read_b32 v2, v9 offset:4096
	v_and_b32_e32 v3, v30, v8
	v_lshl_or_b32 v30, 1, v37, v3
	v_or_b32_e32 v39, v39, v4
	s_waitcnt lgkmcnt(0)
	v_cmp_ne_u32_e32 vcc, 0, v2
	s_cbranch_vccnz .LBB50_152
; %bb.149:                              ;   in Loop: Header=BB50_7 Depth=1
	s_and_saveexec_b64 s[36:37], s[0:1]
; %bb.150:                              ;   in Loop: Header=BB50_7 Depth=1
	v_mov_b32_e32 v2, s16
	ds_write_b32 v9, v2 offset:4100
; %bb.151:                              ;   in Loop: Header=BB50_7 Depth=1
	s_or_b64 exec, exec, s[36:37]
	s_waitcnt lgkmcnt(0)
	s_barrier
.LBB50_152:                             ;   in Loop: Header=BB50_7 Depth=1
	s_or_saveexec_b64 s[34:35], s[34:35]
	s_mov_b64 s[36:37], 0
	v_mov_b32_e32 v5, 8
	s_xor_b64 exec, exec, s[34:35]
; %bb.153:                              ;   in Loop: Header=BB50_7 Depth=1
	s_mov_b64 s[36:37], exec
	v_subrev_u32_e32 v20, s16, v20
	v_mov_b32_e32 v5, 0
; %bb.154:                              ;   in Loop: Header=BB50_7 Depth=1
	s_or_b64 exec, exec, s[34:35]
	s_and_b64 s[40:41], s[36:37], exec
	v_mov_b32_e32 v21, v20
.LBB50_155:                             ;   in Loop: Header=BB50_7 Depth=1
	s_or_b64 exec, exec, s[30:31]
	s_mov_b64 s[38:39], -1
                                        ; implicit-def: $sgpr34_sgpr35
                                        ; implicit-def: $sgpr36_sgpr37
	s_and_saveexec_b64 s[30:31], s[40:41]
	s_cbranch_execz .LBB50_237
; %bb.156:                              ;   in Loop: Header=BB50_7 Depth=1
	s_cmp_eq_u32 s54, 1
	s_cselect_b64 s[16:17], -1, 0
	v_cmp_eq_u32_e32 vcc, 1, v21
	s_and_b64 s[40:41], s[16:17], vcc
	s_mov_b64 s[42:43], -1
                                        ; implicit-def: $sgpr36_sgpr37
                                        ; implicit-def: $sgpr34_sgpr35
	s_and_saveexec_b64 s[38:39], s[40:41]
	s_cbranch_execz .LBB50_184
; %bb.157:                              ;   in Loop: Header=BB50_7 Depth=1
	ds_read_b32 v2, v9 offset:4096
	s_waitcnt lgkmcnt(0)
	s_barrier
	v_readfirstlane_b32 s16, v2
	s_and_saveexec_b64 s[34:35], s[4:5]
; %bb.158:                              ;   in Loop: Header=BB50_7 Depth=1
	ds_write_b32 v25, v9
; %bb.159:                              ;   in Loop: Header=BB50_7 Depth=1
	s_or_b64 exec, exec, s[34:35]
	v_and_b32_e32 v2, v30, v8
	v_lshl_or_b32 v30, 2, v37, v2
	v_or_b32_e32 v39, v39, v4
	s_mov_b64 s[34:35], -1
	s_mov_b64 s[36:37], 0
	s_cmp_gt_i32 s16, 0
	s_mov_b64 s[42:43], 0
	s_mov_b64 s[44:45], -1
	s_waitcnt lgkmcnt(0)
	s_barrier
                                        ; implicit-def: $vgpr19
	s_cbranch_scc1 .LBB50_171
; %bb.160:                              ;   in Loop: Header=BB50_7 Depth=1
	s_mov_b64 s[44:45], 0
                                        ; implicit-def: $vgpr19
	s_mov_b64 s[46:47], exec
	v_readlane_b32 s48, v54, 45
	v_readlane_b32 s49, v54, 46
	s_and_b64 s[48:49], s[46:47], s[48:49]
	s_mov_b64 exec, s[48:49]
	s_cbranch_execz .LBB50_170
; %bb.161:                              ;   in Loop: Header=BB50_7 Depth=1
	v_mov_b32_e32 v2, v6
	v_mov_b32_e32 v20, v0
                                        ; implicit-def: $sgpr48_sgpr49
	s_branch .LBB50_165
.LBB50_162:                             ;   in Loop: Header=BB50_165 Depth=2
	s_or_b64 exec, exec, s[50:51]
	s_waitcnt lgkmcnt(0)
	s_barrier
	ds_read_b64 v[18:19], v9 offset:3072
	s_waitcnt lgkmcnt(0)
	s_barrier
	v_cmp_neq_f32_e32 vcc, 0, v18
	s_cbranch_vccnz .LBB50_168
; %bb.163:                              ;   in Loop: Header=BB50_165 Depth=2
	v_add_u32_e32 v20, s70, v20
	v_cmp_le_i32_e32 vcc, s91, v20
	v_add_u32_e32 v2, s98, v2
	s_mov_b64 s[50:51], 0
	s_orn2_b64 s[52:53], vcc, exec
.LBB50_164:                             ;   in Loop: Header=BB50_165 Depth=2
	s_and_b64 s[52:53], exec, s[52:53]
	s_or_b64 s[42:43], s[52:53], s[42:43]
	s_andn2_b64 s[48:49], s[48:49], exec
	s_and_b64 s[50:51], s[50:51], exec
	s_or_b64 s[48:49], s[48:49], s[50:51]
	s_andn2_b64 exec, exec, s[42:43]
	s_cbranch_execz .LBB50_169
.LBB50_165:                             ;   Parent Loop BB50_7 Depth=1
                                        ; =>  This Inner Loop Header: Depth=2
	v_cmp_gt_i32_e32 vcc, s68, v20
	s_and_saveexec_b64 s[50:51], vcc
	s_cbranch_execz .LBB50_162
; %bb.166:                              ;   in Loop: Header=BB50_165 Depth=2
	v_ashrrev_i32_e32 v3, 31, v2
	v_lshl_add_u64 v[18:19], v[2:3], 2, s[80:81]
	global_load_dword v17, v[18:19], off
	s_waitcnt vmcnt(0)
	v_cmp_lt_i32_e32 vcc, -1, v17
	s_nop 1
	v_cndmask_b32_e32 v3, -1, v36, vcc
	v_xor_b32_e32 v3, v3, v17
	v_cmp_o_f32_e32 vcc, v17, v17
	s_nop 1
	v_cndmask_b32_e32 v3, -1, v3, vcc
	v_and_b32_e32 v3, v3, v39
	v_cmp_eq_u32_e32 vcc, v3, v30
	s_and_b64 exec, exec, vcc
	s_cbranch_execz .LBB50_162
; %bb.167:                              ;   in Loop: Header=BB50_165 Depth=2
	ds_write_b64 v9, v[16:17] offset:3072
	s_branch .LBB50_162
.LBB50_168:                             ;   in Loop: Header=BB50_165 Depth=2
	s_mov_b64 s[52:53], -1
                                        ; implicit-def: $vgpr20
                                        ; implicit-def: $vgpr2
	s_mov_b64 s[50:51], -1
	s_branch .LBB50_164
.LBB50_169:                             ;   in Loop: Header=BB50_7 Depth=1
	s_or_b64 exec, exec, s[42:43]
	s_and_b64 s[42:43], s[48:49], exec
.LBB50_170:                             ;   in Loop: Header=BB50_7 Depth=1
	s_or_b64 exec, exec, s[46:47]
.LBB50_171:                             ;   in Loop: Header=BB50_7 Depth=1
	s_and_b64 vcc, exec, s[44:45]
	s_cbranch_vccz .LBB50_183
; %bb.172:                              ;   in Loop: Header=BB50_7 Depth=1
	s_add_i32 s17, s16, s33
	s_abs_i32 s35, s17
	s_mul_hi_u32 s36, s35, s90
	s_mul_i32 s36, s36, s70
	s_sub_i32 s35, s35, s36
	s_ashr_i32 s34, s17, 31
	s_sub_i32 s36, s35, s70
	s_cmp_ge_u32 s35, s70
	s_cselect_b32 s35, s36, s35
	s_sub_i32 s36, s35, s70
	s_cmp_ge_u32 s35, s70
	s_cselect_b32 s35, s36, s35
	s_xor_b32 s35, s35, s34
	s_sub_i32 s34, s34, s35
	s_add_i32 s17, s17, s34
	v_cmp_gt_i32_e32 vcc, s17, v0
                                        ; implicit-def: $vgpr19
	s_and_saveexec_b64 s[34:35], vcc
	s_cbranch_execz .LBB50_182
; %bb.173:                              ;   in Loop: Header=BB50_7 Depth=1
	s_mov_b64 s[36:37], 0
	v_mov_b32_e32 v2, v13
	v_mov_b32_e32 v3, v0
                                        ; implicit-def: $sgpr44_sgpr45
	s_branch .LBB50_177
.LBB50_174:                             ;   in Loop: Header=BB50_177 Depth=2
	s_or_b64 exec, exec, s[46:47]
	s_waitcnt lgkmcnt(0)
	s_barrier
	ds_read_b64 v[18:19], v9 offset:3072
	s_waitcnt lgkmcnt(0)
	s_barrier
	v_cmp_eq_f32_e32 vcc, 0, v18
	s_cbranch_vccz .LBB50_180
; %bb.175:                              ;   in Loop: Header=BB50_177 Depth=2
	v_add_u32_e32 v3, s70, v3
	v_cmp_le_i32_e32 vcc, s17, v3
	v_add_u32_e32 v2, s99, v2
	s_mov_b64 s[46:47], 0
	s_orn2_b64 s[48:49], vcc, exec
.LBB50_176:                             ;   in Loop: Header=BB50_177 Depth=2
	s_and_b64 s[48:49], exec, s[48:49]
	s_or_b64 s[36:37], s[48:49], s[36:37]
	s_andn2_b64 s[44:45], s[44:45], exec
	s_and_b64 s[46:47], s[46:47], exec
	s_or_b64 s[44:45], s[44:45], s[46:47]
	s_andn2_b64 exec, exec, s[36:37]
	s_cbranch_execz .LBB50_181
.LBB50_177:                             ;   Parent Loop BB50_7 Depth=1
                                        ; =>  This Inner Loop Header: Depth=2
	v_cmp_gt_i32_e32 vcc, s16, v3
	s_and_saveexec_b64 s[46:47], vcc
	s_cbranch_execz .LBB50_174
; %bb.178:                              ;   in Loop: Header=BB50_177 Depth=2
	ds_read_b32 v17, v2
	s_waitcnt lgkmcnt(0)
	v_cmp_lt_i32_e32 vcc, -1, v17
	s_nop 1
	v_cndmask_b32_e32 v18, -1, v36, vcc
	v_xor_b32_e32 v18, v18, v17
	v_cmp_o_f32_e32 vcc, v17, v17
	s_nop 1
	v_cndmask_b32_e32 v18, -1, v18, vcc
	v_and_b32_e32 v18, v18, v39
	v_cmp_eq_u32_e32 vcc, v18, v30
	s_and_b64 exec, exec, vcc
	s_cbranch_execz .LBB50_174
; %bb.179:                              ;   in Loop: Header=BB50_177 Depth=2
	ds_write_b64 v9, v[16:17] offset:3072
	s_branch .LBB50_174
.LBB50_180:                             ;   in Loop: Header=BB50_177 Depth=2
	s_mov_b64 s[48:49], -1
                                        ; implicit-def: $vgpr3
                                        ; implicit-def: $vgpr2
	s_mov_b64 s[46:47], -1
	s_branch .LBB50_176
.LBB50_181:                             ;   in Loop: Header=BB50_7 Depth=1
	s_or_b64 exec, exec, s[36:37]
	s_andn2_b64 s[16:17], s[42:43], exec
	s_and_b64 s[36:37], s[44:45], exec
	s_or_b64 s[42:43], s[16:17], s[36:37]
.LBB50_182:                             ;   in Loop: Header=BB50_7 Depth=1
	s_or_b64 exec, exec, s[34:35]
	s_mov_b64 s[34:35], 0
	s_mov_b64 s[36:37], -1
.LBB50_183:                             ;   in Loop: Header=BB50_7 Depth=1
	s_orn2_b64 s[42:43], s[42:43], exec
.LBB50_184:                             ;   in Loop: Header=BB50_7 Depth=1
	s_or_b64 exec, exec, s[38:39]
	s_mov_b64 s[44:45], 0
	s_and_saveexec_b64 s[38:39], s[42:43]
	s_cbranch_execz .LBB50_236
; %bb.185:                              ;   in Loop: Header=BB50_7 Depth=1
	s_xor_b64 s[16:17], s[40:41], -1
	s_mov_b64 s[48:49], 0
	v_mov_b32_e32 v20, 1
	v_mov_b32_e32 v5, 1
	s_and_saveexec_b64 s[40:41], s[16:17]
	s_cbranch_execz .LBB50_194
; %bb.186:                              ;   in Loop: Header=BB50_7 Depth=1
	v_cmp_ge_i32_e32 vcc, s54, v21
	s_and_saveexec_b64 s[16:17], vcc
	s_xor_b64 s[42:43], exec, s[16:17]
	s_cbranch_execz .LBB50_191
; %bb.187:                              ;   in Loop: Header=BB50_7 Depth=1
	ds_read_b32 v2, v9 offset:4096
	v_and_b32_e32 v3, v30, v8
	v_lshl_or_b32 v30, 2, v37, v3
	v_or_b32_e32 v39, v39, v4
	s_waitcnt lgkmcnt(0)
	v_cmp_ne_u32_e32 vcc, 0, v2
	s_cbranch_vccnz .LBB50_191
; %bb.188:                              ;   in Loop: Header=BB50_7 Depth=1
	s_and_saveexec_b64 s[44:45], s[0:1]
; %bb.189:                              ;   in Loop: Header=BB50_7 Depth=1
	v_mov_b32_e32 v2, s54
	ds_write_b32 v9, v2 offset:4100
; %bb.190:                              ;   in Loop: Header=BB50_7 Depth=1
	s_or_b64 exec, exec, s[44:45]
	s_waitcnt lgkmcnt(0)
	s_barrier
.LBB50_191:                             ;   in Loop: Header=BB50_7 Depth=1
	s_or_saveexec_b64 s[42:43], s[42:43]
	s_mov_b64 s[44:45], 0
	v_mov_b32_e32 v5, 8
	s_xor_b64 exec, exec, s[42:43]
; %bb.192:                              ;   in Loop: Header=BB50_7 Depth=1
	s_mov_b64 s[44:45], exec
	v_subrev_u32_e32 v21, s54, v21
	v_mov_b32_e32 v5, 0
; %bb.193:                              ;   in Loop: Header=BB50_7 Depth=1
	s_or_b64 exec, exec, s[42:43]
	s_and_b64 s[48:49], s[44:45], exec
	v_mov_b32_e32 v20, v21
.LBB50_194:                             ;   in Loop: Header=BB50_7 Depth=1
	s_or_b64 exec, exec, s[40:41]
	s_mov_b64 s[42:43], -1
                                        ; implicit-def: $sgpr46_sgpr47
                                        ; implicit-def: $sgpr44_sgpr45
	s_and_saveexec_b64 s[40:41], s[48:49]
	s_cbranch_execz .LBB50_235
; %bb.195:                              ;   in Loop: Header=BB50_7 Depth=1
	s_cmp_eq_u32 s76, 1
	s_cselect_b64 s[16:17], -1, 0
	v_cmp_eq_u32_e32 vcc, 1, v20
	s_and_b64 s[42:43], s[16:17], vcc
	s_mov_b64 s[50:51], -1
                                        ; implicit-def: $sgpr46_sgpr47
                                        ; implicit-def: $sgpr44_sgpr45
	s_and_saveexec_b64 s[48:49], s[42:43]
	s_cbranch_execz .LBB50_223
; %bb.196:                              ;   in Loop: Header=BB50_7 Depth=1
	ds_read_b32 v2, v9 offset:4096
	s_waitcnt lgkmcnt(0)
	s_barrier
	v_readfirstlane_b32 s16, v2
	s_and_saveexec_b64 s[44:45], s[4:5]
; %bb.197:                              ;   in Loop: Header=BB50_7 Depth=1
	ds_write_b32 v25, v9
; %bb.198:                              ;   in Loop: Header=BB50_7 Depth=1
	s_or_b64 exec, exec, s[44:45]
	v_or_b32_e32 v30, v30, v4
	v_or_b32_e32 v39, v39, v4
	s_mov_b64 s[44:45], -1
	s_mov_b64 s[46:47], 0
	s_cmp_gt_i32 s16, 0
	s_mov_b64 s[50:51], 0
	s_mov_b64 s[52:53], -1
	s_waitcnt lgkmcnt(0)
	s_barrier
                                        ; implicit-def: $vgpr19
	s_cbranch_scc1 .LBB50_210
; %bb.199:                              ;   in Loop: Header=BB50_7 Depth=1
	s_mov_b64 s[52:53], 0
                                        ; implicit-def: $vgpr19
	s_mov_b64 s[54:55], exec
	v_readlane_b32 s56, v54, 45
	v_readlane_b32 s57, v54, 46
	s_and_b64 s[56:57], s[54:55], s[56:57]
	s_mov_b64 exec, s[56:57]
	s_cbranch_execz .LBB50_209
; %bb.200:                              ;   in Loop: Header=BB50_7 Depth=1
	v_mov_b32_e32 v2, v6
	v_mov_b32_e32 v8, v0
                                        ; implicit-def: $sgpr56_sgpr57
	s_branch .LBB50_204
.LBB50_201:                             ;   in Loop: Header=BB50_204 Depth=2
	s_or_b64 exec, exec, s[58:59]
	s_waitcnt lgkmcnt(0)
	s_barrier
	ds_read_b64 v[18:19], v9 offset:3072
	s_waitcnt lgkmcnt(0)
	s_barrier
	v_cmp_neq_f32_e32 vcc, 0, v18
	s_cbranch_vccnz .LBB50_207
; %bb.202:                              ;   in Loop: Header=BB50_204 Depth=2
	v_add_u32_e32 v8, s70, v8
	v_cmp_le_i32_e32 vcc, s91, v8
	v_add_u32_e32 v2, s98, v2
	s_mov_b64 s[58:59], 0
	s_orn2_b64 s[72:73], vcc, exec
.LBB50_203:                             ;   in Loop: Header=BB50_204 Depth=2
	s_and_b64 s[72:73], exec, s[72:73]
	s_or_b64 s[50:51], s[72:73], s[50:51]
	s_andn2_b64 s[56:57], s[56:57], exec
	s_and_b64 s[58:59], s[58:59], exec
	s_or_b64 s[56:57], s[56:57], s[58:59]
	s_andn2_b64 exec, exec, s[50:51]
	s_cbranch_execz .LBB50_208
.LBB50_204:                             ;   Parent Loop BB50_7 Depth=1
                                        ; =>  This Inner Loop Header: Depth=2
	v_cmp_gt_i32_e32 vcc, s68, v8
	s_and_saveexec_b64 s[58:59], vcc
	s_cbranch_execz .LBB50_201
; %bb.205:                              ;   in Loop: Header=BB50_204 Depth=2
	v_ashrrev_i32_e32 v3, 31, v2
	v_lshl_add_u64 v[18:19], v[2:3], 2, s[80:81]
	global_load_dword v17, v[18:19], off
	s_waitcnt vmcnt(0)
	v_cmp_lt_i32_e32 vcc, -1, v17
	s_nop 1
	v_cndmask_b32_e32 v3, -1, v36, vcc
	v_xor_b32_e32 v3, v3, v17
	v_cmp_o_f32_e32 vcc, v17, v17
	s_nop 1
	v_cndmask_b32_e32 v3, -1, v3, vcc
	v_and_b32_e32 v3, v3, v39
	v_cmp_eq_u32_e32 vcc, v3, v30
	s_and_b64 exec, exec, vcc
	s_cbranch_execz .LBB50_201
; %bb.206:                              ;   in Loop: Header=BB50_204 Depth=2
	ds_write_b64 v9, v[16:17] offset:3072
	s_branch .LBB50_201
.LBB50_207:                             ;   in Loop: Header=BB50_204 Depth=2
	s_mov_b64 s[72:73], -1
                                        ; implicit-def: $vgpr8
                                        ; implicit-def: $vgpr2
	s_mov_b64 s[58:59], -1
	s_branch .LBB50_203
.LBB50_208:                             ;   in Loop: Header=BB50_7 Depth=1
	s_or_b64 exec, exec, s[50:51]
	s_and_b64 s[50:51], s[56:57], exec
.LBB50_209:                             ;   in Loop: Header=BB50_7 Depth=1
	s_or_b64 exec, exec, s[54:55]
.LBB50_210:                             ;   in Loop: Header=BB50_7 Depth=1
	s_and_b64 vcc, exec, s[52:53]
	s_cbranch_vccz .LBB50_222
; %bb.211:                              ;   in Loop: Header=BB50_7 Depth=1
	s_add_i32 s17, s16, s33
	s_abs_i32 s45, s17
	s_mul_hi_u32 s46, s45, s90
	s_mul_i32 s46, s46, s70
	s_sub_i32 s45, s45, s46
	s_ashr_i32 s44, s17, 31
	s_sub_i32 s46, s45, s70
	s_cmp_ge_u32 s45, s70
	s_cselect_b32 s45, s46, s45
	s_sub_i32 s46, s45, s70
	s_cmp_ge_u32 s45, s70
	s_cselect_b32 s45, s46, s45
	s_xor_b32 s45, s45, s44
	s_sub_i32 s44, s44, s45
	s_add_i32 s17, s17, s44
	v_cmp_gt_i32_e32 vcc, s17, v0
                                        ; implicit-def: $vgpr19
	s_and_saveexec_b64 s[44:45], vcc
	s_cbranch_execz .LBB50_221
; %bb.212:                              ;   in Loop: Header=BB50_7 Depth=1
	s_mov_b64 s[46:47], 0
	v_mov_b32_e32 v2, v13
	v_mov_b32_e32 v3, v0
                                        ; implicit-def: $sgpr52_sgpr53
	s_branch .LBB50_216
.LBB50_213:                             ;   in Loop: Header=BB50_216 Depth=2
	s_or_b64 exec, exec, s[54:55]
	s_waitcnt lgkmcnt(0)
	s_barrier
	ds_read_b64 v[18:19], v9 offset:3072
	s_waitcnt lgkmcnt(0)
	s_barrier
	v_cmp_eq_f32_e32 vcc, 0, v18
	s_cbranch_vccz .LBB50_219
; %bb.214:                              ;   in Loop: Header=BB50_216 Depth=2
	v_add_u32_e32 v3, s70, v3
	v_cmp_le_i32_e32 vcc, s17, v3
	v_add_u32_e32 v2, s99, v2
	s_mov_b64 s[54:55], 0
	s_orn2_b64 s[56:57], vcc, exec
.LBB50_215:                             ;   in Loop: Header=BB50_216 Depth=2
	s_and_b64 s[56:57], exec, s[56:57]
	s_or_b64 s[46:47], s[56:57], s[46:47]
	s_andn2_b64 s[52:53], s[52:53], exec
	s_and_b64 s[54:55], s[54:55], exec
	s_or_b64 s[52:53], s[52:53], s[54:55]
	s_andn2_b64 exec, exec, s[46:47]
	s_cbranch_execz .LBB50_220
.LBB50_216:                             ;   Parent Loop BB50_7 Depth=1
                                        ; =>  This Inner Loop Header: Depth=2
	v_cmp_gt_i32_e32 vcc, s16, v3
	s_and_saveexec_b64 s[54:55], vcc
	s_cbranch_execz .LBB50_213
; %bb.217:                              ;   in Loop: Header=BB50_216 Depth=2
	ds_read_b32 v17, v2
	s_waitcnt lgkmcnt(0)
	v_cmp_lt_i32_e32 vcc, -1, v17
	s_nop 1
	v_cndmask_b32_e32 v8, -1, v36, vcc
	v_xor_b32_e32 v8, v8, v17
	v_cmp_o_f32_e32 vcc, v17, v17
	s_nop 1
	v_cndmask_b32_e32 v8, -1, v8, vcc
	v_and_b32_e32 v8, v8, v39
	v_cmp_eq_u32_e32 vcc, v8, v30
	s_and_b64 exec, exec, vcc
	s_cbranch_execz .LBB50_213
; %bb.218:                              ;   in Loop: Header=BB50_216 Depth=2
	ds_write_b64 v9, v[16:17] offset:3072
	s_branch .LBB50_213
.LBB50_219:                             ;   in Loop: Header=BB50_216 Depth=2
	s_mov_b64 s[56:57], -1
                                        ; implicit-def: $vgpr3
                                        ; implicit-def: $vgpr2
	s_mov_b64 s[54:55], -1
	s_branch .LBB50_215
.LBB50_220:                             ;   in Loop: Header=BB50_7 Depth=1
	s_or_b64 exec, exec, s[46:47]
	s_andn2_b64 s[16:17], s[50:51], exec
	s_and_b64 s[46:47], s[52:53], exec
	s_or_b64 s[50:51], s[16:17], s[46:47]
.LBB50_221:                             ;   in Loop: Header=BB50_7 Depth=1
	s_or_b64 exec, exec, s[44:45]
	s_mov_b64 s[44:45], 0
	s_mov_b64 s[46:47], -1
.LBB50_222:                             ;   in Loop: Header=BB50_7 Depth=1
	s_orn2_b64 s[50:51], s[50:51], exec
.LBB50_223:                             ;   in Loop: Header=BB50_7 Depth=1
	s_or_b64 exec, exec, s[48:49]
	s_mov_b64 s[52:53], 0
	s_and_saveexec_b64 s[48:49], s[50:51]
	s_cbranch_execz .LBB50_234
; %bb.224:                              ;   in Loop: Header=BB50_7 Depth=1
	s_xor_b64 s[16:17], s[42:43], -1
	v_mov_b32_e32 v5, 1
	v_mov_b32_e32 v2, 1
	s_and_saveexec_b64 s[42:43], s[16:17]
	s_cbranch_execz .LBB50_233
; %bb.225:                              ;   in Loop: Header=BB50_7 Depth=1
	v_cmp_ge_i32_e32 vcc, s76, v20
	s_and_saveexec_b64 s[16:17], vcc
	s_xor_b64 s[50:51], exec, s[16:17]
	s_cbranch_execz .LBB50_230
; %bb.226:                              ;   in Loop: Header=BB50_7 Depth=1
	ds_read_b32 v2, v9 offset:4096
	v_or_b32_e32 v30, v30, v4
	v_or_b32_e32 v39, v39, v4
	s_waitcnt lgkmcnt(0)
	v_cmp_ne_u32_e32 vcc, 0, v2
	s_cbranch_vccnz .LBB50_230
; %bb.227:                              ;   in Loop: Header=BB50_7 Depth=1
	s_and_saveexec_b64 s[52:53], s[0:1]
; %bb.228:                              ;   in Loop: Header=BB50_7 Depth=1
	v_mov_b32_e32 v2, s76
	ds_write_b32 v9, v2 offset:4100
; %bb.229:                              ;   in Loop: Header=BB50_7 Depth=1
	s_or_b64 exec, exec, s[52:53]
	s_waitcnt lgkmcnt(0)
	s_barrier
.LBB50_230:                             ;   in Loop: Header=BB50_7 Depth=1
	s_andn2_saveexec_b64 s[50:51], s[50:51]
; %bb.231:                              ;   in Loop: Header=BB50_7 Depth=1
	v_subrev_u32_e32 v20, s76, v20
; %bb.232:                              ;   in Loop: Header=BB50_7 Depth=1
	s_or_b64 exec, exec, s[50:51]
	v_mov_b32_e32 v5, 8
	v_mov_b32_e32 v2, v20
.LBB50_233:                             ;   in Loop: Header=BB50_7 Depth=1
	s_or_b64 exec, exec, s[42:43]
	s_mov_b64 s[52:53], exec
	v_mov_b32_e32 v20, v2
.LBB50_234:                             ;   in Loop: Header=BB50_7 Depth=1
	s_or_b64 exec, exec, s[48:49]
	s_orn2_b64 s[42:43], s[52:53], exec
.LBB50_235:                             ;   in Loop: Header=BB50_7 Depth=1
	s_or_b64 exec, exec, s[40:41]
	s_andn2_b64 s[16:17], s[36:37], exec
	s_and_b64 s[36:37], s[46:47], exec
	s_or_b64 s[36:37], s[16:17], s[36:37]
	s_andn2_b64 s[16:17], s[34:35], exec
	s_and_b64 s[34:35], s[44:45], exec
	s_or_b64 s[34:35], s[16:17], s[34:35]
	s_and_b64 s[44:45], s[42:43], exec
	v_mov_b32_e32 v21, v20
.LBB50_236:                             ;   in Loop: Header=BB50_7 Depth=1
	s_or_b64 exec, exec, s[38:39]
	s_orn2_b64 s[38:39], s[44:45], exec
.LBB50_237:                             ;   in Loop: Header=BB50_7 Depth=1
	s_or_b64 exec, exec, s[30:31]
	s_andn2_b64 s[16:17], s[26:27], exec
	s_and_b64 s[26:27], s[36:37], exec
	s_or_b64 s[26:27], s[16:17], s[26:27]
	s_andn2_b64 s[16:17], s[24:25], exec
	s_and_b64 s[24:25], s[34:35], exec
	s_or_b64 s[24:25], s[16:17], s[24:25]
	s_and_b64 s[36:37], s[38:39], exec
	v_mov_b32_e32 v20, v21
.LBB50_238:                             ;   in Loop: Header=BB50_7 Depth=1
	s_or_b64 exec, exec, s[28:29]
	s_orn2_b64 s[28:29], s[36:37], exec
.LBB50_239:                             ;   in Loop: Header=BB50_7 Depth=1
	s_or_b64 exec, exec, s[22:23]
	s_mov_b64 s[30:31], 0
                                        ; implicit-def: $sgpr34
	s_and_saveexec_b64 s[16:17], s[28:29]
	s_xor_b64 s[22:23], exec, s[16:17]
	s_cbranch_execz .LBB50_5
; %bb.240:                              ;   in Loop: Header=BB50_7 Depth=1
	v_and_b32_e32 v2, 7, v5
	v_cmp_eq_u32_e32 vcc, 0, v2
	s_mov_b64 s[20:21], -1
	s_mov_b64 s[28:29], -1
                                        ; implicit-def: $sgpr34
	s_and_saveexec_b64 s[30:31], vcc
	s_cbranch_execz .LBB50_4
; %bb.241:                              ;   in Loop: Header=BB50_7 Depth=1
	v_add_u32_e32 v2, -2, v37
	v_cmp_eq_u32_e32 vcc, 0, v37
	s_xor_b32 s34, s69, 1
	s_xor_b64 s[28:29], exec, -1
	s_orn2_b64 s[20:21], vcc, exec
	v_mov_b32_e32 v37, v2
	s_branch .LBB50_4
.LBB50_242:
	s_or_b64 exec, exec, s[74:75]
	s_xor_b64 s[6:7], s[62:63], -1
	s_xor_b64 s[4:5], s[78:79], -1
	;; [unrolled: 1-line block ×3, first 2 shown]
	s_mov_b64 s[2:3], 0
	s_and_saveexec_b64 s[10:11], s[4:5]
	s_xor_b64 s[4:5], exec, s[10:11]
	s_cbranch_execnz .LBB50_247
; %bb.243:
	s_andn2_saveexec_b64 s[0:1], s[4:5]
	s_cbranch_execnz .LBB50_267
.LBB50_244:
	s_or_b64 exec, exec, s[0:1]
	s_and_saveexec_b64 s[0:1], s[2:3]
.LBB50_245:
	; divergent unreachable
.LBB50_246:
	s_endpgm
.LBB50_247:
	s_and_saveexec_b64 s[2:3], s[6:7]
	s_xor_b64 s[6:7], exec, s[2:3]
	s_cbranch_execz .LBB50_265
; %bb.248:
	s_and_saveexec_b64 s[2:3], s[8:9]
	s_xor_b64 s[2:3], exec, s[2:3]
; %bb.249:
	v_bfrev_b32_e32 v1, 1
	v_cmp_lt_i32_e32 vcc, -1, v30
	s_nop 1
	v_cndmask_b32_e64 v1, v1, -1, vcc
	v_xor_b32_e32 v19, v1, v30
; %bb.250:
	s_or_b64 exec, exec, s[2:3]
	s_and_saveexec_b64 s[2:3], s[0:1]
	v_readlane_b32 s24, v54, 20
	v_readlane_b32 s26, v54, 25
	;; [unrolled: 1-line block ×7, first 2 shown]
; %bb.251:
	v_mov_b32_e32 v1, 0
	v_mov_b32_e32 v2, s68
	ds_write_b32 v1, v2 offset:4108
; %bb.252:
	s_or_b64 exec, exec, s[2:3]
	v_mov_b32_e32 v1, 0
	s_waitcnt lgkmcnt(0)
	s_barrier
	ds_read_b32 v1, v1 offset:4108
	s_waitcnt lgkmcnt(0)
	v_min_i32_e32 v2, s68, v1
	v_cmp_lt_i32_e32 vcc, v0, v2
	s_and_saveexec_b64 s[8:9], vcc
	s_cbranch_execz .LBB50_262
; %bb.253:
	v_cmp_u_f32_e32 vcc, v19, v19
	s_mov_b64 s[10:11], 0
	s_xor_b64 s[14:15], vcc, -1
                                        ; implicit-def: $sgpr12_sgpr13
                                        ; implicit-def: $sgpr18_sgpr19
                                        ; implicit-def: $sgpr16_sgpr17
	s_branch .LBB50_255
.LBB50_254:                             ;   in Loop: Header=BB50_255 Depth=1
	s_or_b64 exec, exec, s[2:3]
	s_and_b64 s[2:3], exec, s[18:19]
	s_or_b64 s[10:11], s[2:3], s[10:11]
	s_andn2_b64 s[2:3], s[12:13], exec
	s_and_b64 s[12:13], s[16:17], exec
	s_or_b64 s[12:13], s[2:3], s[12:13]
	s_andn2_b64 exec, exec, s[10:11]
	s_cbranch_execz .LBB50_257
.LBB50_255:                             ; =>This Inner Loop Header: Depth=1
	v_ashrrev_i32_e32 v7, 31, v6
	v_lshl_add_u64 v[4:5], v[6:7], 2, s[80:81]
	global_load_dword v3, v[4:5], off
	v_mov_b32_e32 v1, v0
	s_or_b64 s[16:17], s[16:17], exec
	s_or_b64 s[18:19], s[18:19], exec
                                        ; implicit-def: $vgpr0
	s_waitcnt vmcnt(0)
	v_cmp_o_f32_e64 s[2:3], v3, v3
	v_cmp_neq_f32_e32 vcc, v3, v19
	s_or_b64 s[2:3], s[2:3], s[14:15]
	s_and_b64 s[20:21], vcc, s[2:3]
	s_and_saveexec_b64 s[2:3], s[20:21]
	s_cbranch_execz .LBB50_254
; %bb.256:                              ;   in Loop: Header=BB50_255 Depth=1
	v_add_u32_e32 v0, s70, v1
	v_cmp_ge_i32_e32 vcc, v0, v2
	s_andn2_b64 s[18:19], s[18:19], exec
	s_and_b64 s[20:21], vcc, exec
	v_add_u32_e32 v6, s98, v6
	s_andn2_b64 s[16:17], s[16:17], exec
	s_or_b64 s[18:19], s[18:19], s[20:21]
	s_branch .LBB50_254
.LBB50_257:
	s_or_b64 exec, exec, s[10:11]
	s_and_saveexec_b64 s[2:3], s[12:13]
	s_xor_b64 s[2:3], exec, s[2:3]
	s_cbranch_execz .LBB50_262
; %bb.258:
	s_mov_b64 s[2:3], exec
	s_brev_b32 s10, -2
.LBB50_259:                             ; =>This Inner Loop Header: Depth=1
	s_ff1_i32_b64 s11, s[2:3]
	v_readlane_b32 s14, v1, s11
	s_lshl_b64 s[12:13], 1, s11
	s_min_i32 s10, s10, s14
	s_andn2_b64 s[2:3], s[2:3], s[12:13]
	s_cmp_lg_u64 s[2:3], 0
	s_cbranch_scc1 .LBB50_259
; %bb.260:
	v_mbcnt_lo_u32_b32 v0, exec_lo, 0
	v_mbcnt_hi_u32_b32 v0, exec_hi, v0
	v_cmp_eq_u32_e32 vcc, 0, v0
	s_and_saveexec_b64 s[2:3], vcc
	s_xor_b64 s[2:3], exec, s[2:3]
; %bb.261:
	v_mov_b32_e32 v0, 0
	v_mov_b32_e32 v1, s10
	ds_min_i32 v0, v1 offset:4108
.LBB50_262:
	s_or_b64 exec, exec, s[8:9]
	s_waitcnt lgkmcnt(0)
	s_barrier
	s_and_saveexec_b64 s[2:3], s[0:1]
	s_cbranch_execz .LBB50_264
; %bb.263:
	v_readlane_b32 s8, v54, 0
	s_mul_i32 s0, s23, s25
	v_readlane_b32 s10, v54, 2
	s_sub_i32 s0, s22, s0
	v_readlane_b32 s9, v54, 1
	v_readlane_b32 s11, v54, 3
	s_mov_b32 s14, s10
	s_mov_b64 s[12:13], s[8:9]
	s_mul_i32 s0, s0, s14
	v_readlane_b32 s1, v54, 19
	v_readlane_b32 s8, v54, 22
	;; [unrolled: 1-line block ×4, first 2 shown]
	s_xor_b32 s1, s1, s8
	s_mul_i32 s8, s14, s11
	v_readlane_b32 s9, v54, 13
	s_sub_i32 s8, s9, s8
	s_add_i32 s9, s14, 1
	s_sub_i32 s10, s8, s11
	s_cmp_ge_u32 s8, s11
	s_cselect_b32 s9, s9, s14
	s_cselect_b32 s8, s10, s8
	s_add_i32 s10, s9, 1
	s_cmp_ge_u32 s8, s11
	s_cselect_b32 s8, s10, s9
	s_xor_b32 s8, s8, s1
	s_sub_i32 s1, s8, s1
	s_mul_i32 s8, s1, s24
	s_sub_i32 s8, s23, s8
	s_mul_i32 s8, s8, s13
	s_add_i32 s0, s8, s0
	s_mul_i32 s1, s1, s12
	v_readlane_b32 s8, v54, 4
	s_add_i32 s0, s0, s1
	s_mul_i32 s1, s28, s27
	v_readlane_b32 s10, v54, 6
	s_sub_i32 s1, s22, s1
	v_readlane_b32 s9, v54, 5
	s_mov_b32 s14, s10
	s_mov_b64 s[12:13], s[8:9]
	s_mul_i32 s1, s1, s14
	v_readlane_b32 s8, v54, 24
	v_readlane_b32 s9, v54, 27
	;; [unrolled: 1-line block ×4, first 2 shown]
	s_xor_b32 s8, s8, s9
	s_mul_i32 s9, s15, s14
	v_readlane_b32 s10, v54, 16
	v_readlane_b32 s11, v54, 7
	s_sub_i32 s9, s10, s9
	s_add_i32 s10, s15, 1
	s_sub_i32 s11, s9, s14
	s_cmp_ge_u32 s9, s14
	s_cselect_b32 s10, s10, s15
	s_cselect_b32 s9, s11, s9
	s_add_i32 s11, s10, 1
	s_cmp_ge_u32 s9, s14
	s_cselect_b32 s9, s11, s10
	s_xor_b32 s9, s9, s8
	s_sub_i32 s8, s9, s8
	s_mul_i32 s9, s8, s26
	s_sub_i32 s9, s28, s9
	s_mul_i32 s9, s9, s13
	s_add_i32 s1, s9, s1
	s_mul_i32 s8, s8, s12
	s_add_i32 s8, s1, s8
	s_ashr_i32 s1, s0, 31
	v_mov_b32_e32 v2, 0
	s_lshl_b64 s[0:1], s[0:1], 2
	v_readlane_b32 s10, v54, 11
	ds_read_b32 v0, v2 offset:4108
	v_readlane_b32 s11, v54, 12
	s_add_u32 s0, s10, s0
	s_addc_u32 s1, s11, s1
	s_ashr_i32 s9, s8, 31
	s_lshl_b64 s[8:9], s[8:9], 3
	v_readlane_b32 s10, v54, 8
	v_readlane_b32 s11, v54, 9
	s_add_u32 s8, s10, s8
	s_addc_u32 s9, s11, s9
	s_waitcnt lgkmcnt(0)
	v_ashrrev_i32_e32 v1, 31, v0
	global_store_dwordx2 v2, v[0:1], s[8:9]
	global_store_dword v2, v19, s[0:1]
.LBB50_264:
	s_or_b64 exec, exec, s[2:3]
.LBB50_265:
	s_or_saveexec_b64 s[0:1], s[6:7]
	s_mov_b64 s[2:3], 0
	s_xor_b64 exec, exec, s[0:1]
	s_cbranch_execnz .LBB50_268
.LBB50_266:
	s_or_b64 exec, exec, s[0:1]
	s_and_b64 s[2:3], s[2:3], exec
	s_andn2_saveexec_b64 s[0:1], s[4:5]
	s_cbranch_execz .LBB50_244
.LBB50_267:
	s_or_b64 s[2:3], s[2:3], exec
	s_trap 2
	s_or_b64 exec, exec, s[0:1]
	s_and_saveexec_b64 s[0:1], s[2:3]
	s_cbranch_execnz .LBB50_245
	s_branch .LBB50_246
.LBB50_268:
	s_mov_b64 s[2:3], exec
	s_trap 2
	s_branch .LBB50_266
	.section	.rodata,"a",@progbits
	.p2align	6, 0x0
	.amdhsa_kernel _ZN2at6native12_GLOBAL__N_114gatherKthValueIfiLi3EEEvNS_4cuda6detail10TensorInfoIKT_T0_EES8_S8_S8_S8_NS5_IS6_S8_EENS5_IlS8_EE
		.amdhsa_group_segment_fixed_size 4112
		.amdhsa_private_segment_fixed_size 0
		.amdhsa_kernarg_size 920
		.amdhsa_user_sgpr_count 2
		.amdhsa_user_sgpr_dispatch_ptr 0
		.amdhsa_user_sgpr_queue_ptr 0
		.amdhsa_user_sgpr_kernarg_segment_ptr 1
		.amdhsa_user_sgpr_dispatch_id 0
		.amdhsa_user_sgpr_kernarg_preload_length 0
		.amdhsa_user_sgpr_kernarg_preload_offset 0
		.amdhsa_user_sgpr_private_segment_size 0
		.amdhsa_uses_dynamic_stack 0
		.amdhsa_enable_private_segment 0
		.amdhsa_system_sgpr_workgroup_id_x 1
		.amdhsa_system_sgpr_workgroup_id_y 1
		.amdhsa_system_sgpr_workgroup_id_z 1
		.amdhsa_system_sgpr_workgroup_info 0
		.amdhsa_system_vgpr_workitem_id 0
		.amdhsa_next_free_vgpr 55
		.amdhsa_next_free_sgpr 100
		.amdhsa_accum_offset 56
		.amdhsa_reserve_vcc 1
		.amdhsa_float_round_mode_32 0
		.amdhsa_float_round_mode_16_64 0
		.amdhsa_float_denorm_mode_32 3
		.amdhsa_float_denorm_mode_16_64 3
		.amdhsa_dx10_clamp 1
		.amdhsa_ieee_mode 1
		.amdhsa_fp16_overflow 0
		.amdhsa_tg_split 0
		.amdhsa_exception_fp_ieee_invalid_op 0
		.amdhsa_exception_fp_denorm_src 0
		.amdhsa_exception_fp_ieee_div_zero 0
		.amdhsa_exception_fp_ieee_overflow 0
		.amdhsa_exception_fp_ieee_underflow 0
		.amdhsa_exception_fp_ieee_inexact 0
		.amdhsa_exception_int_div_zero 0
	.end_amdhsa_kernel
	.section	.text._ZN2at6native12_GLOBAL__N_114gatherKthValueIfiLi3EEEvNS_4cuda6detail10TensorInfoIKT_T0_EES8_S8_S8_S8_NS5_IS6_S8_EENS5_IlS8_EE,"axG",@progbits,_ZN2at6native12_GLOBAL__N_114gatherKthValueIfiLi3EEEvNS_4cuda6detail10TensorInfoIKT_T0_EES8_S8_S8_S8_NS5_IS6_S8_EENS5_IlS8_EE,comdat
.Lfunc_end50:
	.size	_ZN2at6native12_GLOBAL__N_114gatherKthValueIfiLi3EEEvNS_4cuda6detail10TensorInfoIKT_T0_EES8_S8_S8_S8_NS5_IS6_S8_EENS5_IlS8_EE, .Lfunc_end50-_ZN2at6native12_GLOBAL__N_114gatherKthValueIfiLi3EEEvNS_4cuda6detail10TensorInfoIKT_T0_EES8_S8_S8_S8_NS5_IS6_S8_EENS5_IlS8_EE
                                        ; -- End function
	.set _ZN2at6native12_GLOBAL__N_114gatherKthValueIfiLi3EEEvNS_4cuda6detail10TensorInfoIKT_T0_EES8_S8_S8_S8_NS5_IS6_S8_EENS5_IlS8_EE.num_vgpr, 55
	.set _ZN2at6native12_GLOBAL__N_114gatherKthValueIfiLi3EEEvNS_4cuda6detail10TensorInfoIKT_T0_EES8_S8_S8_S8_NS5_IS6_S8_EENS5_IlS8_EE.num_agpr, 0
	.set _ZN2at6native12_GLOBAL__N_114gatherKthValueIfiLi3EEEvNS_4cuda6detail10TensorInfoIKT_T0_EES8_S8_S8_S8_NS5_IS6_S8_EENS5_IlS8_EE.numbered_sgpr, 100
	.set _ZN2at6native12_GLOBAL__N_114gatherKthValueIfiLi3EEEvNS_4cuda6detail10TensorInfoIKT_T0_EES8_S8_S8_S8_NS5_IS6_S8_EENS5_IlS8_EE.num_named_barrier, 0
	.set _ZN2at6native12_GLOBAL__N_114gatherKthValueIfiLi3EEEvNS_4cuda6detail10TensorInfoIKT_T0_EES8_S8_S8_S8_NS5_IS6_S8_EENS5_IlS8_EE.private_seg_size, 0
	.set _ZN2at6native12_GLOBAL__N_114gatherKthValueIfiLi3EEEvNS_4cuda6detail10TensorInfoIKT_T0_EES8_S8_S8_S8_NS5_IS6_S8_EENS5_IlS8_EE.uses_vcc, 1
	.set _ZN2at6native12_GLOBAL__N_114gatherKthValueIfiLi3EEEvNS_4cuda6detail10TensorInfoIKT_T0_EES8_S8_S8_S8_NS5_IS6_S8_EENS5_IlS8_EE.uses_flat_scratch, 0
	.set _ZN2at6native12_GLOBAL__N_114gatherKthValueIfiLi3EEEvNS_4cuda6detail10TensorInfoIKT_T0_EES8_S8_S8_S8_NS5_IS6_S8_EENS5_IlS8_EE.has_dyn_sized_stack, 0
	.set _ZN2at6native12_GLOBAL__N_114gatherKthValueIfiLi3EEEvNS_4cuda6detail10TensorInfoIKT_T0_EES8_S8_S8_S8_NS5_IS6_S8_EENS5_IlS8_EE.has_recursion, 0
	.set _ZN2at6native12_GLOBAL__N_114gatherKthValueIfiLi3EEEvNS_4cuda6detail10TensorInfoIKT_T0_EES8_S8_S8_S8_NS5_IS6_S8_EENS5_IlS8_EE.has_indirect_call, 0
	.section	.AMDGPU.csdata,"",@progbits
; Kernel info:
; codeLenInByte = 10556
; TotalNumSgprs: 106
; NumVgprs: 55
; NumAgprs: 0
; TotalNumVgprs: 55
; ScratchSize: 0
; MemoryBound: 0
; FloatMode: 240
; IeeeMode: 1
; LDSByteSize: 4112 bytes/workgroup (compile time only)
; SGPRBlocks: 13
; VGPRBlocks: 6
; NumSGPRsForWavesPerEU: 106
; NumVGPRsForWavesPerEU: 55
; AccumOffset: 56
; Occupancy: 7
; WaveLimiterHint : 1
; COMPUTE_PGM_RSRC2:SCRATCH_EN: 0
; COMPUTE_PGM_RSRC2:USER_SGPR: 2
; COMPUTE_PGM_RSRC2:TRAP_HANDLER: 0
; COMPUTE_PGM_RSRC2:TGID_X_EN: 1
; COMPUTE_PGM_RSRC2:TGID_Y_EN: 1
; COMPUTE_PGM_RSRC2:TGID_Z_EN: 1
; COMPUTE_PGM_RSRC2:TIDIG_COMP_CNT: 0
; COMPUTE_PGM_RSRC3_GFX90A:ACCUM_OFFSET: 13
; COMPUTE_PGM_RSRC3_GFX90A:TG_SPLIT: 0
	.section	.text._ZN2at6native12_GLOBAL__N_114gatherKthValueIfiLin1EEEvNS_4cuda6detail10TensorInfoIKT_T0_EES8_S8_S8_S8_NS5_IS6_S8_EENS5_IlS8_EE,"axG",@progbits,_ZN2at6native12_GLOBAL__N_114gatherKthValueIfiLin1EEEvNS_4cuda6detail10TensorInfoIKT_T0_EES8_S8_S8_S8_NS5_IS6_S8_EENS5_IlS8_EE,comdat
	.globl	_ZN2at6native12_GLOBAL__N_114gatherKthValueIfiLin1EEEvNS_4cuda6detail10TensorInfoIKT_T0_EES8_S8_S8_S8_NS5_IS6_S8_EENS5_IlS8_EE ; -- Begin function _ZN2at6native12_GLOBAL__N_114gatherKthValueIfiLin1EEEvNS_4cuda6detail10TensorInfoIKT_T0_EES8_S8_S8_S8_NS5_IS6_S8_EENS5_IlS8_EE
	.p2align	8
	.type	_ZN2at6native12_GLOBAL__N_114gatherKthValueIfiLin1EEEvNS_4cuda6detail10TensorInfoIKT_T0_EES8_S8_S8_S8_NS5_IS6_S8_EENS5_IlS8_EE,@function
_ZN2at6native12_GLOBAL__N_114gatherKthValueIfiLin1EEEvNS_4cuda6detail10TensorInfoIKT_T0_EES8_S8_S8_S8_NS5_IS6_S8_EENS5_IlS8_EE: ; @_ZN2at6native12_GLOBAL__N_114gatherKthValueIfiLin1EEEvNS_4cuda6detail10TensorInfoIKT_T0_EES8_S8_S8_S8_NS5_IS6_S8_EENS5_IlS8_EE
; %bb.0:
	s_load_dwordx2 s[12:13], s[0:1], 0x298
	s_load_dwordx4 s[60:63], s[0:1], 0xd8
	s_add_u32 s10, s0, 0x298
	s_addc_u32 s11, s1, 0
	s_waitcnt lgkmcnt(0)
	s_mul_i32 s4, s13, s4
	s_add_i32 s3, s4, s3
	s_mul_i32 s3, s3, s12
	s_add_i32 s33, s3, s2
	s_cmp_ge_i32 s33, s62
	s_cbranch_scc1 .LBB51_255
; %bb.1:
	s_load_dword s4, s[0:1], 0xd0
	s_mov_b32 s5, 0
	s_mov_b32 s3, s33
	s_waitcnt lgkmcnt(0)
	s_cmp_lt_i32 s4, 2
	s_cbranch_scc1 .LBB51_4
; %bb.2:
	s_add_i32 s8, s4, 1
	s_add_i32 s4, s4, -1
	s_lshl_b64 s[6:7], s[4:5], 2
	s_add_u32 s3, s0, s6
	s_addc_u32 s4, s1, s7
	s_add_u32 s6, s3, 8
	s_addc_u32 s7, s4, 0
	s_mov_b32 s3, s33
.LBB51_3:                               ; =>This Inner Loop Header: Depth=1
	s_load_dword s4, s[6:7], 0x0
	s_load_dword s13, s[6:7], 0x64
	s_mov_b32 s9, s3
	s_abs_i32 s3, s3
	s_waitcnt lgkmcnt(0)
	s_abs_i32 s15, s4
	v_cvt_f32_u32_e32 v1, s15
	s_sub_i32 s16, 0, s15
	s_xor_b32 s14, s9, s4
	s_ashr_i32 s14, s14, 31
	v_rcp_iflag_f32_e32 v1, v1
	s_nop 0
	v_mul_f32_e32 v1, 0x4f7ffffe, v1
	v_cvt_u32_f32_e32 v1, v1
	s_nop 0
	v_readfirstlane_b32 s17, v1
	s_mul_i32 s16, s16, s17
	s_mul_hi_u32 s16, s17, s16
	s_add_i32 s17, s17, s16
	s_mul_hi_u32 s16, s3, s17
	s_mul_i32 s17, s16, s15
	s_sub_i32 s3, s3, s17
	s_add_i32 s18, s16, 1
	s_sub_i32 s17, s3, s15
	s_cmp_ge_u32 s3, s15
	s_cselect_b32 s16, s18, s16
	s_cselect_b32 s3, s17, s3
	s_add_i32 s17, s16, 1
	s_cmp_ge_u32 s3, s15
	s_cselect_b32 s3, s17, s16
	s_xor_b32 s3, s3, s14
	s_sub_i32 s3, s3, s14
	s_mul_i32 s4, s3, s4
	s_sub_i32 s4, s9, s4
	s_mul_i32 s4, s13, s4
	s_add_i32 s8, s8, -1
	s_add_i32 s5, s4, s5
	s_add_u32 s6, s6, -4
	s_addc_u32 s7, s7, -1
	s_cmp_gt_u32 s8, 2
	s_cbranch_scc1 .LBB51_3
.LBB51_4:
	s_load_dword s8, s[0:1], 0x1b8
	s_add_u32 s6, s0, 0xe8
	s_addc_u32 s7, s1, 0
	s_mov_b32 s65, 0
	s_mov_b32 s62, s33
	s_waitcnt lgkmcnt(0)
	s_cmp_lt_i32 s8, 2
	s_cbranch_scc1 .LBB51_7
; %bb.5:
	s_add_i32 s64, s8, -1
	s_add_i32 s4, s8, 1
	s_lshl_b64 s[8:9], s[64:65], 2
	s_add_u32 s8, s6, s8
	s_addc_u32 s9, s7, s9
	s_add_u32 s8, s8, 8
	s_addc_u32 s9, s9, 0
	s_mov_b32 s62, s33
.LBB51_6:                               ; =>This Inner Loop Header: Depth=1
	s_load_dword s13, s[8:9], 0x0
	s_load_dword s15, s[8:9], 0x64
	s_abs_i32 s16, s62
	s_mov_b32 s14, s62
	s_waitcnt lgkmcnt(0)
	s_abs_i32 s18, s13
	v_cvt_f32_u32_e32 v1, s18
	s_sub_i32 s19, 0, s18
	s_xor_b32 s17, s62, s13
	s_ashr_i32 s17, s17, 31
	v_rcp_iflag_f32_e32 v1, v1
	s_nop 0
	v_mul_f32_e32 v1, 0x4f7ffffe, v1
	v_cvt_u32_f32_e32 v1, v1
	s_nop 0
	v_readfirstlane_b32 s20, v1
	s_mul_i32 s19, s19, s20
	s_mul_hi_u32 s19, s20, s19
	s_add_i32 s20, s20, s19
	s_mul_hi_u32 s19, s16, s20
	s_mul_i32 s20, s19, s18
	s_sub_i32 s16, s16, s20
	s_add_i32 s21, s19, 1
	s_sub_i32 s20, s16, s18
	s_cmp_ge_u32 s16, s18
	s_cselect_b32 s19, s21, s19
	s_cselect_b32 s16, s20, s16
	s_add_i32 s20, s19, 1
	s_cmp_ge_u32 s16, s18
	s_cselect_b32 s16, s20, s19
	s_xor_b32 s16, s16, s17
	s_sub_i32 s62, s16, s17
	s_mul_i32 s13, s62, s13
	s_sub_i32 s13, s14, s13
	s_mul_i32 s13, s15, s13
	s_add_i32 s4, s4, -1
	s_add_i32 s65, s13, s65
	s_add_u32 s8, s8, -4
	s_addc_u32 s9, s9, -1
	s_cmp_gt_u32 s4, 2
	s_cbranch_scc1 .LBB51_6
.LBB51_7:
	s_load_dword s4, s[0:1], 0x6c
	s_load_dword s14, s[0:1], 0x290
	s_add_u32 s8, s0, 0x1c0
	s_addc_u32 s9, s1, 0
	s_mov_b32 s67, 0
	s_waitcnt lgkmcnt(0)
	s_cmp_lt_i32 s14, 2
	s_cbranch_scc1 .LBB51_10
; %bb.8:
	s_add_i32 s66, s14, -1
	s_add_i32 s13, s14, 1
	s_lshl_b64 s[14:15], s[66:67], 2
	s_add_u32 s8, s8, s14
	s_addc_u32 s9, s9, s15
	s_add_u32 s8, s8, 8
	s_addc_u32 s9, s9, 0
.LBB51_9:                               ; =>This Inner Loop Header: Depth=1
	s_load_dword s14, s[8:9], 0x0
	s_load_dword s16, s[8:9], 0x64
	s_abs_i32 s17, s33
	s_mov_b32 s15, s33
	s_waitcnt lgkmcnt(0)
	s_abs_i32 s19, s14
	v_cvt_f32_u32_e32 v1, s19
	s_sub_i32 s20, 0, s19
	s_xor_b32 s18, s33, s14
	s_ashr_i32 s18, s18, 31
	v_rcp_iflag_f32_e32 v1, v1
	s_nop 0
	v_mul_f32_e32 v1, 0x4f7ffffe, v1
	v_cvt_u32_f32_e32 v1, v1
	s_nop 0
	v_readfirstlane_b32 s21, v1
	s_mul_i32 s20, s20, s21
	s_mul_hi_u32 s20, s21, s20
	s_add_i32 s21, s21, s20
	s_mul_hi_u32 s20, s17, s21
	s_mul_i32 s21, s20, s19
	s_sub_i32 s17, s17, s21
	s_add_i32 s22, s20, 1
	s_sub_i32 s21, s17, s19
	s_cmp_ge_u32 s17, s19
	s_cselect_b32 s20, s22, s20
	s_cselect_b32 s17, s21, s17
	s_add_i32 s21, s20, 1
	s_cmp_ge_u32 s17, s19
	s_cselect_b32 s17, s21, s20
	s_xor_b32 s17, s17, s18
	s_sub_i32 s33, s17, s18
	s_mul_i32 s14, s33, s14
	s_sub_i32 s14, s15, s14
	s_mul_i32 s14, s16, s14
	s_add_i32 s13, s13, -1
	s_add_i32 s67, s14, s67
	s_add_u32 s8, s8, -4
	s_addc_u32 s9, s9, -1
	s_cmp_gt_u32 s13, 2
	s_cbranch_scc1 .LBB51_9
.LBB51_10:
	s_load_dword s6, s[6:7], 0x6c
                                        ; implicit-def: $vgpr54 : SGPR spill to VGPR lane
	v_cmp_eq_u32_e64 s[18:19], 0, v0
	s_waitcnt lgkmcnt(0)
	v_writelane_b32 v54, s6, 0
	s_load_dwordx2 s[6:7], s[0:1], 0x0
	s_load_dwordx2 s[8:9], s[0:1], 0xe8
	s_waitcnt lgkmcnt(0)
	v_writelane_b32 v54, s8, 1
	s_nop 1
	v_writelane_b32 v54, s9, 2
	s_load_dwordx2 s[8:9], s[0:1], 0x1c0
	s_waitcnt lgkmcnt(0)
	v_writelane_b32 v54, s8, 3
	s_nop 1
	v_writelane_b32 v54, s9, 4
	s_and_saveexec_b64 s[8:9], s[18:19]
; %bb.11:
	v_mov_b32_e32 v2, 0
	v_mov_b32_e32 v3, s60
	;; [unrolled: 1-line block ×3, first 2 shown]
	ds_write_b96 v2, v[2:4] offset:4096
; %bb.12:
	s_or_b64 exec, exec, s[8:9]
	s_load_dword s0, s[0:1], 0x22c
	s_waitcnt lgkmcnt(0)
	s_barrier
	v_mbcnt_lo_u32_b32 v1, -1, 0
	v_writelane_b32 v54, s0, 5
	s_mul_i32 s0, s4, s3
	s_load_dword s3, s[10:11], 0xc
	s_add_i32 s0, s0, s5
	s_ashr_i32 s1, s0, 31
	s_lshl_b64 s[0:1], s[0:1], 2
	s_add_u32 s72, s6, s0
	s_addc_u32 s73, s7, s1
	s_waitcnt lgkmcnt(0)
	s_and_b32 s64, s3, 0xffff
	v_mbcnt_hi_u32_b32 v24, -1, v1
	v_cmp_gt_u32_e32 vcc, 64, v0
	v_cmp_gt_i32_e64 s[4:5], 4, v24
	s_add_i32 s6, s64, -1
	s_lshl_b32 s82, s64, 2
	s_and_b64 s[76:77], vcc, s[4:5]
	s_add_i32 s17, s6, s60
	v_writelane_b32 v54, s6, 6
	s_cmpk_gt_i32 s60, 0x300
	v_cmp_gt_u32_e64 s[6:7], s60, v0
	s_cselect_b64 s[78:79], -1, 0
	s_cmp_gt_u32 s64, 63
	v_writelane_b32 v54, s6, 7
	s_cselect_b64 s[80:81], -1, 0
	s_cmp_lt_u32 s2, s12
	v_writelane_b32 v54, s7, 8
	v_cmp_gt_i32_e64 s[6:7], s60, v0
	s_cselect_b32 s2, 12, 18
	v_lshlrev_b64 v[2:3], v24, -1
	v_writelane_b32 v54, s6, 9
	v_not_b32_e32 v12, v2
	v_lshrrev_b32_e32 v2, 2, v0
	v_writelane_b32 v54, s7, 10
	s_add_u32 s6, s10, s2
	s_addc_u32 s7, s11, 0
	v_writelane_b32 v54, s6, 11
	v_and_b32_e32 v2, 0xf0, v2
	v_or_b32_e32 v26, 0xc00, v2
	v_writelane_b32 v54, s7, 12
	s_bfe_u32 s6, s3, 0xa0006
	s_add_i32 s2, s6, -2
	s_lshr_b32 s3, s2, 1
	s_add_i32 s3, s3, 1
	s_cmpk_gt_u32 s64, 0x7f
	s_cselect_b64 s[8:9], -1, 0
	v_writelane_b32 v54, s8, 13
	v_cvt_f32_u32_e32 v2, s82
	s_and_b32 s7, s6, 0x3fe
	v_writelane_b32 v54, s9, 14
	s_and_b32 s8, s3, 7
	s_cmp_gt_u32 s2, 13
	s_cselect_b64 s[10:11], -1, 0
	v_writelane_b32 v54, s10, 15
	v_rcp_iflag_f32_e32 v2, v2
	s_and_b32 s2, s3, -8
	v_writelane_b32 v54, s11, 16
	v_writelane_b32 v54, s2, 17
	s_cmp_lg_u32 s8, 0
	v_writelane_b32 v54, s8, 18
	s_cselect_b64 s[2:3], -1, 0
	v_writelane_b32 v54, s2, 19
	v_mul_f32_e32 v2, 0x4f7ffffe, v2
	v_cvt_u32_f32_e32 v2, v2
	v_writelane_b32 v54, s3, 20
	v_writelane_b32 v54, s6, 21
	s_cmp_lg_u32 s7, s6
	v_writelane_b32 v54, s7, 22
	s_cselect_b64 s[2:3], -1, 0
	v_writelane_b32 v54, s2, 23
	v_not_b32_e32 v1, v3
	v_cvt_f32_u32_e32 v3, s64
	v_writelane_b32 v54, s3, 24
	s_sub_i32 s2, 0, s82
	v_readfirstlane_b32 s3, v2
	s_mul_i32 s2, s2, s3
	s_mul_hi_u32 s2, s3, s2
	s_add_i32 s84, s3, s2
	s_mul_hi_u32 s2, s60, s84
	s_mul_i32 s2, s2, s82
	s_sub_i32 s2, s60, s2
	s_sub_i32 s3, s2, s82
	s_cmp_ge_u32 s2, s82
	s_cselect_b32 s2, s3, s2
	s_sub_i32 s3, s2, s82
	s_cmp_ge_u32 s2, s82
	s_cselect_b32 s2, s3, s2
	s_sub_i32 s85, s60, s2
	v_rcp_iflag_f32_e32 v5, v3
	v_add_u32_e32 v27, s85, v0
	v_mul_lo_u32 v2, v27, s63
	v_ashrrev_i32_e32 v3, 31, v2
	v_lshl_add_u64 v[14:15], v[2:3], 2, s[72:73]
	v_mul_f32_e32 v2, 0x4f7ffffe, v5
	v_cvt_u32_f32_e32 v2, v2
	s_sub_i32 s7, 0, s64
	s_abs_i32 s6, s17
	s_ashr_i32 s3, s17, 31
	v_readfirstlane_b32 s8, v2
	s_mul_i32 s7, s7, s8
	s_mul_hi_u32 s7, s8, s7
	s_add_i32 s7, s8, s7
	v_writelane_b32 v54, s7, 25
	s_mul_hi_u32 s7, s6, s7
	s_mul_i32 s7, s7, s64
	s_sub_i32 s6, s6, s7
	s_sub_i32 s7, s6, s64
	s_cmp_ge_u32 s6, s64
	s_cselect_b32 s6, s7, s6
	s_sub_i32 s7, s6, s64
	s_cmp_ge_u32 s6, s64
	s_cselect_b32 s6, s7, s6
	v_lshlrev_b32_e32 v13, 2, v0
	s_xor_b32 s6, s6, s3
	s_sub_i32 s3, s3, s6
	v_mul_lo_u32 v2, s63, v13
	s_add_i32 s17, s17, s3
	v_add_u32_e32 v28, s63, v2
	v_or_b32_e32 v2, 2, v13
	v_cmp_gt_i32_e64 s[6:7], s17, v0
	v_mul_lo_u32 v29, s63, v2
	v_or_b32_e32 v2, 3, v13
	s_add_i32 s3, s64, s60
	v_mov_b32_e32 v9, 0
	v_writelane_b32 v54, s6, 26
	v_mul_lo_u32 v30, s63, v2
	v_add_u32_e32 v2, s3, v0
	v_mul_lo_u32 v6, s63, v0
	v_mov_b32_e32 v7, v9
	v_lshlrev_b32_e32 v4, 2, v24
	s_mov_b32 s20, 0
	s_mov_b32 s21, 1
	v_writelane_b32 v54, s7, 27
	s_mul_i32 s66, s63, s64
	v_subrev_u32_e32 v2, s2, v2
	v_cmp_eq_u32_e64 s[0:1], 0, v24
	v_cmp_gt_u32_e64 s[4:5], 2, v0
	v_add_u32_e32 v25, 0xc00, v13
	v_lshl_add_u64 v[10:11], v[6:7], 2, s[72:73]
	v_and_b32_e32 v7, 0x100, v4
	v_cmp_gt_i32_e64 s[10:11], s85, v13
	v_cmp_gt_u32_e64 s[12:13], s60, v27
	v_cmp_gt_i32_e64 s[14:15], s60, v27
	s_lshl_b32 s83, s66, 2
	v_lshlrev_b32_e32 v32, 2, v6
	v_mul_lo_u32 v33, s63, v2
	v_lshlrev_b32_e32 v34, 4, v0
	s_lshl_b32 s16, s64, 4
	v_or_b32_e32 v35, 0xc00, v4
	s_mov_b64 s[92:93], 0
	v_mov_b32_e32 v37, 30
	v_mov_b32_e32 v40, s61
	;; [unrolled: 1-line block ×3, first 2 shown]
	v_mov_b32_e32 v16, 1.0
	v_bfrev_b32_e32 v36, 1
	v_mov_b32_e32 v38, 0xc00
	v_mov_b32_e32 v19, 0
	v_writelane_b32 v54, s20, 28
	s_mov_b32 s61, s20
	v_mov_b32_e32 v31, 0
	v_mov_b32_e32 v39, 0
                                        ; implicit-def: $sgpr94_sgpr95
                                        ; implicit-def: $sgpr98_sgpr99
                                        ; implicit-def: $sgpr96_sgpr97
                                        ; implicit-def: $sgpr70_sgpr71
                                        ; implicit-def: $sgpr86_sgpr87
                                        ; implicit-def: $sgpr68_sgpr69
	v_writelane_b32 v54, s21, 29
	s_branch .LBB51_16
.LBB51_13:                              ;   in Loop: Header=BB51_16 Depth=1
	s_or_b64 exec, exec, s[28:29]
	s_and_b64 s[22:23], s[22:23], exec
	s_andn2_b64 s[26:27], s[26:27], exec
	s_andn2_b64 s[24:25], s[24:25], exec
	s_orn2_b64 s[20:21], s[20:21], exec
.LBB51_14:                              ;   in Loop: Header=BB51_16 Depth=1
	s_or_b64 exec, exec, s[8:9]
	s_andn2_b64 s[6:7], s[68:69], exec
	s_and_b64 s[8:9], s[22:23], exec
	s_or_b64 s[68:69], s[6:7], s[8:9]
	s_andn2_b64 s[6:7], s[86:87], exec
	s_and_b64 s[8:9], s[26:27], exec
	s_or_b64 s[86:87], s[6:7], s[8:9]
	;; [unrolled: 3-line block ×3, first 2 shown]
	s_orn2_b64 s[20:21], s[20:21], exec
.LBB51_15:                              ;   in Loop: Header=BB51_16 Depth=1
	s_or_b64 exec, exec, s[2:3]
	s_and_b64 s[2:3], exec, s[20:21]
	s_or_b64 s[92:93], s[2:3], s[92:93]
	s_andn2_b64 s[2:3], s[96:97], exec
	s_and_b64 s[6:7], s[68:69], exec
	s_or_b64 s[96:97], s[2:3], s[6:7]
	s_andn2_b64 s[2:3], s[98:99], exec
	s_and_b64 s[6:7], s[86:87], exec
	;; [unrolled: 3-line block ×3, first 2 shown]
	s_or_b64 s[94:95], s[2:3], s[6:7]
	s_mov_b32 s61, s30
	v_mov_b32_e32 v40, v20
	s_andn2_b64 exec, exec, s[92:93]
	s_cbranch_execz .LBB51_251
.LBB51_16:                              ; =>This Loop Header: Depth=1
                                        ;     Child Loop BB51_22 Depth 2
                                        ;     Child Loop BB51_37 Depth 2
	;; [unrolled: 1-line block ×17, first 2 shown]
	ds_read_b64 v[2:3], v9 offset:4096
	s_waitcnt lgkmcnt(0)
	v_readfirstlane_b32 s6, v2
	s_cmp_gt_i32 s6, 0
	s_cbranch_scc1 .LBB51_44
; %bb.17:                               ;   in Loop: Header=BB51_16 Depth=1
	s_and_b64 vcc, exec, s[78:79]
	s_cbranch_vccz .LBB51_30
; %bb.18:                               ;   in Loop: Header=BB51_16 Depth=1
	s_movk_i32 s2, 0x301
	v_cmp_gt_i32_e32 vcc, s2, v3
	s_mov_b64 s[8:9], 0
	s_mov_b64 s[2:3], 0
	s_cbranch_vccz .LBB51_31
; %bb.19:                               ;   in Loop: Header=BB51_16 Depth=1
	s_mov_b64 s[20:21], exec
	v_readlane_b32 s2, v54, 7
	v_readlane_b32 s3, v54, 8
	s_and_b64 s[2:3], s[20:21], s[2:3]
	s_mov_b64 exec, s[2:3]
	s_cbranch_execz .LBB51_76
; %bb.20:                               ;   in Loop: Header=BB51_16 Depth=1
	v_readlane_b32 s2, v54, 11
	v_readlane_b32 s3, v54, 12
	s_nop 4
	global_load_ushort v2, v9, s[2:3]
	global_load_dword v4, v[10:11], off
	s_mov_b64 s[22:23], 0
	s_waitcnt vmcnt(1)
	v_add_u32_e32 v5, v0, v2
	v_mul_lo_u32 v3, s63, v2
	v_mul_lo_u32 v8, s63, v5
	v_mov_b32_e32 v5, v0
	s_branch .LBB51_22
.LBB51_21:                              ;   in Loop: Header=BB51_22 Depth=2
	s_or_b64 exec, exec, s[2:3]
	v_cmp_le_i32_e32 vcc, s60, v5
	v_add_u32_e32 v8, v8, v3
	s_or_b64 s[22:23], vcc, s[22:23]
	v_mov_b32_e32 v4, v17
	s_andn2_b64 exec, exec, s[22:23]
	s_cbranch_execz .LBB51_76
.LBB51_22:                              ;   Parent Loop BB51_16 Depth=1
                                        ; =>  This Inner Loop Header: Depth=2
	v_add_u32_e32 v5, v5, v2
	v_cmp_gt_u32_e32 vcc, s60, v5
	s_waitcnt lgkmcnt(0)
	v_mov_b32_e32 v18, 0
	v_mov_b32_e32 v17, 0
	s_and_saveexec_b64 s[2:3], vcc
	s_cbranch_execz .LBB51_24
; %bb.23:                               ;   in Loop: Header=BB51_22 Depth=2
	v_lshl_add_u64 v[20:21], v[8:9], 2, s[72:73]
	global_load_dword v17, v[20:21], off
.LBB51_24:                              ;   in Loop: Header=BB51_22 Depth=2
	s_or_b64 exec, exec, s[2:3]
	s_waitcnt vmcnt(0)
	v_cmp_lt_i32_e32 vcc, -1, v4
	s_nop 1
	v_cndmask_b32_e32 v20, -1, v36, vcc
	v_xor_b32_e32 v20, v20, v4
	v_cmp_o_f32_e32 vcc, v4, v4
	s_nop 1
	v_cndmask_b32_e32 v20, -1, v20, vcc
	v_and_b32_e32 v20, v20, v39
	v_cmp_eq_u32_e32 vcc, v20, v31
	s_cmp_lg_u64 vcc, 0
	s_cselect_b64 s[2:3], -1, 0
	s_and_b64 s[2:3], s[0:1], s[2:3]
	s_and_saveexec_b64 s[24:25], s[2:3]
	s_cbranch_execz .LBB51_28
; %bb.25:                               ;   in Loop: Header=BB51_22 Depth=2
	s_mov_b64 s[28:29], exec
	v_mbcnt_lo_u32_b32 v18, s28, 0
	v_mbcnt_hi_u32_b32 v18, s29, v18
	s_bcnt1_i32_b64 s7, vcc
	v_cmp_eq_u32_e64 s[2:3], 0, v18
                                        ; implicit-def: $vgpr20
	s_and_saveexec_b64 s[26:27], s[2:3]
; %bb.26:                               ;   in Loop: Header=BB51_22 Depth=2
	s_bcnt1_i32_b64 s2, s[28:29]
	s_mul_i32 s2, s7, s2
	v_mov_b32_e32 v20, s2
	ds_add_rtn_u32 v20, v9, v20 offset:4104
; %bb.27:                               ;   in Loop: Header=BB51_22 Depth=2
	s_or_b64 exec, exec, s[26:27]
	s_waitcnt lgkmcnt(0)
	v_readfirstlane_b32 s2, v20
	s_nop 1
	v_mov_b32_e32 v20, s2
	v_mad_u32_u24 v18, s7, v18, v20
.LBB51_28:                              ;   in Loop: Header=BB51_22 Depth=2
	s_or_b64 exec, exec, s[24:25]
	ds_bpermute_b32 v18, v7, v18
	s_and_saveexec_b64 s[2:3], vcc
	s_cbranch_execz .LBB51_21
; %bb.29:                               ;   in Loop: Header=BB51_22 Depth=2
	v_and_b32_e32 v21, vcc_lo, v12
	v_and_b32_e32 v20, vcc_hi, v1
	v_bcnt_u32_b32 v21, v21, 0
	v_bcnt_u32_b32 v20, v20, v21
	v_lshlrev_b32_e32 v20, 2, v20
	s_waitcnt lgkmcnt(0)
	v_lshl_add_u32 v18, v18, 2, v20
	ds_write_b32 v18, v4
	s_branch .LBB51_21
.LBB51_30:                              ;   in Loop: Header=BB51_16 Depth=1
	s_mov_b64 s[8:9], -1
	s_mov_b64 s[2:3], 0
.LBB51_31:                              ;   in Loop: Header=BB51_16 Depth=1
	s_and_b64 vcc, exec, s[8:9]
	s_cbranch_vccz .LBB51_42
.LBB51_32:                              ;   in Loop: Header=BB51_16 Depth=1
	v_mov_b32_e32 v2, 0
	s_mov_b64 s[2:3], exec
	v_readlane_b32 s8, v54, 7
	v_readlane_b32 s9, v54, 8
	s_and_b64 s[8:9], s[2:3], s[8:9]
	s_mov_b64 exec, s[8:9]
	s_cbranch_execz .LBB51_34
; %bb.33:                               ;   in Loop: Header=BB51_16 Depth=1
	global_load_dword v2, v[10:11], off
.LBB51_34:                              ;   in Loop: Header=BB51_16 Depth=1
	s_or_b64 exec, exec, s[2:3]
	s_mov_b64 s[2:3], exec
	v_readlane_b32 s8, v54, 9
	v_readlane_b32 s9, v54, 10
	s_and_b64 s[8:9], s[2:3], s[8:9]
	s_mov_b64 exec, s[8:9]
	s_cbranch_execz .LBB51_39
; %bb.35:                               ;   in Loop: Header=BB51_16 Depth=1
	v_readlane_b32 s8, v54, 11
	v_readlane_b32 s9, v54, 12
	v_mov_b32_e32 v4, v13
	v_mov_b32_e32 v18, v0
	s_nop 2
	global_load_ushort v3, v9, s[8:9]
	s_mov_b64 s[8:9], 0
	s_waitcnt vmcnt(0)
	v_add_u32_e32 v8, v0, v3
	v_lshlrev_b32_e32 v5, 2, v3
	v_mul_lo_u32 v17, s63, v3
	v_mul_lo_u32 v8, s63, v8
	s_branch .LBB51_37
.LBB51_36:                              ;   in Loop: Header=BB51_37 Depth=2
	s_or_b64 exec, exec, s[20:21]
	v_cmp_le_i32_e32 vcc, s60, v18
	ds_write_b32 v4, v2
	v_add_u32_e32 v4, v4, v5
	v_add_u32_e32 v8, v8, v17
	s_or_b64 s[8:9], vcc, s[8:9]
	s_waitcnt vmcnt(0)
	v_mov_b32_e32 v2, v20
	s_andn2_b64 exec, exec, s[8:9]
	s_cbranch_execz .LBB51_39
.LBB51_37:                              ;   Parent Loop BB51_16 Depth=1
                                        ; =>  This Inner Loop Header: Depth=2
	v_add_u32_e32 v18, v18, v3
	v_cmp_gt_u32_e32 vcc, s60, v18
	v_mov_b32_e32 v20, 0
	s_and_saveexec_b64 s[20:21], vcc
	s_cbranch_execz .LBB51_36
; %bb.38:                               ;   in Loop: Header=BB51_37 Depth=2
	v_lshl_add_u64 v[20:21], v[8:9], 2, s[72:73]
	global_load_dword v20, v[20:21], off
	s_branch .LBB51_36
.LBB51_39:                              ;   in Loop: Header=BB51_16 Depth=1
	s_or_b64 exec, exec, s[2:3]
	s_waitcnt lgkmcnt(0)
	s_barrier
	s_and_saveexec_b64 s[2:3], s[18:19]
; %bb.40:                               ;   in Loop: Header=BB51_16 Depth=1
	ds_write_b32 v9, v41 offset:4096
; %bb.41:                               ;   in Loop: Header=BB51_16 Depth=1
	s_or_b64 exec, exec, s[2:3]
	s_mov_b64 s[2:3], -1
	s_waitcnt lgkmcnt(0)
	s_barrier
.LBB51_42:                              ;   in Loop: Header=BB51_16 Depth=1
	s_and_b64 vcc, exec, s[2:3]
	s_cbranch_vccz .LBB51_44
; %bb.43:                               ;   in Loop: Header=BB51_16 Depth=1
	s_waitcnt vmcnt(0)
	ds_read_b32 v2, v9 offset:4096
	s_waitcnt lgkmcnt(0)
	v_readfirstlane_b32 s6, v2
.LBB51_44:                              ;   in Loop: Header=BB51_16 Depth=1
	s_cmp_lt_i32 s6, 1
	s_mov_b64 s[2:3], -1
                                        ; implicit-def: $vgpr4_vgpr5
	s_cbranch_scc1 .LBB51_54
; %bb.45:                               ;   in Loop: Header=BB51_16 Depth=1
	s_and_b64 vcc, exec, s[2:3]
	s_cbranch_vccnz .LBB51_67
.LBB51_46:                              ;   in Loop: Header=BB51_16 Depth=1
	s_lshl_b32 s6, s61, 6
	s_and_saveexec_b64 s[2:3], s[0:1]
	s_cbranch_execz .LBB51_48
.LBB51_47:                              ;   in Loop: Header=BB51_16 Depth=1
	v_lshl_add_u32 v8, s6, 2, v26
	s_waitcnt vmcnt(0)
	ds_write_b128 v8, v[2:5]
.LBB51_48:                              ;   in Loop: Header=BB51_16 Depth=1
	s_or_b64 exec, exec, s[2:3]
	s_waitcnt lgkmcnt(0)
	s_barrier
	s_and_saveexec_b64 s[2:3], s[76:77]
	s_cbranch_execz .LBB51_87
; %bb.49:                               ;   in Loop: Header=BB51_16 Depth=1
	v_add_u32_e32 v4, s6, v24
	s_andn2_b64 vcc, exec, s[80:81]
	s_waitcnt vmcnt(0)
	v_mov_b32_e32 v2, 0
	s_cbranch_vccnz .LBB51_86
; %bb.50:                               ;   in Loop: Header=BB51_16 Depth=1
	v_readlane_b32 s8, v54, 13
	v_readlane_b32 s9, v54, 14
	s_andn2_b64 vcc, exec, s[8:9]
	s_cbranch_vccnz .LBB51_79
; %bb.51:                               ;   in Loop: Header=BB51_16 Depth=1
	v_readlane_b32 s8, v54, 15
	v_readlane_b32 s9, v54, 16
	s_andn2_b64 vcc, exec, s[8:9]
	v_lshl_add_u32 v5, v4, 2, v38
	s_cbranch_vccnz .LBB51_80
; %bb.52:                               ;   in Loop: Header=BB51_16 Depth=1
	s_mov_b32 s9, 1
	s_mov_b32 s8, 0
	v_mov_b32_e32 v2, 0
	v_mov_b32_e32 v3, 0
	v_readlane_b32 s7, v54, 17
.LBB51_53:                              ;   Parent Loop BB51_16 Depth=1
                                        ; =>  This Inner Loop Header: Depth=2
	v_lshl_add_u32 v8, s8, 4, v5
	v_lshl_add_u32 v17, s9, 4, v5
	ds_read2_b32 v[20:21], v8 offset1:8
	ds_read2_b32 v[22:23], v17 offset1:8
	ds_read2_b32 v[42:43], v8 offset0:16 offset1:24
	ds_read2_b32 v[44:45], v17 offset0:16 offset1:24
	;; [unrolled: 1-line block ×6, first 2 shown]
	s_waitcnt lgkmcnt(7)
	v_add3_u32 v2, v20, v2, v21
	s_waitcnt lgkmcnt(6)
	v_add3_u32 v3, v22, v3, v23
	;; [unrolled: 2-line block ×3, first 2 shown]
	v_add3_u32 v2, v42, v2, v43
	s_add_i32 s9, s9, 16
	s_add_i32 s8, s8, 16
	s_add_i32 s7, s7, -8
	s_waitcnt lgkmcnt(3)
	v_add3_u32 v2, v46, v2, v47
	s_waitcnt lgkmcnt(2)
	v_add3_u32 v3, v48, v3, v49
	s_cmp_lg_u32 s7, 0
	s_waitcnt lgkmcnt(0)
	v_add3_u32 v3, v52, v3, v53
	v_add3_u32 v2, v50, v2, v51
	s_cbranch_scc1 .LBB51_53
	s_branch .LBB51_81
.LBB51_54:                              ;   in Loop: Header=BB51_16 Depth=1
	v_mov_b32_e32 v8, v9
	v_mov_b64_e32 v[4:5], v[8:9]
	s_waitcnt vmcnt(0)
	v_mov_b64_e32 v[2:3], v[8:9]
	s_and_saveexec_b64 s[88:89], s[10:11]
	s_cbranch_execnz .LBB51_57
; %bb.55:                               ;   in Loop: Header=BB51_16 Depth=1
	s_or_b64 exec, exec, s[88:89]
	v_mov_b32_e32 v17, 0
	s_and_saveexec_b64 s[2:3], s[12:13]
	s_cbranch_execnz .LBB51_60
.LBB51_56:                              ;   in Loop: Header=BB51_16 Depth=1
	s_or_b64 exec, exec, s[2:3]
	s_and_saveexec_b64 s[8:9], s[14:15]
	s_cbranch_execnz .LBB51_61
	s_branch .LBB51_66
.LBB51_57:                              ;   in Loop: Header=BB51_16 Depth=1
	s_mov_b32 s7, 0
	s_mov_b64 s[90:91], 0
	v_mov_b32_e32 v8, v13
	s_mov_b32 s74, 0
	s_mov_b32 s75, s7
	;; [unrolled: 1-line block ×4, first 2 shown]
.LBB51_58:                              ;   Parent Loop BB51_16 Depth=1
                                        ; =>  This Inner Loop Header: Depth=2
	v_add_u32_e32 v2, s7, v32
	v_add_u32_e32 v4, s7, v28
	;; [unrolled: 1-line block ×4, first 2 shown]
	v_ashrrev_i32_e32 v3, 31, v2
	v_ashrrev_i32_e32 v5, 31, v4
	;; [unrolled: 1-line block ×4, first 2 shown]
	v_lshl_add_u64 v[2:3], v[2:3], 2, s[72:73]
	v_lshl_add_u64 v[4:5], v[4:5], 2, s[72:73]
	;; [unrolled: 1-line block ×4, first 2 shown]
	global_load_dword v2, v[2:3], off
	s_nop 0
	global_load_dword v3, v[4:5], off
	s_nop 0
	global_load_dword v4, v[20:21], off
	global_load_dword v5, v[22:23], off
	v_add_u32_e32 v8, s82, v8
	s_add_i32 s7, s7, s83
	v_cmp_le_i32_e32 vcc, s85, v8
	s_waitcnt vmcnt(3)
	v_cmp_lt_i32_e64 s[2:3], -1, v2
	s_nop 1
	v_cndmask_b32_e64 v17, -1, v36, s[2:3]
	s_waitcnt vmcnt(2)
	v_cmp_lt_i32_e64 s[2:3], -1, v3
	s_waitcnt vmcnt(1)
	v_cmp_o_f32_e64 s[20:21], v4, v4
	s_waitcnt vmcnt(0)
	v_cmp_o_f32_e64 s[22:23], v5, v5
	v_cndmask_b32_e64 v18, -1, v36, s[2:3]
	v_cmp_lt_i32_e64 s[2:3], -1, v4
	v_xor_b32_e32 v18, v18, v3
	v_cmp_o_f32_e64 s[24:25], v2, v2
	v_cndmask_b32_e64 v20, -1, v36, s[2:3]
	v_cmp_lt_i32_e64 s[2:3], -1, v5
	s_nop 1
	v_cndmask_b32_e64 v21, -1, v36, s[2:3]
	v_cmp_o_f32_e64 s[2:3], v3, v3
	v_xor_b32_e32 v3, v20, v4
	v_xor_b32_e32 v4, v21, v5
	;; [unrolled: 1-line block ×3, first 2 shown]
	v_cndmask_b32_e64 v2, -1, v5, s[24:25]
	v_cndmask_b32_e64 v5, -1, v18, s[2:3]
	v_and_b32_e32 v17, v2, v39
	v_bfe_u32 v2, v2, v37, 2
	v_cndmask_b32_e64 v3, -1, v3, s[20:21]
	v_and_b32_e32 v18, v5, v39
	v_bfe_u32 v5, v5, v37, 2
	v_cmp_eq_u32_e64 s[2:3], v17, v31
	v_cmp_eq_u32_e64 s[26:27], 0, v2
	v_cndmask_b32_e64 v4, -1, v4, s[22:23]
	v_and_b32_e32 v20, v3, v39
	v_bfe_u32 v3, v3, v37, 2
	v_cmp_eq_u32_e64 s[20:21], v18, v31
	v_cmp_eq_u32_e64 s[28:29], 0, v5
	s_and_b64 s[26:27], s[2:3], s[26:27]
	v_and_b32_e32 v21, v4, v39
	v_bfe_u32 v4, v4, v37, 2
	v_cmp_eq_u32_e64 s[22:23], v20, v31
	v_cmp_eq_u32_e64 s[30:31], 0, v3
	;; [unrolled: 1-line block ×5, first 2 shown]
	v_cndmask_b32_e64 v2, 0, 1, s[26:27]
	s_and_b64 s[26:27], s[20:21], s[28:29]
	v_cmp_eq_u32_e64 s[24:25], v21, v31
	v_cmp_eq_u32_e64 s[34:35], 0, v4
	;; [unrolled: 1-line block ×5, first 2 shown]
	v_cndmask_b32_e64 v3, 0, 1, s[26:27]
	s_and_b64 s[26:27], s[22:23], s[30:31]
	v_cmp_eq_u32_e64 s[42:43], 1, v4
	v_cmp_eq_u32_e64 s[50:51], 2, v4
	;; [unrolled: 1-line block ×3, first 2 shown]
	v_cndmask_b32_e64 v4, 0, 1, s[26:27]
	s_and_b64 s[26:27], s[24:25], s[34:35]
	v_cmp_eq_u32_e64 s[38:39], 1, v5
	v_cmp_eq_u32_e64 s[46:47], 2, v5
	;; [unrolled: 1-line block ×3, first 2 shown]
	v_cndmask_b32_e64 v5, 0, 1, s[26:27]
	s_and_b64 s[26:27], s[2:3], s[36:37]
	v_cndmask_b32_e64 v17, 0, 1, s[26:27]
	s_and_b64 s[26:27], s[20:21], s[38:39]
	;; [unrolled: 2-line block ×5, first 2 shown]
	s_and_b64 s[2:3], s[2:3], s[52:53]
	v_cndmask_b32_e64 v22, 0, 1, s[26:27]
	s_and_b64 s[26:27], s[20:21], s[46:47]
	v_cndmask_b32_e64 v44, 0, 1, s[2:3]
	;; [unrolled: 2-line block ×7, first 2 shown]
	v_cndmask_b32_e64 v47, 0, 1, s[2:3]
	v_cmp_ne_u32_e64 s[2:3], 0, v2
	v_cmp_ne_u32_e64 s[20:21], 0, v3
	;; [unrolled: 1-line block ×11, first 2 shown]
	s_bcnt1_i32_b64 s2, s[2:3]
	s_bcnt1_i32_b64 s3, s[20:21]
	;; [unrolled: 1-line block ×8, first 2 shown]
	v_cmp_ne_u32_e64 s[34:35], 0, v21
	v_cmp_ne_u32_e64 s[40:41], 0, v42
	;; [unrolled: 1-line block ×3, first 2 shown]
	s_bcnt1_i32_b64 s23, s[28:29]
	s_bcnt1_i32_b64 s27, s[38:39]
	;; [unrolled: 1-line block ×3, first 2 shown]
	s_add_i32 s2, s74, s2
	s_add_i32 s22, s75, s22
	;; [unrolled: 1-line block ×4, first 2 shown]
	v_cmp_ne_u32_e64 s[42:43], 0, v43
	v_cmp_ne_u32_e64 s[50:51], 0, v47
	s_bcnt1_i32_b64 s25, s[34:35]
	s_bcnt1_i32_b64 s28, s[40:41]
	;; [unrolled: 1-line block ×3, first 2 shown]
	s_add_i32 s22, s22, s23
	s_add_i32 s2, s2, s3
	;; [unrolled: 1-line block ×4, first 2 shown]
	s_bcnt1_i32_b64 s29, s[42:43]
	s_bcnt1_i32_b64 s35, s[50:51]
	s_add_i32 s2, s2, s20
	s_add_i32 s9, s22, s24
	;; [unrolled: 1-line block ×8, first 2 shown]
	s_or_b64 s[90:91], vcc, s[90:91]
	v_mov_b64_e32 v[2:3], s[74:75]
	v_mov_b64_e32 v[4:5], s[8:9]
	s_andn2_b64 exec, exec, s[90:91]
	s_cbranch_execnz .LBB51_58
; %bb.59:                               ;   in Loop: Header=BB51_16 Depth=1
	s_or_b64 exec, exec, s[90:91]
	s_or_b64 exec, exec, s[88:89]
	v_mov_b32_e32 v17, 0
	s_and_saveexec_b64 s[2:3], s[12:13]
	s_cbranch_execz .LBB51_56
.LBB51_60:                              ;   in Loop: Header=BB51_16 Depth=1
	global_load_dword v17, v[14:15], off
	s_or_b64 exec, exec, s[2:3]
	s_and_saveexec_b64 s[8:9], s[14:15]
	s_cbranch_execz .LBB51_66
.LBB51_61:                              ;   in Loop: Header=BB51_16 Depth=1
	s_mov_b64 s[20:21], 0
	v_mov_b32_e32 v20, v33
	v_mov_b32_e32 v8, v27
	s_branch .LBB51_63
.LBB51_62:                              ;   in Loop: Header=BB51_63 Depth=2
	s_or_b64 exec, exec, s[2:3]
	s_waitcnt vmcnt(0)
	v_cmp_lt_i32_e32 vcc, -1, v17
	v_add_u32_e32 v20, s66, v20
	s_nop 0
	v_cndmask_b32_e32 v21, -1, v36, vcc
	v_xor_b32_e32 v21, v21, v17
	v_cmp_o_f32_e32 vcc, v17, v17
	s_nop 1
	v_cndmask_b32_e32 v17, -1, v21, vcc
	v_and_b32_e32 v21, v17, v39
	v_bfe_u32 v17, v17, v37, 2
	v_cmp_eq_u32_e32 vcc, v21, v31
	v_cmp_eq_u32_e64 s[2:3], 0, v17
	s_and_b64 s[2:3], vcc, s[2:3]
	s_nop 0
	v_cndmask_b32_e64 v21, 0, 1, s[2:3]
	v_cmp_ne_u32_e64 s[2:3], 0, v21
	s_bcnt1_i32_b64 s7, s[2:3]
	v_cmp_eq_u32_e64 s[2:3], 1, v17
	s_and_b64 s[2:3], vcc, s[2:3]
	v_add_u32_e32 v2, s7, v2
	v_cndmask_b32_e64 v21, 0, 1, s[2:3]
	v_cmp_ne_u32_e64 s[2:3], 0, v21
	s_bcnt1_i32_b64 s2, s[2:3]
	s_nop 0
	v_add_u32_e32 v3, s2, v3
	v_cmp_eq_u32_e64 s[2:3], 2, v17
	s_and_b64 s[2:3], vcc, s[2:3]
	s_nop 0
	v_cndmask_b32_e64 v21, 0, 1, s[2:3]
	v_cmp_ne_u32_e64 s[2:3], 0, v21
	s_bcnt1_i32_b64 s7, s[2:3]
	v_cmp_eq_u32_e64 s[2:3], 3, v17
	s_and_b64 s[2:3], vcc, s[2:3]
	v_add_u32_e32 v4, s7, v4
	v_cndmask_b32_e64 v17, 0, 1, s[2:3]
	v_cmp_ne_u32_e32 vcc, 0, v17
	s_bcnt1_i32_b64 s2, vcc
	v_cmp_le_i32_e32 vcc, s60, v8
	v_add_u32_e32 v5, s2, v5
	s_or_b64 s[20:21], vcc, s[20:21]
	v_mov_b32_e32 v17, v18
	s_andn2_b64 exec, exec, s[20:21]
	s_cbranch_execz .LBB51_65
.LBB51_63:                              ;   Parent Loop BB51_16 Depth=1
                                        ; =>  This Inner Loop Header: Depth=2
	v_add_u32_e32 v8, s64, v8
	v_cmp_gt_u32_e32 vcc, s60, v8
	v_mov_b32_e32 v18, 0
	s_and_saveexec_b64 s[2:3], vcc
	s_cbranch_execz .LBB51_62
; %bb.64:                               ;   in Loop: Header=BB51_63 Depth=2
	v_ashrrev_i32_e32 v21, 31, v20
	v_lshl_add_u64 v[22:23], v[20:21], 2, s[72:73]
	global_load_dword v18, v[22:23], off
	s_branch .LBB51_62
.LBB51_65:                              ;   in Loop: Header=BB51_16 Depth=1
	s_or_b64 exec, exec, s[20:21]
.LBB51_66:                              ;   in Loop: Header=BB51_16 Depth=1
	s_or_b64 exec, exec, s[8:9]
	s_branch .LBB51_46
.LBB51_67:                              ;   in Loop: Header=BB51_16 Depth=1
	s_mul_hi_u32 s2, s6, s84
	s_mul_i32 s2, s2, s82
	s_sub_i32 s2, s6, s2
	s_sub_i32 s3, s2, s82
	s_cmp_ge_u32 s2, s82
	s_cselect_b32 s2, s3, s2
	s_sub_i32 s3, s2, s82
	s_cmp_ge_u32 s2, s82
	s_cselect_b32 s2, s3, s2
	s_sub_i32 s7, s6, s2
	v_mov_b32_e32 v8, v9
	v_cmp_gt_u32_e32 vcc, s7, v13
	v_mov_b64_e32 v[4:5], v[8:9]
	s_waitcnt vmcnt(0)
	v_mov_b64_e32 v[2:3], v[8:9]
	s_and_saveexec_b64 s[88:89], vcc
	s_cbranch_execz .LBB51_71
; %bb.68:                               ;   in Loop: Header=BB51_16 Depth=1
	s_mov_b32 s74, 0
	s_mov_b64 s[8:9], 0
	v_mov_b32_e32 v8, v34
	v_mov_b32_e32 v17, v13
	s_mov_b32 s75, s74
	s_mov_b32 s90, s74
	;; [unrolled: 1-line block ×3, first 2 shown]
.LBB51_69:                              ;   Parent Loop BB51_16 Depth=1
                                        ; =>  This Inner Loop Header: Depth=2
	ds_read_b128 v[2:5], v8
	v_add_u32_e32 v17, s82, v17
	v_cmp_le_i32_e32 vcc, s7, v17
	v_add_u32_e32 v8, s16, v8
	s_waitcnt lgkmcnt(0)
	v_cmp_lt_i32_e64 s[2:3], -1, v3
	v_cmp_o_f32_e64 s[20:21], v4, v4
	s_nop 0
	v_cndmask_b32_e64 v18, -1, v36, s[2:3]
	v_cmp_lt_i32_e64 s[2:3], -1, v2
	v_cmp_o_f32_e64 s[22:23], v5, v5
	v_cmp_o_f32_e64 s[24:25], v3, v3
	v_cndmask_b32_e64 v20, -1, v36, s[2:3]
	v_cmp_lt_i32_e64 s[2:3], -1, v5
	v_xor_b32_e32 v20, v20, v2
	s_nop 0
	v_cndmask_b32_e64 v21, -1, v36, s[2:3]
	v_cmp_lt_i32_e64 s[2:3], -1, v4
	s_nop 1
	v_cndmask_b32_e64 v22, -1, v36, s[2:3]
	v_cmp_o_f32_e64 s[2:3], v2, v2
	v_xor_b32_e32 v2, v22, v4
	v_xor_b32_e32 v4, v21, v5
	;; [unrolled: 1-line block ×3, first 2 shown]
	v_cndmask_b32_e64 v3, -1, v5, s[24:25]
	v_cndmask_b32_e64 v5, -1, v20, s[2:3]
	v_and_b32_e32 v18, v5, v39
	v_lshrrev_b32_e32 v5, v37, v5
	v_cndmask_b32_e64 v2, -1, v2, s[20:21]
	v_and_b32_e32 v20, v3, v39
	v_lshrrev_b32_e32 v3, v37, v3
	v_and_b32_e32 v5, 3, v5
	v_and_b32_e32 v21, v2, v39
	v_lshrrev_b32_e32 v2, v37, v2
	v_cmp_eq_u32_e64 s[2:3], v18, v31
	v_and_b32_e32 v3, 3, v3
	v_cmp_eq_u32_e64 s[26:27], 0, v5
	v_cndmask_b32_e64 v4, -1, v4, s[22:23]
	v_cmp_eq_u32_e64 s[20:21], v20, v31
	v_and_b32_e32 v2, 3, v2
	v_cmp_eq_u32_e64 s[28:29], 0, v3
	s_and_b64 s[26:27], s[2:3], s[26:27]
	v_and_b32_e32 v22, v4, v39
	v_lshrrev_b32_e32 v4, v37, v4
	v_cmp_eq_u32_e64 s[30:31], 1, v5
	v_cmp_eq_u32_e64 s[44:45], 0, v2
	;; [unrolled: 1-line block ×5, first 2 shown]
	v_cndmask_b32_e64 v2, 0, 1, s[26:27]
	s_and_b64 s[26:27], s[20:21], s[28:29]
	v_and_b32_e32 v4, 3, v4
	v_cmp_eq_u32_e64 s[34:35], 1, v3
	v_cmp_eq_u32_e64 s[38:39], 2, v3
	;; [unrolled: 1-line block ×3, first 2 shown]
	v_cndmask_b32_e64 v3, 0, 1, s[26:27]
	s_and_b64 s[26:27], s[2:3], s[30:31]
	v_cmp_eq_u32_e64 s[36:37], 2, v5
	v_cmp_eq_u32_e64 s[46:47], 0, v4
	;; [unrolled: 1-line block ×5, first 2 shown]
	v_cndmask_b32_e64 v4, 0, 1, s[26:27]
	s_and_b64 s[26:27], s[20:21], s[34:35]
	v_cmp_eq_u32_e64 s[42:43], 3, v5
	v_cndmask_b32_e64 v5, 0, 1, s[26:27]
	s_and_b64 s[26:27], s[2:3], s[36:37]
	v_cmp_eq_u32_e64 s[22:23], v21, v31
	;; [unrolled: 3-line block ×3, first 2 shown]
	v_cndmask_b32_e64 v20, 0, 1, s[26:27]
	s_and_b64 s[26:27], s[22:23], s[44:45]
	v_cndmask_b32_e64 v21, 0, 1, s[26:27]
	s_and_b64 s[26:27], s[24:25], s[46:47]
	;; [unrolled: 2-line block ×3, first 2 shown]
	s_and_b64 s[2:3], s[2:3], s[42:43]
	v_cndmask_b32_e64 v23, 0, 1, s[26:27]
	s_and_b64 s[26:27], s[24:25], s[50:51]
	v_cndmask_b32_e64 v45, 0, 1, s[2:3]
	;; [unrolled: 2-line block ×7, first 2 shown]
	v_cndmask_b32_e64 v48, 0, 1, s[2:3]
	v_cmp_ne_u32_e64 s[2:3], 0, v2
	v_cmp_ne_u32_e64 s[20:21], 0, v3
	;; [unrolled: 1-line block ×9, first 2 shown]
	s_bcnt1_i32_b64 s2, s[2:3]
	s_bcnt1_i32_b64 s3, s[20:21]
	;; [unrolled: 1-line block ×7, first 2 shown]
	v_cmp_ne_u32_e64 s[34:35], 0, v22
	v_cmp_ne_u32_e64 s[36:37], 0, v23
	;; [unrolled: 1-line block ×4, first 2 shown]
	s_bcnt1_i32_b64 s23, s[28:29]
	s_bcnt1_i32_b64 s31, s[46:47]
	s_add_i32 s2, s74, s2
	s_add_i32 s20, s75, s20
	;; [unrolled: 1-line block ×4, first 2 shown]
	v_cmp_ne_u32_e64 s[38:39], 0, v42
	v_cmp_ne_u32_e64 s[42:43], 0, v44
	v_cmp_ne_u32_e64 s[50:51], 0, v48
	s_bcnt1_i32_b64 s25, s[34:35]
	s_bcnt1_i32_b64 s26, s[36:37]
	;; [unrolled: 1-line block ×4, first 2 shown]
	s_add_i32 s20, s20, s21
	s_add_i32 s2, s2, s3
	;; [unrolled: 1-line block ×4, first 2 shown]
	s_bcnt1_i32_b64 s27, s[38:39]
	s_bcnt1_i32_b64 s29, s[42:43]
	s_bcnt1_i32_b64 s35, s[50:51]
	s_add_i32 s2, s2, s24
	s_add_i32 s20, s20, s26
	s_add_i32 s21, s21, s28
	s_add_i32 s3, s3, s34
	s_add_i32 s75, s20, s27
	s_add_i32 s74, s2, s25
	s_add_i32 s91, s3, s35
	s_add_i32 s90, s21, s29
	s_or_b64 s[8:9], vcc, s[8:9]
	v_mov_b64_e32 v[2:3], s[74:75]
	v_mov_b64_e32 v[4:5], s[90:91]
	s_andn2_b64 exec, exec, s[8:9]
	s_cbranch_execnz .LBB51_69
; %bb.70:                               ;   in Loop: Header=BB51_16 Depth=1
	s_or_b64 exec, exec, s[8:9]
.LBB51_71:                              ;   in Loop: Header=BB51_16 Depth=1
	s_or_b64 exec, exec, s[88:89]
	v_add_u32_e32 v8, s7, v0
	v_cmp_gt_i32_e32 vcc, s6, v8
	s_and_saveexec_b64 s[8:9], vcc
	s_cbranch_execz .LBB51_75
; %bb.72:                               ;   in Loop: Header=BB51_16 Depth=1
	v_lshlrev_b32_e32 v17, 2, v8
	s_mov_b64 s[28:29], 0
.LBB51_73:                              ;   Parent Loop BB51_16 Depth=1
                                        ; =>  This Inner Loop Header: Depth=2
	ds_read_b32 v18, v17
	v_add_u32_e32 v8, s64, v8
	v_cmp_le_i32_e32 vcc, s6, v8
	v_add_u32_e32 v17, s82, v17
	s_waitcnt lgkmcnt(0)
	v_cmp_lt_i32_e64 s[2:3], -1, v18
	s_nop 1
	v_cndmask_b32_e64 v20, -1, v36, s[2:3]
	v_xor_b32_e32 v20, v20, v18
	v_cmp_o_f32_e64 s[2:3], v18, v18
	s_nop 1
	v_cndmask_b32_e64 v18, -1, v20, s[2:3]
	v_and_b32_e32 v20, v18, v39
	v_bfe_u32 v18, v18, v37, 2
	v_cmp_eq_u32_e64 s[2:3], v20, v31
	v_cmp_eq_u32_e64 s[20:21], 0, v18
	;; [unrolled: 1-line block ×3, first 2 shown]
	s_and_b64 s[20:21], s[2:3], s[20:21]
	v_cmp_eq_u32_e64 s[24:25], 2, v18
	v_cmp_eq_u32_e64 s[26:27], 3, v18
	v_cndmask_b32_e64 v18, 0, 1, s[20:21]
	s_and_b64 s[20:21], s[2:3], s[22:23]
	v_cndmask_b32_e64 v20, 0, 1, s[20:21]
	s_and_b64 s[20:21], s[2:3], s[24:25]
	s_and_b64 s[2:3], s[2:3], s[26:27]
	v_cndmask_b32_e64 v21, 0, 1, s[20:21]
	v_cndmask_b32_e64 v22, 0, 1, s[2:3]
	v_cmp_ne_u32_e64 s[2:3], 0, v18
	v_cmp_ne_u32_e64 s[20:21], 0, v20
	;; [unrolled: 1-line block ×4, first 2 shown]
	s_bcnt1_i32_b64 s2, s[2:3]
	s_bcnt1_i32_b64 s3, s[20:21]
	;; [unrolled: 1-line block ×4, first 2 shown]
	v_add_u32_e32 v3, s3, v3
	v_add_u32_e32 v2, s2, v2
	v_add_u32_e32 v5, s20, v5
	s_or_b64 s[28:29], vcc, s[28:29]
	v_add_u32_e32 v4, s7, v4
	s_andn2_b64 exec, exec, s[28:29]
	s_cbranch_execnz .LBB51_73
; %bb.74:                               ;   in Loop: Header=BB51_16 Depth=1
	s_or_b64 exec, exec, s[28:29]
.LBB51_75:                              ;   in Loop: Header=BB51_16 Depth=1
	s_or_b64 exec, exec, s[8:9]
	s_lshl_b32 s6, s61, 6
	s_and_saveexec_b64 s[2:3], s[0:1]
	s_cbranch_execnz .LBB51_47
	s_branch .LBB51_48
.LBB51_76:                              ;   in Loop: Header=BB51_16 Depth=1
	s_or_b64 exec, exec, s[20:21]
	s_waitcnt lgkmcnt(0)
	s_barrier
	s_and_saveexec_b64 s[2:3], s[18:19]
	s_cbranch_execz .LBB51_78
; %bb.77:                               ;   in Loop: Header=BB51_16 Depth=1
	ds_read_b32 v2, v9 offset:4104
	s_waitcnt lgkmcnt(0)
	ds_write_b32 v9, v2 offset:4096
.LBB51_78:                              ;   in Loop: Header=BB51_16 Depth=1
	s_or_b64 exec, exec, s[2:3]
	s_waitcnt lgkmcnt(0)
	s_barrier
	s_mov_b64 s[2:3], -1
	s_and_b64 vcc, exec, s[8:9]
	s_cbranch_vccnz .LBB51_32
	s_branch .LBB51_42
.LBB51_79:                              ;   in Loop: Header=BB51_16 Depth=1
	v_mov_b32_e32 v2, 0
	s_mov_b32 s7, 0
	s_cbranch_execnz .LBB51_84
	s_branch .LBB51_86
.LBB51_80:                              ;   in Loop: Header=BB51_16 Depth=1
	v_mov_b32_e32 v8, v9
	v_readlane_b32 s8, v54, 28
	v_mov_b64_e32 v[2:3], v[8:9]
	v_readlane_b32 s9, v54, 29
.LBB51_81:                              ;   in Loop: Header=BB51_16 Depth=1
	v_readlane_b32 s20, v54, 19
	v_readlane_b32 s21, v54, 20
	s_andn2_b64 vcc, exec, s[20:21]
	v_readlane_b32 s7, v54, 18
	s_cbranch_vccnz .LBB51_83
.LBB51_82:                              ;   Parent Loop BB51_16 Depth=1
                                        ; =>  This Inner Loop Header: Depth=2
	v_lshl_add_u32 v8, s8, 4, v5
	v_lshl_add_u32 v17, s9, 4, v5
	ds_read_b32 v17, v17
	ds_read_b32 v8, v8
	s_add_i32 s9, s9, 2
	s_add_i32 s8, s8, 2
	s_add_i32 s7, s7, -1
	s_cmp_lg_u32 s7, 0
	s_waitcnt lgkmcnt(1)
	v_add_u32_e32 v3, v17, v3
	s_waitcnt lgkmcnt(0)
	v_add_u32_e32 v2, v8, v2
	s_cbranch_scc1 .LBB51_82
.LBB51_83:                              ;   in Loop: Header=BB51_16 Depth=1
	v_readlane_b32 s8, v54, 23
	v_add_u32_e32 v2, v2, v3
	v_readlane_b32 s7, v54, 22
	v_readlane_b32 s9, v54, 24
	s_and_b64 vcc, exec, s[8:9]
	s_cbranch_vccz .LBB51_86
.LBB51_84:                              ;   in Loop: Header=BB51_16 Depth=1
	s_lshl_b32 s8, s61, 8
	s_lshl_b32 s9, s7, 4
	s_add_i32 s8, s8, s9
	v_add_u32_e32 v3, s8, v35
	v_readlane_b32 s8, v54, 21
	s_sub_i32 s7, s8, s7
.LBB51_85:                              ;   Parent Loop BB51_16 Depth=1
                                        ; =>  This Inner Loop Header: Depth=2
	ds_read_b32 v5, v3
	s_add_i32 s7, s7, -1
	v_add_u32_e32 v3, 16, v3
	s_cmp_eq_u32 s7, 0
	s_waitcnt lgkmcnt(0)
	v_add_u32_e32 v2, v5, v2
	s_cbranch_scc0 .LBB51_85
.LBB51_86:                              ;   in Loop: Header=BB51_16 Depth=1
	v_lshlrev_b32_e32 v3, 2, v4
	ds_write_b32 v3, v2 offset:3072
.LBB51_87:                              ;   in Loop: Header=BB51_16 Depth=1
	s_or_b64 exec, exec, s[2:3]
	s_lshl_b32 s2, s6, 2
	s_waitcnt vmcnt(0)
	v_mov_b32_e32 v2, s2
	s_waitcnt lgkmcnt(0)
	s_barrier
	ds_read_b128 v[2:5], v2 offset:3072
	v_cmp_eq_u32_e32 vcc, 1, v40
	s_mov_b64 s[20:21], -1
	s_mov_b64 s[26:27], -1
                                        ; implicit-def: $sgpr24_sgpr25
                                        ; implicit-def: $sgpr22_sgpr23
	s_waitcnt lgkmcnt(0)
	v_readfirstlane_b32 s7, v2
	s_cmp_eq_u32 s7, 1
	v_readfirstlane_b32 s52, v4
	v_lshlrev_b32_e64 v4, v37, 3
	s_cselect_b64 s[2:3], -1, 0
	v_readfirstlane_b32 s6, v3
	v_readfirstlane_b32 s74, v5
	v_not_b32_e32 v8, v4
	s_and_b64 s[8:9], s[2:3], vcc
	s_and_saveexec_b64 s[2:3], s[8:9]
	s_cbranch_execz .LBB51_115
; %bb.88:                               ;   in Loop: Header=BB51_16 Depth=1
	ds_read_b32 v2, v9 offset:4096
	s_waitcnt lgkmcnt(0)
	s_barrier
	v_readfirstlane_b32 s40, v2
	s_and_saveexec_b64 s[22:23], s[4:5]
; %bb.89:                               ;   in Loop: Header=BB51_16 Depth=1
	ds_write_b32 v25, v9
; %bb.90:                               ;   in Loop: Header=BB51_16 Depth=1
	s_or_b64 exec, exec, s[22:23]
	v_and_b32_e32 v31, v31, v8
	v_or_b32_e32 v39, v39, v4
	s_mov_b64 s[22:23], -1
	s_mov_b64 s[24:25], 0
	s_cmp_lt_i32 s40, 1
	s_mov_b64 s[26:27], 0
	s_mov_b64 s[28:29], -1
	s_waitcnt lgkmcnt(0)
	s_barrier
                                        ; implicit-def: $vgpr19
	s_cbranch_scc0 .LBB51_102
; %bb.91:                               ;   in Loop: Header=BB51_16 Depth=1
	s_mov_b64 s[28:29], 0
                                        ; implicit-def: $vgpr19
	s_mov_b64 s[30:31], exec
	v_readlane_b32 s34, v54, 26
	v_readlane_b32 s35, v54, 27
	s_and_b64 s[34:35], s[30:31], s[34:35]
	s_mov_b64 exec, s[34:35]
	s_cbranch_execz .LBB51_101
; %bb.92:                               ;   in Loop: Header=BB51_16 Depth=1
	v_mov_b32_e32 v2, v6
	v_mov_b32_e32 v5, v0
                                        ; implicit-def: $sgpr34_sgpr35
	s_branch .LBB51_96
.LBB51_93:                              ;   in Loop: Header=BB51_96 Depth=2
	s_or_b64 exec, exec, s[36:37]
	s_waitcnt lgkmcnt(0)
	s_barrier
	ds_read_b64 v[18:19], v9 offset:3072
	s_waitcnt lgkmcnt(0)
	s_barrier
	v_cmp_neq_f32_e32 vcc, 0, v18
	s_cbranch_vccnz .LBB51_99
; %bb.94:                               ;   in Loop: Header=BB51_96 Depth=2
	v_add_u32_e32 v5, s64, v5
	v_cmp_le_i32_e32 vcc, s17, v5
	v_add_u32_e32 v2, s66, v2
	s_mov_b64 s[36:37], 0
	s_orn2_b64 s[38:39], vcc, exec
.LBB51_95:                              ;   in Loop: Header=BB51_96 Depth=2
	s_and_b64 s[38:39], exec, s[38:39]
	s_or_b64 s[26:27], s[38:39], s[26:27]
	s_andn2_b64 s[34:35], s[34:35], exec
	s_and_b64 s[36:37], s[36:37], exec
	s_or_b64 s[34:35], s[34:35], s[36:37]
	s_andn2_b64 exec, exec, s[26:27]
	s_cbranch_execz .LBB51_100
.LBB51_96:                              ;   Parent Loop BB51_16 Depth=1
                                        ; =>  This Inner Loop Header: Depth=2
	v_cmp_gt_i32_e32 vcc, s60, v5
	s_and_saveexec_b64 s[36:37], vcc
	s_cbranch_execz .LBB51_93
; %bb.97:                               ;   in Loop: Header=BB51_96 Depth=2
	v_ashrrev_i32_e32 v3, 31, v2
	v_lshl_add_u64 v[18:19], v[2:3], 2, s[72:73]
	global_load_dword v17, v[18:19], off
	s_waitcnt vmcnt(0)
	v_cmp_lt_i32_e32 vcc, -1, v17
	s_nop 1
	v_cndmask_b32_e32 v3, -1, v36, vcc
	v_xor_b32_e32 v3, v3, v17
	v_cmp_o_f32_e32 vcc, v17, v17
	s_nop 1
	v_cndmask_b32_e32 v3, -1, v3, vcc
	v_and_b32_e32 v3, v3, v39
	v_cmp_eq_u32_e32 vcc, v3, v31
	s_and_b64 exec, exec, vcc
	s_cbranch_execz .LBB51_93
; %bb.98:                               ;   in Loop: Header=BB51_96 Depth=2
	ds_write_b64 v9, v[16:17] offset:3072
	s_branch .LBB51_93
.LBB51_99:                              ;   in Loop: Header=BB51_96 Depth=2
	s_mov_b64 s[38:39], -1
                                        ; implicit-def: $vgpr5
                                        ; implicit-def: $vgpr2
	s_mov_b64 s[36:37], -1
	s_branch .LBB51_95
.LBB51_100:                             ;   in Loop: Header=BB51_16 Depth=1
	s_or_b64 exec, exec, s[26:27]
	s_and_b64 s[26:27], s[34:35], exec
.LBB51_101:                             ;   in Loop: Header=BB51_16 Depth=1
	s_or_b64 exec, exec, s[30:31]
.LBB51_102:                             ;   in Loop: Header=BB51_16 Depth=1
	s_and_b64 vcc, exec, s[28:29]
	s_cbranch_vccz .LBB51_114
; %bb.103:                              ;   in Loop: Header=BB51_16 Depth=1
	v_readlane_b32 s22, v54, 6
	s_add_i32 s36, s40, s22
	s_abs_i32 s23, s36
	v_readlane_b32 s24, v54, 25
	s_mul_hi_u32 s24, s23, s24
	s_mul_i32 s24, s24, s64
	s_sub_i32 s23, s23, s24
	s_ashr_i32 s22, s36, 31
	s_sub_i32 s24, s23, s64
	s_cmp_ge_u32 s23, s64
	s_cselect_b32 s23, s24, s23
	s_sub_i32 s24, s23, s64
	s_cmp_ge_u32 s23, s64
	s_cselect_b32 s23, s24, s23
	s_xor_b32 s23, s23, s22
	s_sub_i32 s22, s22, s23
	s_add_i32 s36, s36, s22
	v_cmp_gt_i32_e32 vcc, s36, v0
                                        ; implicit-def: $vgpr19
	s_and_saveexec_b64 s[22:23], vcc
	s_cbranch_execz .LBB51_113
; %bb.104:                              ;   in Loop: Header=BB51_16 Depth=1
	s_mov_b64 s[24:25], 0
	v_mov_b32_e32 v2, v13
	v_mov_b32_e32 v3, v0
                                        ; implicit-def: $sgpr28_sgpr29
	s_branch .LBB51_108
.LBB51_105:                             ;   in Loop: Header=BB51_108 Depth=2
	s_or_b64 exec, exec, s[30:31]
	s_waitcnt lgkmcnt(0)
	s_barrier
	ds_read_b64 v[18:19], v9 offset:3072
	s_waitcnt lgkmcnt(0)
	s_barrier
	v_cmp_neq_f32_e32 vcc, 0, v18
	s_cbranch_vccnz .LBB51_111
; %bb.106:                              ;   in Loop: Header=BB51_108 Depth=2
	v_add_u32_e32 v3, s64, v3
	v_cmp_le_i32_e32 vcc, s36, v3
	v_add_u32_e32 v2, s82, v2
	s_mov_b64 s[30:31], 0
	s_orn2_b64 s[34:35], vcc, exec
.LBB51_107:                             ;   in Loop: Header=BB51_108 Depth=2
	s_and_b64 s[34:35], exec, s[34:35]
	s_or_b64 s[24:25], s[34:35], s[24:25]
	s_andn2_b64 s[28:29], s[28:29], exec
	s_and_b64 s[30:31], s[30:31], exec
	s_or_b64 s[28:29], s[28:29], s[30:31]
	s_andn2_b64 exec, exec, s[24:25]
	s_cbranch_execz .LBB51_112
.LBB51_108:                             ;   Parent Loop BB51_16 Depth=1
                                        ; =>  This Inner Loop Header: Depth=2
	v_cmp_gt_i32_e32 vcc, s40, v3
	s_and_saveexec_b64 s[30:31], vcc
	s_cbranch_execz .LBB51_105
; %bb.109:                              ;   in Loop: Header=BB51_108 Depth=2
	ds_read_b32 v17, v2
	s_waitcnt lgkmcnt(0)
	v_cmp_lt_i32_e32 vcc, -1, v17
	s_nop 1
	v_cndmask_b32_e32 v5, -1, v36, vcc
	v_xor_b32_e32 v5, v5, v17
	v_cmp_o_f32_e32 vcc, v17, v17
	s_nop 1
	v_cndmask_b32_e32 v5, -1, v5, vcc
	v_and_b32_e32 v5, v5, v39
	v_cmp_eq_u32_e32 vcc, v5, v31
	s_and_b64 exec, exec, vcc
	s_cbranch_execz .LBB51_105
; %bb.110:                              ;   in Loop: Header=BB51_108 Depth=2
	ds_write_b64 v9, v[16:17] offset:3072
	s_branch .LBB51_105
.LBB51_111:                             ;   in Loop: Header=BB51_108 Depth=2
	s_mov_b64 s[34:35], -1
                                        ; implicit-def: $vgpr3
                                        ; implicit-def: $vgpr2
	s_mov_b64 s[30:31], -1
	s_branch .LBB51_107
.LBB51_112:                             ;   in Loop: Header=BB51_16 Depth=1
	s_or_b64 exec, exec, s[24:25]
	s_andn2_b64 s[24:25], s[26:27], exec
	s_and_b64 s[26:27], s[28:29], exec
	s_or_b64 s[26:27], s[24:25], s[26:27]
.LBB51_113:                             ;   in Loop: Header=BB51_16 Depth=1
	s_or_b64 exec, exec, s[22:23]
	s_mov_b64 s[22:23], 0
	s_mov_b64 s[24:25], -1
.LBB51_114:                             ;   in Loop: Header=BB51_16 Depth=1
	s_orn2_b64 s[26:27], s[26:27], exec
.LBB51_115:                             ;   in Loop: Header=BB51_16 Depth=1
	s_or_b64 exec, exec, s[2:3]
	s_andn2_b64 s[2:3], s[86:87], exec
	s_and_b64 s[24:25], s[24:25], exec
	s_or_b64 s[86:87], s[2:3], s[24:25]
	s_andn2_b64 s[2:3], s[70:71], exec
	s_and_b64 s[22:23], s[22:23], exec
	v_readfirstlane_b32 s30, v0
	s_andn2_b64 s[68:69], s[68:69], exec
	s_or_b64 s[70:71], s[2:3], s[22:23]
                                        ; implicit-def: $vgpr20
	s_and_saveexec_b64 s[2:3], s[26:27]
	s_cbranch_execz .LBB51_15
; %bb.116:                              ;   in Loop: Header=BB51_16 Depth=1
	s_xor_b64 s[20:21], s[8:9], -1
	s_mov_b64 s[22:23], 0
	v_mov_b32_e32 v20, 1
	v_mov_b32_e32 v5, 1
	s_and_saveexec_b64 s[8:9], s[20:21]
	s_cbranch_execz .LBB51_125
; %bb.117:                              ;   in Loop: Header=BB51_16 Depth=1
	v_cmp_ge_i32_e32 vcc, s7, v40
	s_and_saveexec_b64 s[20:21], vcc
	s_xor_b64 s[20:21], exec, s[20:21]
	s_cbranch_execz .LBB51_122
; %bb.118:                              ;   in Loop: Header=BB51_16 Depth=1
	ds_read_b32 v2, v9 offset:4096
	v_and_b32_e32 v31, v31, v8
	v_or_b32_e32 v39, v39, v4
	s_waitcnt lgkmcnt(0)
	v_cmp_ne_u32_e32 vcc, 0, v2
	s_cbranch_vccnz .LBB51_122
; %bb.119:                              ;   in Loop: Header=BB51_16 Depth=1
	s_and_saveexec_b64 s[22:23], s[18:19]
; %bb.120:                              ;   in Loop: Header=BB51_16 Depth=1
	v_mov_b32_e32 v2, s7
	ds_write_b32 v9, v2 offset:4100
; %bb.121:                              ;   in Loop: Header=BB51_16 Depth=1
	s_or_b64 exec, exec, s[22:23]
	s_waitcnt lgkmcnt(0)
	s_barrier
.LBB51_122:                             ;   in Loop: Header=BB51_16 Depth=1
	s_or_saveexec_b64 s[20:21], s[20:21]
	s_mov_b64 s[22:23], 0
	v_mov_b32_e32 v5, 8
	s_xor_b64 exec, exec, s[20:21]
; %bb.123:                              ;   in Loop: Header=BB51_16 Depth=1
	s_mov_b64 s[22:23], exec
	v_subrev_u32_e32 v40, s7, v40
	v_mov_b32_e32 v5, 0
; %bb.124:                              ;   in Loop: Header=BB51_16 Depth=1
	s_or_b64 exec, exec, s[20:21]
	s_and_b64 s[22:23], s[22:23], exec
	v_mov_b32_e32 v20, v40
.LBB51_125:                             ;   in Loop: Header=BB51_16 Depth=1
	s_or_b64 exec, exec, s[8:9]
	s_mov_b64 s[20:21], -1
	s_mov_b64 s[8:9], -1
                                        ; implicit-def: $sgpr24_sgpr25
                                        ; implicit-def: $sgpr26_sgpr27
	s_and_saveexec_b64 s[28:29], s[22:23]
	s_xor_b64 s[22:23], exec, s[28:29]
	s_cbranch_execz .LBB51_248
; %bb.126:                              ;   in Loop: Header=BB51_16 Depth=1
	s_cmp_eq_u32 s6, 1
	s_cselect_b64 s[8:9], -1, 0
	v_cmp_eq_u32_e32 vcc, 1, v20
	s_and_b64 s[8:9], s[8:9], vcc
	s_mov_b64 s[30:31], -1
                                        ; implicit-def: $sgpr26_sgpr27
                                        ; implicit-def: $sgpr24_sgpr25
	s_and_saveexec_b64 s[28:29], s[8:9]
	s_cbranch_execz .LBB51_154
; %bb.127:                              ;   in Loop: Header=BB51_16 Depth=1
	ds_read_b32 v2, v9 offset:4096
	s_waitcnt lgkmcnt(0)
	s_barrier
	v_readfirstlane_b32 s7, v2
	s_and_saveexec_b64 s[24:25], s[4:5]
; %bb.128:                              ;   in Loop: Header=BB51_16 Depth=1
	ds_write_b32 v25, v9
; %bb.129:                              ;   in Loop: Header=BB51_16 Depth=1
	s_or_b64 exec, exec, s[24:25]
	v_and_b32_e32 v2, v31, v8
	v_lshl_or_b32 v31, 1, v37, v2
	v_or_b32_e32 v39, v39, v4
	s_mov_b64 s[24:25], -1
	s_mov_b64 s[26:27], 0
	s_cmp_gt_i32 s7, 0
	s_mov_b64 s[30:31], 0
	s_mov_b64 s[34:35], -1
	s_waitcnt lgkmcnt(0)
	s_barrier
                                        ; implicit-def: $vgpr19
	s_cbranch_scc1 .LBB51_141
; %bb.130:                              ;   in Loop: Header=BB51_16 Depth=1
	s_mov_b64 s[34:35], 0
                                        ; implicit-def: $vgpr19
	s_mov_b64 s[36:37], exec
	v_readlane_b32 s38, v54, 26
	v_readlane_b32 s39, v54, 27
	s_and_b64 s[38:39], s[36:37], s[38:39]
	s_mov_b64 exec, s[38:39]
	s_cbranch_execz .LBB51_140
; %bb.131:                              ;   in Loop: Header=BB51_16 Depth=1
	v_mov_b32_e32 v2, v6
	v_mov_b32_e32 v21, v0
                                        ; implicit-def: $sgpr38_sgpr39
	s_branch .LBB51_135
.LBB51_132:                             ;   in Loop: Header=BB51_135 Depth=2
	s_or_b64 exec, exec, s[40:41]
	s_waitcnt lgkmcnt(0)
	s_barrier
	ds_read_b64 v[18:19], v9 offset:3072
	s_waitcnt lgkmcnt(0)
	s_barrier
	v_cmp_neq_f32_e32 vcc, 0, v18
	s_cbranch_vccnz .LBB51_138
; %bb.133:                              ;   in Loop: Header=BB51_135 Depth=2
	v_add_u32_e32 v21, s64, v21
	v_cmp_le_i32_e32 vcc, s17, v21
	v_add_u32_e32 v2, s66, v2
	s_mov_b64 s[40:41], 0
	s_orn2_b64 s[42:43], vcc, exec
.LBB51_134:                             ;   in Loop: Header=BB51_135 Depth=2
	s_and_b64 s[42:43], exec, s[42:43]
	s_or_b64 s[30:31], s[42:43], s[30:31]
	s_andn2_b64 s[38:39], s[38:39], exec
	s_and_b64 s[40:41], s[40:41], exec
	s_or_b64 s[38:39], s[38:39], s[40:41]
	s_andn2_b64 exec, exec, s[30:31]
	s_cbranch_execz .LBB51_139
.LBB51_135:                             ;   Parent Loop BB51_16 Depth=1
                                        ; =>  This Inner Loop Header: Depth=2
	v_cmp_gt_i32_e32 vcc, s60, v21
	s_and_saveexec_b64 s[40:41], vcc
	s_cbranch_execz .LBB51_132
; %bb.136:                              ;   in Loop: Header=BB51_135 Depth=2
	v_ashrrev_i32_e32 v3, 31, v2
	v_lshl_add_u64 v[18:19], v[2:3], 2, s[72:73]
	global_load_dword v17, v[18:19], off
	s_waitcnt vmcnt(0)
	v_cmp_lt_i32_e32 vcc, -1, v17
	s_nop 1
	v_cndmask_b32_e32 v3, -1, v36, vcc
	v_xor_b32_e32 v3, v3, v17
	v_cmp_o_f32_e32 vcc, v17, v17
	s_nop 1
	v_cndmask_b32_e32 v3, -1, v3, vcc
	v_and_b32_e32 v3, v3, v39
	v_cmp_eq_u32_e32 vcc, v3, v31
	s_and_b64 exec, exec, vcc
	s_cbranch_execz .LBB51_132
; %bb.137:                              ;   in Loop: Header=BB51_135 Depth=2
	ds_write_b64 v9, v[16:17] offset:3072
	s_branch .LBB51_132
.LBB51_138:                             ;   in Loop: Header=BB51_135 Depth=2
	s_mov_b64 s[42:43], -1
                                        ; implicit-def: $vgpr21
                                        ; implicit-def: $vgpr2
	s_mov_b64 s[40:41], -1
	s_branch .LBB51_134
.LBB51_139:                             ;   in Loop: Header=BB51_16 Depth=1
	s_or_b64 exec, exec, s[30:31]
	s_and_b64 s[30:31], s[38:39], exec
.LBB51_140:                             ;   in Loop: Header=BB51_16 Depth=1
	s_or_b64 exec, exec, s[36:37]
.LBB51_141:                             ;   in Loop: Header=BB51_16 Depth=1
	s_and_b64 vcc, exec, s[34:35]
	s_cbranch_vccz .LBB51_153
; %bb.142:                              ;   in Loop: Header=BB51_16 Depth=1
	v_readlane_b32 s24, v54, 6
	s_add_i32 s40, s7, s24
	s_abs_i32 s25, s40
	v_readlane_b32 s26, v54, 25
	s_mul_hi_u32 s26, s25, s26
	s_mul_i32 s26, s26, s64
	s_sub_i32 s25, s25, s26
	s_ashr_i32 s24, s40, 31
	s_sub_i32 s26, s25, s64
	s_cmp_ge_u32 s25, s64
	s_cselect_b32 s25, s26, s25
	s_sub_i32 s26, s25, s64
	s_cmp_ge_u32 s25, s64
	s_cselect_b32 s25, s26, s25
	s_xor_b32 s25, s25, s24
	s_sub_i32 s24, s24, s25
	s_add_i32 s40, s40, s24
	v_cmp_gt_i32_e32 vcc, s40, v0
                                        ; implicit-def: $vgpr19
	s_and_saveexec_b64 s[24:25], vcc
	s_cbranch_execz .LBB51_152
; %bb.143:                              ;   in Loop: Header=BB51_16 Depth=1
	s_mov_b64 s[26:27], 0
	v_mov_b32_e32 v2, v13
	v_mov_b32_e32 v3, v0
                                        ; implicit-def: $sgpr34_sgpr35
	s_branch .LBB51_147
.LBB51_144:                             ;   in Loop: Header=BB51_147 Depth=2
	s_or_b64 exec, exec, s[36:37]
	s_waitcnt lgkmcnt(0)
	s_barrier
	ds_read_b64 v[18:19], v9 offset:3072
	s_waitcnt lgkmcnt(0)
	s_barrier
	v_cmp_eq_f32_e32 vcc, 0, v18
	s_cbranch_vccz .LBB51_150
; %bb.145:                              ;   in Loop: Header=BB51_147 Depth=2
	v_add_u32_e32 v3, s64, v3
	v_cmp_le_i32_e32 vcc, s40, v3
	v_add_u32_e32 v2, s82, v2
	s_mov_b64 s[36:37], 0
	s_orn2_b64 s[38:39], vcc, exec
.LBB51_146:                             ;   in Loop: Header=BB51_147 Depth=2
	s_and_b64 s[38:39], exec, s[38:39]
	s_or_b64 s[26:27], s[38:39], s[26:27]
	s_andn2_b64 s[34:35], s[34:35], exec
	s_and_b64 s[36:37], s[36:37], exec
	s_or_b64 s[34:35], s[34:35], s[36:37]
	s_andn2_b64 exec, exec, s[26:27]
	s_cbranch_execz .LBB51_151
.LBB51_147:                             ;   Parent Loop BB51_16 Depth=1
                                        ; =>  This Inner Loop Header: Depth=2
	v_cmp_gt_i32_e32 vcc, s7, v3
	s_and_saveexec_b64 s[36:37], vcc
	s_cbranch_execz .LBB51_144
; %bb.148:                              ;   in Loop: Header=BB51_147 Depth=2
	ds_read_b32 v17, v2
	s_waitcnt lgkmcnt(0)
	v_cmp_lt_i32_e32 vcc, -1, v17
	s_nop 1
	v_cndmask_b32_e32 v18, -1, v36, vcc
	v_xor_b32_e32 v18, v18, v17
	v_cmp_o_f32_e32 vcc, v17, v17
	s_nop 1
	v_cndmask_b32_e32 v18, -1, v18, vcc
	v_and_b32_e32 v18, v18, v39
	v_cmp_eq_u32_e32 vcc, v18, v31
	s_and_b64 exec, exec, vcc
	s_cbranch_execz .LBB51_144
; %bb.149:                              ;   in Loop: Header=BB51_147 Depth=2
	ds_write_b64 v9, v[16:17] offset:3072
	s_branch .LBB51_144
.LBB51_150:                             ;   in Loop: Header=BB51_147 Depth=2
	s_mov_b64 s[38:39], -1
                                        ; implicit-def: $vgpr3
                                        ; implicit-def: $vgpr2
	s_mov_b64 s[36:37], -1
	s_branch .LBB51_146
.LBB51_151:                             ;   in Loop: Header=BB51_16 Depth=1
	s_or_b64 exec, exec, s[26:27]
	s_andn2_b64 s[26:27], s[30:31], exec
	s_and_b64 s[30:31], s[34:35], exec
	s_or_b64 s[30:31], s[26:27], s[30:31]
.LBB51_152:                             ;   in Loop: Header=BB51_16 Depth=1
	s_or_b64 exec, exec, s[24:25]
	s_mov_b64 s[24:25], 0
	s_mov_b64 s[26:27], -1
.LBB51_153:                             ;   in Loop: Header=BB51_16 Depth=1
	s_orn2_b64 s[30:31], s[30:31], exec
.LBB51_154:                             ;   in Loop: Header=BB51_16 Depth=1
	s_or_b64 exec, exec, s[28:29]
	s_mov_b64 s[34:35], 0
	s_and_saveexec_b64 s[28:29], s[30:31]
	s_cbranch_execz .LBB51_247
; %bb.155:                              ;   in Loop: Header=BB51_16 Depth=1
	s_xor_b64 s[30:31], s[8:9], -1
	s_mov_b64 s[38:39], 0
	v_mov_b32_e32 v21, 1
	v_mov_b32_e32 v5, 1
	s_and_saveexec_b64 s[8:9], s[30:31]
	s_cbranch_execz .LBB51_164
; %bb.156:                              ;   in Loop: Header=BB51_16 Depth=1
	v_cmp_ge_i32_e32 vcc, s6, v20
	s_and_saveexec_b64 s[30:31], vcc
	s_xor_b64 s[30:31], exec, s[30:31]
	s_cbranch_execz .LBB51_161
; %bb.157:                              ;   in Loop: Header=BB51_16 Depth=1
	ds_read_b32 v2, v9 offset:4096
	v_and_b32_e32 v3, v31, v8
	v_lshl_or_b32 v31, 1, v37, v3
	v_or_b32_e32 v39, v39, v4
	s_waitcnt lgkmcnt(0)
	v_cmp_ne_u32_e32 vcc, 0, v2
	s_cbranch_vccnz .LBB51_161
; %bb.158:                              ;   in Loop: Header=BB51_16 Depth=1
	s_and_saveexec_b64 s[34:35], s[18:19]
; %bb.159:                              ;   in Loop: Header=BB51_16 Depth=1
	v_mov_b32_e32 v2, s6
	ds_write_b32 v9, v2 offset:4100
; %bb.160:                              ;   in Loop: Header=BB51_16 Depth=1
	s_or_b64 exec, exec, s[34:35]
	s_waitcnt lgkmcnt(0)
	s_barrier
.LBB51_161:                             ;   in Loop: Header=BB51_16 Depth=1
	s_or_saveexec_b64 s[30:31], s[30:31]
	s_mov_b64 s[34:35], 0
	v_mov_b32_e32 v5, 8
	s_xor_b64 exec, exec, s[30:31]
; %bb.162:                              ;   in Loop: Header=BB51_16 Depth=1
	s_mov_b64 s[34:35], exec
	v_subrev_u32_e32 v20, s6, v20
	v_mov_b32_e32 v5, 0
; %bb.163:                              ;   in Loop: Header=BB51_16 Depth=1
	s_or_b64 exec, exec, s[30:31]
	s_and_b64 s[38:39], s[34:35], exec
	v_mov_b32_e32 v21, v20
.LBB51_164:                             ;   in Loop: Header=BB51_16 Depth=1
	s_or_b64 exec, exec, s[8:9]
	s_mov_b64 s[8:9], -1
                                        ; implicit-def: $sgpr34_sgpr35
                                        ; implicit-def: $sgpr36_sgpr37
	s_and_saveexec_b64 s[30:31], s[38:39]
	s_cbranch_execz .LBB51_246
; %bb.165:                              ;   in Loop: Header=BB51_16 Depth=1
	s_cmp_eq_u32 s52, 1
	s_cselect_b64 s[6:7], -1, 0
	v_cmp_eq_u32_e32 vcc, 1, v21
	s_and_b64 s[8:9], s[6:7], vcc
	s_mov_b64 s[40:41], -1
                                        ; implicit-def: $sgpr36_sgpr37
                                        ; implicit-def: $sgpr34_sgpr35
	s_and_saveexec_b64 s[38:39], s[8:9]
	s_cbranch_execz .LBB51_193
; %bb.166:                              ;   in Loop: Header=BB51_16 Depth=1
	ds_read_b32 v2, v9 offset:4096
	s_waitcnt lgkmcnt(0)
	s_barrier
	v_readfirstlane_b32 s6, v2
	s_and_saveexec_b64 s[34:35], s[4:5]
; %bb.167:                              ;   in Loop: Header=BB51_16 Depth=1
	ds_write_b32 v25, v9
; %bb.168:                              ;   in Loop: Header=BB51_16 Depth=1
	s_or_b64 exec, exec, s[34:35]
	v_and_b32_e32 v2, v31, v8
	v_lshl_or_b32 v31, 2, v37, v2
	v_or_b32_e32 v39, v39, v4
	s_mov_b64 s[34:35], -1
	s_mov_b64 s[36:37], 0
	s_cmp_gt_i32 s6, 0
	s_mov_b64 s[40:41], 0
	s_mov_b64 s[42:43], -1
	s_waitcnt lgkmcnt(0)
	s_barrier
                                        ; implicit-def: $vgpr19
	s_cbranch_scc1 .LBB51_180
; %bb.169:                              ;   in Loop: Header=BB51_16 Depth=1
	s_mov_b64 s[42:43], 0
                                        ; implicit-def: $vgpr19
	s_mov_b64 s[44:45], exec
	v_readlane_b32 s46, v54, 26
	v_readlane_b32 s47, v54, 27
	s_and_b64 s[46:47], s[44:45], s[46:47]
	s_mov_b64 exec, s[46:47]
	s_cbranch_execz .LBB51_179
; %bb.170:                              ;   in Loop: Header=BB51_16 Depth=1
	v_mov_b32_e32 v2, v6
	v_mov_b32_e32 v20, v0
                                        ; implicit-def: $sgpr46_sgpr47
	s_branch .LBB51_174
.LBB51_171:                             ;   in Loop: Header=BB51_174 Depth=2
	s_or_b64 exec, exec, s[48:49]
	s_waitcnt lgkmcnt(0)
	s_barrier
	ds_read_b64 v[18:19], v9 offset:3072
	s_waitcnt lgkmcnt(0)
	s_barrier
	v_cmp_neq_f32_e32 vcc, 0, v18
	s_cbranch_vccnz .LBB51_177
; %bb.172:                              ;   in Loop: Header=BB51_174 Depth=2
	v_add_u32_e32 v20, s64, v20
	v_cmp_le_i32_e32 vcc, s17, v20
	v_add_u32_e32 v2, s66, v2
	s_mov_b64 s[48:49], 0
	s_orn2_b64 s[50:51], vcc, exec
.LBB51_173:                             ;   in Loop: Header=BB51_174 Depth=2
	s_and_b64 s[50:51], exec, s[50:51]
	s_or_b64 s[40:41], s[50:51], s[40:41]
	s_andn2_b64 s[46:47], s[46:47], exec
	s_and_b64 s[48:49], s[48:49], exec
	s_or_b64 s[46:47], s[46:47], s[48:49]
	s_andn2_b64 exec, exec, s[40:41]
	s_cbranch_execz .LBB51_178
.LBB51_174:                             ;   Parent Loop BB51_16 Depth=1
                                        ; =>  This Inner Loop Header: Depth=2
	v_cmp_gt_i32_e32 vcc, s60, v20
	s_and_saveexec_b64 s[48:49], vcc
	s_cbranch_execz .LBB51_171
; %bb.175:                              ;   in Loop: Header=BB51_174 Depth=2
	v_ashrrev_i32_e32 v3, 31, v2
	v_lshl_add_u64 v[18:19], v[2:3], 2, s[72:73]
	global_load_dword v17, v[18:19], off
	s_waitcnt vmcnt(0)
	v_cmp_lt_i32_e32 vcc, -1, v17
	s_nop 1
	v_cndmask_b32_e32 v3, -1, v36, vcc
	v_xor_b32_e32 v3, v3, v17
	v_cmp_o_f32_e32 vcc, v17, v17
	s_nop 1
	v_cndmask_b32_e32 v3, -1, v3, vcc
	v_and_b32_e32 v3, v3, v39
	v_cmp_eq_u32_e32 vcc, v3, v31
	s_and_b64 exec, exec, vcc
	s_cbranch_execz .LBB51_171
; %bb.176:                              ;   in Loop: Header=BB51_174 Depth=2
	ds_write_b64 v9, v[16:17] offset:3072
	s_branch .LBB51_171
.LBB51_177:                             ;   in Loop: Header=BB51_174 Depth=2
	s_mov_b64 s[50:51], -1
                                        ; implicit-def: $vgpr20
                                        ; implicit-def: $vgpr2
	s_mov_b64 s[48:49], -1
	s_branch .LBB51_173
.LBB51_178:                             ;   in Loop: Header=BB51_16 Depth=1
	s_or_b64 exec, exec, s[40:41]
	s_and_b64 s[40:41], s[46:47], exec
.LBB51_179:                             ;   in Loop: Header=BB51_16 Depth=1
	s_or_b64 exec, exec, s[44:45]
.LBB51_180:                             ;   in Loop: Header=BB51_16 Depth=1
	s_and_b64 vcc, exec, s[42:43]
	s_cbranch_vccz .LBB51_192
; %bb.181:                              ;   in Loop: Header=BB51_16 Depth=1
	v_readlane_b32 s7, v54, 6
	s_add_i32 s7, s6, s7
	s_abs_i32 s35, s7
	v_readlane_b32 s36, v54, 25
	s_mul_hi_u32 s36, s35, s36
	s_mul_i32 s36, s36, s64
	s_sub_i32 s35, s35, s36
	s_ashr_i32 s34, s7, 31
	s_sub_i32 s36, s35, s64
	s_cmp_ge_u32 s35, s64
	s_cselect_b32 s35, s36, s35
	s_sub_i32 s36, s35, s64
	s_cmp_ge_u32 s35, s64
	s_cselect_b32 s35, s36, s35
	s_xor_b32 s35, s35, s34
	s_sub_i32 s34, s34, s35
	s_add_i32 s7, s7, s34
	v_cmp_gt_i32_e32 vcc, s7, v0
                                        ; implicit-def: $vgpr19
	s_and_saveexec_b64 s[34:35], vcc
	s_cbranch_execz .LBB51_191
; %bb.182:                              ;   in Loop: Header=BB51_16 Depth=1
	s_mov_b64 s[36:37], 0
	v_mov_b32_e32 v2, v13
	v_mov_b32_e32 v3, v0
                                        ; implicit-def: $sgpr42_sgpr43
	s_branch .LBB51_186
.LBB51_183:                             ;   in Loop: Header=BB51_186 Depth=2
	s_or_b64 exec, exec, s[44:45]
	s_waitcnt lgkmcnt(0)
	s_barrier
	ds_read_b64 v[18:19], v9 offset:3072
	s_waitcnt lgkmcnt(0)
	s_barrier
	v_cmp_eq_f32_e32 vcc, 0, v18
	s_cbranch_vccz .LBB51_189
; %bb.184:                              ;   in Loop: Header=BB51_186 Depth=2
	v_add_u32_e32 v3, s64, v3
	v_cmp_le_i32_e32 vcc, s7, v3
	v_add_u32_e32 v2, s82, v2
	s_mov_b64 s[44:45], 0
	s_orn2_b64 s[46:47], vcc, exec
.LBB51_185:                             ;   in Loop: Header=BB51_186 Depth=2
	s_and_b64 s[46:47], exec, s[46:47]
	s_or_b64 s[36:37], s[46:47], s[36:37]
	s_andn2_b64 s[42:43], s[42:43], exec
	s_and_b64 s[44:45], s[44:45], exec
	s_or_b64 s[42:43], s[42:43], s[44:45]
	s_andn2_b64 exec, exec, s[36:37]
	s_cbranch_execz .LBB51_190
.LBB51_186:                             ;   Parent Loop BB51_16 Depth=1
                                        ; =>  This Inner Loop Header: Depth=2
	v_cmp_gt_i32_e32 vcc, s6, v3
	s_and_saveexec_b64 s[44:45], vcc
	s_cbranch_execz .LBB51_183
; %bb.187:                              ;   in Loop: Header=BB51_186 Depth=2
	ds_read_b32 v17, v2
	s_waitcnt lgkmcnt(0)
	v_cmp_lt_i32_e32 vcc, -1, v17
	s_nop 1
	v_cndmask_b32_e32 v18, -1, v36, vcc
	v_xor_b32_e32 v18, v18, v17
	v_cmp_o_f32_e32 vcc, v17, v17
	s_nop 1
	v_cndmask_b32_e32 v18, -1, v18, vcc
	v_and_b32_e32 v18, v18, v39
	v_cmp_eq_u32_e32 vcc, v18, v31
	s_and_b64 exec, exec, vcc
	s_cbranch_execz .LBB51_183
; %bb.188:                              ;   in Loop: Header=BB51_186 Depth=2
	ds_write_b64 v9, v[16:17] offset:3072
	s_branch .LBB51_183
.LBB51_189:                             ;   in Loop: Header=BB51_186 Depth=2
	s_mov_b64 s[46:47], -1
                                        ; implicit-def: $vgpr3
                                        ; implicit-def: $vgpr2
	s_mov_b64 s[44:45], -1
	s_branch .LBB51_185
.LBB51_190:                             ;   in Loop: Header=BB51_16 Depth=1
	s_or_b64 exec, exec, s[36:37]
	s_andn2_b64 s[6:7], s[40:41], exec
	s_and_b64 s[36:37], s[42:43], exec
	s_or_b64 s[40:41], s[6:7], s[36:37]
.LBB51_191:                             ;   in Loop: Header=BB51_16 Depth=1
	s_or_b64 exec, exec, s[34:35]
	s_mov_b64 s[34:35], 0
	s_mov_b64 s[36:37], -1
.LBB51_192:                             ;   in Loop: Header=BB51_16 Depth=1
	s_orn2_b64 s[40:41], s[40:41], exec
.LBB51_193:                             ;   in Loop: Header=BB51_16 Depth=1
	s_or_b64 exec, exec, s[38:39]
	s_mov_b64 s[42:43], 0
	s_and_saveexec_b64 s[38:39], s[40:41]
	s_cbranch_execz .LBB51_245
; %bb.194:                              ;   in Loop: Header=BB51_16 Depth=1
	s_xor_b64 s[6:7], s[8:9], -1
	s_mov_b64 s[46:47], 0
	v_mov_b32_e32 v20, 1
	v_mov_b32_e32 v5, 1
	s_and_saveexec_b64 s[8:9], s[6:7]
	s_cbranch_execz .LBB51_203
; %bb.195:                              ;   in Loop: Header=BB51_16 Depth=1
	v_cmp_ge_i32_e32 vcc, s52, v21
	s_and_saveexec_b64 s[6:7], vcc
	s_xor_b64 s[40:41], exec, s[6:7]
	s_cbranch_execz .LBB51_200
; %bb.196:                              ;   in Loop: Header=BB51_16 Depth=1
	ds_read_b32 v2, v9 offset:4096
	v_and_b32_e32 v3, v31, v8
	v_lshl_or_b32 v31, 2, v37, v3
	v_or_b32_e32 v39, v39, v4
	s_waitcnt lgkmcnt(0)
	v_cmp_ne_u32_e32 vcc, 0, v2
	s_cbranch_vccnz .LBB51_200
; %bb.197:                              ;   in Loop: Header=BB51_16 Depth=1
	s_and_saveexec_b64 s[42:43], s[18:19]
; %bb.198:                              ;   in Loop: Header=BB51_16 Depth=1
	v_mov_b32_e32 v2, s52
	ds_write_b32 v9, v2 offset:4100
; %bb.199:                              ;   in Loop: Header=BB51_16 Depth=1
	s_or_b64 exec, exec, s[42:43]
	s_waitcnt lgkmcnt(0)
	s_barrier
.LBB51_200:                             ;   in Loop: Header=BB51_16 Depth=1
	s_or_saveexec_b64 s[40:41], s[40:41]
	s_mov_b64 s[42:43], 0
	v_mov_b32_e32 v5, 8
	s_xor_b64 exec, exec, s[40:41]
; %bb.201:                              ;   in Loop: Header=BB51_16 Depth=1
	s_mov_b64 s[42:43], exec
	v_subrev_u32_e32 v21, s52, v21
	v_mov_b32_e32 v5, 0
; %bb.202:                              ;   in Loop: Header=BB51_16 Depth=1
	s_or_b64 exec, exec, s[40:41]
	s_and_b64 s[46:47], s[42:43], exec
	v_mov_b32_e32 v20, v21
.LBB51_203:                             ;   in Loop: Header=BB51_16 Depth=1
	s_or_b64 exec, exec, s[8:9]
	s_mov_b64 s[8:9], -1
                                        ; implicit-def: $sgpr44_sgpr45
                                        ; implicit-def: $sgpr42_sgpr43
	s_and_saveexec_b64 s[40:41], s[46:47]
	s_cbranch_execz .LBB51_244
; %bb.204:                              ;   in Loop: Header=BB51_16 Depth=1
	s_cmp_eq_u32 s74, 1
	s_cselect_b64 s[6:7], -1, 0
	v_cmp_eq_u32_e32 vcc, 1, v20
	s_and_b64 s[8:9], s[6:7], vcc
	s_mov_b64 s[48:49], -1
                                        ; implicit-def: $sgpr44_sgpr45
                                        ; implicit-def: $sgpr42_sgpr43
	s_and_saveexec_b64 s[46:47], s[8:9]
	s_cbranch_execz .LBB51_232
; %bb.205:                              ;   in Loop: Header=BB51_16 Depth=1
	ds_read_b32 v2, v9 offset:4096
	s_waitcnt lgkmcnt(0)
	s_barrier
	v_readfirstlane_b32 s6, v2
	s_and_saveexec_b64 s[42:43], s[4:5]
; %bb.206:                              ;   in Loop: Header=BB51_16 Depth=1
	ds_write_b32 v25, v9
; %bb.207:                              ;   in Loop: Header=BB51_16 Depth=1
	s_or_b64 exec, exec, s[42:43]
	v_or_b32_e32 v31, v31, v4
	v_or_b32_e32 v39, v39, v4
	s_mov_b64 s[42:43], -1
	s_mov_b64 s[44:45], 0
	s_cmp_gt_i32 s6, 0
	s_mov_b64 s[48:49], 0
	s_mov_b64 s[50:51], -1
	s_waitcnt lgkmcnt(0)
	s_barrier
                                        ; implicit-def: $vgpr19
	s_cbranch_scc1 .LBB51_219
; %bb.208:                              ;   in Loop: Header=BB51_16 Depth=1
	s_mov_b64 s[50:51], 0
                                        ; implicit-def: $vgpr19
	s_mov_b64 s[52:53], exec
	v_readlane_b32 s54, v54, 26
	v_readlane_b32 s55, v54, 27
	s_and_b64 s[54:55], s[52:53], s[54:55]
	s_mov_b64 exec, s[54:55]
	s_cbranch_execz .LBB51_218
; %bb.209:                              ;   in Loop: Header=BB51_16 Depth=1
	v_mov_b32_e32 v2, v6
	v_mov_b32_e32 v8, v0
                                        ; implicit-def: $sgpr54_sgpr55
	s_branch .LBB51_213
.LBB51_210:                             ;   in Loop: Header=BB51_213 Depth=2
	s_or_b64 exec, exec, s[56:57]
	s_waitcnt lgkmcnt(0)
	s_barrier
	ds_read_b64 v[18:19], v9 offset:3072
	s_waitcnt lgkmcnt(0)
	s_barrier
	v_cmp_neq_f32_e32 vcc, 0, v18
	s_cbranch_vccnz .LBB51_216
; %bb.211:                              ;   in Loop: Header=BB51_213 Depth=2
	v_add_u32_e32 v8, s64, v8
	v_cmp_le_i32_e32 vcc, s17, v8
	v_add_u32_e32 v2, s66, v2
	s_mov_b64 s[56:57], 0
	s_orn2_b64 s[58:59], vcc, exec
.LBB51_212:                             ;   in Loop: Header=BB51_213 Depth=2
	s_and_b64 s[58:59], exec, s[58:59]
	s_or_b64 s[48:49], s[58:59], s[48:49]
	s_andn2_b64 s[54:55], s[54:55], exec
	s_and_b64 s[56:57], s[56:57], exec
	s_or_b64 s[54:55], s[54:55], s[56:57]
	s_andn2_b64 exec, exec, s[48:49]
	s_cbranch_execz .LBB51_217
.LBB51_213:                             ;   Parent Loop BB51_16 Depth=1
                                        ; =>  This Inner Loop Header: Depth=2
	v_cmp_gt_i32_e32 vcc, s60, v8
	s_and_saveexec_b64 s[56:57], vcc
	s_cbranch_execz .LBB51_210
; %bb.214:                              ;   in Loop: Header=BB51_213 Depth=2
	v_ashrrev_i32_e32 v3, 31, v2
	v_lshl_add_u64 v[18:19], v[2:3], 2, s[72:73]
	global_load_dword v17, v[18:19], off
	s_waitcnt vmcnt(0)
	v_cmp_lt_i32_e32 vcc, -1, v17
	s_nop 1
	v_cndmask_b32_e32 v3, -1, v36, vcc
	v_xor_b32_e32 v3, v3, v17
	v_cmp_o_f32_e32 vcc, v17, v17
	s_nop 1
	v_cndmask_b32_e32 v3, -1, v3, vcc
	v_and_b32_e32 v3, v3, v39
	v_cmp_eq_u32_e32 vcc, v3, v31
	s_and_b64 exec, exec, vcc
	s_cbranch_execz .LBB51_210
; %bb.215:                              ;   in Loop: Header=BB51_213 Depth=2
	ds_write_b64 v9, v[16:17] offset:3072
	s_branch .LBB51_210
.LBB51_216:                             ;   in Loop: Header=BB51_213 Depth=2
	s_mov_b64 s[58:59], -1
                                        ; implicit-def: $vgpr8
                                        ; implicit-def: $vgpr2
	s_mov_b64 s[56:57], -1
	s_branch .LBB51_212
.LBB51_217:                             ;   in Loop: Header=BB51_16 Depth=1
	s_or_b64 exec, exec, s[48:49]
	s_and_b64 s[48:49], s[54:55], exec
.LBB51_218:                             ;   in Loop: Header=BB51_16 Depth=1
	s_or_b64 exec, exec, s[52:53]
.LBB51_219:                             ;   in Loop: Header=BB51_16 Depth=1
	s_and_b64 vcc, exec, s[50:51]
	s_cbranch_vccz .LBB51_231
; %bb.220:                              ;   in Loop: Header=BB51_16 Depth=1
	v_readlane_b32 s7, v54, 6
	s_add_i32 s7, s6, s7
	s_abs_i32 s43, s7
	v_readlane_b32 s44, v54, 25
	s_mul_hi_u32 s44, s43, s44
	s_mul_i32 s44, s44, s64
	s_sub_i32 s43, s43, s44
	s_ashr_i32 s42, s7, 31
	s_sub_i32 s44, s43, s64
	s_cmp_ge_u32 s43, s64
	s_cselect_b32 s43, s44, s43
	s_sub_i32 s44, s43, s64
	s_cmp_ge_u32 s43, s64
	s_cselect_b32 s43, s44, s43
	s_xor_b32 s43, s43, s42
	s_sub_i32 s42, s42, s43
	s_add_i32 s7, s7, s42
	v_cmp_gt_i32_e32 vcc, s7, v0
                                        ; implicit-def: $vgpr19
	s_and_saveexec_b64 s[42:43], vcc
	s_cbranch_execz .LBB51_230
; %bb.221:                              ;   in Loop: Header=BB51_16 Depth=1
	s_mov_b64 s[44:45], 0
	v_mov_b32_e32 v2, v13
	v_mov_b32_e32 v3, v0
                                        ; implicit-def: $sgpr50_sgpr51
	s_branch .LBB51_225
.LBB51_222:                             ;   in Loop: Header=BB51_225 Depth=2
	s_or_b64 exec, exec, s[52:53]
	s_waitcnt lgkmcnt(0)
	s_barrier
	ds_read_b64 v[18:19], v9 offset:3072
	s_waitcnt lgkmcnt(0)
	s_barrier
	v_cmp_eq_f32_e32 vcc, 0, v18
	s_cbranch_vccz .LBB51_228
; %bb.223:                              ;   in Loop: Header=BB51_225 Depth=2
	v_add_u32_e32 v3, s64, v3
	v_cmp_le_i32_e32 vcc, s7, v3
	v_add_u32_e32 v2, s82, v2
	s_mov_b64 s[52:53], 0
	s_orn2_b64 s[54:55], vcc, exec
.LBB51_224:                             ;   in Loop: Header=BB51_225 Depth=2
	s_and_b64 s[54:55], exec, s[54:55]
	s_or_b64 s[44:45], s[54:55], s[44:45]
	s_andn2_b64 s[50:51], s[50:51], exec
	s_and_b64 s[52:53], s[52:53], exec
	s_or_b64 s[50:51], s[50:51], s[52:53]
	s_andn2_b64 exec, exec, s[44:45]
	s_cbranch_execz .LBB51_229
.LBB51_225:                             ;   Parent Loop BB51_16 Depth=1
                                        ; =>  This Inner Loop Header: Depth=2
	v_cmp_gt_i32_e32 vcc, s6, v3
	s_and_saveexec_b64 s[52:53], vcc
	s_cbranch_execz .LBB51_222
; %bb.226:                              ;   in Loop: Header=BB51_225 Depth=2
	ds_read_b32 v17, v2
	s_waitcnt lgkmcnt(0)
	v_cmp_lt_i32_e32 vcc, -1, v17
	s_nop 1
	v_cndmask_b32_e32 v8, -1, v36, vcc
	v_xor_b32_e32 v8, v8, v17
	v_cmp_o_f32_e32 vcc, v17, v17
	s_nop 1
	v_cndmask_b32_e32 v8, -1, v8, vcc
	v_and_b32_e32 v8, v8, v39
	v_cmp_eq_u32_e32 vcc, v8, v31
	s_and_b64 exec, exec, vcc
	s_cbranch_execz .LBB51_222
; %bb.227:                              ;   in Loop: Header=BB51_225 Depth=2
	ds_write_b64 v9, v[16:17] offset:3072
	s_branch .LBB51_222
.LBB51_228:                             ;   in Loop: Header=BB51_225 Depth=2
	s_mov_b64 s[54:55], -1
                                        ; implicit-def: $vgpr3
                                        ; implicit-def: $vgpr2
	s_mov_b64 s[52:53], -1
	s_branch .LBB51_224
.LBB51_229:                             ;   in Loop: Header=BB51_16 Depth=1
	s_or_b64 exec, exec, s[44:45]
	s_andn2_b64 s[6:7], s[48:49], exec
	s_and_b64 s[44:45], s[50:51], exec
	s_or_b64 s[48:49], s[6:7], s[44:45]
.LBB51_230:                             ;   in Loop: Header=BB51_16 Depth=1
	s_or_b64 exec, exec, s[42:43]
	s_mov_b64 s[42:43], 0
	s_mov_b64 s[44:45], -1
.LBB51_231:                             ;   in Loop: Header=BB51_16 Depth=1
	s_orn2_b64 s[48:49], s[48:49], exec
.LBB51_232:                             ;   in Loop: Header=BB51_16 Depth=1
	s_or_b64 exec, exec, s[46:47]
	s_mov_b64 s[50:51], 0
	s_and_saveexec_b64 s[46:47], s[48:49]
	s_cbranch_execz .LBB51_243
; %bb.233:                              ;   in Loop: Header=BB51_16 Depth=1
	s_xor_b64 s[6:7], s[8:9], -1
	v_mov_b32_e32 v5, 1
	v_mov_b32_e32 v2, 1
	s_and_saveexec_b64 s[8:9], s[6:7]
	s_cbranch_execz .LBB51_242
; %bb.234:                              ;   in Loop: Header=BB51_16 Depth=1
	v_cmp_ge_i32_e32 vcc, s74, v20
	s_and_saveexec_b64 s[6:7], vcc
	s_xor_b64 s[48:49], exec, s[6:7]
	s_cbranch_execz .LBB51_239
; %bb.235:                              ;   in Loop: Header=BB51_16 Depth=1
	ds_read_b32 v2, v9 offset:4096
	v_or_b32_e32 v31, v31, v4
	v_or_b32_e32 v39, v39, v4
	s_waitcnt lgkmcnt(0)
	v_cmp_ne_u32_e32 vcc, 0, v2
	s_cbranch_vccnz .LBB51_239
; %bb.236:                              ;   in Loop: Header=BB51_16 Depth=1
	s_and_saveexec_b64 s[50:51], s[18:19]
; %bb.237:                              ;   in Loop: Header=BB51_16 Depth=1
	v_mov_b32_e32 v2, s74
	ds_write_b32 v9, v2 offset:4100
; %bb.238:                              ;   in Loop: Header=BB51_16 Depth=1
	s_or_b64 exec, exec, s[50:51]
	s_waitcnt lgkmcnt(0)
	s_barrier
.LBB51_239:                             ;   in Loop: Header=BB51_16 Depth=1
	s_andn2_saveexec_b64 s[48:49], s[48:49]
; %bb.240:                              ;   in Loop: Header=BB51_16 Depth=1
	v_subrev_u32_e32 v20, s74, v20
; %bb.241:                              ;   in Loop: Header=BB51_16 Depth=1
	s_or_b64 exec, exec, s[48:49]
	v_mov_b32_e32 v5, 8
	v_mov_b32_e32 v2, v20
.LBB51_242:                             ;   in Loop: Header=BB51_16 Depth=1
	s_or_b64 exec, exec, s[8:9]
	s_mov_b64 s[50:51], exec
	v_mov_b32_e32 v20, v2
.LBB51_243:                             ;   in Loop: Header=BB51_16 Depth=1
	s_or_b64 exec, exec, s[46:47]
	s_orn2_b64 s[8:9], s[50:51], exec
.LBB51_244:                             ;   in Loop: Header=BB51_16 Depth=1
	s_or_b64 exec, exec, s[40:41]
	s_andn2_b64 s[6:7], s[36:37], exec
	s_and_b64 s[36:37], s[44:45], exec
	s_or_b64 s[36:37], s[6:7], s[36:37]
	s_andn2_b64 s[6:7], s[34:35], exec
	s_and_b64 s[34:35], s[42:43], exec
	s_or_b64 s[34:35], s[6:7], s[34:35]
	s_and_b64 s[42:43], s[8:9], exec
	v_mov_b32_e32 v21, v20
.LBB51_245:                             ;   in Loop: Header=BB51_16 Depth=1
	s_or_b64 exec, exec, s[38:39]
	s_orn2_b64 s[8:9], s[42:43], exec
.LBB51_246:                             ;   in Loop: Header=BB51_16 Depth=1
	s_or_b64 exec, exec, s[30:31]
	s_andn2_b64 s[6:7], s[26:27], exec
	s_and_b64 s[26:27], s[36:37], exec
	s_or_b64 s[26:27], s[6:7], s[26:27]
	s_andn2_b64 s[6:7], s[24:25], exec
	s_and_b64 s[24:25], s[34:35], exec
	s_or_b64 s[24:25], s[6:7], s[24:25]
	s_and_b64 s[34:35], s[8:9], exec
	v_mov_b32_e32 v20, v21
.LBB51_247:                             ;   in Loop: Header=BB51_16 Depth=1
	s_or_b64 exec, exec, s[28:29]
	s_orn2_b64 s[8:9], s[34:35], exec
.LBB51_248:                             ;   in Loop: Header=BB51_16 Depth=1
	s_or_b64 exec, exec, s[22:23]
	s_mov_b64 s[22:23], 0
                                        ; implicit-def: $sgpr30
	s_and_saveexec_b64 s[6:7], s[8:9]
	s_xor_b64 s[8:9], exec, s[6:7]
	s_cbranch_execz .LBB51_14
; %bb.249:                              ;   in Loop: Header=BB51_16 Depth=1
	v_and_b32_e32 v2, 7, v5
	v_cmp_eq_u32_e32 vcc, 0, v2
	s_mov_b64 s[20:21], -1
	s_mov_b64 s[22:23], -1
                                        ; implicit-def: $sgpr30
	s_and_saveexec_b64 s[28:29], vcc
	s_cbranch_execz .LBB51_13
; %bb.250:                              ;   in Loop: Header=BB51_16 Depth=1
	v_add_u32_e32 v2, -2, v37
	v_cmp_eq_u32_e32 vcc, 0, v37
	s_xor_b32 s30, s61, 1
	s_xor_b64 s[22:23], exec, -1
	s_orn2_b64 s[20:21], vcc, exec
	v_mov_b32_e32 v37, v2
	s_branch .LBB51_13
.LBB51_251:
	s_or_b64 exec, exec, s[92:93]
	s_xor_b64 s[4:5], s[98:99], -1
	s_xor_b64 s[2:3], s[94:95], -1
	;; [unrolled: 1-line block ×3, first 2 shown]
	s_mov_b64 s[0:1], 0
	s_and_saveexec_b64 s[8:9], s[2:3]
	s_xor_b64 s[2:3], exec, s[8:9]
	s_cbranch_execnz .LBB51_256
; %bb.252:
	s_andn2_saveexec_b64 s[2:3], s[2:3]
	s_cbranch_execnz .LBB51_276
.LBB51_253:
	s_or_b64 exec, exec, s[2:3]
	s_and_saveexec_b64 s[2:3], s[0:1]
.LBB51_254:
	; divergent unreachable
.LBB51_255:
	s_endpgm
.LBB51_256:
	s_and_saveexec_b64 s[0:1], s[4:5]
	s_xor_b64 s[4:5], exec, s[0:1]
	s_cbranch_execz .LBB51_274
; %bb.257:
	s_and_saveexec_b64 s[0:1], s[6:7]
	s_xor_b64 s[0:1], exec, s[0:1]
; %bb.258:
	v_bfrev_b32_e32 v1, 1
	v_cmp_lt_i32_e32 vcc, -1, v31
	s_nop 1
	v_cndmask_b32_e64 v1, v1, -1, vcc
	v_xor_b32_e32 v19, v1, v31
; %bb.259:
	s_or_b64 exec, exec, s[0:1]
	s_and_saveexec_b64 s[0:1], s[18:19]
; %bb.260:
	v_mov_b32_e32 v1, 0
	v_mov_b32_e32 v2, s60
	ds_write_b32 v1, v2 offset:4108
; %bb.261:
	s_or_b64 exec, exec, s[0:1]
	v_mov_b32_e32 v1, 0
	s_waitcnt lgkmcnt(0)
	s_barrier
	ds_read_b32 v1, v1 offset:4108
	s_waitcnt lgkmcnt(0)
	v_min_i32_e32 v2, s60, v1
	v_cmp_lt_i32_e32 vcc, v0, v2
	s_and_saveexec_b64 s[6:7], vcc
	s_cbranch_execz .LBB51_271
; %bb.262:
	v_cmp_u_f32_e32 vcc, v19, v19
	s_mov_b64 s[8:9], 0
	s_xor_b64 s[12:13], vcc, -1
                                        ; implicit-def: $sgpr10_sgpr11
                                        ; implicit-def: $sgpr16_sgpr17
                                        ; implicit-def: $sgpr14_sgpr15
	s_branch .LBB51_264
.LBB51_263:                             ;   in Loop: Header=BB51_264 Depth=1
	s_or_b64 exec, exec, s[0:1]
	s_and_b64 s[0:1], exec, s[16:17]
	s_or_b64 s[8:9], s[0:1], s[8:9]
	s_andn2_b64 s[0:1], s[10:11], exec
	s_and_b64 s[10:11], s[14:15], exec
	s_or_b64 s[10:11], s[0:1], s[10:11]
	s_andn2_b64 exec, exec, s[8:9]
	s_cbranch_execz .LBB51_266
.LBB51_264:                             ; =>This Inner Loop Header: Depth=1
	v_ashrrev_i32_e32 v7, 31, v6
	v_lshl_add_u64 v[4:5], v[6:7], 2, s[72:73]
	global_load_dword v3, v[4:5], off
	v_mov_b32_e32 v1, v0
	s_or_b64 s[14:15], s[14:15], exec
	s_or_b64 s[16:17], s[16:17], exec
                                        ; implicit-def: $vgpr0
	s_waitcnt vmcnt(0)
	v_cmp_o_f32_e64 s[0:1], v3, v3
	v_cmp_neq_f32_e32 vcc, v3, v19
	s_or_b64 s[0:1], s[0:1], s[12:13]
	s_and_b64 s[20:21], vcc, s[0:1]
	s_and_saveexec_b64 s[0:1], s[20:21]
	s_cbranch_execz .LBB51_263
; %bb.265:                              ;   in Loop: Header=BB51_264 Depth=1
	v_add_u32_e32 v0, s64, v1
	v_cmp_ge_i32_e32 vcc, v0, v2
	s_andn2_b64 s[16:17], s[16:17], exec
	s_and_b64 s[20:21], vcc, exec
	v_add_u32_e32 v6, s66, v6
	s_andn2_b64 s[14:15], s[14:15], exec
	s_or_b64 s[16:17], s[16:17], s[20:21]
	s_branch .LBB51_263
.LBB51_266:
	s_or_b64 exec, exec, s[8:9]
	s_and_saveexec_b64 s[0:1], s[10:11]
	s_xor_b64 s[0:1], exec, s[0:1]
	s_cbranch_execz .LBB51_271
; %bb.267:
	s_mov_b64 s[0:1], exec
	s_brev_b32 s8, -2
.LBB51_268:                             ; =>This Inner Loop Header: Depth=1
	s_ff1_i32_b64 s9, s[0:1]
	v_readlane_b32 s12, v1, s9
	s_lshl_b64 s[10:11], 1, s9
	s_min_i32 s8, s8, s12
	s_andn2_b64 s[0:1], s[0:1], s[10:11]
	s_cmp_lg_u64 s[0:1], 0
	s_cbranch_scc1 .LBB51_268
; %bb.269:
	v_mbcnt_lo_u32_b32 v0, exec_lo, 0
	v_mbcnt_hi_u32_b32 v0, exec_hi, v0
	v_cmp_eq_u32_e32 vcc, 0, v0
	s_and_saveexec_b64 s[0:1], vcc
	s_xor_b64 s[0:1], exec, s[0:1]
; %bb.270:
	v_mov_b32_e32 v0, 0
	v_mov_b32_e32 v1, s8
	ds_min_i32 v0, v1 offset:4108
.LBB51_271:
	s_or_b64 exec, exec, s[6:7]
	s_waitcnt lgkmcnt(0)
	s_barrier
	s_and_saveexec_b64 s[0:1], s[18:19]
	s_cbranch_execz .LBB51_273
; %bb.272:
	v_readlane_b32 s6, v54, 0
	s_mul_i32 s6, s6, s62
	v_readlane_b32 s7, v54, 5
	s_add_i32 s6, s6, s65
	s_mul_i32 s7, s7, s33
	s_add_i32 s8, s7, s67
	s_ashr_i32 s7, s6, 31
	v_mov_b32_e32 v2, 0
	s_lshl_b64 s[6:7], s[6:7], 2
	v_readlane_b32 s10, v54, 1
	ds_read_b32 v0, v2 offset:4108
	v_readlane_b32 s11, v54, 2
	s_add_u32 s6, s10, s6
	s_addc_u32 s7, s11, s7
	s_ashr_i32 s9, s8, 31
	s_lshl_b64 s[8:9], s[8:9], 3
	v_readlane_b32 s10, v54, 3
	v_readlane_b32 s11, v54, 4
	s_add_u32 s8, s10, s8
	s_addc_u32 s9, s11, s9
	s_waitcnt lgkmcnt(0)
	v_ashrrev_i32_e32 v1, 31, v0
	global_store_dwordx2 v2, v[0:1], s[8:9]
	global_store_dword v2, v19, s[6:7]
.LBB51_273:
	s_or_b64 exec, exec, s[0:1]
.LBB51_274:
	s_or_saveexec_b64 s[0:1], s[4:5]
	s_mov_b64 s[4:5], 0
	s_xor_b64 exec, exec, s[0:1]
	s_cbranch_execnz .LBB51_277
.LBB51_275:
	s_or_b64 exec, exec, s[0:1]
	s_and_b64 s[0:1], s[4:5], exec
	s_andn2_saveexec_b64 s[2:3], s[2:3]
	s_cbranch_execz .LBB51_253
.LBB51_276:
	s_or_b64 s[0:1], s[0:1], exec
	s_trap 2
	s_or_b64 exec, exec, s[2:3]
	s_and_saveexec_b64 s[2:3], s[0:1]
	s_cbranch_execnz .LBB51_254
	s_branch .LBB51_255
.LBB51_277:
	s_mov_b64 s[4:5], exec
	s_trap 2
	s_branch .LBB51_275
	.section	.rodata,"a",@progbits
	.p2align	6, 0x0
	.amdhsa_kernel _ZN2at6native12_GLOBAL__N_114gatherKthValueIfiLin1EEEvNS_4cuda6detail10TensorInfoIKT_T0_EES8_S8_S8_S8_NS5_IS6_S8_EENS5_IlS8_EE
		.amdhsa_group_segment_fixed_size 4112
		.amdhsa_private_segment_fixed_size 0
		.amdhsa_kernarg_size 920
		.amdhsa_user_sgpr_count 2
		.amdhsa_user_sgpr_dispatch_ptr 0
		.amdhsa_user_sgpr_queue_ptr 0
		.amdhsa_user_sgpr_kernarg_segment_ptr 1
		.amdhsa_user_sgpr_dispatch_id 0
		.amdhsa_user_sgpr_kernarg_preload_length 0
		.amdhsa_user_sgpr_kernarg_preload_offset 0
		.amdhsa_user_sgpr_private_segment_size 0
		.amdhsa_uses_dynamic_stack 0
		.amdhsa_enable_private_segment 0
		.amdhsa_system_sgpr_workgroup_id_x 1
		.amdhsa_system_sgpr_workgroup_id_y 1
		.amdhsa_system_sgpr_workgroup_id_z 1
		.amdhsa_system_sgpr_workgroup_info 0
		.amdhsa_system_vgpr_workitem_id 0
		.amdhsa_next_free_vgpr 55
		.amdhsa_next_free_sgpr 100
		.amdhsa_accum_offset 56
		.amdhsa_reserve_vcc 1
		.amdhsa_float_round_mode_32 0
		.amdhsa_float_round_mode_16_64 0
		.amdhsa_float_denorm_mode_32 3
		.amdhsa_float_denorm_mode_16_64 3
		.amdhsa_dx10_clamp 1
		.amdhsa_ieee_mode 1
		.amdhsa_fp16_overflow 0
		.amdhsa_tg_split 0
		.amdhsa_exception_fp_ieee_invalid_op 0
		.amdhsa_exception_fp_denorm_src 0
		.amdhsa_exception_fp_ieee_div_zero 0
		.amdhsa_exception_fp_ieee_overflow 0
		.amdhsa_exception_fp_ieee_underflow 0
		.amdhsa_exception_fp_ieee_inexact 0
		.amdhsa_exception_int_div_zero 0
	.end_amdhsa_kernel
	.section	.text._ZN2at6native12_GLOBAL__N_114gatherKthValueIfiLin1EEEvNS_4cuda6detail10TensorInfoIKT_T0_EES8_S8_S8_S8_NS5_IS6_S8_EENS5_IlS8_EE,"axG",@progbits,_ZN2at6native12_GLOBAL__N_114gatherKthValueIfiLin1EEEvNS_4cuda6detail10TensorInfoIKT_T0_EES8_S8_S8_S8_NS5_IS6_S8_EENS5_IlS8_EE,comdat
.Lfunc_end51:
	.size	_ZN2at6native12_GLOBAL__N_114gatherKthValueIfiLin1EEEvNS_4cuda6detail10TensorInfoIKT_T0_EES8_S8_S8_S8_NS5_IS6_S8_EENS5_IlS8_EE, .Lfunc_end51-_ZN2at6native12_GLOBAL__N_114gatherKthValueIfiLin1EEEvNS_4cuda6detail10TensorInfoIKT_T0_EES8_S8_S8_S8_NS5_IS6_S8_EENS5_IlS8_EE
                                        ; -- End function
	.set _ZN2at6native12_GLOBAL__N_114gatherKthValueIfiLin1EEEvNS_4cuda6detail10TensorInfoIKT_T0_EES8_S8_S8_S8_NS5_IS6_S8_EENS5_IlS8_EE.num_vgpr, 55
	.set _ZN2at6native12_GLOBAL__N_114gatherKthValueIfiLin1EEEvNS_4cuda6detail10TensorInfoIKT_T0_EES8_S8_S8_S8_NS5_IS6_S8_EENS5_IlS8_EE.num_agpr, 0
	.set _ZN2at6native12_GLOBAL__N_114gatherKthValueIfiLin1EEEvNS_4cuda6detail10TensorInfoIKT_T0_EES8_S8_S8_S8_NS5_IS6_S8_EENS5_IlS8_EE.numbered_sgpr, 100
	.set _ZN2at6native12_GLOBAL__N_114gatherKthValueIfiLin1EEEvNS_4cuda6detail10TensorInfoIKT_T0_EES8_S8_S8_S8_NS5_IS6_S8_EENS5_IlS8_EE.num_named_barrier, 0
	.set _ZN2at6native12_GLOBAL__N_114gatherKthValueIfiLin1EEEvNS_4cuda6detail10TensorInfoIKT_T0_EES8_S8_S8_S8_NS5_IS6_S8_EENS5_IlS8_EE.private_seg_size, 0
	.set _ZN2at6native12_GLOBAL__N_114gatherKthValueIfiLin1EEEvNS_4cuda6detail10TensorInfoIKT_T0_EES8_S8_S8_S8_NS5_IS6_S8_EENS5_IlS8_EE.uses_vcc, 1
	.set _ZN2at6native12_GLOBAL__N_114gatherKthValueIfiLin1EEEvNS_4cuda6detail10TensorInfoIKT_T0_EES8_S8_S8_S8_NS5_IS6_S8_EENS5_IlS8_EE.uses_flat_scratch, 0
	.set _ZN2at6native12_GLOBAL__N_114gatherKthValueIfiLin1EEEvNS_4cuda6detail10TensorInfoIKT_T0_EES8_S8_S8_S8_NS5_IS6_S8_EENS5_IlS8_EE.has_dyn_sized_stack, 0
	.set _ZN2at6native12_GLOBAL__N_114gatherKthValueIfiLin1EEEvNS_4cuda6detail10TensorInfoIKT_T0_EES8_S8_S8_S8_NS5_IS6_S8_EENS5_IlS8_EE.has_recursion, 0
	.set _ZN2at6native12_GLOBAL__N_114gatherKthValueIfiLin1EEEvNS_4cuda6detail10TensorInfoIKT_T0_EES8_S8_S8_S8_NS5_IS6_S8_EENS5_IlS8_EE.has_indirect_call, 0
	.section	.AMDGPU.csdata,"",@progbits
; Kernel info:
; codeLenInByte = 10292
; TotalNumSgprs: 106
; NumVgprs: 55
; NumAgprs: 0
; TotalNumVgprs: 55
; ScratchSize: 0
; MemoryBound: 0
; FloatMode: 240
; IeeeMode: 1
; LDSByteSize: 4112 bytes/workgroup (compile time only)
; SGPRBlocks: 13
; VGPRBlocks: 6
; NumSGPRsForWavesPerEU: 106
; NumVGPRsForWavesPerEU: 55
; AccumOffset: 56
; Occupancy: 7
; WaveLimiterHint : 1
; COMPUTE_PGM_RSRC2:SCRATCH_EN: 0
; COMPUTE_PGM_RSRC2:USER_SGPR: 2
; COMPUTE_PGM_RSRC2:TRAP_HANDLER: 0
; COMPUTE_PGM_RSRC2:TGID_X_EN: 1
; COMPUTE_PGM_RSRC2:TGID_Y_EN: 1
; COMPUTE_PGM_RSRC2:TGID_Z_EN: 1
; COMPUTE_PGM_RSRC2:TIDIG_COMP_CNT: 0
; COMPUTE_PGM_RSRC3_GFX90A:ACCUM_OFFSET: 13
; COMPUTE_PGM_RSRC3_GFX90A:TG_SPLIT: 0
	.section	.text._ZN2at6native12_GLOBAL__N_114gatherKthValueIflLi1EEEvNS_4cuda6detail10TensorInfoIKT_T0_EES8_S8_S8_S8_NS5_IS6_S8_EENS5_IlS8_EE,"axG",@progbits,_ZN2at6native12_GLOBAL__N_114gatherKthValueIflLi1EEEvNS_4cuda6detail10TensorInfoIKT_T0_EES8_S8_S8_S8_NS5_IS6_S8_EENS5_IlS8_EE,comdat
	.globl	_ZN2at6native12_GLOBAL__N_114gatherKthValueIflLi1EEEvNS_4cuda6detail10TensorInfoIKT_T0_EES8_S8_S8_S8_NS5_IS6_S8_EENS5_IlS8_EE ; -- Begin function _ZN2at6native12_GLOBAL__N_114gatherKthValueIflLi1EEEvNS_4cuda6detail10TensorInfoIKT_T0_EES8_S8_S8_S8_NS5_IS6_S8_EENS5_IlS8_EE
	.p2align	8
	.type	_ZN2at6native12_GLOBAL__N_114gatherKthValueIflLi1EEEvNS_4cuda6detail10TensorInfoIKT_T0_EES8_S8_S8_S8_NS5_IS6_S8_EENS5_IlS8_EE,@function
_ZN2at6native12_GLOBAL__N_114gatherKthValueIflLi1EEEvNS_4cuda6detail10TensorInfoIKT_T0_EES8_S8_S8_S8_NS5_IS6_S8_EENS5_IlS8_EE: ; @_ZN2at6native12_GLOBAL__N_114gatherKthValueIflLi1EEEvNS_4cuda6detail10TensorInfoIKT_T0_EES8_S8_S8_S8_NS5_IS6_S8_EENS5_IlS8_EE
; %bb.0:
	s_load_dwordx2 s[10:11], s[0:1], 0x500
	s_load_dwordx8 s[60:67], s[0:1], 0x1a0
	s_add_u32 s8, s0, 0x500
	s_addc_u32 s9, s1, 0
	s_mov_b32 s15, 0
	s_waitcnt lgkmcnt(0)
	s_mul_i32 s4, s11, s4
	s_add_i32 s3, s4, s3
	s_mul_i32 s3, s3, s10
	s_add_i32 s14, s3, s2
	v_mov_b64_e32 v[2:3], s[14:15]
	v_cmp_le_i64_e32 vcc, s[64:65], v[2:3]
	s_cbranch_vccnz .LBB52_283
; %bb.1:
	s_load_dwordx2 s[4:5], s[0:1], 0x430
                                        ; implicit-def: $vgpr62 : SGPR spill to VGPR lane
	v_cmp_eq_u32_e64 s[12:13], 0, v0
	s_waitcnt lgkmcnt(0)
	v_writelane_b32 v62, s4, 0
	s_nop 1
	v_writelane_b32 v62, s5, 1
	s_load_dwordx2 s[4:5], s[0:1], 0x360
	s_waitcnt lgkmcnt(0)
	v_writelane_b32 v62, s4, 2
	s_nop 1
	v_writelane_b32 v62, s5, 3
	s_load_dwordx2 s[4:5], s[0:1], 0x290
	;; [unrolled: 5-line block ×4, first 2 shown]
	s_load_dwordx2 s[4:5], s[0:1], 0x0
	s_mov_b64 s[0:1], exec
	v_writelane_b32 v62, s12, 8
	s_nop 1
	v_writelane_b32 v62, s13, 9
	s_and_b64 s[12:13], s[0:1], s[12:13]
	s_mov_b64 exec, s[12:13]
	s_cbranch_execz .LBB52_3
; %bb.2:
	v_mov_b32_e32 v2, 0
	v_mov_b32_e32 v4, s60
	;; [unrolled: 1-line block ×4, first 2 shown]
	ds_write_b32 v2, v2 offset:5136
	ds_write_b128 v2, v[2:5] offset:5120
.LBB52_3:
	s_or_b64 exec, exec, s[0:1]
	s_waitcnt lgkmcnt(0)
	s_mul_i32 s0, s7, s14
	s_mul_hi_u32 s1, s6, s14
	s_add_i32 s1, s1, s0
	s_mov_b32 s0, s14
	v_writelane_b32 v62, s0, 10
	v_mbcnt_lo_u32_b32 v1, -1, 0
	v_mbcnt_hi_u32_b32 v42, -1, v1
	v_writelane_b32 v62, s1, 11
	s_mul_i32 s0, s6, s14
	s_lshl_b64 s[0:1], s[0:1], 2
	s_add_u32 s0, s4, s0
	v_cmp_gt_u32_e32 vcc, 64, v0
	v_cmp_gt_i32_e64 s[6:7], 4, v42
	s_addc_u32 s1, s5, s1
	s_and_b64 s[78:79], vcc, s[6:7]
	v_cmp_gt_u32_e64 s[6:7], 2, v0
	v_mov_b64_e32 v[4:5], 0x300
	v_mov_b32_e32 v3, 0
	v_writelane_b32 v62, s6, 12
	v_mov_b32_e32 v1, v3
	s_nop 0
	v_writelane_b32 v62, s7, 13
	v_cmp_gt_i64_e64 s[6:7], s[60:61], v[4:5]
	s_barrier
	s_nop 0
	v_writelane_b32 v62, s6, 14
	s_load_dword s3, s[8:9], 0xc
	v_mov_b32_e32 v9, -1
	v_writelane_b32 v62, s7, 15
	v_cmp_gt_u64_e64 s[6:7], s[60:61], v[0:1]
	v_not_b32_e32 v8, v0
	s_waitcnt lgkmcnt(0)
	s_and_b32 s74, s3, 0xffff
	v_writelane_b32 v62, s6, 16
	s_bfe_u32 s3, s3, 0xa0006
	s_cmp_gt_u32 s74, 63
	v_writelane_b32 v62, s7, 17
	v_mad_u64_u32 v[4:5], s[6:7], s66, v0, 0
	v_mov_b32_e32 v2, v5
	v_mad_u64_u32 v[6:7], s[6:7], s67, v0, v[2:3]
	v_cmp_gt_i64_e64 s[6:7], s[60:61], v[0:1]
	v_lshlrev_b32_e32 v2, 2, v42
	v_and_b32_e32 v44, 0x100, v2
	v_writelane_b32 v62, s6, 18
	v_lshrrev_b32_e32 v2, 1, v0
	v_and_b32_e32 v2, 0x1e0, v2
	v_writelane_b32 v62, s7, 19
	s_cselect_b64 s[6:7], -1, 0
	v_mov_b32_e32 v5, v6
	v_lshlrev_b64 v[6:7], v42, -1
	v_writelane_b32 v62, s6, 20
	v_or_b32_e32 v45, 0xc00, v2
	v_add_u32_e32 v2, 2, v0
	v_not_b32_e32 v16, v6
	v_writelane_b32 v62, s7, 21
	s_add_u32 s6, s74, -1
	v_mov_b32_e32 v6, s61
	v_cmp_gt_i64_e32 vcc, s[60:61], v[2:3]
	v_not_b32_e32 v17, v7
	s_addc_u32 s7, 0, -1
	v_cndmask_b32_e32 v7, 0, v6, vcc
	v_mov_b32_e32 v6, s60
	s_add_u32 s87, s6, s60
	v_cndmask_b32_e32 v6, v2, v6, vcc
	v_writelane_b32 v62, s6, 22
	s_addc_u32 s95, s7, s61
	v_lshl_add_u64 v[6:7], v[6:7], 0, v[8:9]
	v_writelane_b32 v62, s7, 23
	s_cmp_lt_u32 s2, s10
	v_cmp_lt_u64_e64 s[6:7], 1, v[6:7]
	s_cselect_b32 s2, 12, 18
	v_and_b32_e32 v18, -2, v6
	v_writelane_b32 v62, s6, 24
	v_mov_b32_e32 v19, v7
	s_add_u32 s82, s8, s2
	v_writelane_b32 v62, s7, 25
	v_cmp_ne_u64_e64 s[6:7], v[6:7], v[18:19]
	s_addc_u32 s83, s9, 0
	s_add_i32 s2, s3, -1
	v_writelane_b32 v62, s6, 26
	s_and_b32 s2, s2, 0xffff
	v_lshlrev_b32_e32 v46, 4, v0
	v_writelane_b32 v62, s7, 27
	s_bfe_u32 s6, s74, 0x30006
	s_cmp_gt_u32 s2, 6
	s_cselect_b64 s[8:9], -1, 0
	v_writelane_b32 v62, s8, 28
	s_and_b32 s88, s3, 0x3f8
	s_cmp_lg_u32 s6, 0
	v_writelane_b32 v62, s9, 29
	v_writelane_b32 v62, s6, 30
	s_cselect_b64 s[2:3], -1, 0
	v_writelane_b32 v62, s2, 31
	v_or_b32_e32 v6, 12, v46
	s_mov_b32 s81, 0
	v_writelane_b32 v62, s3, 32
	s_lshl_b64 s[2:3], s[66:67], 2
	v_writelane_b32 v62, s2, 33
	v_lshlrev_b32_e32 v14, 2, v0
	s_mov_b32 s33, s67
	v_writelane_b32 v62, s3, 34
	v_mad_u64_u32 v[22:23], s[2:3], s66, v6, 0
	v_mov_b32_e32 v2, v23
	v_mad_u64_u32 v[6:7], s[2:3], s67, v6, v[2:3]
	v_mov_b32_e32 v23, v6
	v_or_b32_e32 v6, 8, v46
	v_mad_u64_u32 v[24:25], s[2:3], s66, v6, 0
	v_mov_b32_e32 v2, v25
	v_mad_u64_u32 v[6:7], s[2:3], s67, v6, v[2:3]
	v_mov_b32_e32 v25, v6
	v_or_b32_e32 v6, 4, v46
	v_mad_u64_u32 v[26:27], s[2:3], s66, v6, 0
	v_mov_b32_e32 v2, v27
	v_writelane_b32 v62, s78, 35
	v_mad_u64_u32 v[6:7], s[2:3], s67, v6, v[2:3]
	s_nop 0
	v_writelane_b32 v62, s79, 36
	s_mul_i32 s2, s67, s74
	s_mul_hi_u32 s3, s66, s74
	v_writelane_b32 v62, s82, 37
	v_mov_b32_e32 v2, 0xc00
	s_add_i32 s3, s3, s2
	s_mul_i32 s2, s66, s74
	v_writelane_b32 v62, s83, 38
	v_cmp_eq_u32_e64 s[4:5], 0, v42
	v_add_u32_e32 v43, 0xc00, v14
	v_lshl_add_u64 v[12:13], v[4:5], 2, s[0:1]
	v_mov_b32_e32 v15, v3
	s_mov_b32 s75, s81
	v_lshl_add_u64 v[20:21], v[18:19], 0, v[0:1]
	s_mov_b32 s85, s66
	s_lshl_b64 s[96:97], s[66:67], 4
	v_mov_b32_e32 v27, v6
	v_lshlrev_b64 v[28:29], 4, v[4:5]
	v_lshl_add_u64 v[30:31], s[60:61], 0, v[0:1]
	v_lshl_or_b32 v48, v42, 3, v2
	s_lshl_b64 s[76:77], s[2:3], 2
	s_lshl_b32 s89, s74, 2
	s_mov_b32 s86, 30
	s_mov_b64 s[98:99], 0
	v_mov_b64_e32 v[36:37], s[62:63]
	v_mov_b64_e32 v[52:53], s[60:61]
	v_mov_b32_e32 v32, 1.0
	v_bfrev_b32_e32 v49, 1
	v_mov_b32_e32 v35, 0
	s_mov_b32 s84, 0
	v_mov_b32_e32 v47, 0
	v_mov_b32_e32 v50, 0
	v_writelane_b32 v62, s33, 39
                                        ; implicit-def: $sgpr62_sgpr63
                                        ; implicit-def: $sgpr64_sgpr65
                                        ; implicit-def: $sgpr58_sgpr59
                                        ; implicit-def: $sgpr72_sgpr73
                                        ; implicit-def: $sgpr14_sgpr15
                                        ; implicit-def: $sgpr70_sgpr71
	v_writelane_b32 v62, s85, 40
	s_branch .LBB52_7
.LBB52_4:                               ;   in Loop: Header=BB52_7 Depth=1
	s_or_b64 exec, exec, s[12:13]
	s_and_b64 s[8:9], s[8:9], exec
	s_andn2_b64 s[28:29], s[28:29], exec
	s_andn2_b64 s[2:3], s[2:3], exec
	s_orn2_b64 s[20:21], s[10:11], exec
.LBB52_5:                               ;   in Loop: Header=BB52_7 Depth=1
	s_or_b64 exec, exec, s[6:7]
	s_andn2_b64 s[6:7], s[70:71], exec
	s_and_b64 s[8:9], s[8:9], exec
	s_or_b64 s[70:71], s[6:7], s[8:9]
	s_andn2_b64 s[6:7], s[14:15], exec
	s_and_b64 s[8:9], s[28:29], exec
	s_or_b64 s[14:15], s[6:7], s[8:9]
	;; [unrolled: 3-line block ×3, first 2 shown]
	s_orn2_b64 s[2:3], s[20:21], exec
.LBB52_6:                               ;   in Loop: Header=BB52_7 Depth=1
	s_or_b64 exec, exec, s[18:19]
	s_and_b64 s[2:3], exec, s[2:3]
	s_or_b64 s[98:99], s[2:3], s[98:99]
	s_andn2_b64 s[2:3], s[58:59], exec
	s_and_b64 s[6:7], s[70:71], exec
	s_or_b64 s[58:59], s[2:3], s[6:7]
	s_andn2_b64 s[2:3], s[64:65], exec
	s_and_b64 s[6:7], s[14:15], exec
	;; [unrolled: 3-line block ×3, first 2 shown]
	s_or_b64 s[62:63], s[2:3], s[6:7]
	v_mov_b64_e32 v[36:37], v[8:9]
	s_andn2_b64 exec, exec, s[98:99]
	s_cbranch_execz .LBB52_279
.LBB52_7:                               ; =>This Loop Header: Depth=1
                                        ;     Child Loop BB52_13 Depth 2
                                        ;     Child Loop BB52_27 Depth 2
	;; [unrolled: 1-line block ×17, first 2 shown]
	ds_read_b128 v[4:7], v3 offset:5120
	s_waitcnt lgkmcnt(0)
	v_readfirstlane_b32 s13, v5
	v_readfirstlane_b32 s12, v4
	s_nop 1
	v_cmp_gt_i64_e64 s[2:3], s[12:13], 0
	s_and_b64 vcc, exec, s[2:3]
	s_cbranch_vccnz .LBB52_40
; %bb.8:                                ;   in Loop: Header=BB52_7 Depth=1
	v_readlane_b32 s2, v62, 14
	v_readlane_b32 s3, v62, 15
	s_and_b64 vcc, exec, s[2:3]
	s_cbranch_vccz .LBB52_21
; %bb.9:                                ;   in Loop: Header=BB52_7 Depth=1
	s_mov_b64 s[2:3], 0x301
	v_cmp_gt_i64_e32 vcc, s[2:3], v[6:7]
	s_mov_b64 s[6:7], 0
	s_mov_b64 s[2:3], 0
	s_cbranch_vccz .LBB52_22
; %bb.10:                               ;   in Loop: Header=BB52_7 Depth=1
	s_mov_b64 s[8:9], exec
	v_readlane_b32 s2, v62, 16
	v_readlane_b32 s3, v62, 17
	s_and_b64 s[2:3], s[8:9], s[2:3]
	s_mov_b64 exec, s[2:3]
	s_cbranch_execz .LBB52_74
; %bb.11:                               ;   in Loop: Header=BB52_7 Depth=1
	global_load_ushort v6, v3, s[82:83]
	global_load_dword v8, v[12:13], off
	v_mov_b64_e32 v[4:5], s[0:1]
	v_readlane_b32 s16, v62, 33
	v_readlane_b32 s17, v62, 34
	s_mov_b64 s[10:11], 0
	s_waitcnt vmcnt(1)
	v_and_b32_e32 v2, 0xffff, v6
	v_readfirstlane_b32 s2, v6
	v_lshl_add_u64 v[6:7], v[0:1], 0, v[2:3]
	s_and_b32 s13, 0xffff, s2
	v_mad_u64_u32 v[4:5], s[2:3], s16, v6, v[4:5]
	v_mul_lo_u32 v7, s16, v7
	v_mul_lo_u32 v9, s17, v6
	s_mul_i32 s2, s17, s13
	s_mul_hi_u32 s3, s16, s13
	s_mul_i32 s18, s16, s13
	v_add3_u32 v5, v9, v5, v7
	s_add_i32 s19, s3, s2
	v_mov_b64_e32 v[6:7], v[0:1]
	s_branch .LBB52_13
.LBB52_12:                              ;   in Loop: Header=BB52_13 Depth=2
	s_or_b64 exec, exec, s[2:3]
	v_lshl_add_u64 v[4:5], v[4:5], 0, s[18:19]
	v_mov_b32_e32 v8, v9
	s_andn2_b64 exec, exec, s[10:11]
	s_cbranch_execz .LBB52_74
.LBB52_13:                              ;   Parent Loop BB52_7 Depth=1
                                        ; =>  This Inner Loop Header: Depth=2
	v_lshl_add_u64 v[6:7], v[6:7], 0, v[2:3]
	v_cmp_gt_i64_e64 s[2:3], s[60:61], v[6:7]
	v_cmp_le_i64_e32 vcc, s[60:61], v[6:7]
	s_waitcnt lgkmcnt(0)
	v_mov_b32_e32 v10, 0
	v_mov_b32_e32 v9, 0
	s_and_saveexec_b64 s[16:17], s[2:3]
	s_cbranch_execz .LBB52_15
; %bb.14:                               ;   in Loop: Header=BB52_13 Depth=2
	global_load_dword v9, v[4:5], off
.LBB52_15:                              ;   in Loop: Header=BB52_13 Depth=2
	s_or_b64 exec, exec, s[16:17]
	s_waitcnt vmcnt(0)
	v_cmp_lt_i32_e64 s[2:3], -1, v8
	s_nop 1
	v_cndmask_b32_e64 v11, -1, v49, s[2:3]
	v_xor_b32_e32 v11, v11, v8
	v_cmp_o_f32_e64 s[2:3], v8, v8
	s_nop 1
	v_cndmask_b32_e64 v11, -1, v11, s[2:3]
	v_and_b32_e32 v11, v11, v50
	v_cmp_eq_u32_e64 s[16:17], v11, v47
	s_cmp_lg_u64 s[16:17], 0
	s_cselect_b64 s[2:3], -1, 0
	s_and_b64 s[2:3], s[4:5], s[2:3]
	s_and_saveexec_b64 s[20:21], s[2:3]
	s_cbranch_execz .LBB52_19
; %bb.16:                               ;   in Loop: Header=BB52_13 Depth=2
	s_mov_b64 s[24:25], exec
	v_mbcnt_lo_u32_b32 v10, s24, 0
	v_mbcnt_hi_u32_b32 v10, s25, v10
	s_bcnt1_i32_b64 s13, s[16:17]
	v_cmp_eq_u32_e64 s[2:3], 0, v10
                                        ; implicit-def: $vgpr11
	s_and_saveexec_b64 s[22:23], s[2:3]
; %bb.17:                               ;   in Loop: Header=BB52_13 Depth=2
	s_bcnt1_i32_b64 s2, s[24:25]
	s_mul_i32 s2, s13, s2
	v_mov_b32_e32 v11, s2
	ds_add_rtn_u32 v11, v3, v11 offset:5136
; %bb.18:                               ;   in Loop: Header=BB52_13 Depth=2
	s_or_b64 exec, exec, s[22:23]
	s_waitcnt lgkmcnt(0)
	v_readfirstlane_b32 s2, v11
	s_nop 1
	v_mov_b32_e32 v11, s2
	v_mad_u32_u24 v10, s13, v10, v11
.LBB52_19:                              ;   in Loop: Header=BB52_13 Depth=2
	s_or_b64 exec, exec, s[20:21]
	ds_bpermute_b32 v10, v44, v10
	s_and_b64 s[2:3], exec, vcc
	s_or_b64 s[10:11], s[2:3], s[10:11]
	s_and_saveexec_b64 s[2:3], s[16:17]
	s_cbranch_execz .LBB52_12
; %bb.20:                               ;   in Loop: Header=BB52_13 Depth=2
	v_and_b32_e32 v33, s16, v16
	v_and_b32_e32 v11, s17, v17
	v_bcnt_u32_b32 v33, v33, 0
	v_bcnt_u32_b32 v11, v11, v33
	v_lshlrev_b32_e32 v11, 2, v11
	s_waitcnt lgkmcnt(0)
	v_lshl_add_u32 v10, v10, 2, v11
	ds_write_b32 v10, v8
	s_branch .LBB52_12
.LBB52_21:                              ;   in Loop: Header=BB52_7 Depth=1
	s_mov_b64 s[6:7], -1
	s_mov_b64 s[2:3], 0
.LBB52_22:                              ;   in Loop: Header=BB52_7 Depth=1
	s_and_b64 vcc, exec, s[6:7]
	s_cbranch_vccz .LBB52_38
.LBB52_23:                              ;   in Loop: Header=BB52_7 Depth=1
	s_mov_b64 s[2:3], exec
	v_readlane_b32 s6, v62, 18
	v_readlane_b32 s7, v62, 19
	s_and_b64 s[6:7], s[2:3], s[6:7]
	s_mov_b64 exec, s[6:7]
	s_cbranch_execz .LBB52_35
; %bb.24:                               ;   in Loop: Header=BB52_7 Depth=1
	global_load_ushort v2, v3, s[82:83]
	global_load_dword v10, v[12:13], off
	v_mov_b32_e32 v8, v0
	s_waitcnt vmcnt(1)
	v_readfirstlane_b32 s8, v2
	v_add_u32_sdwa v2, v2, v0 dst_sel:DWORD dst_unused:UNUSED_PAD src0_sel:WORD_0 src1_sel:DWORD
	v_cmp_gt_i64_e32 vcc, s[60:61], v[2:3]
	s_and_saveexec_b64 s[6:7], vcc
	s_cbranch_execz .LBB52_34
; %bb.25:                               ;   in Loop: Header=BB52_7 Depth=1
	s_and_b32 s80, s8, 0xffff
	s_cmp_eq_u32 s80, 1
	v_readlane_b32 s10, v62, 24
	s_cselect_b64 s[8:9], -1, 0
	v_readlane_b32 s11, v62, 25
	s_and_b64 s[16:17], s[10:11], s[8:9]
	s_mov_b64 s[10:11], -1
	v_mov_b64_e32 v[6:7], v[0:1]
	v_mov_b64_e32 v[4:5], v[2:3]
                                        ; implicit-def: $vgpr11
                                        ; implicit-def: $vgpr8_vgpr9
	s_and_saveexec_b64 s[8:9], s[16:17]
	s_cbranch_execz .LBB52_29
; %bb.26:                               ;   in Loop: Header=BB52_7 Depth=1
	v_lshl_add_u64 v[4:5], v[2:3], 0, 1
	v_mov_b64_e32 v[6:7], v[4:5]
	s_mov_b64 s[10:11], 0
	v_mov_b64_e32 v[8:9], v[18:19]
	v_mov_b32_e32 v33, v14
	v_mov_b64_e32 v[4:5], v[2:3]
.LBB52_27:                              ;   Parent Loop BB52_7 Depth=1
                                        ; =>  This Inner Loop Header: Depth=2
	v_mul_lo_u32 v51, v5, s85
	v_mul_lo_u32 v54, v4, s33
	v_mad_u64_u32 v[40:41], s[16:17], v4, s85, 0
	v_mul_lo_u32 v11, v7, s66
	v_mul_lo_u32 v34, v6, s67
	v_mad_u64_u32 v[38:39], s[16:17], v6, s66, 0
	v_add3_u32 v41, v41, v54, v51
	v_add3_u32 v39, v39, v34, v11
	v_lshl_add_u64 v[40:41], v[40:41], 2, s[0:1]
	v_lshl_add_u64 v[38:39], v[38:39], 2, s[0:1]
	global_load_dword v34, v[40:41], off
	global_load_dword v11, v[38:39], off
	v_lshl_add_u64 v[8:9], v[8:9], 0, -2
	v_cmp_eq_u64_e32 vcc, 0, v[8:9]
	v_lshl_add_u64 v[6:7], v[6:7], 0, 2
	v_lshl_add_u64 v[4:5], v[4:5], 0, 2
	s_or_b64 s[10:11], vcc, s[10:11]
	s_waitcnt vmcnt(1)
	ds_write2_b32 v33, v10, v34 offset1:1
	v_add_u32_e32 v33, 8, v33
	s_waitcnt vmcnt(0)
	v_mov_b32_e32 v10, v11
	s_andn2_b64 exec, exec, s[10:11]
	s_cbranch_execnz .LBB52_27
; %bb.28:                               ;   in Loop: Header=BB52_7 Depth=1
	s_or_b64 exec, exec, s[10:11]
	v_readlane_b32 s10, v62, 26
	v_lshl_add_u64 v[4:5], v[2:3], 0, v[18:19]
	v_readlane_b32 s11, v62, 27
	v_lshl_add_u64 v[8:9], v[4:5], 0, -1
	s_orn2_b64 s[10:11], s[10:11], exec
	v_mov_b32_e32 v10, v11
	v_mov_b64_e32 v[6:7], v[20:21]
.LBB52_29:                              ;   in Loop: Header=BB52_7 Depth=1
	s_or_b64 exec, exec, s[8:9]
	s_and_saveexec_b64 s[8:9], s[10:11]
	s_cbranch_execz .LBB52_33
; %bb.30:                               ;   in Loop: Header=BB52_7 Depth=1
	v_mov_b64_e32 v[8:9], s[0:1]
	v_readlane_b32 s20, v62, 33
	v_readlane_b32 s21, v62, 34
	s_sub_u32 s10, 0, s80
	v_mad_u64_u32 v[8:9], s[18:19], s20, v4, v[8:9]
	v_mul_lo_u32 v2, s20, v5
	v_mul_lo_u32 v7, s21, v4
	s_mul_i32 s13, s21, s80
	s_mul_hi_u32 s18, s20, s80
	s_mov_b64 s[16:17], 0
	s_subb_u32 s11, 0, 0
	v_add3_u32 v9, v7, v9, v2
	s_add_i32 s19, s18, s13
	s_mul_i32 s18, s20, s80
.LBB52_31:                              ;   Parent Loop BB52_7 Depth=1
                                        ; =>  This Inner Loop Header: Depth=2
	global_load_dword v11, v[8:9], off
	v_mov_b64_e32 v[38:39], v[4:5]
	v_lshl_add_u64 v[4:5], v[38:39], 0, s[80:81]
	v_lshlrev_b32_e32 v2, 2, v6
	v_cmp_le_i64_e32 vcc, s[60:61], v[4:5]
	v_lshl_add_u64 v[8:9], v[8:9], 0, s[18:19]
	s_waitcnt vmcnt(1)
	ds_write_b32 v2, v10
	v_mov_b64_e32 v[6:7], v[38:39]
	s_or_b64 s[16:17], vcc, s[16:17]
	s_waitcnt vmcnt(0)
	v_mov_b32_e32 v10, v11
	s_andn2_b64 exec, exec, s[16:17]
	s_cbranch_execnz .LBB52_31
; %bb.32:                               ;   in Loop: Header=BB52_7 Depth=1
	s_or_b64 exec, exec, s[16:17]
	v_lshl_add_u64 v[8:9], s[10:11], 0, v[4:5]
.LBB52_33:                              ;   in Loop: Header=BB52_7 Depth=1
	s_or_b64 exec, exec, s[8:9]
	s_waitcnt vmcnt(0)
	v_mov_b32_e32 v10, v11
.LBB52_34:                              ;   in Loop: Header=BB52_7 Depth=1
	s_or_b64 exec, exec, s[6:7]
	v_lshlrev_b32_e32 v2, 2, v8
	s_waitcnt vmcnt(0)
	ds_write_b32 v2, v10
.LBB52_35:                              ;   in Loop: Header=BB52_7 Depth=1
	s_or_b64 exec, exec, s[2:3]
	s_waitcnt lgkmcnt(0)
	s_barrier
	s_mov_b64 s[2:3], exec
	v_readlane_b32 s6, v62, 8
	v_readlane_b32 s7, v62, 9
	s_and_b64 s[6:7], s[2:3], s[6:7]
	s_mov_b64 exec, s[6:7]
; %bb.36:                               ;   in Loop: Header=BB52_7 Depth=1
	ds_write_b64 v3, v[52:53] offset:5120
; %bb.37:                               ;   in Loop: Header=BB52_7 Depth=1
	s_or_b64 exec, exec, s[2:3]
	s_mov_b64 s[2:3], -1
	s_waitcnt lgkmcnt(0)
	s_barrier
.LBB52_38:                              ;   in Loop: Header=BB52_7 Depth=1
	s_and_b64 vcc, exec, s[2:3]
	s_cbranch_vccz .LBB52_40
; %bb.39:                               ;   in Loop: Header=BB52_7 Depth=1
	ds_read_b64 v[4:5], v3 offset:5120
	s_waitcnt lgkmcnt(0)
	v_readfirstlane_b32 s12, v4
.LBB52_40:                              ;   in Loop: Header=BB52_7 Depth=1
	s_cmp_lt_i32 s12, 1
	s_mov_b64 s[2:3], -1
                                        ; implicit-def: $vgpr4_vgpr5
                                        ; implicit-def: $vgpr8_vgpr9
	s_cbranch_scc1 .LBB52_50
; %bb.41:                               ;   in Loop: Header=BB52_7 Depth=1
	s_and_b64 vcc, exec, s[2:3]
	s_cbranch_vccnz .LBB52_64
.LBB52_42:                              ;   in Loop: Header=BB52_7 Depth=1
	s_lshl_b32 s6, s84, 6
	s_and_saveexec_b64 s[2:3], s[4:5]
	s_cbranch_execz .LBB52_44
.LBB52_43:                              ;   in Loop: Header=BB52_7 Depth=1
	v_lshl_add_u32 v2, s6, 3, v45
	ds_write_b128 v2, v[4:7]
	ds_write_b128 v2, v[8:11] offset:16
.LBB52_44:                              ;   in Loop: Header=BB52_7 Depth=1
	s_or_b64 exec, exec, s[2:3]
	s_waitcnt lgkmcnt(0)
	s_barrier
	s_and_saveexec_b64 s[2:3], s[78:79]
	s_cbranch_execz .LBB52_82
; %bb.45:                               ;   in Loop: Header=BB52_7 Depth=1
	v_readlane_b32 s8, v62, 20
	v_readlane_b32 s9, v62, 21
	s_andn2_b64 vcc, exec, s[8:9]
	v_mov_b64_e32 v[4:5], 0
	s_cbranch_vccnz .LBB52_81
; %bb.46:                               ;   in Loop: Header=BB52_7 Depth=1
	v_readlane_b32 s8, v62, 28
	v_readlane_b32 s9, v62, 29
	s_andn2_b64 vcc, exec, s[8:9]
	s_cbranch_vccnz .LBB52_77
; %bb.47:                               ;   in Loop: Header=BB52_7 Depth=1
	v_lshl_add_u32 v2, s84, 9, v48
	v_mov_b64_e32 v[4:5], 0
	s_mov_b32 s7, 0
.LBB52_48:                              ;   Parent Loop BB52_7 Depth=1
                                        ; =>  This Inner Loop Header: Depth=2
	ds_read2_b64 v[6:9], v2 offset1:4
	ds_read2_b64 v[38:41], v2 offset0:8 offset1:12
	ds_read2_b64 v[54:57], v2 offset0:16 offset1:20
	ds_read2_b64 v[58:61], v2 offset0:24 offset1:28
	s_add_i32 s7, s7, 8
	s_waitcnt lgkmcnt(3)
	v_lshl_add_u64 v[4:5], v[6:7], 0, v[4:5]
	v_lshl_add_u64 v[4:5], v[8:9], 0, v[4:5]
	s_waitcnt lgkmcnt(2)
	v_lshl_add_u64 v[4:5], v[38:39], 0, v[4:5]
	v_lshl_add_u64 v[4:5], v[40:41], 0, v[4:5]
	;; [unrolled: 3-line block ×3, first 2 shown]
	s_waitcnt lgkmcnt(0)
	v_lshl_add_u64 v[4:5], v[58:59], 0, v[4:5]
	v_add_u32_e32 v2, 0x100, v2
	s_cmp_eq_u32 s88, s7
	v_lshl_add_u64 v[4:5], v[60:61], 0, v[4:5]
	s_cbranch_scc0 .LBB52_48
; %bb.49:                               ;   in Loop: Header=BB52_7 Depth=1
	s_mov_b32 s7, s88
	s_branch .LBB52_78
.LBB52_50:                              ;   in Loop: Header=BB52_7 Depth=1
	global_load_ushort v2, v3, s[82:83]
	s_mov_b32 s2, s81
	s_waitcnt vmcnt(0)
	v_readfirstlane_b32 s3, v2
	s_and_b32 s10, s3, 0xffff
	s_lshl_b32 s80, s10, 2
	s_mov_b32 s3, s61
	s_cmp_lg_u64 s[2:3], 0
	s_cbranch_scc0 .LBB52_73
; %bb.51:                               ;   in Loop: Header=BB52_7 Depth=1
	s_add_u32 s2, s80, 0
	s_addc_u32 s3, 0, 0
	s_xor_b64 s[2:3], s[2:3], 0
	v_cvt_f32_u32_e32 v2, s2
	v_cvt_f32_u32_e32 v4, s3
	s_sub_u32 s8, 0, s2
	s_subb_u32 s9, 0, s3
	v_fmac_f32_e32 v2, 0x4f800000, v4
	v_rcp_f32_e32 v2, v2
	s_nop 0
	v_mul_f32_e32 v2, 0x5f7ffffc, v2
	v_mul_f32_e32 v4, 0x2f800000, v2
	v_trunc_f32_e32 v4, v4
	v_fmac_f32_e32 v2, 0xcf800000, v4
	v_cvt_u32_f32_e32 v4, v4
	v_cvt_u32_f32_e32 v2, v2
	v_readfirstlane_b32 s11, v4
	v_readfirstlane_b32 s6, v2
	s_mul_i32 s7, s8, s11
	s_mul_hi_u32 s16, s8, s6
	s_mul_i32 s13, s9, s6
	s_add_i32 s7, s16, s7
	s_mul_i32 s17, s8, s6
	s_add_i32 s7, s7, s13
	s_mul_i32 s16, s6, s7
	s_mul_hi_u32 s18, s6, s17
	s_mul_hi_u32 s13, s6, s7
	s_add_u32 s16, s18, s16
	s_addc_u32 s13, 0, s13
	s_mul_hi_u32 s19, s11, s17
	s_mul_i32 s17, s11, s17
	s_add_u32 s16, s16, s17
	s_mul_hi_u32 s18, s11, s7
	s_addc_u32 s13, s13, s19
	s_addc_u32 s16, s18, 0
	s_mul_i32 s7, s11, s7
	s_add_u32 s7, s13, s7
	s_addc_u32 s13, 0, s16
	s_add_u32 s16, s6, s7
	s_cselect_b64 s[6:7], -1, 0
	s_cmp_lg_u64 s[6:7], 0
	s_addc_u32 s11, s11, s13
	s_mul_i32 s6, s8, s11
	s_mul_hi_u32 s7, s8, s16
	s_add_i32 s6, s7, s6
	s_mul_i32 s9, s9, s16
	s_add_i32 s6, s6, s9
	s_mul_i32 s8, s8, s16
	s_mul_hi_u32 s9, s11, s8
	s_mul_i32 s13, s11, s8
	s_mul_i32 s18, s16, s6
	s_mul_hi_u32 s8, s16, s8
	s_mul_hi_u32 s17, s16, s6
	s_add_u32 s8, s8, s18
	s_addc_u32 s17, 0, s17
	s_add_u32 s8, s8, s13
	s_mul_hi_u32 s7, s11, s6
	s_addc_u32 s8, s17, s9
	s_addc_u32 s7, s7, 0
	s_mul_i32 s6, s11, s6
	s_add_u32 s6, s8, s6
	s_addc_u32 s8, 0, s7
	s_add_u32 s13, s16, s6
	s_cselect_b64 s[6:7], -1, 0
	s_cmp_lg_u64 s[6:7], 0
	s_addc_u32 s11, s11, s8
	s_ashr_i32 s6, s61, 31
	s_add_u32 s8, s60, s6
	s_mov_b32 s7, s6
	s_addc_u32 s9, s61, s6
	s_xor_b64 s[8:9], s[8:9], s[6:7]
	s_mul_i32 s17, s8, s11
	s_mul_hi_u32 s18, s8, s13
	s_mul_hi_u32 s16, s8, s11
	s_add_u32 s17, s18, s17
	s_addc_u32 s16, 0, s16
	s_mul_hi_u32 s19, s9, s13
	s_mul_i32 s13, s9, s13
	s_add_u32 s13, s17, s13
	s_mul_hi_u32 s18, s9, s11
	s_addc_u32 s13, s16, s19
	s_addc_u32 s16, s18, 0
	s_mul_i32 s11, s9, s11
	s_add_u32 s11, s13, s11
	s_addc_u32 s13, 0, s16
	s_mul_i32 s13, s2, s13
	s_mul_hi_u32 s16, s2, s11
	s_add_i32 s13, s16, s13
	s_mul_i32 s16, s3, s11
	s_add_i32 s13, s13, s16
	s_sub_i32 s18, s9, s13
	s_mul_i32 s11, s2, s11
	s_sub_u32 s8, s8, s11
	s_cselect_b64 s[16:17], -1, 0
	s_cmp_lg_u64 s[16:17], 0
	s_subb_u32 s11, s18, s3
	s_sub_u32 s20, s8, s2
	s_cselect_b64 s[18:19], -1, 0
	s_cmp_lg_u64 s[18:19], 0
	s_subb_u32 s21, s11, 0
	s_cmp_ge_u32 s21, s3
	s_cselect_b32 s22, -1, 0
	s_cmp_ge_u32 s20, s2
	s_cselect_b32 s23, -1, 0
	s_cmp_eq_u32 s21, s3
	s_cselect_b32 s22, s23, s22
	s_cmp_lg_u64 s[18:19], 0
	s_subb_u32 s11, s11, s3
	s_sub_u32 s23, s20, s2
	s_cselect_b64 s[18:19], -1, 0
	s_cmp_lg_u64 s[18:19], 0
	s_subb_u32 s11, s11, 0
	s_cmp_lg_u32 s22, 0
	s_cselect_b32 s18, s23, s20
	s_cselect_b32 s11, s11, s21
	s_cmp_lg_u64 s[16:17], 0
	s_subb_u32 s9, s9, s13
	s_cmp_ge_u32 s9, s3
	s_cselect_b32 s13, -1, 0
	s_cmp_ge_u32 s8, s2
	s_cselect_b32 s2, -1, 0
	s_cmp_eq_u32 s9, s3
	s_cselect_b32 s2, s2, s13
	s_cmp_lg_u32 s2, 0
	s_cselect_b32 s3, s11, s9
	s_cselect_b32 s2, s18, s8
	s_xor_b64 s[2:3], s[2:3], s[6:7]
	s_sub_u32 s90, s2, s6
	s_subb_u32 s91, s3, s6
	s_cbranch_execnz .LBB52_53
.LBB52_52:                              ;   in Loop: Header=BB52_7 Depth=1
	v_cvt_f32_u32_e32 v2, s80
	s_sub_i32 s2, 0, s80
	s_mov_b32 s91, s81
	v_rcp_iflag_f32_e32 v2, v2
	s_nop 0
	v_mul_f32_e32 v2, 0x4f7ffffe, v2
	v_cvt_u32_f32_e32 v2, v2
	s_nop 0
	v_readfirstlane_b32 s3, v2
	s_mul_i32 s2, s2, s3
	s_mul_hi_u32 s2, s3, s2
	s_add_i32 s3, s3, s2
	s_mul_hi_u32 s2, s60, s3
	s_mul_i32 s2, s2, s80
	s_sub_i32 s2, s60, s2
	s_sub_i32 s3, s2, s80
	s_cmp_ge_u32 s2, s80
	s_cselect_b32 s2, s3, s2
	s_sub_i32 s3, s2, s80
	s_cmp_ge_u32 s2, s80
	s_cselect_b32 s90, s3, s2
.LBB52_53:                              ;   in Loop: Header=BB52_7 Depth=1
	s_sub_u32 s92, s60, s90
	s_subb_u32 s93, s61, s91
	s_mov_b32 s11, s81
	v_cmp_gt_i64_e32 vcc, s[92:93], v[14:15]
	v_mov_b64_e32 v[4:5], 0
	v_mov_b64_e32 v[6:7], 0
	;; [unrolled: 1-line block ×4, first 2 shown]
	s_and_saveexec_b64 s[24:25], vcc
	s_cbranch_execz .LBB52_57
; %bb.54:                               ;   in Loop: Header=BB52_7 Depth=1
	s_mul_i32 s2, s97, s10
	s_mul_hi_u32 s3, s96, s10
	s_mov_b32 s94, s84
	s_mov_b32 s33, s87
	s_add_i32 s13, s3, s2
	s_mov_b64 s[68:69], 0
	s_mov_b64 s[78:79], s[0:1]
	;; [unrolled: 1-line block ×6, first 2 shown]
	v_mov_b64_e32 v[38:39], v[14:15]
.LBB52_55:                              ;   Parent Loop BB52_7 Depth=1
                                        ; =>  This Inner Loop Header: Depth=2
	v_lshl_add_u64 v[4:5], s[78:79], 0, v[28:29]
	v_lshl_add_u64 v[6:7], s[78:79], 0, v[26:27]
	;; [unrolled: 1-line block ×4, first 2 shown]
	global_load_dword v2, v[4:5], off
	s_nop 0
	global_load_dword v4, v[6:7], off
	global_load_dword v5, v[8:9], off
	s_nop 0
	global_load_dword v6, v[10:11], off
	s_mul_i32 s87, s96, s10
	v_lshl_add_u64 v[38:39], v[38:39], 0, s[80:81]
	v_cmp_le_i64_e32 vcc, s[92:93], v[38:39]
	s_waitcnt vmcnt(3)
	v_cmp_lt_i32_e64 s[2:3], -1, v2
	s_nop 1
	v_cndmask_b32_e64 v7, -1, v49, s[2:3]
	s_waitcnt vmcnt(2)
	v_cmp_lt_i32_e64 s[2:3], -1, v4
	s_waitcnt vmcnt(1)
	v_cmp_o_f32_e64 s[16:17], v5, v5
	s_waitcnt vmcnt(0)
	v_cmp_o_f32_e64 s[18:19], v6, v6
	v_cndmask_b32_e64 v8, -1, v49, s[2:3]
	v_cmp_lt_i32_e64 s[2:3], -1, v5
	v_xor_b32_e32 v8, v8, v4
	v_cmp_o_f32_e64 s[20:21], v2, v2
	v_cndmask_b32_e64 v9, -1, v49, s[2:3]
	v_cmp_lt_i32_e64 s[2:3], -1, v6
	s_nop 1
	v_cndmask_b32_e64 v10, -1, v49, s[2:3]
	v_cmp_o_f32_e64 s[2:3], v4, v4
	v_xor_b32_e32 v4, v9, v5
	v_xor_b32_e32 v5, v10, v6
	;; [unrolled: 1-line block ×3, first 2 shown]
	v_cndmask_b32_e64 v2, -1, v6, s[20:21]
	v_cndmask_b32_e64 v6, -1, v8, s[2:3]
	v_and_b32_e32 v7, v2, v50
	v_bfe_u32 v2, v2, s86, 2
	v_cndmask_b32_e64 v4, -1, v4, s[16:17]
	v_and_b32_e32 v8, v6, v50
	v_bfe_u32 v6, v6, s86, 2
	v_cmp_eq_u32_e64 s[2:3], v7, v47
	v_cmp_eq_u32_e64 s[22:23], 0, v2
	v_cndmask_b32_e64 v5, -1, v5, s[18:19]
	v_and_b32_e32 v9, v4, v50
	v_bfe_u32 v4, v4, s86, 2
	v_cmp_eq_u32_e64 s[16:17], v8, v47
	v_cmp_eq_u32_e64 s[26:27], 0, v6
	s_and_b64 s[22:23], s[2:3], s[22:23]
	v_and_b32_e32 v10, v5, v50
	v_bfe_u32 v5, v5, s86, 2
	v_cmp_eq_u32_e64 s[18:19], v9, v47
	v_cmp_eq_u32_e64 s[28:29], 0, v4
	;; [unrolled: 1-line block ×5, first 2 shown]
	v_cndmask_b32_e64 v2, 0, 1, s[22:23]
	s_and_b64 s[22:23], s[16:17], s[26:27]
	v_cmp_eq_u32_e64 s[20:21], v10, v47
	v_cmp_eq_u32_e64 s[30:31], 0, v5
	;; [unrolled: 1-line block ×5, first 2 shown]
	v_cndmask_b32_e64 v4, 0, 1, s[22:23]
	s_and_b64 s[22:23], s[18:19], s[28:29]
	v_cmp_eq_u32_e64 s[40:41], 1, v5
	v_cmp_eq_u32_e64 s[48:49], 2, v5
	;; [unrolled: 1-line block ×3, first 2 shown]
	v_cndmask_b32_e64 v5, 0, 1, s[22:23]
	s_and_b64 s[22:23], s[20:21], s[30:31]
	v_cmp_eq_u32_e64 s[36:37], 1, v6
	v_cmp_eq_u32_e64 s[44:45], 2, v6
	;; [unrolled: 1-line block ×3, first 2 shown]
	v_cndmask_b32_e64 v6, 0, 1, s[22:23]
	v_cmp_ne_u32_e64 s[22:23], 0, v2
	v_cmp_ne_u32_e64 s[26:27], 0, v4
	v_cmp_ne_u32_e64 s[28:29], 0, v5
	v_cmp_ne_u32_e64 s[30:31], 0, v6
	s_bcnt1_i32_b64 s22, s[22:23]
	s_bcnt1_i32_b64 s23, s[26:27]
	s_bcnt1_i32_b64 s26, s[28:29]
	s_bcnt1_i32_b64 s27, s[30:31]
	s_add_u32 s22, s22, s82
	s_addc_u32 s28, 0, s83
	s_add_u32 s22, s22, s23
	s_addc_u32 s23, s28, 0
	s_add_u32 s22, s22, s26
	s_addc_u32 s23, s23, 0
	s_add_u32 s82, s22, s27
	s_addc_u32 s83, s23, 0
	s_and_b64 s[22:23], s[2:3], s[34:35]
	v_cndmask_b32_e64 v2, 0, 1, s[22:23]
	s_and_b64 s[22:23], s[16:17], s[36:37]
	v_cndmask_b32_e64 v6, 0, 1, s[22:23]
	s_and_b64 s[22:23], s[18:19], s[38:39]
	v_cndmask_b32_e64 v7, 0, 1, s[22:23]
	s_and_b64 s[22:23], s[20:21], s[40:41]
	v_cndmask_b32_e64 v8, 0, 1, s[22:23]
	v_cmp_ne_u32_e64 s[22:23], 0, v2
	v_cmp_ne_u32_e64 s[26:27], 0, v6
	v_cmp_ne_u32_e64 s[28:29], 0, v7
	v_cmp_ne_u32_e64 s[30:31], 0, v8
	s_bcnt1_i32_b64 s22, s[22:23]
	s_bcnt1_i32_b64 s23, s[26:27]
	s_bcnt1_i32_b64 s26, s[28:29]
	s_bcnt1_i32_b64 s27, s[30:31]
	s_add_u32 s6, s22, s6
	s_addc_u32 s7, 0, s7
	s_add_u32 s6, s6, s23
	s_addc_u32 s7, s7, 0
	s_add_u32 s6, s6, s26
	s_addc_u32 s7, s7, 0
	s_add_u32 s6, s6, s27
	s_addc_u32 s7, s7, 0
	s_and_b64 s[22:23], s[2:3], s[42:43]
	v_cndmask_b32_e64 v2, 0, 1, s[22:23]
	s_and_b64 s[22:23], s[16:17], s[44:45]
	v_cndmask_b32_e64 v8, 0, 1, s[22:23]
	s_and_b64 s[22:23], s[18:19], s[46:47]
	v_cndmask_b32_e64 v9, 0, 1, s[22:23]
	s_and_b64 s[22:23], s[20:21], s[48:49]
	;; [unrolled: 24-line block ×3, first 2 shown]
	v_cndmask_b32_e64 v33, 0, 1, s[2:3]
	v_cmp_ne_u32_e64 s[2:3], 0, v2
	v_cmp_ne_u32_e64 s[16:17], 0, v10
	;; [unrolled: 1-line block ×4, first 2 shown]
	s_bcnt1_i32_b64 s2, s[2:3]
	s_bcnt1_i32_b64 s3, s[16:17]
	;; [unrolled: 1-line block ×4, first 2 shown]
	s_add_u32 s2, s2, s8
	s_addc_u32 s8, 0, s9
	s_add_u32 s2, s2, s3
	s_addc_u32 s3, s8, 0
	;; [unrolled: 2-line block ×5, first 2 shown]
	v_mov_b64_e32 v[4:5], s[82:83]
	v_mov_b64_e32 v[6:7], s[6:7]
	;; [unrolled: 1-line block ×3, first 2 shown]
	s_or_b64 s[68:69], vcc, s[68:69]
	v_mov_b64_e32 v[10:11], s[8:9]
	s_andn2_b64 exec, exec, s[68:69]
	s_cbranch_execnz .LBB52_55
; %bb.56:                               ;   in Loop: Header=BB52_7 Depth=1
	s_or_b64 exec, exec, s[68:69]
	v_readlane_b32 s78, v62, 35
	v_readlane_b32 s82, v62, 37
	;; [unrolled: 1-line block ×3, first 2 shown]
	s_mov_b32 s87, s33
	v_readlane_b32 s83, v62, 38
	v_readlane_b32 s33, v62, 39
	s_mov_b32 s84, s94
	v_readlane_b32 s85, v62, 40
.LBB52_57:                              ;   in Loop: Header=BB52_7 Depth=1
	s_or_b64 exec, exec, s[24:25]
	v_lshl_add_u64 v[38:39], s[92:93], 0, v[0:1]
	v_cmp_gt_i64_e32 vcc, s[60:61], v[38:39]
	s_and_saveexec_b64 s[6:7], vcc
	s_cbranch_execz .LBB52_63
; %bb.58:                               ;   in Loop: Header=BB52_7 Depth=1
	v_mul_lo_u32 v2, v39, s66
	v_mul_lo_u32 v33, v38, s67
	v_mad_u64_u32 v[40:41], s[2:3], v38, s66, 0
	v_add3_u32 v41, v41, v33, v2
	v_lshl_add_u64 v[40:41], v[40:41], 2, s[0:1]
	global_load_dword v2, v[40:41], off
	v_lshl_add_u64 v[40:41], v[30:31], 0, s[10:11]
	v_mov_b32_e32 v33, s91
	v_subrev_co_u32_e32 v34, vcc, s90, v40
	v_readlane_b32 s8, v62, 33
	s_nop 0
	v_subb_co_u32_e32 v33, vcc, v41, v33, vcc
	v_mov_b64_e32 v[40:41], s[0:1]
	v_readlane_b32 s9, v62, 34
	v_mad_u64_u32 v[40:41], s[2:3], s8, v34, v[40:41]
	v_mul_lo_u32 v33, s8, v33
	v_mul_lo_u32 v51, s9, v34
	s_mul_i32 s2, s9, s10
	s_mul_hi_u32 s3, s8, s10
	v_add3_u32 v41, v51, v41, v33
	s_add_i32 s9, s3, s2
	s_mul_i32 s8, s8, s10
	s_mov_b64 s[16:17], 0
	s_branch .LBB52_60
.LBB52_59:                              ;   in Loop: Header=BB52_60 Depth=2
	s_or_b64 exec, exec, s[18:19]
	s_and_b64 s[2:3], exec, vcc
	s_waitcnt vmcnt(0)
	v_cmp_lt_i32_e32 vcc, -1, v2
	s_or_b64 s[16:17], s[2:3], s[16:17]
	v_lshl_add_u64 v[40:41], v[40:41], 0, s[8:9]
	v_cndmask_b32_e32 v34, -1, v49, vcc
	v_xor_b32_e32 v34, v34, v2
	v_cmp_o_f32_e32 vcc, v2, v2
	s_nop 1
	v_cndmask_b32_e32 v2, -1, v34, vcc
	v_and_b32_e32 v34, v2, v50
	v_bfe_u32 v2, v2, s86, 2
	v_cmp_eq_u32_e32 vcc, v34, v47
	v_cmp_eq_u32_e64 s[2:3], 0, v2
	s_and_b64 s[2:3], vcc, s[2:3]
	s_nop 0
	v_cndmask_b32_e64 v34, 0, 1, s[2:3]
	v_cmp_ne_u32_e64 s[2:3], 0, v34
	s_bcnt1_i32_b64 s80, s[2:3]
	v_cmp_eq_u32_e64 s[2:3], 1, v2
	s_and_b64 s[2:3], vcc, s[2:3]
	v_lshl_add_u64 v[4:5], s[80:81], 0, v[4:5]
	v_cndmask_b32_e64 v34, 0, 1, s[2:3]
	v_cmp_ne_u32_e64 s[2:3], 0, v34
	s_bcnt1_i32_b64 s80, s[2:3]
	v_cmp_eq_u32_e64 s[2:3], 2, v2
	s_and_b64 s[2:3], vcc, s[2:3]
	v_lshl_add_u64 v[6:7], s[80:81], 0, v[6:7]
	;; [unrolled: 6-line block ×3, first 2 shown]
	v_cndmask_b32_e64 v2, 0, 1, s[2:3]
	v_cmp_ne_u32_e32 vcc, 0, v2
	s_bcnt1_i32_b64 s80, vcc
	v_lshl_add_u64 v[10:11], s[80:81], 0, v[10:11]
	v_mov_b32_e32 v2, v33
	s_andn2_b64 exec, exec, s[16:17]
	s_cbranch_execz .LBB52_62
.LBB52_60:                              ;   Parent Loop BB52_7 Depth=1
                                        ; =>  This Inner Loop Header: Depth=2
	v_lshl_add_u64 v[38:39], v[38:39], 0, s[10:11]
	v_cmp_gt_i64_e64 s[2:3], s[60:61], v[38:39]
	v_cmp_le_i64_e32 vcc, s[60:61], v[38:39]
	v_mov_b32_e32 v33, 0
	s_and_saveexec_b64 s[18:19], s[2:3]
	s_cbranch_execz .LBB52_59
; %bb.61:                               ;   in Loop: Header=BB52_60 Depth=2
	global_load_dword v33, v[40:41], off
	s_branch .LBB52_59
.LBB52_62:                              ;   in Loop: Header=BB52_7 Depth=1
	s_or_b64 exec, exec, s[16:17]
.LBB52_63:                              ;   in Loop: Header=BB52_7 Depth=1
	s_or_b64 exec, exec, s[6:7]
	s_branch .LBB52_42
.LBB52_64:                              ;   in Loop: Header=BB52_7 Depth=1
	global_load_ushort v2, v3, s[82:83]
	v_mov_b64_e32 v[8:9], 0
	s_waitcnt vmcnt(0)
	v_readfirstlane_b32 s2, v2
	s_and_b32 s2, 0xffff, s2
	s_lshl_b32 s10, s2, 2
	v_cvt_f32_u32_e32 v4, s10
	s_sub_i32 s3, 0, s10
	v_rcp_iflag_f32_e32 v6, v4
	v_mov_b64_e32 v[4:5], 0
	v_mul_f32_e32 v6, 0x4f7ffffe, v6
	v_cvt_u32_f32_e32 v10, v6
	v_mov_b64_e32 v[6:7], 0
	v_readfirstlane_b32 s6, v10
	s_mul_i32 s3, s3, s6
	s_mul_hi_u32 s3, s6, s3
	s_add_i32 s6, s6, s3
	s_mul_hi_u32 s3, s12, s6
	s_mul_i32 s6, s3, s10
	s_sub_i32 s6, s12, s6
	s_add_i32 s7, s3, 1
	s_sub_i32 s8, s6, s10
	s_cmp_ge_u32 s6, s10
	s_cselect_b32 s3, s7, s3
	s_cselect_b32 s6, s8, s6
	s_add_i32 s7, s3, 1
	s_cmp_ge_u32 s6, s10
	s_cselect_b32 s3, s7, s3
	s_mul_hi_u32 s7, s2, s3
	s_mul_i32 s6, s2, s3
	s_lshl_b64 s[8:9], s[6:7], 2
	v_cmp_gt_u64_e32 vcc, s[8:9], v[14:15]
	v_mov_b64_e32 v[10:11], 0
	s_and_saveexec_b64 s[24:25], vcc
	s_cbranch_execz .LBB52_68
; %bb.65:                               ;   in Loop: Header=BB52_7 Depth=1
	s_mov_b32 s11, s81
	s_mov_b32 s92, s84
	;; [unrolled: 1-line block ×3, first 2 shown]
	s_lshl_b32 s13, s2, 4
	s_mov_b64 s[68:69], 0
	v_mov_b32_e32 v33, v46
	s_mov_b64 s[78:79], 0
	s_mov_b64 s[90:91], 0
	;; [unrolled: 1-line block ×4, first 2 shown]
	v_mov_b64_e32 v[38:39], v[14:15]
.LBB52_66:                              ;   Parent Loop BB52_7 Depth=1
                                        ; =>  This Inner Loop Header: Depth=2
	ds_read_b128 v[4:7], v33
	v_lshl_add_u64 v[38:39], v[38:39], 0, s[10:11]
	v_cmp_le_u64_e32 vcc, s[8:9], v[38:39]
	v_add_u32_e32 v33, s13, v33
	s_waitcnt lgkmcnt(0)
	v_cmp_lt_i32_e64 s[2:3], -1, v5
	v_cmp_o_f32_e64 s[16:17], v6, v6
	s_nop 0
	v_cndmask_b32_e64 v8, -1, v49, s[2:3]
	v_cmp_lt_i32_e64 s[2:3], -1, v4
	v_cmp_o_f32_e64 s[18:19], v7, v7
	v_cmp_o_f32_e64 s[20:21], v5, v5
	v_cndmask_b32_e64 v9, -1, v49, s[2:3]
	v_cmp_lt_i32_e64 s[2:3], -1, v7
	v_xor_b32_e32 v9, v9, v4
	s_nop 0
	v_cndmask_b32_e64 v10, -1, v49, s[2:3]
	v_cmp_lt_i32_e64 s[2:3], -1, v6
	s_nop 1
	v_cndmask_b32_e64 v11, -1, v49, s[2:3]
	v_cmp_o_f32_e64 s[2:3], v4, v4
	v_xor_b32_e32 v4, v11, v6
	v_xor_b32_e32 v6, v10, v7
	;; [unrolled: 1-line block ×3, first 2 shown]
	v_cndmask_b32_e64 v5, -1, v7, s[20:21]
	v_cndmask_b32_e64 v7, -1, v9, s[2:3]
	v_and_b32_e32 v8, v7, v50
	v_lshrrev_b32_e32 v7, s86, v7
	v_cndmask_b32_e64 v4, -1, v4, s[16:17]
	v_and_b32_e32 v9, v5, v50
	v_lshrrev_b32_e32 v5, s7, v5
	v_and_b32_e32 v7, 3, v7
	v_and_b32_e32 v10, v4, v50
	v_lshrrev_b32_e32 v4, s86, v4
	v_cmp_eq_u32_e64 s[2:3], v8, v47
	v_and_b32_e32 v5, 3, v5
	v_cmp_eq_u32_e64 s[28:29], 0, v7
	v_cmp_eq_u32_e64 s[26:27], v9, v47
	v_and_b32_e32 v4, 3, v4
	v_cmp_eq_u32_e64 s[30:31], 0, v5
	s_and_b64 s[28:29], s[2:3], s[28:29]
	v_cmp_eq_u32_e64 s[46:47], 0, v4
	v_cmp_eq_u32_e64 s[50:51], 1, v4
	;; [unrolled: 1-line block ×4, first 2 shown]
	v_cndmask_b32_e64 v4, 0, 1, s[28:29]
	s_and_b64 s[28:29], s[26:27], s[30:31]
	v_cmp_eq_u32_e64 s[36:37], 1, v5
	v_cmp_eq_u32_e64 s[40:41], 2, v5
	;; [unrolled: 1-line block ×3, first 2 shown]
	v_cndmask_b32_e64 v5, 0, 1, s[28:29]
	v_cmp_ne_u32_e64 s[28:29], 0, v4
	v_cmp_ne_u32_e64 s[30:31], 0, v5
	s_bcnt1_i32_b64 s28, s[28:29]
	s_bcnt1_i32_b64 s29, s[30:31]
	s_add_u32 s28, s28, s82
	s_addc_u32 s30, 0, s83
	v_cmp_eq_u32_e64 s[34:35], 1, v7
	s_add_u32 s80, s28, s29
	s_addc_u32 s82, s30, 0
	s_and_b64 s[28:29], s[2:3], s[34:35]
	v_cndmask_b32_e64 v4, 0, 1, s[28:29]
	s_and_b64 s[28:29], s[26:27], s[36:37]
	v_cndmask_b32_e64 v5, 0, 1, s[28:29]
	v_cmp_ne_u32_e64 s[28:29], 0, v4
	v_cmp_ne_u32_e64 s[30:31], 0, v5
	s_bcnt1_i32_b64 s28, s[28:29]
	s_bcnt1_i32_b64 s29, s[30:31]
	s_add_u32 s28, s28, s84
	s_addc_u32 s30, 0, s85
	v_cmp_eq_u32_e64 s[38:39], 2, v7
	s_add_u32 s34, s28, s29
	s_addc_u32 s35, s30, 0
	s_and_b64 s[28:29], s[2:3], s[38:39]
	v_cndmask_b32_e64 v4, 0, 1, s[28:29]
	s_and_b64 s[28:29], s[26:27], s[40:41]
	v_cndmask_b32_e64 v5, 0, 1, s[28:29]
	v_cmp_ne_u32_e64 s[28:29], 0, v4
	v_cmp_ne_u32_e64 s[30:31], 0, v5
	s_bcnt1_i32_b64 s28, s[28:29]
	s_bcnt1_i32_b64 s29, s[30:31]
	v_cndmask_b32_e64 v6, -1, v6, s[18:19]
	s_add_u32 s28, s28, s90
	v_and_b32_e32 v11, v6, v50
	v_lshrrev_b32_e32 v6, s7, v6
	s_addc_u32 s30, 0, s91
	v_cmp_eq_u32_e64 s[18:19], v10, v47
	v_and_b32_e32 v6, 3, v6
	s_add_u32 s36, s28, s29
	v_cmp_eq_u32_e64 s[16:17], v11, v47
	v_cmp_eq_u32_e64 s[44:45], 3, v7
	;; [unrolled: 1-line block ×3, first 2 shown]
	s_addc_u32 s37, s30, 0
	s_and_b64 s[28:29], s[18:19], s[46:47]
	v_cndmask_b32_e64 v4, 0, 1, s[28:29]
	s_and_b64 s[28:29], s[16:17], s[48:49]
	s_and_b64 s[2:3], s[2:3], s[44:45]
	v_cmp_eq_u32_e64 s[52:53], 1, v6
	v_cmp_eq_u32_e64 s[56:57], 2, v6
	;; [unrolled: 1-line block ×3, first 2 shown]
	v_cndmask_b32_e64 v5, 0, 1, s[28:29]
	v_cndmask_b32_e64 v6, 0, 1, s[2:3]
	s_and_b64 s[2:3], s[26:27], s[42:43]
	v_cndmask_b32_e64 v7, 0, 1, s[2:3]
	v_cmp_ne_u32_e64 s[2:3], 0, v4
	v_cmp_ne_u32_e64 s[26:27], 0, v5
	s_bcnt1_i32_b64 s2, s[2:3]
	s_bcnt1_i32_b64 s3, s[26:27]
	s_add_u32 s2, s80, s2
	s_addc_u32 s26, s82, 0
	s_add_u32 s82, s2, s3
	s_addc_u32 s83, s26, 0
	s_and_b64 s[2:3], s[18:19], s[50:51]
	v_cmp_ne_u32_e64 s[28:29], 0, v6
	v_cndmask_b32_e64 v6, 0, 1, s[2:3]
	s_and_b64 s[2:3], s[16:17], s[52:53]
	v_cmp_ne_u32_e64 s[30:31], 0, v7
	v_cndmask_b32_e64 v7, 0, 1, s[2:3]
	v_cmp_ne_u32_e64 s[2:3], 0, v6
	v_cmp_ne_u32_e64 s[26:27], 0, v7
	s_bcnt1_i32_b64 s2, s[2:3]
	s_bcnt1_i32_b64 s3, s[26:27]
	s_add_u32 s2, s34, s2
	s_addc_u32 s26, s35, 0
	s_add_u32 s84, s2, s3
	s_addc_u32 s85, s26, 0
	s_and_b64 s[2:3], s[18:19], s[54:55]
	v_cndmask_b32_e64 v8, 0, 1, s[2:3]
	s_and_b64 s[2:3], s[16:17], s[56:57]
	v_cndmask_b32_e64 v9, 0, 1, s[2:3]
	v_cmp_ne_u32_e64 s[2:3], 0, v8
	v_cmp_ne_u32_e64 s[26:27], 0, v9
	s_bcnt1_i32_b64 s2, s[2:3]
	s_bcnt1_i32_b64 s3, s[26:27]
	s_add_u32 s2, s36, s2
	s_addc_u32 s26, s37, 0
	s_add_u32 s90, s2, s3
	s_addc_u32 s91, s26, 0
	s_and_b64 s[2:3], s[18:19], s[22:23]
	v_cndmask_b32_e64 v10, 0, 1, s[2:3]
	s_and_b64 s[2:3], s[16:17], s[20:21]
	v_cndmask_b32_e64 v11, 0, 1, s[2:3]
	v_cmp_ne_u32_e64 s[2:3], 0, v10
	v_cmp_ne_u32_e64 s[16:17], 0, v11
	s_bcnt1_i32_b64 s26, s[28:29]
	s_bcnt1_i32_b64 s27, s[30:31]
	;; [unrolled: 1-line block ×4, first 2 shown]
	s_add_u32 s16, s26, s78
	s_addc_u32 s17, 0, s79
	s_add_u32 s16, s16, s27
	s_addc_u32 s17, s17, 0
	;; [unrolled: 2-line block ×4, first 2 shown]
	v_mov_b64_e32 v[4:5], s[82:83]
	v_mov_b64_e32 v[6:7], s[84:85]
	;; [unrolled: 1-line block ×3, first 2 shown]
	s_or_b64 s[68:69], vcc, s[68:69]
	v_mov_b64_e32 v[10:11], s[78:79]
	s_andn2_b64 exec, exec, s[68:69]
	s_cbranch_execnz .LBB52_66
; %bb.67:                               ;   in Loop: Header=BB52_7 Depth=1
	s_or_b64 exec, exec, s[68:69]
	v_readlane_b32 s78, v62, 35
	v_readlane_b32 s82, v62, 37
	;; [unrolled: 1-line block ×5, first 2 shown]
	s_mov_b32 s84, s92
	v_readlane_b32 s85, v62, 40
.LBB52_68:                              ;   in Loop: Header=BB52_7 Depth=1
	s_or_b64 exec, exec, s[24:25]
	s_bitset0_b32 s12, 31
	s_mov_b32 s13, s81
	v_lshl_add_u64 v[38:39], s[8:9], 0, v[0:1]
	v_and_b32_e32 v2, 0xffff, v2
	v_cmp_gt_u64_e32 vcc, s[12:13], v[38:39]
	s_and_saveexec_b64 s[8:9], vcc
	s_cbranch_execz .LBB52_72
; %bb.69:                               ;   in Loop: Header=BB52_7 Depth=1
	v_lshl_add_u32 v33, s6, 4, v14
	s_mov_b64 s[6:7], 0
.LBB52_70:                              ;   Parent Loop BB52_7 Depth=1
                                        ; =>  This Inner Loop Header: Depth=2
	ds_read_b32 v34, v33
	v_lshl_add_u64 v[38:39], v[38:39], 0, v[2:3]
	v_cmp_le_u64_e32 vcc, s[12:13], v[38:39]
	v_add_u32_e32 v33, s10, v33
	s_waitcnt lgkmcnt(0)
	v_cmp_lt_i32_e64 s[2:3], -1, v34
	s_nop 1
	v_cndmask_b32_e64 v40, -1, v49, s[2:3]
	v_xor_b32_e32 v40, v40, v34
	v_cmp_o_f32_e64 s[2:3], v34, v34
	s_nop 1
	v_cndmask_b32_e64 v34, -1, v40, s[2:3]
	v_and_b32_e32 v40, v34, v50
	v_bfe_u32 v34, v34, s86, 2
	v_cmp_eq_u32_e64 s[2:3], v40, v47
	v_cmp_eq_u32_e64 s[16:17], 0, v34
	;; [unrolled: 1-line block ×3, first 2 shown]
	s_and_b64 s[16:17], s[2:3], s[16:17]
	v_cmp_eq_u32_e64 s[20:21], 2, v34
	v_cmp_eq_u32_e64 s[22:23], 3, v34
	v_cndmask_b32_e64 v34, 0, 1, s[16:17]
	s_and_b64 s[16:17], s[2:3], s[18:19]
	v_cndmask_b32_e64 v40, 0, 1, s[16:17]
	s_and_b64 s[16:17], s[2:3], s[20:21]
	s_and_b64 s[2:3], s[2:3], s[22:23]
	v_cndmask_b32_e64 v51, 0, 1, s[2:3]
	v_cmp_ne_u32_e64 s[2:3], 0, v34
	v_cndmask_b32_e64 v41, 0, 1, s[16:17]
	v_cmp_ne_u32_e64 s[16:17], 0, v40
	s_bcnt1_i32_b64 s80, s[2:3]
	v_cmp_ne_u32_e64 s[18:19], 0, v41
	v_lshl_add_u64 v[4:5], s[80:81], 0, v[4:5]
	s_bcnt1_i32_b64 s80, s[16:17]
	v_cmp_ne_u32_e64 s[20:21], 0, v51
	v_lshl_add_u64 v[6:7], s[80:81], 0, v[6:7]
	s_bcnt1_i32_b64 s80, s[18:19]
	v_lshl_add_u64 v[8:9], s[80:81], 0, v[8:9]
	s_bcnt1_i32_b64 s80, s[20:21]
	s_or_b64 s[6:7], vcc, s[6:7]
	v_lshl_add_u64 v[10:11], s[80:81], 0, v[10:11]
	s_andn2_b64 exec, exec, s[6:7]
	s_cbranch_execnz .LBB52_70
; %bb.71:                               ;   in Loop: Header=BB52_7 Depth=1
	s_or_b64 exec, exec, s[6:7]
.LBB52_72:                              ;   in Loop: Header=BB52_7 Depth=1
	s_or_b64 exec, exec, s[8:9]
	s_lshl_b32 s6, s84, 6
	s_and_saveexec_b64 s[2:3], s[4:5]
	s_cbranch_execnz .LBB52_43
	s_branch .LBB52_44
.LBB52_73:                              ;   in Loop: Header=BB52_7 Depth=1
                                        ; implicit-def: $sgpr90_sgpr91
	s_branch .LBB52_52
.LBB52_74:                              ;   in Loop: Header=BB52_7 Depth=1
	s_or_b64 exec, exec, s[8:9]
	s_waitcnt lgkmcnt(0)
	s_barrier
	s_mov_b64 s[2:3], exec
	v_readlane_b32 s8, v62, 8
	v_readlane_b32 s9, v62, 9
	s_and_b64 s[8:9], s[2:3], s[8:9]
	s_mov_b64 exec, s[8:9]
	s_cbranch_execz .LBB52_76
; %bb.75:                               ;   in Loop: Header=BB52_7 Depth=1
	ds_read_b32 v4, v3 offset:5136
	s_waitcnt lgkmcnt(0)
	v_ashrrev_i32_e32 v5, 31, v4
	ds_write_b64 v3, v[4:5] offset:5120
.LBB52_76:                              ;   in Loop: Header=BB52_7 Depth=1
	s_or_b64 exec, exec, s[2:3]
	s_waitcnt lgkmcnt(0)
	s_barrier
	s_mov_b64 s[2:3], -1
	s_and_b64 vcc, exec, s[6:7]
	s_cbranch_vccnz .LBB52_23
	s_branch .LBB52_38
.LBB52_77:                              ;   in Loop: Header=BB52_7 Depth=1
	s_mov_b32 s7, 0
	v_mov_b64_e32 v[4:5], 0
.LBB52_78:                              ;   in Loop: Header=BB52_7 Depth=1
	v_readlane_b32 s8, v62, 31
	v_readlane_b32 s9, v62, 32
	s_andn2_b64 vcc, exec, s[8:9]
	s_cbranch_vccnz .LBB52_81
; %bb.79:                               ;   in Loop: Header=BB52_7 Depth=1
	s_lshl_b32 s8, s84, 9
	s_lshl_b32 s7, s7, 5
	s_add_i32 s8, s8, s7
	v_add_u32_e32 v2, s8, v48
	v_readlane_b32 s7, v62, 30
.LBB52_80:                              ;   Parent Loop BB52_7 Depth=1
                                        ; =>  This Inner Loop Header: Depth=2
	ds_read_b64 v[6:7], v2
	s_add_i32 s7, s7, -1
	v_add_u32_e32 v2, 32, v2
	s_cmp_lg_u32 s7, 0
	s_waitcnt lgkmcnt(0)
	v_lshl_add_u64 v[4:5], v[6:7], 0, v[4:5]
	s_cbranch_scc1 .LBB52_80
.LBB52_81:                              ;   in Loop: Header=BB52_7 Depth=1
	v_add_lshl_u32 v2, s6, v42, 3
	ds_write_b64 v2, v[4:5] offset:3072
.LBB52_82:                              ;   in Loop: Header=BB52_7 Depth=1
	s_or_b64 exec, exec, s[2:3]
	s_lshl_b32 s2, s6, 3
	v_mov_b32_e32 v2, s2
	s_waitcnt lgkmcnt(0)
	s_barrier
	ds_read_b128 v[8:11], v2 offset:3088
	ds_read_b128 v[4:7], v2 offset:3072
	s_lshl_b32 s56, 3, s86
	v_cmp_eq_u64_e64 s[2:3], 1, v[36:37]
	s_not_b32 s50, s56
	s_waitcnt lgkmcnt(1)
	v_readfirstlane_b32 s26, v8
	s_waitcnt lgkmcnt(0)
	v_cmp_eq_u64_e32 vcc, 1, v[4:5]
	v_readfirstlane_b32 s27, v9
	v_readfirstlane_b32 s16, v10
	;; [unrolled: 1-line block ×3, first 2 shown]
	s_and_b64 s[10:11], vcc, s[2:3]
	s_mov_b64 s[2:3], -1
	s_mov_b64 s[20:21], -1
                                        ; implicit-def: $sgpr8_sgpr9
                                        ; implicit-def: $sgpr6_sgpr7
	s_and_saveexec_b64 s[12:13], s[10:11]
	s_cbranch_execz .LBB52_116
; %bb.83:                               ;   in Loop: Header=BB52_7 Depth=1
	ds_read_b64 v[8:9], v3 offset:5120
	s_waitcnt lgkmcnt(0)
	s_barrier
	v_readfirstlane_b32 s18, v8
	v_readfirstlane_b32 s19, v9
	s_mov_b64 s[6:7], exec
	v_readlane_b32 s8, v62, 12
	v_readlane_b32 s9, v62, 13
	s_and_b64 s[8:9], s[6:7], s[8:9]
	s_mov_b64 exec, s[8:9]
; %bb.84:                               ;   in Loop: Header=BB52_7 Depth=1
	ds_write_b32 v43, v3
; %bb.85:                               ;   in Loop: Header=BB52_7 Depth=1
	s_or_b64 exec, exec, s[6:7]
	v_cmp_lt_i64_e64 s[20:21], s[18:19], 1
	v_and_b32_e32 v47, s50, v47
	v_or_b32_e32 v50, s56, v50
	s_mov_b64 s[6:7], -1
	s_mov_b64 s[8:9], 0
	s_and_b64 vcc, exec, s[20:21]
	s_mov_b64 s[20:21], 0
	s_mov_b64 s[22:23], -1
	s_waitcnt lgkmcnt(0)
	s_barrier
                                        ; implicit-def: $vgpr35
	s_cbranch_vccz .LBB52_100
; %bb.86:                               ;   in Loop: Header=BB52_7 Depth=1
	s_mov_b32 s94, s81
	s_cmp_lg_u64 s[94:95], 0
	s_cbranch_scc0 .LBB52_143
; %bb.87:                               ;   in Loop: Header=BB52_7 Depth=1
	s_add_u32 s20, s74, 0
	s_addc_u32 s21, 0, 0
	s_xor_b64 s[20:21], s[20:21], 0
	v_cvt_f32_u32_e32 v2, s20
	v_cvt_f32_u32_e32 v8, s21
	s_sub_u32 s24, 0, s20
	s_subb_u32 s25, 0, s21
	v_fmac_f32_e32 v2, 0x4f800000, v8
	v_rcp_f32_e32 v2, v2
	s_nop 0
	v_mul_f32_e32 v2, 0x5f7ffffc, v2
	v_mul_f32_e32 v8, 0x2f800000, v2
	v_trunc_f32_e32 v8, v8
	v_fmac_f32_e32 v2, 0xcf800000, v8
	v_cvt_u32_f32_e32 v8, v8
	v_cvt_u32_f32_e32 v2, v2
	v_readfirstlane_b32 s28, v8
	v_readfirstlane_b32 s22, v2
	s_mul_i32 s23, s24, s28
	s_mul_hi_u32 s30, s24, s22
	s_mul_i32 s29, s25, s22
	s_add_i32 s23, s30, s23
	s_mul_i32 s31, s24, s22
	s_add_i32 s23, s23, s29
	s_mul_i32 s30, s22, s23
	s_mul_hi_u32 s34, s22, s31
	s_mul_hi_u32 s29, s22, s23
	s_add_u32 s30, s34, s30
	s_addc_u32 s29, 0, s29
	s_mul_hi_u32 s35, s28, s31
	s_mul_i32 s31, s28, s31
	s_add_u32 s30, s30, s31
	s_mul_hi_u32 s34, s28, s23
	s_addc_u32 s29, s29, s35
	s_addc_u32 s30, s34, 0
	s_mul_i32 s23, s28, s23
	s_add_u32 s23, s29, s23
	s_addc_u32 s29, 0, s30
	s_add_u32 s30, s22, s23
	s_cselect_b64 s[22:23], -1, 0
	s_cmp_lg_u64 s[22:23], 0
	s_addc_u32 s28, s28, s29
	s_mul_i32 s22, s24, s28
	s_mul_hi_u32 s23, s24, s30
	s_add_i32 s22, s23, s22
	s_mul_i32 s25, s25, s30
	s_add_i32 s22, s22, s25
	s_mul_i32 s24, s24, s30
	s_mul_hi_u32 s25, s28, s24
	s_mul_i32 s29, s28, s24
	s_mul_i32 s34, s30, s22
	s_mul_hi_u32 s24, s30, s24
	s_mul_hi_u32 s31, s30, s22
	s_add_u32 s24, s24, s34
	s_addc_u32 s31, 0, s31
	s_add_u32 s24, s24, s29
	s_mul_hi_u32 s23, s28, s22
	s_addc_u32 s24, s31, s25
	s_addc_u32 s23, s23, 0
	s_mul_i32 s22, s28, s22
	s_add_u32 s22, s24, s22
	s_addc_u32 s24, 0, s23
	s_add_u32 s29, s30, s22
	s_cselect_b64 s[22:23], -1, 0
	s_cmp_lg_u64 s[22:23], 0
	s_addc_u32 s28, s28, s24
	s_ashr_i32 s22, s95, 31
	s_add_u32 s24, s87, s22
	s_mov_b32 s23, s22
	s_addc_u32 s25, s95, s22
	s_xor_b64 s[24:25], s[24:25], s[22:23]
	s_mul_i32 s31, s24, s28
	s_mul_hi_u32 s34, s24, s29
	s_mul_hi_u32 s30, s24, s28
	s_add_u32 s31, s34, s31
	s_addc_u32 s30, 0, s30
	s_mul_hi_u32 s35, s25, s29
	s_mul_i32 s29, s25, s29
	s_add_u32 s29, s31, s29
	s_mul_hi_u32 s34, s25, s28
	s_addc_u32 s29, s30, s35
	s_addc_u32 s30, s34, 0
	s_mul_i32 s28, s25, s28
	s_add_u32 s28, s29, s28
	s_addc_u32 s29, 0, s30
	s_mul_i32 s29, s20, s29
	s_mul_hi_u32 s30, s20, s28
	s_add_i32 s29, s30, s29
	s_mul_i32 s30, s21, s28
	s_add_i32 s34, s29, s30
	s_sub_i32 s30, s25, s34
	s_mul_i32 s28, s20, s28
	s_sub_u32 s24, s24, s28
	s_cselect_b64 s[28:29], -1, 0
	s_cmp_lg_u64 s[28:29], 0
	s_subb_u32 s35, s30, s21
	s_sub_u32 s36, s24, s20
	s_cselect_b64 s[30:31], -1, 0
	s_cmp_lg_u64 s[30:31], 0
	s_subb_u32 s37, s35, 0
	s_cmp_ge_u32 s37, s21
	s_cselect_b32 s38, -1, 0
	s_cmp_ge_u32 s36, s20
	s_cselect_b32 s39, -1, 0
	s_cmp_eq_u32 s37, s21
	s_cselect_b32 s38, s39, s38
	s_cmp_lg_u64 s[30:31], 0
	s_subb_u32 s35, s35, s21
	s_sub_u32 s39, s36, s20
	s_cselect_b64 s[30:31], -1, 0
	s_cmp_lg_u64 s[30:31], 0
	s_subb_u32 s30, s35, 0
	s_cmp_lg_u32 s38, 0
	s_cselect_b32 s31, s39, s36
	s_cselect_b32 s30, s30, s37
	s_cmp_lg_u64 s[28:29], 0
	s_subb_u32 s25, s25, s34
	s_cmp_ge_u32 s25, s21
	s_cselect_b32 s28, -1, 0
	s_cmp_ge_u32 s24, s20
	s_cselect_b32 s20, -1, 0
	s_cmp_eq_u32 s25, s21
	s_cselect_b32 s20, s20, s28
	s_cmp_lg_u32 s20, 0
	s_cselect_b32 s21, s30, s25
	s_cselect_b32 s20, s31, s24
	s_xor_b64 s[20:21], s[20:21], s[22:23]
	s_sub_u32 s20, s20, s22
	s_subb_u32 s21, s21, s22
	s_cbranch_execnz .LBB52_89
.LBB52_88:                              ;   in Loop: Header=BB52_7 Depth=1
	v_cvt_f32_u32_e32 v2, s74
	s_sub_i32 s20, 0, s74
	v_rcp_iflag_f32_e32 v2, v2
	s_nop 0
	v_mul_f32_e32 v2, 0x4f7ffffe, v2
	v_cvt_u32_f32_e32 v2, v2
	s_nop 0
	v_readfirstlane_b32 s21, v2
	s_mul_i32 s20, s20, s21
	s_mul_hi_u32 s20, s21, s20
	s_add_i32 s21, s21, s20
	s_mul_hi_u32 s20, s87, s21
	s_mul_i32 s20, s20, s74
	s_sub_i32 s20, s87, s20
	s_sub_i32 s21, s20, s74
	s_cmp_ge_u32 s20, s74
	s_cselect_b32 s20, s21, s20
	s_sub_i32 s21, s20, s74
	s_cmp_ge_u32 s20, s74
	s_cselect_b32 s80, s21, s20
	s_mov_b64 s[20:21], s[80:81]
.LBB52_89:                              ;   in Loop: Header=BB52_7 Depth=1
	s_sub_u32 s28, s87, s20
	s_subb_u32 s29, s95, s21
	v_cmp_gt_i64_e32 vcc, s[28:29], v[0:1]
	s_mov_b64 s[22:23], 0
	s_mov_b64 s[20:21], 0
                                        ; implicit-def: $vgpr35
	s_and_saveexec_b64 s[24:25], vcc
	s_cbranch_execz .LBB52_99
; %bb.90:                               ;   in Loop: Header=BB52_7 Depth=1
	v_mov_b64_e32 v[8:9], v[12:13]
	v_mov_b64_e32 v[10:11], v[0:1]
                                        ; implicit-def: $sgpr30_sgpr31
	s_branch .LBB52_94
.LBB52_91:                              ;   in Loop: Header=BB52_94 Depth=2
	s_or_b64 exec, exec, s[34:35]
	s_waitcnt lgkmcnt(0)
	s_barrier
	ds_read_b64 v[34:35], v3 offset:3072
	s_waitcnt lgkmcnt(0)
	s_barrier
	v_cmp_neq_f32_e32 vcc, 0, v34
	s_cbranch_vccnz .LBB52_97
; %bb.92:                               ;   in Loop: Header=BB52_94 Depth=2
	v_lshl_add_u64 v[10:11], v[10:11], 0, s[74:75]
	v_cmp_le_i64_e32 vcc, s[28:29], v[10:11]
	v_lshl_add_u64 v[8:9], v[8:9], 0, s[76:77]
	s_mov_b64 s[34:35], 0
	s_orn2_b64 s[36:37], vcc, exec
.LBB52_93:                              ;   in Loop: Header=BB52_94 Depth=2
	s_and_b64 s[36:37], exec, s[36:37]
	s_or_b64 s[20:21], s[36:37], s[20:21]
	s_andn2_b64 s[30:31], s[30:31], exec
	s_and_b64 s[34:35], s[34:35], exec
	s_or_b64 s[30:31], s[30:31], s[34:35]
	s_andn2_b64 exec, exec, s[20:21]
	s_cbranch_execz .LBB52_98
.LBB52_94:                              ;   Parent Loop BB52_7 Depth=1
                                        ; =>  This Inner Loop Header: Depth=2
	v_cmp_gt_i64_e32 vcc, s[60:61], v[10:11]
	s_and_saveexec_b64 s[34:35], vcc
	s_cbranch_execz .LBB52_91
; %bb.95:                               ;   in Loop: Header=BB52_94 Depth=2
	global_load_dword v33, v[8:9], off
	s_waitcnt vmcnt(0)
	v_cmp_lt_i32_e32 vcc, -1, v33
	s_nop 1
	v_cndmask_b32_e32 v2, -1, v49, vcc
	v_xor_b32_e32 v2, v2, v33
	v_cmp_o_f32_e32 vcc, v33, v33
	s_nop 1
	v_cndmask_b32_e32 v2, -1, v2, vcc
	v_and_b32_e32 v2, v2, v50
	v_cmp_eq_u32_e32 vcc, v2, v47
	s_and_b64 exec, exec, vcc
	s_cbranch_execz .LBB52_91
; %bb.96:                               ;   in Loop: Header=BB52_94 Depth=2
	ds_write_b64 v3, v[32:33] offset:3072
	s_branch .LBB52_91
.LBB52_97:                              ;   in Loop: Header=BB52_94 Depth=2
	s_mov_b64 s[36:37], -1
                                        ; implicit-def: $vgpr10_vgpr11
                                        ; implicit-def: $vgpr8_vgpr9
	s_mov_b64 s[34:35], -1
	s_branch .LBB52_93
.LBB52_98:                              ;   in Loop: Header=BB52_7 Depth=1
	s_or_b64 exec, exec, s[20:21]
	s_and_b64 s[20:21], s[30:31], exec
.LBB52_99:                              ;   in Loop: Header=BB52_7 Depth=1
	s_or_b64 exec, exec, s[24:25]
.LBB52_100:                             ;   in Loop: Header=BB52_7 Depth=1
	s_and_b64 vcc, exec, s[22:23]
	s_cbranch_vccz .LBB52_115
; %bb.101:                              ;   in Loop: Header=BB52_7 Depth=1
	v_readlane_b32 s6, v62, 22
	s_add_u32 s24, s18, s6
	v_readlane_b32 s6, v62, 23
	s_addc_u32 s7, s19, s6
	s_mov_b32 s6, s81
	s_cmp_lg_u64 s[6:7], 0
	s_cbranch_scc0 .LBB52_144
; %bb.102:                              ;   in Loop: Header=BB52_7 Depth=1
	s_add_u32 s8, s74, 0
	s_addc_u32 s9, 0, 0
	s_xor_b64 s[8:9], s[8:9], 0
	v_cvt_f32_u32_e32 v2, s8
	v_cvt_f32_u32_e32 v8, s9
	s_sub_u32 s6, 0, s8
	s_subb_u32 s25, 0, s9
	v_fmac_f32_e32 v2, 0x4f800000, v8
	v_rcp_f32_e32 v2, v2
	s_nop 0
	v_mul_f32_e32 v2, 0x5f7ffffc, v2
	v_mul_f32_e32 v8, 0x2f800000, v2
	v_trunc_f32_e32 v8, v8
	v_fmac_f32_e32 v2, 0xcf800000, v8
	v_cvt_u32_f32_e32 v8, v8
	v_cvt_u32_f32_e32 v2, v2
	v_readfirstlane_b32 s28, v8
	v_readfirstlane_b32 s22, v2
	s_mul_i32 s23, s6, s28
	s_mul_hi_u32 s30, s6, s22
	s_mul_i32 s29, s25, s22
	s_add_i32 s23, s30, s23
	s_mul_i32 s31, s6, s22
	s_add_i32 s23, s23, s29
	s_mul_i32 s30, s22, s23
	s_mul_hi_u32 s34, s22, s31
	s_mul_hi_u32 s29, s22, s23
	s_add_u32 s30, s34, s30
	s_addc_u32 s29, 0, s29
	s_mul_hi_u32 s35, s28, s31
	s_mul_i32 s31, s28, s31
	s_add_u32 s30, s30, s31
	s_mul_hi_u32 s34, s28, s23
	s_addc_u32 s29, s29, s35
	s_addc_u32 s30, s34, 0
	s_mul_i32 s23, s28, s23
	s_add_u32 s23, s29, s23
	s_addc_u32 s29, 0, s30
	s_add_u32 s30, s22, s23
	s_cselect_b64 s[22:23], -1, 0
	s_cmp_lg_u64 s[22:23], 0
	s_addc_u32 s28, s28, s29
	s_mul_i32 s22, s6, s28
	s_mul_hi_u32 s23, s6, s30
	s_add_i32 s22, s23, s22
	s_mul_i32 s25, s25, s30
	s_add_i32 s22, s22, s25
	s_mul_i32 s6, s6, s30
	s_mul_hi_u32 s25, s28, s6
	s_mul_i32 s29, s28, s6
	s_mul_i32 s34, s30, s22
	s_mul_hi_u32 s6, s30, s6
	s_mul_hi_u32 s31, s30, s22
	s_add_u32 s6, s6, s34
	s_addc_u32 s31, 0, s31
	s_add_u32 s6, s6, s29
	s_mul_hi_u32 s23, s28, s22
	s_addc_u32 s6, s31, s25
	s_addc_u32 s23, s23, 0
	s_mul_i32 s22, s28, s22
	s_add_u32 s6, s6, s22
	s_addc_u32 s25, 0, s23
	s_add_u32 s6, s30, s6
	s_cselect_b64 s[22:23], -1, 0
	s_cmp_lg_u64 s[22:23], 0
	s_addc_u32 s25, s28, s25
	s_ashr_i32 s22, s7, 31
	s_add_u32 s28, s24, s22
	s_mov_b32 s23, s22
	s_addc_u32 s29, s7, s22
	s_xor_b64 s[28:29], s[28:29], s[22:23]
	s_mul_i32 s31, s28, s25
	s_mul_hi_u32 s34, s28, s6
	s_mul_hi_u32 s30, s28, s25
	s_add_u32 s31, s34, s31
	s_addc_u32 s30, 0, s30
	s_mul_hi_u32 s35, s29, s6
	s_mul_i32 s6, s29, s6
	s_add_u32 s6, s31, s6
	s_mul_hi_u32 s34, s29, s25
	s_addc_u32 s6, s30, s35
	s_addc_u32 s30, s34, 0
	s_mul_i32 s25, s29, s25
	s_add_u32 s6, s6, s25
	s_addc_u32 s25, 0, s30
	s_mul_i32 s25, s8, s25
	s_mul_hi_u32 s30, s8, s6
	s_add_i32 s25, s30, s25
	s_mul_i32 s30, s9, s6
	s_add_i32 s25, s25, s30
	s_sub_i32 s34, s29, s25
	s_mul_i32 s6, s8, s6
	s_sub_u32 s6, s28, s6
	s_cselect_b64 s[30:31], -1, 0
	s_cmp_lg_u64 s[30:31], 0
	s_subb_u32 s28, s34, s9
	s_sub_u32 s36, s6, s8
	s_cselect_b64 s[34:35], -1, 0
	s_cmp_lg_u64 s[34:35], 0
	s_subb_u32 s37, s28, 0
	s_cmp_ge_u32 s37, s9
	s_cselect_b32 s38, -1, 0
	s_cmp_ge_u32 s36, s8
	s_cselect_b32 s39, -1, 0
	s_cmp_eq_u32 s37, s9
	s_cselect_b32 s38, s39, s38
	s_cmp_lg_u64 s[34:35], 0
	s_subb_u32 s28, s28, s9
	s_sub_u32 s39, s36, s8
	s_cselect_b64 s[34:35], -1, 0
	s_cmp_lg_u64 s[34:35], 0
	s_subb_u32 s28, s28, 0
	s_cmp_lg_u32 s38, 0
	s_cselect_b32 s34, s39, s36
	s_cselect_b32 s28, s28, s37
	s_cmp_lg_u64 s[30:31], 0
	s_subb_u32 s25, s29, s25
	s_cmp_ge_u32 s25, s9
	s_cselect_b32 s29, -1, 0
	s_cmp_ge_u32 s6, s8
	s_cselect_b32 s8, -1, 0
	s_cmp_eq_u32 s25, s9
	s_cselect_b32 s8, s8, s29
	s_cmp_lg_u32 s8, 0
	s_cselect_b32 s9, s28, s25
	s_cselect_b32 s8, s34, s6
	s_xor_b64 s[8:9], s[8:9], s[22:23]
	s_sub_u32 s8, s8, s22
	s_subb_u32 s9, s9, s22
	s_cbranch_execnz .LBB52_104
.LBB52_103:                             ;   in Loop: Header=BB52_7 Depth=1
	v_cvt_f32_u32_e32 v2, s74
	s_sub_i32 s6, 0, s74
	v_rcp_iflag_f32_e32 v2, v2
	s_nop 0
	v_mul_f32_e32 v2, 0x4f7ffffe, v2
	v_cvt_u32_f32_e32 v2, v2
	s_nop 0
	v_readfirstlane_b32 s8, v2
	s_mul_i32 s6, s6, s8
	s_mul_hi_u32 s6, s8, s6
	s_add_i32 s8, s8, s6
	s_mul_hi_u32 s6, s24, s8
	s_mul_i32 s6, s6, s74
	s_sub_i32 s6, s24, s6
	s_sub_i32 s8, s6, s74
	s_cmp_ge_u32 s6, s74
	s_cselect_b32 s6, s8, s6
	s_sub_i32 s8, s6, s74
	s_cmp_ge_u32 s6, s74
	s_cselect_b32 s80, s8, s6
	s_mov_b64 s[8:9], s[80:81]
.LBB52_104:                             ;   in Loop: Header=BB52_7 Depth=1
	s_sub_u32 s8, s24, s8
	s_subb_u32 s9, s7, s9
	v_cmp_gt_i64_e32 vcc, s[8:9], v[0:1]
                                        ; implicit-def: $vgpr35
	s_and_saveexec_b64 s[6:7], vcc
	s_cbranch_execz .LBB52_114
; %bb.105:                              ;   in Loop: Header=BB52_7 Depth=1
	s_mov_b64 s[22:23], 0
	v_mov_b32_e32 v2, v14
	v_mov_b64_e32 v[8:9], v[0:1]
                                        ; implicit-def: $sgpr24_sgpr25
	s_branch .LBB52_109
.LBB52_106:                             ;   in Loop: Header=BB52_109 Depth=2
	s_or_b64 exec, exec, s[28:29]
	s_waitcnt lgkmcnt(0)
	s_barrier
	ds_read_b64 v[34:35], v3 offset:3072
	s_waitcnt lgkmcnt(0)
	s_barrier
	v_cmp_neq_f32_e32 vcc, 0, v34
	s_cbranch_vccnz .LBB52_112
; %bb.107:                              ;   in Loop: Header=BB52_109 Depth=2
	v_lshl_add_u64 v[8:9], v[8:9], 0, s[74:75]
	v_cmp_le_i64_e32 vcc, s[8:9], v[8:9]
	v_add_u32_e32 v2, s89, v2
	s_mov_b64 s[28:29], 0
	s_orn2_b64 s[30:31], vcc, exec
.LBB52_108:                             ;   in Loop: Header=BB52_109 Depth=2
	s_and_b64 s[30:31], exec, s[30:31]
	s_or_b64 s[22:23], s[30:31], s[22:23]
	s_andn2_b64 s[24:25], s[24:25], exec
	s_and_b64 s[28:29], s[28:29], exec
	s_or_b64 s[24:25], s[24:25], s[28:29]
	s_andn2_b64 exec, exec, s[22:23]
	s_cbranch_execz .LBB52_113
.LBB52_109:                             ;   Parent Loop BB52_7 Depth=1
                                        ; =>  This Inner Loop Header: Depth=2
	v_cmp_gt_u64_e32 vcc, s[18:19], v[8:9]
	s_and_saveexec_b64 s[28:29], vcc
	s_cbranch_execz .LBB52_106
; %bb.110:                              ;   in Loop: Header=BB52_109 Depth=2
	ds_read_b32 v33, v2
	s_waitcnt lgkmcnt(0)
	v_cmp_lt_i32_e32 vcc, -1, v33
	s_nop 1
	v_cndmask_b32_e32 v10, -1, v49, vcc
	v_xor_b32_e32 v10, v10, v33
	v_cmp_o_f32_e32 vcc, v33, v33
	s_nop 1
	v_cndmask_b32_e32 v10, -1, v10, vcc
	v_and_b32_e32 v10, v10, v50
	v_cmp_eq_u32_e32 vcc, v10, v47
	s_and_b64 exec, exec, vcc
	s_cbranch_execz .LBB52_106
; %bb.111:                              ;   in Loop: Header=BB52_109 Depth=2
	ds_write_b64 v3, v[32:33] offset:3072
	s_branch .LBB52_106
.LBB52_112:                             ;   in Loop: Header=BB52_109 Depth=2
	s_mov_b64 s[30:31], -1
                                        ; implicit-def: $vgpr8_vgpr9
                                        ; implicit-def: $vgpr2
	s_mov_b64 s[28:29], -1
	s_branch .LBB52_108
.LBB52_113:                             ;   in Loop: Header=BB52_7 Depth=1
	s_or_b64 exec, exec, s[22:23]
	s_andn2_b64 s[8:9], s[20:21], exec
	s_and_b64 s[18:19], s[24:25], exec
	s_or_b64 s[20:21], s[8:9], s[18:19]
.LBB52_114:                             ;   in Loop: Header=BB52_7 Depth=1
	s_or_b64 exec, exec, s[6:7]
	s_mov_b64 s[6:7], 0
	s_mov_b64 s[8:9], -1
.LBB52_115:                             ;   in Loop: Header=BB52_7 Depth=1
	s_orn2_b64 s[20:21], s[20:21], exec
.LBB52_116:                             ;   in Loop: Header=BB52_7 Depth=1
	s_or_b64 exec, exec, s[12:13]
	s_andn2_b64 s[12:13], s[14:15], exec
	s_and_b64 s[8:9], s[8:9], exec
	s_or_b64 s[14:15], s[12:13], s[8:9]
	s_andn2_b64 s[8:9], s[72:73], exec
	s_and_b64 s[6:7], s[6:7], exec
	s_andn2_b64 s[70:71], s[70:71], exec
	s_or_b64 s[72:73], s[8:9], s[6:7]
                                        ; implicit-def: $vgpr8_vgpr9
	s_and_saveexec_b64 s[18:19], s[20:21]
	s_cbranch_execz .LBB52_6
; %bb.117:                              ;   in Loop: Header=BB52_7 Depth=1
	s_xor_b64 s[6:7], s[10:11], -1
	v_mov_b32_e32 v2, 1
	s_mov_b64 s[8:9], 0
	v_mov_b64_e32 v[8:9], 1
	s_and_saveexec_b64 s[2:3], s[6:7]
	s_cbranch_execz .LBB52_126
; %bb.118:                              ;   in Loop: Header=BB52_7 Depth=1
	v_cmp_le_i64_e32 vcc, v[36:37], v[4:5]
	s_and_saveexec_b64 s[6:7], vcc
	s_xor_b64 s[6:7], exec, s[6:7]
	s_cbranch_execz .LBB52_123
; %bb.119:                              ;   in Loop: Header=BB52_7 Depth=1
	ds_read_b64 v[8:9], v3 offset:5120
	v_and_b32_e32 v47, s50, v47
	v_or_b32_e32 v50, s56, v50
	s_waitcnt lgkmcnt(0)
	v_cmp_ne_u64_e32 vcc, 0, v[8:9]
	s_cbranch_vccnz .LBB52_123
; %bb.120:                              ;   in Loop: Header=BB52_7 Depth=1
	s_mov_b64 s[8:9], exec
	v_readlane_b32 s10, v62, 8
	v_readlane_b32 s11, v62, 9
	s_and_b64 s[10:11], s[8:9], s[10:11]
	s_mov_b64 exec, s[10:11]
; %bb.121:                              ;   in Loop: Header=BB52_7 Depth=1
	ds_write_b64 v3, v[4:5] offset:5128
; %bb.122:                              ;   in Loop: Header=BB52_7 Depth=1
	s_or_b64 exec, exec, s[8:9]
	s_waitcnt lgkmcnt(0)
	s_barrier
.LBB52_123:                             ;   in Loop: Header=BB52_7 Depth=1
	s_or_saveexec_b64 s[6:7], s[6:7]
	s_mov_b64 s[8:9], 0
	v_mov_b32_e32 v2, 8
	s_xor_b64 exec, exec, s[6:7]
; %bb.124:                              ;   in Loop: Header=BB52_7 Depth=1
	v_sub_co_u32_e32 v36, vcc, v36, v4
	s_mov_b64 s[8:9], exec
	s_nop 0
	v_subb_co_u32_e32 v37, vcc, v37, v5, vcc
	v_mov_b32_e32 v2, 0
; %bb.125:                              ;   in Loop: Header=BB52_7 Depth=1
	s_or_b64 exec, exec, s[6:7]
	s_and_b64 s[8:9], s[8:9], exec
	v_mov_b64_e32 v[8:9], v[36:37]
.LBB52_126:                             ;   in Loop: Header=BB52_7 Depth=1
	s_or_b64 exec, exec, s[2:3]
	s_mov_b64 s[20:21], -1
	s_mov_b64 s[6:7], -1
                                        ; implicit-def: $sgpr2_sgpr3
                                        ; implicit-def: $sgpr28_sgpr29
	s_and_saveexec_b64 s[10:11], s[8:9]
	s_xor_b64 s[22:23], exec, s[10:11]
	s_cbranch_execz .LBB52_274
; %bb.127:                              ;   in Loop: Header=BB52_7 Depth=1
	v_cmp_eq_u64_e32 vcc, 1, v[6:7]
	v_cmp_eq_u64_e64 s[2:3], 1, v[8:9]
	s_and_b64 s[10:11], vcc, s[2:3]
                                        ; implicit-def: $sgpr28_sgpr29
                                        ; implicit-def: $sgpr2_sgpr3
	s_and_saveexec_b64 s[12:13], s[10:11]
	s_cbranch_execz .LBB52_163
; %bb.128:                              ;   in Loop: Header=BB52_7 Depth=1
	ds_read_b64 v[4:5], v3 offset:5120
	s_waitcnt lgkmcnt(0)
	s_barrier
	v_readfirstlane_b32 s30, v4
	v_readfirstlane_b32 s31, v5
	s_mov_b64 s[2:3], exec
	v_readlane_b32 s6, v62, 12
	v_readlane_b32 s7, v62, 13
	s_and_b64 s[6:7], s[2:3], s[6:7]
	s_mov_b64 exec, s[6:7]
; %bb.129:                              ;   in Loop: Header=BB52_7 Depth=1
	ds_write_b32 v43, v3
; %bb.130:                              ;   in Loop: Header=BB52_7 Depth=1
	s_or_b64 exec, exec, s[2:3]
	v_and_b32_e32 v4, s50, v47
	v_cmp_gt_i64_e64 s[6:7], s[30:31], 0
	v_lshl_or_b32 v47, 1, s86, v4
	v_or_b32_e32 v50, s56, v50
	s_mov_b64 s[2:3], -1
	s_mov_b64 s[28:29], 0
	s_and_b64 vcc, exec, s[6:7]
	s_mov_b64 s[6:7], 0
	s_mov_b64 s[8:9], -1
	s_waitcnt lgkmcnt(0)
	s_barrier
                                        ; implicit-def: $vgpr35
	s_cbranch_vccnz .LBB52_147
; %bb.131:                              ;   in Loop: Header=BB52_7 Depth=1
	s_mov_b32 s94, s81
	s_cmp_lg_u64 s[94:95], 0
	s_cbranch_scc0 .LBB52_191
; %bb.132:                              ;   in Loop: Header=BB52_7 Depth=1
	s_add_u32 s6, s74, 0
	s_addc_u32 s7, 0, 0
	s_xor_b64 s[6:7], s[6:7], 0
	v_cvt_f32_u32_e32 v4, s6
	v_cvt_f32_u32_e32 v5, s7
	s_sub_u32 s24, 0, s6
	s_subb_u32 s25, 0, s7
	v_fmac_f32_e32 v4, 0x4f800000, v5
	v_rcp_f32_e32 v4, v4
	s_nop 0
	v_mul_f32_e32 v4, 0x5f7ffffc, v4
	v_mul_f32_e32 v5, 0x2f800000, v4
	v_trunc_f32_e32 v5, v5
	v_fmac_f32_e32 v4, 0xcf800000, v5
	v_cvt_u32_f32_e32 v5, v5
	v_cvt_u32_f32_e32 v4, v4
	v_readfirstlane_b32 s34, v5
	v_readfirstlane_b32 s8, v4
	s_mul_i32 s9, s24, s34
	s_mul_hi_u32 s36, s24, s8
	s_mul_i32 s35, s25, s8
	s_add_i32 s9, s36, s9
	s_mul_i32 s37, s24, s8
	s_add_i32 s9, s9, s35
	s_mul_i32 s36, s8, s9
	s_mul_hi_u32 s38, s8, s37
	s_mul_hi_u32 s35, s8, s9
	s_add_u32 s36, s38, s36
	s_addc_u32 s35, 0, s35
	s_mul_hi_u32 s39, s34, s37
	s_mul_i32 s37, s34, s37
	s_add_u32 s36, s36, s37
	s_mul_hi_u32 s38, s34, s9
	s_addc_u32 s35, s35, s39
	s_addc_u32 s36, s38, 0
	s_mul_i32 s9, s34, s9
	s_add_u32 s9, s35, s9
	s_addc_u32 s35, 0, s36
	s_add_u32 s36, s8, s9
	s_cselect_b64 s[8:9], -1, 0
	s_cmp_lg_u64 s[8:9], 0
	s_addc_u32 s34, s34, s35
	s_mul_i32 s8, s24, s34
	s_mul_hi_u32 s9, s24, s36
	s_add_i32 s8, s9, s8
	s_mul_i32 s25, s25, s36
	s_add_i32 s8, s8, s25
	s_mul_i32 s24, s24, s36
	s_mul_hi_u32 s25, s34, s24
	s_mul_i32 s35, s34, s24
	s_mul_i32 s38, s36, s8
	s_mul_hi_u32 s24, s36, s24
	s_mul_hi_u32 s37, s36, s8
	s_add_u32 s24, s24, s38
	s_addc_u32 s37, 0, s37
	s_add_u32 s24, s24, s35
	s_mul_hi_u32 s9, s34, s8
	s_addc_u32 s24, s37, s25
	s_addc_u32 s9, s9, 0
	s_mul_i32 s8, s34, s8
	s_add_u32 s8, s24, s8
	s_addc_u32 s24, 0, s9
	s_add_u32 s35, s36, s8
	s_cselect_b64 s[8:9], -1, 0
	s_cmp_lg_u64 s[8:9], 0
	s_addc_u32 s34, s34, s24
	s_ashr_i32 s8, s95, 31
	s_add_u32 s24, s87, s8
	s_mov_b32 s9, s8
	s_addc_u32 s25, s95, s8
	s_xor_b64 s[24:25], s[24:25], s[8:9]
	s_mul_i32 s37, s24, s34
	s_mul_hi_u32 s38, s24, s35
	s_mul_hi_u32 s36, s24, s34
	s_add_u32 s37, s38, s37
	s_addc_u32 s36, 0, s36
	s_mul_hi_u32 s39, s25, s35
	s_mul_i32 s35, s25, s35
	s_add_u32 s35, s37, s35
	s_mul_hi_u32 s38, s25, s34
	s_addc_u32 s35, s36, s39
	s_addc_u32 s36, s38, 0
	s_mul_i32 s34, s25, s34
	s_add_u32 s34, s35, s34
	s_addc_u32 s35, 0, s36
	s_mul_i32 s35, s6, s35
	s_mul_hi_u32 s36, s6, s34
	s_add_i32 s35, s36, s35
	s_mul_i32 s36, s7, s34
	s_add_i32 s38, s35, s36
	s_sub_i32 s36, s25, s38
	s_mul_i32 s34, s6, s34
	s_sub_u32 s24, s24, s34
	s_cselect_b64 s[34:35], -1, 0
	s_cmp_lg_u64 s[34:35], 0
	s_subb_u32 s39, s36, s7
	s_sub_u32 s40, s24, s6
	s_cselect_b64 s[36:37], -1, 0
	s_cmp_lg_u64 s[36:37], 0
	s_subb_u32 s41, s39, 0
	s_cmp_ge_u32 s41, s7
	s_cselect_b32 s42, -1, 0
	s_cmp_ge_u32 s40, s6
	s_cselect_b32 s43, -1, 0
	s_cmp_eq_u32 s41, s7
	s_cselect_b32 s42, s43, s42
	s_cmp_lg_u64 s[36:37], 0
	s_subb_u32 s39, s39, s7
	s_sub_u32 s43, s40, s6
	s_cselect_b64 s[36:37], -1, 0
	s_cmp_lg_u64 s[36:37], 0
	s_subb_u32 s36, s39, 0
	s_cmp_lg_u32 s42, 0
	s_cselect_b32 s37, s43, s40
	s_cselect_b32 s36, s36, s41
	s_cmp_lg_u64 s[34:35], 0
	s_subb_u32 s25, s25, s38
	s_cmp_ge_u32 s25, s7
	s_cselect_b32 s34, -1, 0
	s_cmp_ge_u32 s24, s6
	s_cselect_b32 s6, -1, 0
	s_cmp_eq_u32 s25, s7
	s_cselect_b32 s6, s6, s34
	s_cmp_lg_u32 s6, 0
	s_cselect_b32 s7, s36, s25
	s_cselect_b32 s6, s37, s24
	s_xor_b64 s[6:7], s[6:7], s[8:9]
	s_sub_u32 s6, s6, s8
	s_subb_u32 s7, s7, s8
	s_cbranch_execnz .LBB52_134
.LBB52_133:                             ;   in Loop: Header=BB52_7 Depth=1
	v_cvt_f32_u32_e32 v4, s74
	s_sub_i32 s6, 0, s74
	v_rcp_iflag_f32_e32 v4, v4
	s_nop 0
	v_mul_f32_e32 v4, 0x4f7ffffe, v4
	v_cvt_u32_f32_e32 v4, v4
	s_nop 0
	v_readfirstlane_b32 s7, v4
	s_mul_i32 s6, s6, s7
	s_mul_hi_u32 s6, s7, s6
	s_add_i32 s7, s7, s6
	s_mul_hi_u32 s6, s87, s7
	s_mul_i32 s6, s6, s74
	s_sub_i32 s6, s87, s6
	s_sub_i32 s7, s6, s74
	s_cmp_ge_u32 s6, s74
	s_cselect_b32 s6, s7, s6
	s_sub_i32 s7, s6, s74
	s_cmp_ge_u32 s6, s74
	s_cselect_b32 s80, s7, s6
	s_mov_b64 s[6:7], s[80:81]
.LBB52_134:                             ;   in Loop: Header=BB52_7 Depth=1
	s_sub_u32 s34, s87, s6
	s_subb_u32 s35, s95, s7
	v_cmp_gt_i64_e32 vcc, s[34:35], v[0:1]
	s_mov_b64 s[8:9], 0
	s_mov_b64 s[6:7], 0
                                        ; implicit-def: $vgpr35
	s_and_saveexec_b64 s[24:25], vcc
	s_cbranch_execz .LBB52_146
; %bb.135:                              ;   in Loop: Header=BB52_7 Depth=1
	v_mov_b64_e32 v[4:5], v[12:13]
	v_mov_b64_e32 v[10:11], v[0:1]
                                        ; implicit-def: $sgpr36_sgpr37
	s_branch .LBB52_139
.LBB52_136:                             ;   in Loop: Header=BB52_139 Depth=2
	s_or_b64 exec, exec, s[38:39]
	s_waitcnt lgkmcnt(0)
	s_barrier
	ds_read_b64 v[34:35], v3 offset:3072
	s_waitcnt lgkmcnt(0)
	s_barrier
	v_cmp_neq_f32_e32 vcc, 0, v34
	s_cbranch_vccnz .LBB52_142
; %bb.137:                              ;   in Loop: Header=BB52_139 Depth=2
	v_lshl_add_u64 v[10:11], v[10:11], 0, s[74:75]
	v_cmp_le_i64_e32 vcc, s[34:35], v[10:11]
	v_lshl_add_u64 v[4:5], v[4:5], 0, s[76:77]
	s_mov_b64 s[38:39], 0
	s_orn2_b64 s[40:41], vcc, exec
.LBB52_138:                             ;   in Loop: Header=BB52_139 Depth=2
	s_and_b64 s[40:41], exec, s[40:41]
	s_or_b64 s[6:7], s[40:41], s[6:7]
	s_andn2_b64 s[36:37], s[36:37], exec
	s_and_b64 s[38:39], s[38:39], exec
	s_or_b64 s[36:37], s[36:37], s[38:39]
	s_andn2_b64 exec, exec, s[6:7]
	s_cbranch_execz .LBB52_145
.LBB52_139:                             ;   Parent Loop BB52_7 Depth=1
                                        ; =>  This Inner Loop Header: Depth=2
	v_cmp_gt_i64_e32 vcc, s[60:61], v[10:11]
	s_and_saveexec_b64 s[38:39], vcc
	s_cbranch_execz .LBB52_136
; %bb.140:                              ;   in Loop: Header=BB52_139 Depth=2
	global_load_dword v33, v[4:5], off
	s_waitcnt vmcnt(0)
	v_cmp_lt_i32_e32 vcc, -1, v33
	s_nop 1
	v_cndmask_b32_e32 v34, -1, v49, vcc
	v_xor_b32_e32 v34, v34, v33
	v_cmp_o_f32_e32 vcc, v33, v33
	s_nop 1
	v_cndmask_b32_e32 v34, -1, v34, vcc
	v_and_b32_e32 v34, v34, v50
	v_cmp_eq_u32_e32 vcc, v34, v47
	s_and_b64 exec, exec, vcc
	s_cbranch_execz .LBB52_136
; %bb.141:                              ;   in Loop: Header=BB52_139 Depth=2
	ds_write_b64 v3, v[32:33] offset:3072
	s_branch .LBB52_136
.LBB52_142:                             ;   in Loop: Header=BB52_139 Depth=2
	s_mov_b64 s[40:41], -1
                                        ; implicit-def: $vgpr10_vgpr11
                                        ; implicit-def: $vgpr4_vgpr5
	s_mov_b64 s[38:39], -1
	s_branch .LBB52_138
.LBB52_143:                             ;   in Loop: Header=BB52_7 Depth=1
                                        ; implicit-def: $sgpr20_sgpr21
	s_andn2_b64 vcc, exec, s[22:23]
	s_cbranch_vccz .LBB52_88
	s_branch .LBB52_89
.LBB52_144:                             ;   in Loop: Header=BB52_7 Depth=1
                                        ; implicit-def: $sgpr8_sgpr9
	s_branch .LBB52_103
.LBB52_145:                             ;   in Loop: Header=BB52_7 Depth=1
	s_or_b64 exec, exec, s[6:7]
	s_and_b64 s[6:7], s[36:37], exec
.LBB52_146:                             ;   in Loop: Header=BB52_7 Depth=1
	s_or_b64 exec, exec, s[24:25]
.LBB52_147:                             ;   in Loop: Header=BB52_7 Depth=1
	s_and_b64 vcc, exec, s[8:9]
	s_cbranch_vccz .LBB52_162
; %bb.148:                              ;   in Loop: Header=BB52_7 Depth=1
	v_readlane_b32 s2, v62, 22
	s_add_u32 s28, s30, s2
	v_readlane_b32 s2, v62, 23
	s_addc_u32 s3, s31, s2
	s_mov_b32 s2, s81
	s_cmp_lg_u64 s[2:3], 0
	s_cbranch_scc0 .LBB52_192
; %bb.149:                              ;   in Loop: Header=BB52_7 Depth=1
	s_add_u32 s8, s74, 0
	s_addc_u32 s9, 0, 0
	s_xor_b64 s[8:9], s[8:9], 0
	v_cvt_f32_u32_e32 v4, s8
	v_cvt_f32_u32_e32 v5, s9
	s_sub_u32 s2, 0, s8
	s_subb_u32 s29, 0, s9
	v_fmac_f32_e32 v4, 0x4f800000, v5
	v_rcp_f32_e32 v4, v4
	s_nop 0
	v_mul_f32_e32 v4, 0x5f7ffffc, v4
	v_mul_f32_e32 v5, 0x2f800000, v4
	v_trunc_f32_e32 v5, v5
	v_fmac_f32_e32 v4, 0xcf800000, v5
	v_cvt_u32_f32_e32 v5, v5
	v_cvt_u32_f32_e32 v4, v4
	v_readfirstlane_b32 s34, v5
	v_readfirstlane_b32 s24, v4
	s_mul_i32 s25, s2, s34
	s_mul_hi_u32 s36, s2, s24
	s_mul_i32 s35, s29, s24
	s_add_i32 s25, s36, s25
	s_mul_i32 s37, s2, s24
	s_add_i32 s25, s25, s35
	s_mul_i32 s36, s24, s25
	s_mul_hi_u32 s38, s24, s37
	s_mul_hi_u32 s35, s24, s25
	s_add_u32 s36, s38, s36
	s_addc_u32 s35, 0, s35
	s_mul_hi_u32 s39, s34, s37
	s_mul_i32 s37, s34, s37
	s_add_u32 s36, s36, s37
	s_mul_hi_u32 s38, s34, s25
	s_addc_u32 s35, s35, s39
	s_addc_u32 s36, s38, 0
	s_mul_i32 s25, s34, s25
	s_add_u32 s25, s35, s25
	s_addc_u32 s35, 0, s36
	s_add_u32 s36, s24, s25
	s_cselect_b64 s[24:25], -1, 0
	s_cmp_lg_u64 s[24:25], 0
	s_addc_u32 s34, s34, s35
	s_mul_i32 s24, s2, s34
	s_mul_hi_u32 s25, s2, s36
	s_add_i32 s24, s25, s24
	s_mul_i32 s29, s29, s36
	s_add_i32 s24, s24, s29
	s_mul_i32 s2, s2, s36
	s_mul_hi_u32 s29, s34, s2
	s_mul_i32 s35, s34, s2
	s_mul_i32 s38, s36, s24
	s_mul_hi_u32 s2, s36, s2
	s_mul_hi_u32 s37, s36, s24
	s_add_u32 s2, s2, s38
	s_addc_u32 s37, 0, s37
	s_add_u32 s2, s2, s35
	s_mul_hi_u32 s25, s34, s24
	s_addc_u32 s2, s37, s29
	s_addc_u32 s25, s25, 0
	s_mul_i32 s24, s34, s24
	s_add_u32 s2, s2, s24
	s_addc_u32 s29, 0, s25
	s_add_u32 s2, s36, s2
	s_cselect_b64 s[24:25], -1, 0
	s_cmp_lg_u64 s[24:25], 0
	s_addc_u32 s29, s34, s29
	s_ashr_i32 s24, s3, 31
	s_add_u32 s34, s28, s24
	s_mov_b32 s25, s24
	s_addc_u32 s35, s3, s24
	s_xor_b64 s[34:35], s[34:35], s[24:25]
	s_mul_i32 s37, s34, s29
	s_mul_hi_u32 s38, s34, s2
	s_mul_hi_u32 s36, s34, s29
	s_add_u32 s37, s38, s37
	s_addc_u32 s36, 0, s36
	s_mul_hi_u32 s39, s35, s2
	s_mul_i32 s2, s35, s2
	s_add_u32 s2, s37, s2
	s_mul_hi_u32 s38, s35, s29
	s_addc_u32 s2, s36, s39
	s_addc_u32 s36, s38, 0
	s_mul_i32 s29, s35, s29
	s_add_u32 s2, s2, s29
	s_addc_u32 s29, 0, s36
	s_mul_i32 s29, s8, s29
	s_mul_hi_u32 s36, s8, s2
	s_add_i32 s29, s36, s29
	s_mul_i32 s36, s9, s2
	s_add_i32 s29, s29, s36
	s_sub_i32 s38, s35, s29
	s_mul_i32 s2, s8, s2
	s_sub_u32 s2, s34, s2
	s_cselect_b64 s[36:37], -1, 0
	s_cmp_lg_u64 s[36:37], 0
	s_subb_u32 s34, s38, s9
	s_sub_u32 s40, s2, s8
	s_cselect_b64 s[38:39], -1, 0
	s_cmp_lg_u64 s[38:39], 0
	s_subb_u32 s41, s34, 0
	s_cmp_ge_u32 s41, s9
	s_cselect_b32 s42, -1, 0
	s_cmp_ge_u32 s40, s8
	s_cselect_b32 s43, -1, 0
	s_cmp_eq_u32 s41, s9
	s_cselect_b32 s42, s43, s42
	s_cmp_lg_u64 s[38:39], 0
	s_subb_u32 s34, s34, s9
	s_sub_u32 s43, s40, s8
	s_cselect_b64 s[38:39], -1, 0
	s_cmp_lg_u64 s[38:39], 0
	s_subb_u32 s34, s34, 0
	s_cmp_lg_u32 s42, 0
	s_cselect_b32 s38, s43, s40
	s_cselect_b32 s34, s34, s41
	s_cmp_lg_u64 s[36:37], 0
	s_subb_u32 s29, s35, s29
	s_cmp_ge_u32 s29, s9
	s_cselect_b32 s35, -1, 0
	s_cmp_ge_u32 s2, s8
	s_cselect_b32 s8, -1, 0
	s_cmp_eq_u32 s29, s9
	s_cselect_b32 s8, s8, s35
	s_cmp_lg_u32 s8, 0
	s_cselect_b32 s9, s34, s29
	s_cselect_b32 s8, s38, s2
	s_xor_b64 s[8:9], s[8:9], s[24:25]
	s_sub_u32 s8, s8, s24
	s_subb_u32 s9, s9, s24
	s_cbranch_execnz .LBB52_151
.LBB52_150:                             ;   in Loop: Header=BB52_7 Depth=1
	v_cvt_f32_u32_e32 v4, s74
	s_sub_i32 s2, 0, s74
	v_rcp_iflag_f32_e32 v4, v4
	s_nop 0
	v_mul_f32_e32 v4, 0x4f7ffffe, v4
	v_cvt_u32_f32_e32 v4, v4
	s_nop 0
	v_readfirstlane_b32 s8, v4
	s_mul_i32 s2, s2, s8
	s_mul_hi_u32 s2, s8, s2
	s_add_i32 s8, s8, s2
	s_mul_hi_u32 s2, s28, s8
	s_mul_i32 s2, s2, s74
	s_sub_i32 s2, s28, s2
	s_sub_i32 s8, s2, s74
	s_cmp_ge_u32 s2, s74
	s_cselect_b32 s2, s8, s2
	s_sub_i32 s8, s2, s74
	s_cmp_ge_u32 s2, s74
	s_cselect_b32 s80, s8, s2
	s_mov_b64 s[8:9], s[80:81]
.LBB52_151:                             ;   in Loop: Header=BB52_7 Depth=1
	s_sub_u32 s8, s28, s8
	s_subb_u32 s9, s3, s9
	v_cmp_gt_i64_e32 vcc, s[8:9], v[0:1]
                                        ; implicit-def: $vgpr35
	s_and_saveexec_b64 s[2:3], vcc
	s_cbranch_execz .LBB52_161
; %bb.152:                              ;   in Loop: Header=BB52_7 Depth=1
	s_mov_b64 s[24:25], 0
	v_mov_b32_e32 v10, v14
	v_mov_b64_e32 v[4:5], v[0:1]
                                        ; implicit-def: $sgpr28_sgpr29
	s_branch .LBB52_156
.LBB52_153:                             ;   in Loop: Header=BB52_156 Depth=2
	s_or_b64 exec, exec, s[34:35]
	s_waitcnt lgkmcnt(0)
	s_barrier
	ds_read_b64 v[34:35], v3 offset:3072
	s_waitcnt lgkmcnt(0)
	s_barrier
	v_cmp_eq_f32_e32 vcc, 0, v34
	s_cbranch_vccz .LBB52_159
; %bb.154:                              ;   in Loop: Header=BB52_156 Depth=2
	v_lshl_add_u64 v[4:5], v[4:5], 0, s[74:75]
	v_cmp_le_i64_e32 vcc, s[8:9], v[4:5]
	v_add_u32_e32 v10, s89, v10
	s_mov_b64 s[34:35], 0
	s_orn2_b64 s[36:37], vcc, exec
.LBB52_155:                             ;   in Loop: Header=BB52_156 Depth=2
	s_and_b64 s[36:37], exec, s[36:37]
	s_or_b64 s[24:25], s[36:37], s[24:25]
	s_andn2_b64 s[28:29], s[28:29], exec
	s_and_b64 s[34:35], s[34:35], exec
	s_or_b64 s[28:29], s[28:29], s[34:35]
	s_andn2_b64 exec, exec, s[24:25]
	s_cbranch_execz .LBB52_160
.LBB52_156:                             ;   Parent Loop BB52_7 Depth=1
                                        ; =>  This Inner Loop Header: Depth=2
	v_cmp_gt_u64_e32 vcc, s[30:31], v[4:5]
	s_and_saveexec_b64 s[34:35], vcc
	s_cbranch_execz .LBB52_153
; %bb.157:                              ;   in Loop: Header=BB52_156 Depth=2
	ds_read_b32 v33, v10
	s_waitcnt lgkmcnt(0)
	v_cmp_lt_i32_e32 vcc, -1, v33
	s_nop 1
	v_cndmask_b32_e32 v11, -1, v49, vcc
	v_xor_b32_e32 v11, v11, v33
	v_cmp_o_f32_e32 vcc, v33, v33
	s_nop 1
	v_cndmask_b32_e32 v11, -1, v11, vcc
	v_and_b32_e32 v11, v11, v50
	v_cmp_eq_u32_e32 vcc, v11, v47
	s_and_b64 exec, exec, vcc
	s_cbranch_execz .LBB52_153
; %bb.158:                              ;   in Loop: Header=BB52_156 Depth=2
	ds_write_b64 v3, v[32:33] offset:3072
	s_branch .LBB52_153
.LBB52_159:                             ;   in Loop: Header=BB52_156 Depth=2
	s_mov_b64 s[36:37], -1
                                        ; implicit-def: $vgpr4_vgpr5
                                        ; implicit-def: $vgpr10
	s_mov_b64 s[34:35], -1
	s_branch .LBB52_155
.LBB52_160:                             ;   in Loop: Header=BB52_7 Depth=1
	s_or_b64 exec, exec, s[24:25]
	s_andn2_b64 s[6:7], s[6:7], exec
	s_and_b64 s[8:9], s[28:29], exec
	s_or_b64 s[6:7], s[6:7], s[8:9]
.LBB52_161:                             ;   in Loop: Header=BB52_7 Depth=1
	s_or_b64 exec, exec, s[2:3]
	s_mov_b64 s[2:3], 0
	s_mov_b64 s[28:29], -1
.LBB52_162:                             ;   in Loop: Header=BB52_7 Depth=1
	s_orn2_b64 s[6:7], s[6:7], exec
.LBB52_163:                             ;   in Loop: Header=BB52_7 Depth=1
	s_or_b64 exec, exec, s[12:13]
	s_mov_b64 s[8:9], 0
	s_and_saveexec_b64 s[30:31], s[6:7]
	s_cbranch_execz .LBB52_273
; %bb.164:                              ;   in Loop: Header=BB52_7 Depth=1
	s_xor_b64 s[10:11], s[10:11], -1
	v_mov_b32_e32 v2, 1
	v_mov_b64_e32 v[4:5], 1
	s_and_saveexec_b64 s[6:7], s[10:11]
	s_cbranch_execz .LBB52_174
; %bb.165:                              ;   in Loop: Header=BB52_7 Depth=1
	v_cmp_le_i64_e32 vcc, v[8:9], v[6:7]
	s_and_saveexec_b64 s[8:9], vcc
	s_xor_b64 s[8:9], exec, s[8:9]
	s_cbranch_execz .LBB52_171
; %bb.166:                              ;   in Loop: Header=BB52_7 Depth=1
	ds_read_b64 v[4:5], v3 offset:5120
	v_and_b32_e32 v2, s50, v47
	v_lshl_or_b32 v47, 1, s86, v2
	v_or_b32_e32 v50, s56, v50
	s_waitcnt lgkmcnt(0)
	v_cmp_ne_u64_e32 vcc, 0, v[4:5]
	s_cbranch_vccnz .LBB52_170
; %bb.167:                              ;   in Loop: Header=BB52_7 Depth=1
	s_mov_b64 s[10:11], exec
	v_readlane_b32 s12, v62, 8
	v_readlane_b32 s13, v62, 9
	s_and_b64 s[12:13], s[10:11], s[12:13]
	s_mov_b64 exec, s[12:13]
; %bb.168:                              ;   in Loop: Header=BB52_7 Depth=1
	ds_write_b64 v3, v[6:7] offset:5128
; %bb.169:                              ;   in Loop: Header=BB52_7 Depth=1
	s_or_b64 exec, exec, s[10:11]
	s_waitcnt lgkmcnt(0)
	s_barrier
.LBB52_170:                             ;   in Loop: Header=BB52_7 Depth=1
                                        ; implicit-def: $vgpr4_vgpr5_vgpr6_vgpr7
.LBB52_171:                             ;   in Loop: Header=BB52_7 Depth=1
	s_or_saveexec_b64 s[8:9], s[8:9]
	s_mov_b64 s[10:11], 0
	v_mov_b32_e32 v2, 8
	s_xor_b64 exec, exec, s[8:9]
; %bb.172:                              ;   in Loop: Header=BB52_7 Depth=1
	v_sub_co_u32_e32 v8, vcc, v8, v6
	s_mov_b64 s[10:11], exec
	s_nop 0
	v_subb_co_u32_e32 v9, vcc, v9, v7, vcc
	v_mov_b32_e32 v2, 0
; %bb.173:                              ;   in Loop: Header=BB52_7 Depth=1
	s_or_b64 exec, exec, s[8:9]
	s_and_b64 s[8:9], s[10:11], exec
	v_mov_b64_e32 v[4:5], v[8:9]
.LBB52_174:                             ;   in Loop: Header=BB52_7 Depth=1
	s_or_b64 exec, exec, s[6:7]
	s_mov_b64 s[6:7], -1
                                        ; implicit-def: $sgpr34_sgpr35
                                        ; implicit-def: $sgpr36_sgpr37
	s_and_saveexec_b64 s[12:13], s[8:9]
	s_cbranch_execz .LBB52_272
; %bb.175:                              ;   in Loop: Header=BB52_7 Depth=1
	s_cmp_eq_u64 s[26:27], 1
	s_cselect_b64 s[6:7], -1, 0
	v_cmp_eq_u64_e32 vcc, 1, v[4:5]
	s_and_b64 s[10:11], s[6:7], vcc
	s_mov_b64 s[6:7], -1
                                        ; implicit-def: $sgpr36_sgpr37
                                        ; implicit-def: $sgpr34_sgpr35
	s_and_saveexec_b64 s[38:39], s[10:11]
	s_cbranch_execz .LBB52_211
; %bb.176:                              ;   in Loop: Header=BB52_7 Depth=1
	ds_read_b64 v[6:7], v3 offset:5120
	s_waitcnt lgkmcnt(0)
	s_barrier
	v_readfirstlane_b32 s40, v6
	v_readfirstlane_b32 s41, v7
	s_mov_b64 s[6:7], exec
	v_readlane_b32 s8, v62, 12
	v_readlane_b32 s9, v62, 13
	s_and_b64 s[8:9], s[6:7], s[8:9]
	s_mov_b64 exec, s[8:9]
; %bb.177:                              ;   in Loop: Header=BB52_7 Depth=1
	ds_write_b32 v43, v3
; %bb.178:                              ;   in Loop: Header=BB52_7 Depth=1
	s_or_b64 exec, exec, s[6:7]
	v_and_b32_e32 v6, s50, v47
	v_cmp_gt_i64_e64 s[6:7], s[40:41], 0
	v_lshl_or_b32 v47, 2, s86, v6
	v_or_b32_e32 v50, s56, v50
	s_mov_b64 s[34:35], -1
	s_mov_b64 s[36:37], 0
	s_and_b64 vcc, exec, s[6:7]
	s_mov_b64 s[6:7], 0
	s_mov_b64 s[8:9], -1
	s_waitcnt lgkmcnt(0)
	s_barrier
                                        ; implicit-def: $vgpr35
	s_cbranch_vccnz .LBB52_195
; %bb.179:                              ;   in Loop: Header=BB52_7 Depth=1
	s_mov_b32 s94, s81
	s_cmp_lg_u64 s[94:95], 0
	s_cbranch_scc0 .LBB52_238
; %bb.180:                              ;   in Loop: Header=BB52_7 Depth=1
	s_add_u32 s6, s74, 0
	s_addc_u32 s7, 0, 0
	s_xor_b64 s[6:7], s[6:7], 0
	v_cvt_f32_u32_e32 v6, s6
	v_cvt_f32_u32_e32 v7, s7
	s_sub_u32 s24, 0, s6
	s_subb_u32 s25, 0, s7
	v_fmac_f32_e32 v6, 0x4f800000, v7
	v_rcp_f32_e32 v6, v6
	s_nop 0
	v_mul_f32_e32 v6, 0x5f7ffffc, v6
	v_mul_f32_e32 v7, 0x2f800000, v6
	v_trunc_f32_e32 v7, v7
	v_fmac_f32_e32 v6, 0xcf800000, v7
	v_cvt_u32_f32_e32 v7, v7
	v_cvt_u32_f32_e32 v6, v6
	v_readfirstlane_b32 s42, v7
	v_readfirstlane_b32 s8, v6
	s_mul_i32 s9, s24, s42
	s_mul_hi_u32 s44, s24, s8
	s_mul_i32 s43, s25, s8
	s_add_i32 s9, s44, s9
	s_mul_i32 s45, s24, s8
	s_add_i32 s9, s9, s43
	s_mul_i32 s44, s8, s9
	s_mul_hi_u32 s46, s8, s45
	s_mul_hi_u32 s43, s8, s9
	s_add_u32 s44, s46, s44
	s_addc_u32 s43, 0, s43
	s_mul_hi_u32 s47, s42, s45
	s_mul_i32 s45, s42, s45
	s_add_u32 s44, s44, s45
	s_mul_hi_u32 s46, s42, s9
	s_addc_u32 s43, s43, s47
	s_addc_u32 s44, s46, 0
	s_mul_i32 s9, s42, s9
	s_add_u32 s9, s43, s9
	s_addc_u32 s43, 0, s44
	s_add_u32 s44, s8, s9
	s_cselect_b64 s[8:9], -1, 0
	s_cmp_lg_u64 s[8:9], 0
	s_addc_u32 s42, s42, s43
	s_mul_i32 s8, s24, s42
	s_mul_hi_u32 s9, s24, s44
	s_add_i32 s8, s9, s8
	s_mul_i32 s25, s25, s44
	s_add_i32 s8, s8, s25
	s_mul_i32 s24, s24, s44
	s_mul_hi_u32 s25, s42, s24
	s_mul_i32 s43, s42, s24
	s_mul_i32 s46, s44, s8
	s_mul_hi_u32 s24, s44, s24
	s_mul_hi_u32 s45, s44, s8
	s_add_u32 s24, s24, s46
	s_addc_u32 s45, 0, s45
	s_add_u32 s24, s24, s43
	s_mul_hi_u32 s9, s42, s8
	s_addc_u32 s24, s45, s25
	s_addc_u32 s9, s9, 0
	s_mul_i32 s8, s42, s8
	s_add_u32 s8, s24, s8
	s_addc_u32 s24, 0, s9
	s_add_u32 s43, s44, s8
	s_cselect_b64 s[8:9], -1, 0
	s_cmp_lg_u64 s[8:9], 0
	s_addc_u32 s42, s42, s24
	s_ashr_i32 s8, s95, 31
	s_add_u32 s24, s87, s8
	s_mov_b32 s9, s8
	s_addc_u32 s25, s95, s8
	s_xor_b64 s[24:25], s[24:25], s[8:9]
	s_mul_i32 s45, s24, s42
	s_mul_hi_u32 s46, s24, s43
	s_mul_hi_u32 s44, s24, s42
	s_add_u32 s45, s46, s45
	s_addc_u32 s44, 0, s44
	s_mul_hi_u32 s47, s25, s43
	s_mul_i32 s43, s25, s43
	s_add_u32 s43, s45, s43
	s_mul_hi_u32 s46, s25, s42
	s_addc_u32 s43, s44, s47
	s_addc_u32 s44, s46, 0
	s_mul_i32 s42, s25, s42
	s_add_u32 s42, s43, s42
	s_addc_u32 s43, 0, s44
	s_mul_i32 s43, s6, s43
	s_mul_hi_u32 s44, s6, s42
	s_add_i32 s43, s44, s43
	s_mul_i32 s44, s7, s42
	s_add_i32 s46, s43, s44
	s_sub_i32 s44, s25, s46
	s_mul_i32 s42, s6, s42
	s_sub_u32 s24, s24, s42
	s_cselect_b64 s[42:43], -1, 0
	s_cmp_lg_u64 s[42:43], 0
	s_subb_u32 s47, s44, s7
	s_sub_u32 s48, s24, s6
	s_cselect_b64 s[44:45], -1, 0
	s_cmp_lg_u64 s[44:45], 0
	s_subb_u32 s49, s47, 0
	s_cmp_ge_u32 s49, s7
	s_cselect_b32 s51, -1, 0
	s_cmp_ge_u32 s48, s6
	s_cselect_b32 s52, -1, 0
	s_cmp_eq_u32 s49, s7
	s_cselect_b32 s51, s52, s51
	s_cmp_lg_u64 s[44:45], 0
	s_subb_u32 s47, s47, s7
	s_sub_u32 s52, s48, s6
	s_cselect_b64 s[44:45], -1, 0
	s_cmp_lg_u64 s[44:45], 0
	s_subb_u32 s44, s47, 0
	s_cmp_lg_u32 s51, 0
	s_cselect_b32 s45, s52, s48
	s_cselect_b32 s44, s44, s49
	s_cmp_lg_u64 s[42:43], 0
	s_subb_u32 s25, s25, s46
	s_cmp_ge_u32 s25, s7
	s_cselect_b32 s42, -1, 0
	s_cmp_ge_u32 s24, s6
	s_cselect_b32 s6, -1, 0
	s_cmp_eq_u32 s25, s7
	s_cselect_b32 s6, s6, s42
	s_cmp_lg_u32 s6, 0
	s_cselect_b32 s7, s44, s25
	s_cselect_b32 s6, s45, s24
	s_xor_b64 s[6:7], s[6:7], s[8:9]
	s_sub_u32 s6, s6, s8
	s_subb_u32 s7, s7, s8
	s_cbranch_execnz .LBB52_182
.LBB52_181:                             ;   in Loop: Header=BB52_7 Depth=1
	v_cvt_f32_u32_e32 v6, s74
	s_sub_i32 s6, 0, s74
	v_rcp_iflag_f32_e32 v6, v6
	s_nop 0
	v_mul_f32_e32 v6, 0x4f7ffffe, v6
	v_cvt_u32_f32_e32 v6, v6
	s_nop 0
	v_readfirstlane_b32 s7, v6
	s_mul_i32 s6, s6, s7
	s_mul_hi_u32 s6, s7, s6
	s_add_i32 s7, s7, s6
	s_mul_hi_u32 s6, s87, s7
	s_mul_i32 s6, s6, s74
	s_sub_i32 s6, s87, s6
	s_sub_i32 s7, s6, s74
	s_cmp_ge_u32 s6, s74
	s_cselect_b32 s6, s7, s6
	s_sub_i32 s7, s6, s74
	s_cmp_ge_u32 s6, s74
	s_cselect_b32 s80, s7, s6
	s_mov_b64 s[6:7], s[80:81]
.LBB52_182:                             ;   in Loop: Header=BB52_7 Depth=1
	s_sub_u32 s42, s87, s6
	s_subb_u32 s43, s95, s7
	v_cmp_gt_i64_e32 vcc, s[42:43], v[0:1]
	s_mov_b64 s[8:9], 0
	s_mov_b64 s[6:7], 0
                                        ; implicit-def: $vgpr35
	s_and_saveexec_b64 s[24:25], vcc
	s_cbranch_execz .LBB52_194
; %bb.183:                              ;   in Loop: Header=BB52_7 Depth=1
	v_mov_b64_e32 v[6:7], v[12:13]
	v_mov_b64_e32 v[8:9], v[0:1]
                                        ; implicit-def: $sgpr44_sgpr45
	s_branch .LBB52_187
.LBB52_184:                             ;   in Loop: Header=BB52_187 Depth=2
	s_or_b64 exec, exec, s[46:47]
	s_waitcnt lgkmcnt(0)
	s_barrier
	ds_read_b64 v[34:35], v3 offset:3072
	s_waitcnt lgkmcnt(0)
	s_barrier
	v_cmp_neq_f32_e32 vcc, 0, v34
	s_cbranch_vccnz .LBB52_190
; %bb.185:                              ;   in Loop: Header=BB52_187 Depth=2
	v_lshl_add_u64 v[8:9], v[8:9], 0, s[74:75]
	v_cmp_le_i64_e32 vcc, s[42:43], v[8:9]
	v_lshl_add_u64 v[6:7], v[6:7], 0, s[76:77]
	s_mov_b64 s[46:47], 0
	s_orn2_b64 s[48:49], vcc, exec
.LBB52_186:                             ;   in Loop: Header=BB52_187 Depth=2
	s_and_b64 s[48:49], exec, s[48:49]
	s_or_b64 s[6:7], s[48:49], s[6:7]
	s_andn2_b64 s[44:45], s[44:45], exec
	s_and_b64 s[46:47], s[46:47], exec
	s_or_b64 s[44:45], s[44:45], s[46:47]
	s_andn2_b64 exec, exec, s[6:7]
	s_cbranch_execz .LBB52_193
.LBB52_187:                             ;   Parent Loop BB52_7 Depth=1
                                        ; =>  This Inner Loop Header: Depth=2
	v_cmp_gt_i64_e32 vcc, s[60:61], v[8:9]
	s_and_saveexec_b64 s[46:47], vcc
	s_cbranch_execz .LBB52_184
; %bb.188:                              ;   in Loop: Header=BB52_187 Depth=2
	global_load_dword v33, v[6:7], off
	s_waitcnt vmcnt(0)
	v_cmp_lt_i32_e32 vcc, -1, v33
	s_nop 1
	v_cndmask_b32_e32 v10, -1, v49, vcc
	v_xor_b32_e32 v10, v10, v33
	v_cmp_o_f32_e32 vcc, v33, v33
	s_nop 1
	v_cndmask_b32_e32 v10, -1, v10, vcc
	v_and_b32_e32 v10, v10, v50
	v_cmp_eq_u32_e32 vcc, v10, v47
	s_and_b64 exec, exec, vcc
	s_cbranch_execz .LBB52_184
; %bb.189:                              ;   in Loop: Header=BB52_187 Depth=2
	ds_write_b64 v3, v[32:33] offset:3072
	s_branch .LBB52_184
.LBB52_190:                             ;   in Loop: Header=BB52_187 Depth=2
	s_mov_b64 s[48:49], -1
                                        ; implicit-def: $vgpr8_vgpr9
                                        ; implicit-def: $vgpr6_vgpr7
	s_mov_b64 s[46:47], -1
	s_branch .LBB52_186
.LBB52_191:                             ;   in Loop: Header=BB52_7 Depth=1
                                        ; implicit-def: $sgpr6_sgpr7
	s_andn2_b64 vcc, exec, s[8:9]
	s_cbranch_vccz .LBB52_133
	s_branch .LBB52_134
.LBB52_192:                             ;   in Loop: Header=BB52_7 Depth=1
                                        ; implicit-def: $sgpr8_sgpr9
	s_branch .LBB52_150
.LBB52_193:                             ;   in Loop: Header=BB52_7 Depth=1
	s_or_b64 exec, exec, s[6:7]
	s_and_b64 s[6:7], s[44:45], exec
.LBB52_194:                             ;   in Loop: Header=BB52_7 Depth=1
	s_or_b64 exec, exec, s[24:25]
.LBB52_195:                             ;   in Loop: Header=BB52_7 Depth=1
	s_and_b64 vcc, exec, s[8:9]
	s_cbranch_vccz .LBB52_210
; %bb.196:                              ;   in Loop: Header=BB52_7 Depth=1
	v_readlane_b32 s8, v62, 22
	s_add_u32 s36, s40, s8
	v_readlane_b32 s8, v62, 23
	s_addc_u32 s9, s41, s8
	s_mov_b32 s8, s81
	s_cmp_lg_u64 s[8:9], 0
	s_cbranch_scc0 .LBB52_239
; %bb.197:                              ;   in Loop: Header=BB52_7 Depth=1
	s_add_u32 s24, s74, 0
	s_addc_u32 s25, 0, 0
	s_xor_b64 s[24:25], s[24:25], 0
	v_cvt_f32_u32_e32 v6, s24
	v_cvt_f32_u32_e32 v7, s25
	s_sub_u32 s8, 0, s24
	s_subb_u32 s37, 0, s25
	v_fmac_f32_e32 v6, 0x4f800000, v7
	v_rcp_f32_e32 v6, v6
	s_nop 0
	v_mul_f32_e32 v6, 0x5f7ffffc, v6
	v_mul_f32_e32 v7, 0x2f800000, v6
	v_trunc_f32_e32 v7, v7
	v_fmac_f32_e32 v6, 0xcf800000, v7
	v_cvt_u32_f32_e32 v7, v7
	v_cvt_u32_f32_e32 v6, v6
	v_readfirstlane_b32 s42, v7
	v_readfirstlane_b32 s34, v6
	s_mul_i32 s35, s8, s42
	s_mul_hi_u32 s44, s8, s34
	s_mul_i32 s43, s37, s34
	s_add_i32 s35, s44, s35
	s_mul_i32 s45, s8, s34
	s_add_i32 s35, s35, s43
	s_mul_i32 s44, s34, s35
	s_mul_hi_u32 s46, s34, s45
	s_mul_hi_u32 s43, s34, s35
	s_add_u32 s44, s46, s44
	s_addc_u32 s43, 0, s43
	s_mul_hi_u32 s47, s42, s45
	s_mul_i32 s45, s42, s45
	s_add_u32 s44, s44, s45
	s_mul_hi_u32 s46, s42, s35
	s_addc_u32 s43, s43, s47
	s_addc_u32 s44, s46, 0
	s_mul_i32 s35, s42, s35
	s_add_u32 s35, s43, s35
	s_addc_u32 s43, 0, s44
	s_add_u32 s44, s34, s35
	s_cselect_b64 s[34:35], -1, 0
	s_cmp_lg_u64 s[34:35], 0
	s_addc_u32 s42, s42, s43
	s_mul_i32 s34, s8, s42
	s_mul_hi_u32 s35, s8, s44
	s_add_i32 s34, s35, s34
	s_mul_i32 s37, s37, s44
	s_add_i32 s34, s34, s37
	s_mul_i32 s8, s8, s44
	s_mul_hi_u32 s37, s42, s8
	s_mul_i32 s43, s42, s8
	s_mul_i32 s46, s44, s34
	s_mul_hi_u32 s8, s44, s8
	s_mul_hi_u32 s45, s44, s34
	s_add_u32 s8, s8, s46
	s_addc_u32 s45, 0, s45
	s_add_u32 s8, s8, s43
	s_mul_hi_u32 s35, s42, s34
	s_addc_u32 s8, s45, s37
	s_addc_u32 s35, s35, 0
	s_mul_i32 s34, s42, s34
	s_add_u32 s8, s8, s34
	s_addc_u32 s37, 0, s35
	s_add_u32 s8, s44, s8
	s_cselect_b64 s[34:35], -1, 0
	s_cmp_lg_u64 s[34:35], 0
	s_addc_u32 s37, s42, s37
	s_ashr_i32 s34, s9, 31
	s_add_u32 s42, s36, s34
	s_mov_b32 s35, s34
	s_addc_u32 s43, s9, s34
	s_xor_b64 s[42:43], s[42:43], s[34:35]
	s_mul_i32 s45, s42, s37
	s_mul_hi_u32 s46, s42, s8
	s_mul_hi_u32 s44, s42, s37
	s_add_u32 s45, s46, s45
	s_addc_u32 s44, 0, s44
	s_mul_hi_u32 s47, s43, s8
	s_mul_i32 s8, s43, s8
	s_add_u32 s8, s45, s8
	s_mul_hi_u32 s46, s43, s37
	s_addc_u32 s8, s44, s47
	s_addc_u32 s44, s46, 0
	s_mul_i32 s37, s43, s37
	s_add_u32 s8, s8, s37
	s_addc_u32 s37, 0, s44
	s_mul_i32 s37, s24, s37
	s_mul_hi_u32 s44, s24, s8
	s_add_i32 s37, s44, s37
	s_mul_i32 s44, s25, s8
	s_add_i32 s37, s37, s44
	s_sub_i32 s46, s43, s37
	s_mul_i32 s8, s24, s8
	s_sub_u32 s8, s42, s8
	s_cselect_b64 s[44:45], -1, 0
	s_cmp_lg_u64 s[44:45], 0
	s_subb_u32 s42, s46, s25
	s_sub_u32 s48, s8, s24
	s_cselect_b64 s[46:47], -1, 0
	s_cmp_lg_u64 s[46:47], 0
	s_subb_u32 s49, s42, 0
	s_cmp_ge_u32 s49, s25
	s_cselect_b32 s51, -1, 0
	s_cmp_ge_u32 s48, s24
	s_cselect_b32 s52, -1, 0
	s_cmp_eq_u32 s49, s25
	s_cselect_b32 s51, s52, s51
	s_cmp_lg_u64 s[46:47], 0
	s_subb_u32 s42, s42, s25
	s_sub_u32 s52, s48, s24
	s_cselect_b64 s[46:47], -1, 0
	s_cmp_lg_u64 s[46:47], 0
	s_subb_u32 s42, s42, 0
	s_cmp_lg_u32 s51, 0
	s_cselect_b32 s46, s52, s48
	s_cselect_b32 s42, s42, s49
	s_cmp_lg_u64 s[44:45], 0
	s_subb_u32 s37, s43, s37
	s_cmp_ge_u32 s37, s25
	s_cselect_b32 s43, -1, 0
	s_cmp_ge_u32 s8, s24
	s_cselect_b32 s24, -1, 0
	s_cmp_eq_u32 s37, s25
	s_cselect_b32 s24, s24, s43
	s_cmp_lg_u32 s24, 0
	s_cselect_b32 s25, s42, s37
	s_cselect_b32 s24, s46, s8
	s_xor_b64 s[24:25], s[24:25], s[34:35]
	s_sub_u32 s24, s24, s34
	s_subb_u32 s25, s25, s34
	s_cbranch_execnz .LBB52_199
.LBB52_198:                             ;   in Loop: Header=BB52_7 Depth=1
	v_cvt_f32_u32_e32 v6, s74
	s_sub_i32 s8, 0, s74
	v_rcp_iflag_f32_e32 v6, v6
	s_nop 0
	v_mul_f32_e32 v6, 0x4f7ffffe, v6
	v_cvt_u32_f32_e32 v6, v6
	s_nop 0
	v_readfirstlane_b32 s24, v6
	s_mul_i32 s8, s8, s24
	s_mul_hi_u32 s8, s24, s8
	s_add_i32 s24, s24, s8
	s_mul_hi_u32 s8, s36, s24
	s_mul_i32 s8, s8, s74
	s_sub_i32 s8, s36, s8
	s_sub_i32 s24, s8, s74
	s_cmp_ge_u32 s8, s74
	s_cselect_b32 s8, s24, s8
	s_sub_i32 s24, s8, s74
	s_cmp_ge_u32 s8, s74
	s_cselect_b32 s80, s24, s8
	s_mov_b64 s[24:25], s[80:81]
.LBB52_199:                             ;   in Loop: Header=BB52_7 Depth=1
	s_sub_u32 s24, s36, s24
	s_subb_u32 s25, s9, s25
	v_cmp_gt_i64_e32 vcc, s[24:25], v[0:1]
                                        ; implicit-def: $vgpr35
	s_and_saveexec_b64 s[8:9], vcc
	s_cbranch_execz .LBB52_209
; %bb.200:                              ;   in Loop: Header=BB52_7 Depth=1
	s_mov_b64 s[34:35], 0
	v_mov_b32_e32 v8, v14
	v_mov_b64_e32 v[6:7], v[0:1]
                                        ; implicit-def: $sgpr36_sgpr37
	s_branch .LBB52_204
.LBB52_201:                             ;   in Loop: Header=BB52_204 Depth=2
	s_or_b64 exec, exec, s[42:43]
	s_waitcnt lgkmcnt(0)
	s_barrier
	ds_read_b64 v[34:35], v3 offset:3072
	s_waitcnt lgkmcnt(0)
	s_barrier
	v_cmp_eq_f32_e32 vcc, 0, v34
	s_cbranch_vccz .LBB52_207
; %bb.202:                              ;   in Loop: Header=BB52_204 Depth=2
	v_lshl_add_u64 v[6:7], v[6:7], 0, s[74:75]
	v_cmp_le_i64_e32 vcc, s[24:25], v[6:7]
	v_add_u32_e32 v8, s89, v8
	s_mov_b64 s[42:43], 0
	s_orn2_b64 s[44:45], vcc, exec
.LBB52_203:                             ;   in Loop: Header=BB52_204 Depth=2
	s_and_b64 s[44:45], exec, s[44:45]
	s_or_b64 s[34:35], s[44:45], s[34:35]
	s_andn2_b64 s[36:37], s[36:37], exec
	s_and_b64 s[42:43], s[42:43], exec
	s_or_b64 s[36:37], s[36:37], s[42:43]
	s_andn2_b64 exec, exec, s[34:35]
	s_cbranch_execz .LBB52_208
.LBB52_204:                             ;   Parent Loop BB52_7 Depth=1
                                        ; =>  This Inner Loop Header: Depth=2
	v_cmp_gt_u64_e32 vcc, s[40:41], v[6:7]
	s_and_saveexec_b64 s[42:43], vcc
	s_cbranch_execz .LBB52_201
; %bb.205:                              ;   in Loop: Header=BB52_204 Depth=2
	ds_read_b32 v33, v8
	s_waitcnt lgkmcnt(0)
	v_cmp_lt_i32_e32 vcc, -1, v33
	s_nop 1
	v_cndmask_b32_e32 v9, -1, v49, vcc
	v_xor_b32_e32 v9, v9, v33
	v_cmp_o_f32_e32 vcc, v33, v33
	s_nop 1
	v_cndmask_b32_e32 v9, -1, v9, vcc
	v_and_b32_e32 v9, v9, v50
	v_cmp_eq_u32_e32 vcc, v9, v47
	s_and_b64 exec, exec, vcc
	s_cbranch_execz .LBB52_201
; %bb.206:                              ;   in Loop: Header=BB52_204 Depth=2
	ds_write_b64 v3, v[32:33] offset:3072
	s_branch .LBB52_201
.LBB52_207:                             ;   in Loop: Header=BB52_204 Depth=2
	s_mov_b64 s[44:45], -1
                                        ; implicit-def: $vgpr6_vgpr7
                                        ; implicit-def: $vgpr8
	s_mov_b64 s[42:43], -1
	s_branch .LBB52_203
.LBB52_208:                             ;   in Loop: Header=BB52_7 Depth=1
	s_or_b64 exec, exec, s[34:35]
	s_andn2_b64 s[6:7], s[6:7], exec
	s_and_b64 s[24:25], s[36:37], exec
	s_or_b64 s[6:7], s[6:7], s[24:25]
.LBB52_209:                             ;   in Loop: Header=BB52_7 Depth=1
	s_or_b64 exec, exec, s[8:9]
	s_mov_b64 s[34:35], 0
	s_mov_b64 s[36:37], -1
.LBB52_210:                             ;   in Loop: Header=BB52_7 Depth=1
	s_orn2_b64 s[6:7], s[6:7], exec
.LBB52_211:                             ;   in Loop: Header=BB52_7 Depth=1
	s_or_b64 exec, exec, s[38:39]
	s_mov_b64 s[8:9], 0
	s_and_saveexec_b64 s[38:39], s[6:7]
	s_cbranch_execz .LBB52_271
; %bb.212:                              ;   in Loop: Header=BB52_7 Depth=1
	s_xor_b64 s[8:9], s[10:11], -1
	v_mov_b32_e32 v2, 1
	s_mov_b64 s[40:41], 0
	v_mov_b64_e32 v[6:7], 1
	s_and_saveexec_b64 s[6:7], s[8:9]
	s_cbranch_execz .LBB52_221
; %bb.213:                              ;   in Loop: Header=BB52_7 Depth=1
	v_cmp_ge_i64_e32 vcc, s[26:27], v[4:5]
	s_and_saveexec_b64 s[8:9], vcc
	s_xor_b64 s[8:9], exec, s[8:9]
	s_cbranch_execz .LBB52_218
; %bb.214:                              ;   in Loop: Header=BB52_7 Depth=1
	ds_read_b64 v[6:7], v3 offset:5120
	v_and_b32_e32 v2, s50, v47
	v_lshl_or_b32 v47, 2, s86, v2
	v_or_b32_e32 v50, s56, v50
	s_waitcnt lgkmcnt(0)
	v_cmp_ne_u64_e32 vcc, 0, v[6:7]
	s_cbranch_vccnz .LBB52_218
; %bb.215:                              ;   in Loop: Header=BB52_7 Depth=1
	s_mov_b64 s[10:11], exec
	v_readlane_b32 s24, v62, 8
	v_readlane_b32 s25, v62, 9
	s_and_b64 s[24:25], s[10:11], s[24:25]
	s_mov_b64 exec, s[24:25]
; %bb.216:                              ;   in Loop: Header=BB52_7 Depth=1
	v_mov_b64_e32 v[6:7], s[26:27]
	ds_write_b64 v3, v[6:7] offset:5128
; %bb.217:                              ;   in Loop: Header=BB52_7 Depth=1
	s_or_b64 exec, exec, s[10:11]
	s_waitcnt lgkmcnt(0)
	s_barrier
.LBB52_218:                             ;   in Loop: Header=BB52_7 Depth=1
	s_or_saveexec_b64 s[8:9], s[8:9]
	s_mov_b64 s[10:11], 0
	v_mov_b32_e32 v2, 8
	s_xor_b64 exec, exec, s[8:9]
; %bb.219:                              ;   in Loop: Header=BB52_7 Depth=1
	v_mov_b32_e32 v2, s27
	v_subrev_co_u32_e32 v4, vcc, s26, v4
	s_mov_b64 s[10:11], exec
	s_nop 0
	v_subb_co_u32_e32 v5, vcc, v5, v2, vcc
	v_mov_b32_e32 v2, 0
; %bb.220:                              ;   in Loop: Header=BB52_7 Depth=1
	s_or_b64 exec, exec, s[8:9]
	s_and_b64 s[40:41], s[10:11], exec
	v_mov_b64_e32 v[6:7], v[4:5]
.LBB52_221:                             ;   in Loop: Header=BB52_7 Depth=1
	s_or_b64 exec, exec, s[6:7]
	s_mov_b64 s[24:25], -1
                                        ; implicit-def: $sgpr8_sgpr9
                                        ; implicit-def: $sgpr6_sgpr7
	s_and_saveexec_b64 s[10:11], s[40:41]
	s_cbranch_execz .LBB52_270
; %bb.222:                              ;   in Loop: Header=BB52_7 Depth=1
	s_cmp_eq_u64 s[16:17], 1
	s_cselect_b64 s[6:7], -1, 0
	v_cmp_eq_u64_e32 vcc, 1, v[6:7]
	s_and_b64 s[26:27], s[6:7], vcc
	s_mov_b64 s[42:43], -1
                                        ; implicit-def: $sgpr8_sgpr9
                                        ; implicit-def: $sgpr6_sgpr7
	s_and_saveexec_b64 s[40:41], s[26:27]
	s_cbranch_execz .LBB52_258
; %bb.223:                              ;   in Loop: Header=BB52_7 Depth=1
	ds_read_b64 v[4:5], v3 offset:5120
	s_waitcnt lgkmcnt(0)
	s_barrier
	v_readfirstlane_b32 s42, v4
	v_readfirstlane_b32 s43, v5
	s_mov_b64 s[6:7], exec
	v_readlane_b32 s8, v62, 12
	v_readlane_b32 s9, v62, 13
	s_and_b64 s[8:9], s[6:7], s[8:9]
	s_mov_b64 exec, s[8:9]
; %bb.224:                              ;   in Loop: Header=BB52_7 Depth=1
	ds_write_b32 v43, v3
; %bb.225:                              ;   in Loop: Header=BB52_7 Depth=1
	s_or_b64 exec, exec, s[6:7]
	v_cmp_gt_i64_e64 s[24:25], s[42:43], 0
	v_or_b32_e32 v47, s56, v47
	v_or_b32_e32 v50, s56, v50
	s_mov_b64 s[6:7], -1
	s_mov_b64 s[8:9], 0
	s_and_b64 vcc, exec, s[24:25]
	s_mov_b64 s[24:25], 0
	s_mov_b64 s[44:45], -1
	s_waitcnt lgkmcnt(0)
	s_barrier
                                        ; implicit-def: $vgpr35
	s_cbranch_vccnz .LBB52_242
; %bb.226:                              ;   in Loop: Header=BB52_7 Depth=1
	s_mov_b32 s94, s81
	s_cmp_lg_u64 s[94:95], 0
	s_cbranch_scc0 .LBB52_277
; %bb.227:                              ;   in Loop: Header=BB52_7 Depth=1
	s_add_u32 s24, s74, 0
	s_addc_u32 s25, 0, 0
	s_xor_b64 s[24:25], s[24:25], 0
	v_cvt_f32_u32_e32 v4, s24
	v_cvt_f32_u32_e32 v5, s25
	s_sub_u32 s46, 0, s24
	s_subb_u32 s47, 0, s25
	v_fmac_f32_e32 v4, 0x4f800000, v5
	v_rcp_f32_e32 v4, v4
	s_nop 0
	v_mul_f32_e32 v4, 0x5f7ffffc, v4
	v_mul_f32_e32 v5, 0x2f800000, v4
	v_trunc_f32_e32 v5, v5
	v_fmac_f32_e32 v4, 0xcf800000, v5
	v_cvt_u32_f32_e32 v5, v5
	v_cvt_u32_f32_e32 v4, v4
	v_readfirstlane_b32 s48, v5
	v_readfirstlane_b32 s44, v4
	s_mul_i32 s45, s46, s48
	s_mul_hi_u32 s50, s46, s44
	s_mul_i32 s49, s47, s44
	s_add_i32 s45, s50, s45
	s_mul_i32 s51, s46, s44
	s_add_i32 s45, s45, s49
	s_mul_i32 s50, s44, s45
	s_mul_hi_u32 s52, s44, s51
	s_mul_hi_u32 s49, s44, s45
	s_add_u32 s50, s52, s50
	s_addc_u32 s49, 0, s49
	s_mul_hi_u32 s53, s48, s51
	s_mul_i32 s51, s48, s51
	s_add_u32 s50, s50, s51
	s_mul_hi_u32 s52, s48, s45
	s_addc_u32 s49, s49, s53
	s_addc_u32 s50, s52, 0
	s_mul_i32 s45, s48, s45
	s_add_u32 s45, s49, s45
	s_addc_u32 s49, 0, s50
	s_add_u32 s50, s44, s45
	s_cselect_b64 s[44:45], -1, 0
	s_cmp_lg_u64 s[44:45], 0
	s_addc_u32 s48, s48, s49
	s_mul_i32 s44, s46, s48
	s_mul_hi_u32 s45, s46, s50
	s_add_i32 s44, s45, s44
	s_mul_i32 s47, s47, s50
	s_add_i32 s44, s44, s47
	s_mul_i32 s46, s46, s50
	s_mul_hi_u32 s47, s48, s46
	s_mul_i32 s49, s48, s46
	s_mul_i32 s52, s50, s44
	s_mul_hi_u32 s46, s50, s46
	s_mul_hi_u32 s51, s50, s44
	s_add_u32 s46, s46, s52
	s_addc_u32 s51, 0, s51
	s_add_u32 s46, s46, s49
	s_mul_hi_u32 s45, s48, s44
	s_addc_u32 s46, s51, s47
	s_addc_u32 s45, s45, 0
	s_mul_i32 s44, s48, s44
	s_add_u32 s44, s46, s44
	s_addc_u32 s46, 0, s45
	s_add_u32 s49, s50, s44
	s_cselect_b64 s[44:45], -1, 0
	s_cmp_lg_u64 s[44:45], 0
	s_addc_u32 s48, s48, s46
	s_ashr_i32 s44, s95, 31
	s_add_u32 s46, s87, s44
	s_mov_b32 s45, s44
	s_addc_u32 s47, s95, s44
	s_xor_b64 s[46:47], s[46:47], s[44:45]
	s_mul_i32 s51, s46, s48
	s_mul_hi_u32 s52, s46, s49
	s_mul_hi_u32 s50, s46, s48
	s_add_u32 s51, s52, s51
	s_addc_u32 s50, 0, s50
	s_mul_hi_u32 s53, s47, s49
	s_mul_i32 s49, s47, s49
	s_add_u32 s49, s51, s49
	s_mul_hi_u32 s52, s47, s48
	s_addc_u32 s49, s50, s53
	s_addc_u32 s50, s52, 0
	s_mul_i32 s48, s47, s48
	s_add_u32 s48, s49, s48
	s_addc_u32 s49, 0, s50
	s_mul_i32 s49, s24, s49
	s_mul_hi_u32 s50, s24, s48
	s_add_i32 s49, s50, s49
	s_mul_i32 s50, s25, s48
	s_add_i32 s52, s49, s50
	s_sub_i32 s50, s47, s52
	s_mul_i32 s48, s24, s48
	s_sub_u32 s46, s46, s48
	s_cselect_b64 s[48:49], -1, 0
	s_cmp_lg_u64 s[48:49], 0
	s_subb_u32 s53, s50, s25
	s_sub_u32 s54, s46, s24
	s_cselect_b64 s[50:51], -1, 0
	s_cmp_lg_u64 s[50:51], 0
	s_subb_u32 s55, s53, 0
	s_cmp_ge_u32 s55, s25
	s_cselect_b32 s57, -1, 0
	s_cmp_ge_u32 s54, s24
	s_cselect_b32 s68, -1, 0
	s_cmp_eq_u32 s55, s25
	s_cselect_b32 s57, s68, s57
	s_cmp_lg_u64 s[50:51], 0
	s_subb_u32 s53, s53, s25
	s_sub_u32 s68, s54, s24
	s_cselect_b64 s[50:51], -1, 0
	s_cmp_lg_u64 s[50:51], 0
	s_subb_u32 s50, s53, 0
	s_cmp_lg_u32 s57, 0
	s_cselect_b32 s51, s68, s54
	s_cselect_b32 s50, s50, s55
	s_cmp_lg_u64 s[48:49], 0
	s_subb_u32 s47, s47, s52
	s_cmp_ge_u32 s47, s25
	s_cselect_b32 s48, -1, 0
	s_cmp_ge_u32 s46, s24
	s_cselect_b32 s24, -1, 0
	s_cmp_eq_u32 s47, s25
	s_cselect_b32 s24, s24, s48
	s_cmp_lg_u32 s24, 0
	s_cselect_b32 s25, s50, s47
	s_cselect_b32 s24, s51, s46
	s_xor_b64 s[24:25], s[24:25], s[44:45]
	s_sub_u32 s24, s24, s44
	s_subb_u32 s25, s25, s44
	s_cbranch_execnz .LBB52_229
.LBB52_228:                             ;   in Loop: Header=BB52_7 Depth=1
	v_cvt_f32_u32_e32 v4, s74
	s_sub_i32 s24, 0, s74
	v_rcp_iflag_f32_e32 v4, v4
	s_nop 0
	v_mul_f32_e32 v4, 0x4f7ffffe, v4
	v_cvt_u32_f32_e32 v4, v4
	s_nop 0
	v_readfirstlane_b32 s25, v4
	s_mul_i32 s24, s24, s25
	s_mul_hi_u32 s24, s25, s24
	s_add_i32 s25, s25, s24
	s_mul_hi_u32 s24, s87, s25
	s_mul_i32 s24, s24, s74
	s_sub_i32 s24, s87, s24
	s_sub_i32 s25, s24, s74
	s_cmp_ge_u32 s24, s74
	s_cselect_b32 s24, s25, s24
	s_sub_i32 s25, s24, s74
	s_cmp_ge_u32 s24, s74
	s_cselect_b32 s80, s25, s24
	s_mov_b64 s[24:25], s[80:81]
.LBB52_229:                             ;   in Loop: Header=BB52_7 Depth=1
	s_sub_u32 s48, s87, s24
	s_subb_u32 s49, s95, s25
	v_cmp_gt_i64_e32 vcc, s[48:49], v[0:1]
	s_mov_b64 s[44:45], 0
	s_mov_b64 s[24:25], 0
                                        ; implicit-def: $vgpr35
	s_and_saveexec_b64 s[46:47], vcc
	s_cbranch_execz .LBB52_241
; %bb.230:                              ;   in Loop: Header=BB52_7 Depth=1
	v_mov_b64_e32 v[4:5], v[12:13]
	v_mov_b64_e32 v[8:9], v[0:1]
                                        ; implicit-def: $sgpr50_sgpr51
	s_branch .LBB52_234
.LBB52_231:                             ;   in Loop: Header=BB52_234 Depth=2
	s_or_b64 exec, exec, s[52:53]
	s_waitcnt lgkmcnt(0)
	s_barrier
	ds_read_b64 v[34:35], v3 offset:3072
	s_waitcnt lgkmcnt(0)
	s_barrier
	v_cmp_neq_f32_e32 vcc, 0, v34
	s_cbranch_vccnz .LBB52_237
; %bb.232:                              ;   in Loop: Header=BB52_234 Depth=2
	v_lshl_add_u64 v[8:9], v[8:9], 0, s[74:75]
	v_cmp_le_i64_e32 vcc, s[48:49], v[8:9]
	v_lshl_add_u64 v[4:5], v[4:5], 0, s[76:77]
	s_mov_b64 s[52:53], 0
	s_orn2_b64 s[54:55], vcc, exec
.LBB52_233:                             ;   in Loop: Header=BB52_234 Depth=2
	s_and_b64 s[54:55], exec, s[54:55]
	s_or_b64 s[24:25], s[54:55], s[24:25]
	s_andn2_b64 s[50:51], s[50:51], exec
	s_and_b64 s[52:53], s[52:53], exec
	s_or_b64 s[50:51], s[50:51], s[52:53]
	s_andn2_b64 exec, exec, s[24:25]
	s_cbranch_execz .LBB52_240
.LBB52_234:                             ;   Parent Loop BB52_7 Depth=1
                                        ; =>  This Inner Loop Header: Depth=2
	v_cmp_gt_i64_e32 vcc, s[60:61], v[8:9]
	s_and_saveexec_b64 s[52:53], vcc
	s_cbranch_execz .LBB52_231
; %bb.235:                              ;   in Loop: Header=BB52_234 Depth=2
	global_load_dword v33, v[4:5], off
	s_waitcnt vmcnt(0)
	v_cmp_lt_i32_e32 vcc, -1, v33
	s_nop 1
	v_cndmask_b32_e32 v10, -1, v49, vcc
	v_xor_b32_e32 v10, v10, v33
	v_cmp_o_f32_e32 vcc, v33, v33
	s_nop 1
	v_cndmask_b32_e32 v10, -1, v10, vcc
	v_and_b32_e32 v10, v10, v50
	v_cmp_eq_u32_e32 vcc, v10, v47
	s_and_b64 exec, exec, vcc
	s_cbranch_execz .LBB52_231
; %bb.236:                              ;   in Loop: Header=BB52_234 Depth=2
	ds_write_b64 v3, v[32:33] offset:3072
	s_branch .LBB52_231
.LBB52_237:                             ;   in Loop: Header=BB52_234 Depth=2
	s_mov_b64 s[54:55], -1
                                        ; implicit-def: $vgpr8_vgpr9
                                        ; implicit-def: $vgpr4_vgpr5
	s_mov_b64 s[52:53], -1
	s_branch .LBB52_233
.LBB52_238:                             ;   in Loop: Header=BB52_7 Depth=1
                                        ; implicit-def: $sgpr6_sgpr7
	s_andn2_b64 vcc, exec, s[8:9]
	s_cbranch_vccz .LBB52_181
	s_branch .LBB52_182
.LBB52_239:                             ;   in Loop: Header=BB52_7 Depth=1
                                        ; implicit-def: $sgpr24_sgpr25
	s_branch .LBB52_198
.LBB52_240:                             ;   in Loop: Header=BB52_7 Depth=1
	s_or_b64 exec, exec, s[24:25]
	s_and_b64 s[24:25], s[50:51], exec
.LBB52_241:                             ;   in Loop: Header=BB52_7 Depth=1
	s_or_b64 exec, exec, s[46:47]
.LBB52_242:                             ;   in Loop: Header=BB52_7 Depth=1
	s_and_b64 vcc, exec, s[44:45]
	s_cbranch_vccz .LBB52_257
; %bb.243:                              ;   in Loop: Header=BB52_7 Depth=1
	v_readlane_b32 s6, v62, 22
	s_add_u32 s46, s42, s6
	v_readlane_b32 s6, v62, 23
	s_addc_u32 s7, s43, s6
	s_mov_b32 s6, s81
	s_cmp_lg_u64 s[6:7], 0
	s_cbranch_scc0 .LBB52_278
; %bb.244:                              ;   in Loop: Header=BB52_7 Depth=1
	s_add_u32 s8, s74, 0
	s_addc_u32 s9, 0, 0
	s_xor_b64 s[8:9], s[8:9], 0
	v_cvt_f32_u32_e32 v4, s8
	v_cvt_f32_u32_e32 v5, s9
	s_sub_u32 s6, 0, s8
	s_subb_u32 s47, 0, s9
	v_fmac_f32_e32 v4, 0x4f800000, v5
	v_rcp_f32_e32 v4, v4
	s_nop 0
	v_mul_f32_e32 v4, 0x5f7ffffc, v4
	v_mul_f32_e32 v5, 0x2f800000, v4
	v_trunc_f32_e32 v5, v5
	v_fmac_f32_e32 v4, 0xcf800000, v5
	v_cvt_u32_f32_e32 v5, v5
	v_cvt_u32_f32_e32 v4, v4
	v_readfirstlane_b32 s48, v5
	v_readfirstlane_b32 s44, v4
	s_mul_i32 s45, s6, s48
	s_mul_hi_u32 s50, s6, s44
	s_mul_i32 s49, s47, s44
	s_add_i32 s45, s50, s45
	s_mul_i32 s51, s6, s44
	s_add_i32 s45, s45, s49
	s_mul_i32 s50, s44, s45
	s_mul_hi_u32 s52, s44, s51
	s_mul_hi_u32 s49, s44, s45
	s_add_u32 s50, s52, s50
	s_addc_u32 s49, 0, s49
	s_mul_hi_u32 s53, s48, s51
	s_mul_i32 s51, s48, s51
	s_add_u32 s50, s50, s51
	s_mul_hi_u32 s52, s48, s45
	s_addc_u32 s49, s49, s53
	s_addc_u32 s50, s52, 0
	s_mul_i32 s45, s48, s45
	s_add_u32 s45, s49, s45
	s_addc_u32 s49, 0, s50
	s_add_u32 s50, s44, s45
	s_cselect_b64 s[44:45], -1, 0
	s_cmp_lg_u64 s[44:45], 0
	s_addc_u32 s48, s48, s49
	s_mul_i32 s44, s6, s48
	s_mul_hi_u32 s45, s6, s50
	s_add_i32 s44, s45, s44
	s_mul_i32 s47, s47, s50
	s_add_i32 s44, s44, s47
	s_mul_i32 s6, s6, s50
	s_mul_hi_u32 s47, s48, s6
	s_mul_i32 s49, s48, s6
	s_mul_i32 s52, s50, s44
	s_mul_hi_u32 s6, s50, s6
	s_mul_hi_u32 s51, s50, s44
	s_add_u32 s6, s6, s52
	s_addc_u32 s51, 0, s51
	s_add_u32 s6, s6, s49
	s_mul_hi_u32 s45, s48, s44
	s_addc_u32 s6, s51, s47
	s_addc_u32 s45, s45, 0
	s_mul_i32 s44, s48, s44
	s_add_u32 s6, s6, s44
	s_addc_u32 s47, 0, s45
	s_add_u32 s6, s50, s6
	s_cselect_b64 s[44:45], -1, 0
	s_cmp_lg_u64 s[44:45], 0
	s_addc_u32 s47, s48, s47
	s_ashr_i32 s44, s7, 31
	s_add_u32 s48, s46, s44
	s_mov_b32 s45, s44
	s_addc_u32 s49, s7, s44
	s_xor_b64 s[48:49], s[48:49], s[44:45]
	s_mul_i32 s51, s48, s47
	s_mul_hi_u32 s52, s48, s6
	s_mul_hi_u32 s50, s48, s47
	s_add_u32 s51, s52, s51
	s_addc_u32 s50, 0, s50
	s_mul_hi_u32 s53, s49, s6
	s_mul_i32 s6, s49, s6
	s_add_u32 s6, s51, s6
	s_mul_hi_u32 s52, s49, s47
	s_addc_u32 s6, s50, s53
	s_addc_u32 s50, s52, 0
	s_mul_i32 s47, s49, s47
	s_add_u32 s6, s6, s47
	s_addc_u32 s47, 0, s50
	s_mul_i32 s47, s8, s47
	s_mul_hi_u32 s50, s8, s6
	s_add_i32 s47, s50, s47
	s_mul_i32 s50, s9, s6
	s_add_i32 s47, s47, s50
	s_sub_i32 s52, s49, s47
	s_mul_i32 s6, s8, s6
	s_sub_u32 s6, s48, s6
	s_cselect_b64 s[50:51], -1, 0
	s_cmp_lg_u64 s[50:51], 0
	s_subb_u32 s48, s52, s9
	s_sub_u32 s54, s6, s8
	s_cselect_b64 s[52:53], -1, 0
	s_cmp_lg_u64 s[52:53], 0
	s_subb_u32 s55, s48, 0
	s_cmp_ge_u32 s55, s9
	s_cselect_b32 s57, -1, 0
	s_cmp_ge_u32 s54, s8
	s_cselect_b32 s68, -1, 0
	s_cmp_eq_u32 s55, s9
	s_cselect_b32 s57, s68, s57
	s_cmp_lg_u64 s[52:53], 0
	s_subb_u32 s48, s48, s9
	s_sub_u32 s68, s54, s8
	s_cselect_b64 s[52:53], -1, 0
	s_cmp_lg_u64 s[52:53], 0
	s_subb_u32 s48, s48, 0
	s_cmp_lg_u32 s57, 0
	s_cselect_b32 s52, s68, s54
	s_cselect_b32 s48, s48, s55
	s_cmp_lg_u64 s[50:51], 0
	s_subb_u32 s47, s49, s47
	s_cmp_ge_u32 s47, s9
	s_cselect_b32 s49, -1, 0
	s_cmp_ge_u32 s6, s8
	s_cselect_b32 s8, -1, 0
	s_cmp_eq_u32 s47, s9
	s_cselect_b32 s8, s8, s49
	s_cmp_lg_u32 s8, 0
	s_cselect_b32 s9, s48, s47
	s_cselect_b32 s8, s52, s6
	s_xor_b64 s[8:9], s[8:9], s[44:45]
	s_sub_u32 s8, s8, s44
	s_subb_u32 s9, s9, s44
	s_cbranch_execnz .LBB52_246
.LBB52_245:                             ;   in Loop: Header=BB52_7 Depth=1
	v_cvt_f32_u32_e32 v4, s74
	s_sub_i32 s6, 0, s74
	v_rcp_iflag_f32_e32 v4, v4
	s_nop 0
	v_mul_f32_e32 v4, 0x4f7ffffe, v4
	v_cvt_u32_f32_e32 v4, v4
	s_nop 0
	v_readfirstlane_b32 s8, v4
	s_mul_i32 s6, s6, s8
	s_mul_hi_u32 s6, s8, s6
	s_add_i32 s8, s8, s6
	s_mul_hi_u32 s6, s46, s8
	s_mul_i32 s6, s6, s74
	s_sub_i32 s6, s46, s6
	s_sub_i32 s8, s6, s74
	s_cmp_ge_u32 s6, s74
	s_cselect_b32 s6, s8, s6
	s_sub_i32 s8, s6, s74
	s_cmp_ge_u32 s6, s74
	s_cselect_b32 s80, s8, s6
	s_mov_b64 s[8:9], s[80:81]
.LBB52_246:                             ;   in Loop: Header=BB52_7 Depth=1
	s_sub_u32 s8, s46, s8
	s_subb_u32 s9, s7, s9
	v_cmp_gt_i64_e32 vcc, s[8:9], v[0:1]
                                        ; implicit-def: $vgpr35
	s_and_saveexec_b64 s[6:7], vcc
	s_cbranch_execz .LBB52_256
; %bb.247:                              ;   in Loop: Header=BB52_7 Depth=1
	s_mov_b64 s[44:45], 0
	v_mov_b32_e32 v8, v14
	v_mov_b64_e32 v[4:5], v[0:1]
                                        ; implicit-def: $sgpr46_sgpr47
	s_branch .LBB52_251
.LBB52_248:                             ;   in Loop: Header=BB52_251 Depth=2
	s_or_b64 exec, exec, s[48:49]
	s_waitcnt lgkmcnt(0)
	s_barrier
	ds_read_b64 v[34:35], v3 offset:3072
	s_waitcnt lgkmcnt(0)
	s_barrier
	v_cmp_eq_f32_e32 vcc, 0, v34
	s_cbranch_vccz .LBB52_254
; %bb.249:                              ;   in Loop: Header=BB52_251 Depth=2
	v_lshl_add_u64 v[4:5], v[4:5], 0, s[74:75]
	v_cmp_le_i64_e32 vcc, s[8:9], v[4:5]
	v_add_u32_e32 v8, s89, v8
	s_mov_b64 s[48:49], 0
	s_orn2_b64 s[50:51], vcc, exec
.LBB52_250:                             ;   in Loop: Header=BB52_251 Depth=2
	s_and_b64 s[50:51], exec, s[50:51]
	s_or_b64 s[44:45], s[50:51], s[44:45]
	s_andn2_b64 s[46:47], s[46:47], exec
	s_and_b64 s[48:49], s[48:49], exec
	s_or_b64 s[46:47], s[46:47], s[48:49]
	s_andn2_b64 exec, exec, s[44:45]
	s_cbranch_execz .LBB52_255
.LBB52_251:                             ;   Parent Loop BB52_7 Depth=1
                                        ; =>  This Inner Loop Header: Depth=2
	v_cmp_gt_u64_e32 vcc, s[42:43], v[4:5]
	s_and_saveexec_b64 s[48:49], vcc
	s_cbranch_execz .LBB52_248
; %bb.252:                              ;   in Loop: Header=BB52_251 Depth=2
	ds_read_b32 v33, v8
	s_waitcnt lgkmcnt(0)
	v_cmp_lt_i32_e32 vcc, -1, v33
	s_nop 1
	v_cndmask_b32_e32 v9, -1, v49, vcc
	v_xor_b32_e32 v9, v9, v33
	v_cmp_o_f32_e32 vcc, v33, v33
	s_nop 1
	v_cndmask_b32_e32 v9, -1, v9, vcc
	v_and_b32_e32 v9, v9, v50
	v_cmp_eq_u32_e32 vcc, v9, v47
	s_and_b64 exec, exec, vcc
	s_cbranch_execz .LBB52_248
; %bb.253:                              ;   in Loop: Header=BB52_251 Depth=2
	ds_write_b64 v3, v[32:33] offset:3072
	s_branch .LBB52_248
.LBB52_254:                             ;   in Loop: Header=BB52_251 Depth=2
	s_mov_b64 s[50:51], -1
                                        ; implicit-def: $vgpr4_vgpr5
                                        ; implicit-def: $vgpr8
	s_mov_b64 s[48:49], -1
	s_branch .LBB52_250
.LBB52_255:                             ;   in Loop: Header=BB52_7 Depth=1
	s_or_b64 exec, exec, s[44:45]
	s_andn2_b64 s[8:9], s[24:25], exec
	s_and_b64 s[24:25], s[46:47], exec
	s_or_b64 s[24:25], s[8:9], s[24:25]
.LBB52_256:                             ;   in Loop: Header=BB52_7 Depth=1
	s_or_b64 exec, exec, s[6:7]
	s_mov_b64 s[6:7], 0
	s_mov_b64 s[8:9], -1
.LBB52_257:                             ;   in Loop: Header=BB52_7 Depth=1
	s_orn2_b64 s[42:43], s[24:25], exec
.LBB52_258:                             ;   in Loop: Header=BB52_7 Depth=1
	s_or_b64 exec, exec, s[40:41]
	s_mov_b64 s[40:41], 0
	s_and_saveexec_b64 s[24:25], s[42:43]
	s_cbranch_execz .LBB52_269
; %bb.259:                              ;   in Loop: Header=BB52_7 Depth=1
	s_xor_b64 s[40:41], s[26:27], -1
	v_mov_b64_e32 v[4:5], 1
	v_mov_b32_e32 v2, 1
	s_and_saveexec_b64 s[26:27], s[40:41]
	s_cbranch_execz .LBB52_268
; %bb.260:                              ;   in Loop: Header=BB52_7 Depth=1
	v_cmp_ge_i64_e32 vcc, s[16:17], v[6:7]
	s_and_saveexec_b64 s[40:41], vcc
	s_xor_b64 s[40:41], exec, s[40:41]
	s_cbranch_execz .LBB52_265
; %bb.261:                              ;   in Loop: Header=BB52_7 Depth=1
	ds_read_b64 v[4:5], v3 offset:5120
	v_or_b32_e32 v47, s56, v47
	v_or_b32_e32 v50, s56, v50
	s_waitcnt lgkmcnt(0)
	v_cmp_ne_u64_e32 vcc, 0, v[4:5]
	s_cbranch_vccnz .LBB52_265
; %bb.262:                              ;   in Loop: Header=BB52_7 Depth=1
	s_mov_b64 s[42:43], exec
	v_readlane_b32 s44, v62, 8
	v_readlane_b32 s45, v62, 9
	s_and_b64 s[44:45], s[42:43], s[44:45]
	s_mov_b64 exec, s[44:45]
; %bb.263:                              ;   in Loop: Header=BB52_7 Depth=1
	v_mov_b64_e32 v[4:5], s[16:17]
	ds_write_b64 v3, v[4:5] offset:5128
; %bb.264:                              ;   in Loop: Header=BB52_7 Depth=1
	s_or_b64 exec, exec, s[42:43]
	s_waitcnt lgkmcnt(0)
	s_barrier
.LBB52_265:                             ;   in Loop: Header=BB52_7 Depth=1
	s_andn2_saveexec_b64 s[40:41], s[40:41]
; %bb.266:                              ;   in Loop: Header=BB52_7 Depth=1
	v_mov_b32_e32 v2, s17
	v_subrev_co_u32_e32 v6, vcc, s16, v6
	s_nop 1
	v_subb_co_u32_e32 v7, vcc, v7, v2, vcc
; %bb.267:                              ;   in Loop: Header=BB52_7 Depth=1
	s_or_b64 exec, exec, s[40:41]
	v_mov_b32_e32 v2, 8
	v_mov_b64_e32 v[4:5], v[6:7]
.LBB52_268:                             ;   in Loop: Header=BB52_7 Depth=1
	s_or_b64 exec, exec, s[26:27]
	s_mov_b64 s[40:41], exec
	v_mov_b64_e32 v[6:7], v[4:5]
.LBB52_269:                             ;   in Loop: Header=BB52_7 Depth=1
	s_or_b64 exec, exec, s[24:25]
	s_orn2_b64 s[24:25], s[40:41], exec
.LBB52_270:                             ;   in Loop: Header=BB52_7 Depth=1
	s_or_b64 exec, exec, s[10:11]
	s_andn2_b64 s[10:11], s[36:37], exec
	s_and_b64 s[8:9], s[8:9], exec
	s_or_b64 s[36:37], s[10:11], s[8:9]
	s_andn2_b64 s[8:9], s[34:35], exec
	s_and_b64 s[6:7], s[6:7], exec
	s_or_b64 s[34:35], s[8:9], s[6:7]
	s_and_b64 s[8:9], s[24:25], exec
	v_mov_b64_e32 v[4:5], v[6:7]
.LBB52_271:                             ;   in Loop: Header=BB52_7 Depth=1
	s_or_b64 exec, exec, s[38:39]
	s_orn2_b64 s[6:7], s[8:9], exec
.LBB52_272:                             ;   in Loop: Header=BB52_7 Depth=1
	s_or_b64 exec, exec, s[12:13]
	s_andn2_b64 s[8:9], s[28:29], exec
	s_and_b64 s[10:11], s[36:37], exec
	s_or_b64 s[28:29], s[8:9], s[10:11]
	s_andn2_b64 s[2:3], s[2:3], exec
	s_and_b64 s[8:9], s[34:35], exec
	s_or_b64 s[2:3], s[2:3], s[8:9]
	s_and_b64 s[8:9], s[6:7], exec
	v_mov_b64_e32 v[8:9], v[4:5]
.LBB52_273:                             ;   in Loop: Header=BB52_7 Depth=1
	s_or_b64 exec, exec, s[30:31]
	s_orn2_b64 s[6:7], s[8:9], exec
.LBB52_274:                             ;   in Loop: Header=BB52_7 Depth=1
	s_or_b64 exec, exec, s[22:23]
	s_mov_b64 s[8:9], 0
	s_and_saveexec_b64 s[10:11], s[6:7]
	s_xor_b64 s[6:7], exec, s[10:11]
	s_cbranch_execz .LBB52_5
; %bb.275:                              ;   in Loop: Header=BB52_7 Depth=1
	v_and_b32_e32 v2, 7, v2
	v_cmp_eq_u32_e32 vcc, 0, v2
	s_mov_b64 s[10:11], -1
	s_mov_b64 s[8:9], -1
	s_and_saveexec_b64 s[12:13], vcc
	s_cbranch_execz .LBB52_4
; %bb.276:                              ;   in Loop: Header=BB52_7 Depth=1
	s_xor_b32 s84, s84, 1
	s_add_i32 s16, s86, -2
	s_cmp_eq_u32 s86, 0
	s_cselect_b64 s[10:11], -1, 0
	s_xor_b64 s[8:9], exec, -1
	s_orn2_b64 s[10:11], s[10:11], exec
	s_mov_b32 s86, s16
	s_branch .LBB52_4
.LBB52_277:                             ;   in Loop: Header=BB52_7 Depth=1
                                        ; implicit-def: $sgpr24_sgpr25
	s_andn2_b64 vcc, exec, s[44:45]
	s_cbranch_vccz .LBB52_228
	s_branch .LBB52_229
.LBB52_278:                             ;   in Loop: Header=BB52_7 Depth=1
                                        ; implicit-def: $sgpr8_sgpr9
	s_branch .LBB52_245
.LBB52_279:
	s_or_b64 exec, exec, s[98:99]
	s_xor_b64 s[4:5], s[64:65], -1
	s_xor_b64 s[0:1], s[62:63], -1
	;; [unrolled: 1-line block ×3, first 2 shown]
	s_mov_b64 s[2:3], 0
	s_and_saveexec_b64 s[8:9], s[0:1]
	s_xor_b64 s[0:1], exec, s[8:9]
	s_cbranch_execnz .LBB52_284
; %bb.280:
	s_andn2_saveexec_b64 s[0:1], s[0:1]
	s_cbranch_execnz .LBB52_306
.LBB52_281:
	s_or_b64 exec, exec, s[0:1]
	s_and_saveexec_b64 s[0:1], s[2:3]
.LBB52_282:
	; divergent unreachable
.LBB52_283:
	s_endpgm
.LBB52_284:
	s_and_saveexec_b64 s[2:3], s[4:5]
	s_xor_b64 s[4:5], exec, s[2:3]
	s_cbranch_execz .LBB52_304
; %bb.285:
	s_and_saveexec_b64 s[2:3], s[6:7]
	s_xor_b64 s[2:3], exec, s[2:3]
; %bb.286:
	v_bfrev_b32_e32 v2, 1
	v_cmp_lt_i32_e32 vcc, -1, v47
	s_nop 1
	v_cndmask_b32_e64 v2, v2, -1, vcc
	v_xor_b32_e32 v35, v2, v47
; %bb.287:
	s_or_b64 exec, exec, s[2:3]
	s_mov_b64 s[2:3], exec
	v_readlane_b32 s6, v62, 8
	v_readlane_b32 s7, v62, 9
	s_and_b64 s[6:7], s[2:3], s[6:7]
	v_readlane_b32 s26, v62, 10
	v_readlane_b32 s27, v62, 11
	s_mov_b64 exec, s[6:7]
; %bb.288:
	v_mov_b32_e32 v2, 0
	v_mov_b32_e32 v3, s60
	ds_write_b32 v2, v3 offset:5140
; %bb.289:
	s_or_b64 exec, exec, s[2:3]
	s_waitcnt lgkmcnt(0)
	s_barrier
	s_mov_b64 s[6:7], exec
	v_readlane_b32 s2, v62, 18
	v_readlane_b32 s3, v62, 19
	s_and_b64 s[2:3], s[6:7], s[2:3]
	s_mov_b64 exec, s[2:3]
	s_cbranch_execz .LBB52_301
; %bb.290:
	v_mov_b32_e32 v2, 0
	ds_read_b32 v4, v2 offset:5140
	v_cmp_u_f32_e32 vcc, v35, v35
	s_mov_b64 s[8:9], 0
	s_xor_b64 s[10:11], vcc, -1
                                        ; implicit-def: $sgpr12_sgpr13
                                        ; implicit-def: $sgpr14_sgpr15
                                        ; implicit-def: $sgpr16_sgpr17
	s_waitcnt lgkmcnt(0)
	v_ashrrev_i32_e32 v5, 31, v4
	s_branch .LBB52_293
.LBB52_291:                             ;   in Loop: Header=BB52_293 Depth=1
	s_or_b64 exec, exec, s[22:23]
	s_andn2_b64 s[16:17], s[16:17], exec
	s_and_b64 s[2:3], s[2:3], exec
	s_or_b64 s[16:17], s[16:17], s[2:3]
	s_andn2_b64 s[2:3], s[14:15], exec
	s_and_b64 s[14:15], s[20:21], exec
	s_or_b64 s[14:15], s[2:3], s[14:15]
.LBB52_292:                             ;   in Loop: Header=BB52_293 Depth=1
	s_or_b64 exec, exec, s[18:19]
	s_and_b64 s[2:3], exec, s[14:15]
	s_or_b64 s[8:9], s[2:3], s[8:9]
	s_andn2_b64 s[2:3], s[12:13], exec
	s_and_b64 s[12:13], s[16:17], exec
	s_or_b64 s[12:13], s[2:3], s[12:13]
	s_andn2_b64 exec, exec, s[8:9]
	s_cbranch_execz .LBB52_296
.LBB52_293:                             ; =>This Inner Loop Header: Depth=1
	v_mov_b64_e32 v[2:3], v[0:1]
	v_cmp_lt_i64_e32 vcc, v[2:3], v[4:5]
	s_or_b64 s[16:17], s[16:17], exec
	s_or_b64 s[14:15], s[14:15], exec
                                        ; implicit-def: $vgpr0_vgpr1
	s_and_saveexec_b64 s[18:19], vcc
	s_cbranch_execz .LBB52_292
; %bb.294:                              ;   in Loop: Header=BB52_293 Depth=1
	global_load_dword v0, v[12:13], off
	s_mov_b64 s[20:21], -1
	s_waitcnt vmcnt(0)
	v_cmp_o_f32_e64 s[2:3], v0, v0
	v_cmp_neq_f32_e32 vcc, v0, v35
	s_or_b64 s[2:3], s[2:3], s[10:11]
	s_and_b64 s[24:25], vcc, s[2:3]
	s_mov_b64 s[2:3], 0
                                        ; implicit-def: $vgpr0_vgpr1
	s_and_saveexec_b64 s[22:23], s[24:25]
	s_cbranch_execz .LBB52_291
; %bb.295:                              ;   in Loop: Header=BB52_293 Depth=1
	v_lshl_add_u64 v[0:1], v[2:3], 0, s[74:75]
	v_cmp_le_i64_e32 vcc, s[60:61], v[0:1]
	s_mov_b64 s[2:3], exec
	v_lshl_add_u64 v[12:13], v[12:13], 0, s[76:77]
	s_orn2_b64 s[20:21], vcc, exec
	s_branch .LBB52_291
.LBB52_296:
	s_or_b64 exec, exec, s[8:9]
	s_xor_b64 s[2:3], s[12:13], -1
	s_and_saveexec_b64 s[8:9], s[2:3]
	s_xor_b64 s[8:9], exec, s[8:9]
	s_cbranch_execz .LBB52_301
; %bb.297:
	s_mov_b64 s[2:3], exec
	s_brev_b32 s8, -2
.LBB52_298:                             ; =>This Inner Loop Header: Depth=1
	s_ff1_i32_b64 s9, s[2:3]
	v_readlane_b32 s12, v2, s9
	s_lshl_b64 s[10:11], 1, s9
	s_min_i32 s8, s8, s12
	s_andn2_b64 s[2:3], s[2:3], s[10:11]
	s_cmp_lg_u64 s[2:3], 0
	s_cbranch_scc1 .LBB52_298
; %bb.299:
	v_mbcnt_lo_u32_b32 v0, exec_lo, 0
	v_mbcnt_hi_u32_b32 v0, exec_hi, v0
	v_cmp_eq_u32_e32 vcc, 0, v0
	s_and_saveexec_b64 s[2:3], vcc
	s_xor_b64 s[2:3], exec, s[2:3]
; %bb.300:
	v_mov_b32_e32 v0, 0
	v_mov_b32_e32 v1, s8
	ds_min_i32 v0, v1 offset:5140
.LBB52_301:
	s_or_b64 exec, exec, s[6:7]
	s_waitcnt lgkmcnt(0)
	s_barrier
	s_mov_b64 s[2:3], exec
	v_readlane_b32 s6, v62, 8
	v_readlane_b32 s7, v62, 9
	s_and_b64 s[6:7], s[2:3], s[6:7]
	s_mov_b64 exec, s[6:7]
	s_cbranch_execz .LBB52_303
; %bb.302:
	v_readlane_b32 s8, v62, 4
	v_readlane_b32 s9, v62, 5
	;; [unrolled: 1-line block ×3, first 2 shown]
	s_mul_i32 s6, s9, s26
	s_mul_hi_u32 s7, s8, s26
	v_readlane_b32 s11, v62, 1
	v_mov_b32_e32 v2, 0
	s_add_i32 s7, s7, s6
	s_mul_i32 s6, s8, s26
	s_mul_i32 s8, s11, s26
	s_mul_hi_u32 s9, s10, s26
	ds_read_b32 v0, v2 offset:5140
	s_add_i32 s9, s9, s8
	s_mul_i32 s8, s10, s26
	s_lshl_b64 s[6:7], s[6:7], 2
	v_readlane_b32 s10, v62, 6
	v_readlane_b32 s11, v62, 7
	s_add_u32 s6, s10, s6
	s_addc_u32 s7, s11, s7
	s_lshl_b64 s[8:9], s[8:9], 3
	v_readlane_b32 s10, v62, 2
	v_readlane_b32 s11, v62, 3
	s_add_u32 s8, s10, s8
	s_addc_u32 s9, s11, s9
	s_waitcnt lgkmcnt(0)
	v_ashrrev_i32_e32 v1, 31, v0
	global_store_dwordx2 v2, v[0:1], s[8:9]
	global_store_dword v2, v35, s[6:7]
.LBB52_303:
	s_or_b64 exec, exec, s[2:3]
.LBB52_304:
	s_or_saveexec_b64 s[2:3], s[4:5]
	s_mov_b64 s[4:5], 0
	s_xor_b64 exec, exec, s[2:3]
	s_cbranch_execnz .LBB52_307
.LBB52_305:
	s_or_b64 exec, exec, s[2:3]
	s_and_b64 s[2:3], s[4:5], exec
	s_andn2_saveexec_b64 s[0:1], s[0:1]
	s_cbranch_execz .LBB52_281
.LBB52_306:
	s_or_b64 s[2:3], s[2:3], exec
	s_trap 2
	s_or_b64 exec, exec, s[0:1]
	s_and_saveexec_b64 s[0:1], s[2:3]
	s_cbranch_execnz .LBB52_282
	s_branch .LBB52_283
.LBB52_307:
	s_mov_b64 s[4:5], exec
	s_trap 2
	s_branch .LBB52_305
	.section	.rodata,"a",@progbits
	.p2align	6, 0x0
	.amdhsa_kernel _ZN2at6native12_GLOBAL__N_114gatherKthValueIflLi1EEEvNS_4cuda6detail10TensorInfoIKT_T0_EES8_S8_S8_S8_NS5_IS6_S8_EENS5_IlS8_EE
		.amdhsa_group_segment_fixed_size 5144
		.amdhsa_private_segment_fixed_size 0
		.amdhsa_kernarg_size 1536
		.amdhsa_user_sgpr_count 2
		.amdhsa_user_sgpr_dispatch_ptr 0
		.amdhsa_user_sgpr_queue_ptr 0
		.amdhsa_user_sgpr_kernarg_segment_ptr 1
		.amdhsa_user_sgpr_dispatch_id 0
		.amdhsa_user_sgpr_kernarg_preload_length 0
		.amdhsa_user_sgpr_kernarg_preload_offset 0
		.amdhsa_user_sgpr_private_segment_size 0
		.amdhsa_uses_dynamic_stack 0
		.amdhsa_enable_private_segment 0
		.amdhsa_system_sgpr_workgroup_id_x 1
		.amdhsa_system_sgpr_workgroup_id_y 1
		.amdhsa_system_sgpr_workgroup_id_z 1
		.amdhsa_system_sgpr_workgroup_info 0
		.amdhsa_system_vgpr_workitem_id 0
		.amdhsa_next_free_vgpr 63
		.amdhsa_next_free_sgpr 100
		.amdhsa_accum_offset 64
		.amdhsa_reserve_vcc 1
		.amdhsa_float_round_mode_32 0
		.amdhsa_float_round_mode_16_64 0
		.amdhsa_float_denorm_mode_32 3
		.amdhsa_float_denorm_mode_16_64 3
		.amdhsa_dx10_clamp 1
		.amdhsa_ieee_mode 1
		.amdhsa_fp16_overflow 0
		.amdhsa_tg_split 0
		.amdhsa_exception_fp_ieee_invalid_op 0
		.amdhsa_exception_fp_denorm_src 0
		.amdhsa_exception_fp_ieee_div_zero 0
		.amdhsa_exception_fp_ieee_overflow 0
		.amdhsa_exception_fp_ieee_underflow 0
		.amdhsa_exception_fp_ieee_inexact 0
		.amdhsa_exception_int_div_zero 0
	.end_amdhsa_kernel
	.section	.text._ZN2at6native12_GLOBAL__N_114gatherKthValueIflLi1EEEvNS_4cuda6detail10TensorInfoIKT_T0_EES8_S8_S8_S8_NS5_IS6_S8_EENS5_IlS8_EE,"axG",@progbits,_ZN2at6native12_GLOBAL__N_114gatherKthValueIflLi1EEEvNS_4cuda6detail10TensorInfoIKT_T0_EES8_S8_S8_S8_NS5_IS6_S8_EENS5_IlS8_EE,comdat
.Lfunc_end52:
	.size	_ZN2at6native12_GLOBAL__N_114gatherKthValueIflLi1EEEvNS_4cuda6detail10TensorInfoIKT_T0_EES8_S8_S8_S8_NS5_IS6_S8_EENS5_IlS8_EE, .Lfunc_end52-_ZN2at6native12_GLOBAL__N_114gatherKthValueIflLi1EEEvNS_4cuda6detail10TensorInfoIKT_T0_EES8_S8_S8_S8_NS5_IS6_S8_EENS5_IlS8_EE
                                        ; -- End function
	.set _ZN2at6native12_GLOBAL__N_114gatherKthValueIflLi1EEEvNS_4cuda6detail10TensorInfoIKT_T0_EES8_S8_S8_S8_NS5_IS6_S8_EENS5_IlS8_EE.num_vgpr, 63
	.set _ZN2at6native12_GLOBAL__N_114gatherKthValueIflLi1EEEvNS_4cuda6detail10TensorInfoIKT_T0_EES8_S8_S8_S8_NS5_IS6_S8_EENS5_IlS8_EE.num_agpr, 0
	.set _ZN2at6native12_GLOBAL__N_114gatherKthValueIflLi1EEEvNS_4cuda6detail10TensorInfoIKT_T0_EES8_S8_S8_S8_NS5_IS6_S8_EENS5_IlS8_EE.numbered_sgpr, 100
	.set _ZN2at6native12_GLOBAL__N_114gatherKthValueIflLi1EEEvNS_4cuda6detail10TensorInfoIKT_T0_EES8_S8_S8_S8_NS5_IS6_S8_EENS5_IlS8_EE.num_named_barrier, 0
	.set _ZN2at6native12_GLOBAL__N_114gatherKthValueIflLi1EEEvNS_4cuda6detail10TensorInfoIKT_T0_EES8_S8_S8_S8_NS5_IS6_S8_EENS5_IlS8_EE.private_seg_size, 0
	.set _ZN2at6native12_GLOBAL__N_114gatherKthValueIflLi1EEEvNS_4cuda6detail10TensorInfoIKT_T0_EES8_S8_S8_S8_NS5_IS6_S8_EENS5_IlS8_EE.uses_vcc, 1
	.set _ZN2at6native12_GLOBAL__N_114gatherKthValueIflLi1EEEvNS_4cuda6detail10TensorInfoIKT_T0_EES8_S8_S8_S8_NS5_IS6_S8_EENS5_IlS8_EE.uses_flat_scratch, 0
	.set _ZN2at6native12_GLOBAL__N_114gatherKthValueIflLi1EEEvNS_4cuda6detail10TensorInfoIKT_T0_EES8_S8_S8_S8_NS5_IS6_S8_EENS5_IlS8_EE.has_dyn_sized_stack, 0
	.set _ZN2at6native12_GLOBAL__N_114gatherKthValueIflLi1EEEvNS_4cuda6detail10TensorInfoIKT_T0_EES8_S8_S8_S8_NS5_IS6_S8_EENS5_IlS8_EE.has_recursion, 0
	.set _ZN2at6native12_GLOBAL__N_114gatherKthValueIflLi1EEEvNS_4cuda6detail10TensorInfoIKT_T0_EES8_S8_S8_S8_NS5_IS6_S8_EENS5_IlS8_EE.has_indirect_call, 0
	.section	.AMDGPU.csdata,"",@progbits
; Kernel info:
; codeLenInByte = 16480
; TotalNumSgprs: 106
; NumVgprs: 63
; NumAgprs: 0
; TotalNumVgprs: 63
; ScratchSize: 0
; MemoryBound: 0
; FloatMode: 240
; IeeeMode: 1
; LDSByteSize: 5144 bytes/workgroup (compile time only)
; SGPRBlocks: 13
; VGPRBlocks: 7
; NumSGPRsForWavesPerEU: 106
; NumVGPRsForWavesPerEU: 63
; AccumOffset: 64
; Occupancy: 7
; WaveLimiterHint : 1
; COMPUTE_PGM_RSRC2:SCRATCH_EN: 0
; COMPUTE_PGM_RSRC2:USER_SGPR: 2
; COMPUTE_PGM_RSRC2:TRAP_HANDLER: 0
; COMPUTE_PGM_RSRC2:TGID_X_EN: 1
; COMPUTE_PGM_RSRC2:TGID_Y_EN: 1
; COMPUTE_PGM_RSRC2:TGID_Z_EN: 1
; COMPUTE_PGM_RSRC2:TIDIG_COMP_CNT: 0
; COMPUTE_PGM_RSRC3_GFX90A:ACCUM_OFFSET: 15
; COMPUTE_PGM_RSRC3_GFX90A:TG_SPLIT: 0
	.section	.text._ZN2at6native12_GLOBAL__N_114gatherKthValueIflLi2EEEvNS_4cuda6detail10TensorInfoIKT_T0_EES8_S8_S8_S8_NS5_IS6_S8_EENS5_IlS8_EE,"axG",@progbits,_ZN2at6native12_GLOBAL__N_114gatherKthValueIflLi2EEEvNS_4cuda6detail10TensorInfoIKT_T0_EES8_S8_S8_S8_NS5_IS6_S8_EENS5_IlS8_EE,comdat
	.globl	_ZN2at6native12_GLOBAL__N_114gatherKthValueIflLi2EEEvNS_4cuda6detail10TensorInfoIKT_T0_EES8_S8_S8_S8_NS5_IS6_S8_EENS5_IlS8_EE ; -- Begin function _ZN2at6native12_GLOBAL__N_114gatherKthValueIflLi2EEEvNS_4cuda6detail10TensorInfoIKT_T0_EES8_S8_S8_S8_NS5_IS6_S8_EENS5_IlS8_EE
	.p2align	8
	.type	_ZN2at6native12_GLOBAL__N_114gatherKthValueIflLi2EEEvNS_4cuda6detail10TensorInfoIKT_T0_EES8_S8_S8_S8_NS5_IS6_S8_EENS5_IlS8_EE,@function
_ZN2at6native12_GLOBAL__N_114gatherKthValueIflLi2EEEvNS_4cuda6detail10TensorInfoIKT_T0_EES8_S8_S8_S8_NS5_IS6_S8_EENS5_IlS8_EE: ; @_ZN2at6native12_GLOBAL__N_114gatherKthValueIflLi2EEEvNS_4cuda6detail10TensorInfoIKT_T0_EES8_S8_S8_S8_NS5_IS6_S8_EENS5_IlS8_EE
; %bb.0:
	s_load_dwordx2 s[12:13], s[0:1], 0x500
	s_load_dwordx8 s[60:67], s[0:1], 0x1a0
	s_add_u32 s10, s0, 0x500
	s_addc_u32 s11, s1, 0
	s_mov_b32 s29, 0
	s_waitcnt lgkmcnt(0)
	s_mul_i32 s4, s13, s4
	s_add_i32 s3, s4, s3
	s_mul_i32 s3, s3, s12
	s_add_i32 s28, s3, s2
	v_mov_b64_e32 v[2:3], s[28:29]
	v_cmp_le_i64_e32 vcc, s[64:65], v[2:3]
	s_cbranch_vccnz .LBB53_292
; %bb.1:
	s_load_dwordx2 s[8:9], s[0:1], 0x10
	s_load_dwordx2 s[26:27], s[0:1], 0x1d0
	s_mov_b32 s4, s29
	s_waitcnt lgkmcnt(0)
	s_mov_b32 s5, s9
	s_cmp_lg_u64 s[4:5], 0
	s_cbranch_scc0 .LBB53_305
; %bb.2:
	s_ashr_i32 s4, s9, 31
	s_add_u32 s6, s8, s4
	s_mov_b32 s5, s4
	s_addc_u32 s7, s9, s4
	s_xor_b64 s[14:15], s[6:7], s[4:5]
	v_cvt_f32_u32_e32 v1, s14
	v_cvt_f32_u32_e32 v2, s15
	s_sub_u32 s3, 0, s14
	s_subb_u32 s13, 0, s15
	v_fmamk_f32 v1, v2, 0x4f800000, v1
	v_rcp_f32_e32 v1, v1
	s_nop 0
	v_mul_f32_e32 v1, 0x5f7ffffc, v1
	v_mul_f32_e32 v2, 0x2f800000, v1
	v_trunc_f32_e32 v2, v2
	v_fmamk_f32 v1, v2, 0xcf800000, v1
	v_cvt_u32_f32_e32 v2, v2
	v_cvt_u32_f32_e32 v1, v1
	v_readfirstlane_b32 s18, v2
	v_readfirstlane_b32 s16, v1
	s_mul_i32 s17, s3, s18
	s_mul_hi_u32 s20, s3, s16
	s_mul_i32 s19, s13, s16
	s_add_i32 s17, s20, s17
	s_add_i32 s17, s17, s19
	s_mul_i32 s21, s3, s16
	s_mul_i32 s20, s16, s17
	s_mul_hi_u32 s22, s16, s21
	s_mul_hi_u32 s19, s16, s17
	s_add_u32 s20, s22, s20
	s_addc_u32 s19, 0, s19
	s_mul_hi_u32 s23, s18, s21
	s_mul_i32 s21, s18, s21
	s_add_u32 s20, s20, s21
	s_mul_hi_u32 s22, s18, s17
	s_addc_u32 s19, s19, s23
	s_addc_u32 s20, s22, 0
	s_mul_i32 s17, s18, s17
	s_add_u32 s17, s19, s17
	s_addc_u32 s19, 0, s20
	s_add_u32 s20, s16, s17
	s_cselect_b64 s[16:17], -1, 0
	s_cmp_lg_u64 s[16:17], 0
	s_addc_u32 s18, s18, s19
	s_mul_i32 s16, s3, s18
	s_mul_hi_u32 s17, s3, s20
	s_add_i32 s16, s17, s16
	s_mul_i32 s13, s13, s20
	s_add_i32 s16, s16, s13
	s_mul_i32 s3, s3, s20
	s_mul_hi_u32 s17, s18, s3
	s_mul_i32 s19, s18, s3
	s_mul_i32 s22, s20, s16
	s_mul_hi_u32 s3, s20, s3
	s_mul_hi_u32 s21, s20, s16
	s_add_u32 s3, s3, s22
	s_addc_u32 s21, 0, s21
	s_add_u32 s3, s3, s19
	s_mul_hi_u32 s13, s18, s16
	s_addc_u32 s3, s21, s17
	s_addc_u32 s13, s13, 0
	s_mul_i32 s16, s18, s16
	s_add_u32 s3, s3, s16
	s_addc_u32 s13, 0, s13
	s_add_u32 s3, s20, s3
	s_cselect_b64 s[16:17], -1, 0
	s_cmp_lg_u64 s[16:17], 0
	s_addc_u32 s13, s18, s13
	s_add_u32 s16, s28, 0
	s_addc_u32 s17, 0, 0
	s_xor_b64 s[16:17], s[16:17], 0
	s_mul_i32 s19, s16, s13
	s_mul_hi_u32 s20, s16, s3
	s_mul_hi_u32 s18, s16, s13
	s_add_u32 s19, s20, s19
	s_addc_u32 s18, 0, s18
	s_mul_hi_u32 s21, s17, s3
	s_mul_i32 s3, s17, s3
	s_add_u32 s3, s19, s3
	s_mul_hi_u32 s20, s17, s13
	s_addc_u32 s3, s18, s21
	s_addc_u32 s18, s20, 0
	s_mul_i32 s13, s17, s13
	s_add_u32 s3, s3, s13
	s_addc_u32 s13, 0, s18
	s_mul_i32 s18, s14, s13
	s_mul_hi_u32 s19, s14, s3
	s_add_i32 s18, s19, s18
	s_mul_i32 s19, s15, s3
	s_add_i32 s22, s18, s19
	s_sub_i32 s20, s17, s22
	s_mul_i32 s18, s14, s3
	s_sub_u32 s16, s16, s18
	s_cselect_b64 s[18:19], -1, 0
	s_cmp_lg_u64 s[18:19], 0
	s_subb_u32 s23, s20, s15
	s_sub_u32 s24, s16, s14
	s_cselect_b64 s[20:21], -1, 0
	s_cmp_lg_u64 s[20:21], 0
	s_subb_u32 s20, s23, 0
	s_cmp_ge_u32 s20, s15
	s_cselect_b32 s21, -1, 0
	s_cmp_ge_u32 s24, s14
	s_cselect_b32 s23, -1, 0
	s_cmp_eq_u32 s20, s15
	s_cselect_b32 s20, s23, s21
	s_add_u32 s21, s3, 1
	s_addc_u32 s23, s13, 0
	s_add_u32 s24, s3, 2
	s_addc_u32 s25, s13, 0
	s_cmp_lg_u32 s20, 0
	s_cselect_b32 s20, s24, s21
	s_cselect_b32 s21, s25, s23
	s_cmp_lg_u64 s[18:19], 0
	s_subb_u32 s17, s17, s22
	s_cmp_ge_u32 s17, s15
	s_cselect_b32 s18, -1, 0
	s_cmp_ge_u32 s16, s14
	s_cselect_b32 s14, -1, 0
	s_cmp_eq_u32 s17, s15
	s_cselect_b32 s14, s14, s18
	s_cmp_lg_u32 s14, 0
	s_cselect_b32 s15, s21, s13
	s_cselect_b32 s14, s20, s3
	s_xor_b64 s[4:5], 0, s[4:5]
	s_xor_b64 s[14:15], s[14:15], s[4:5]
	s_sub_u32 s14, s14, s4
	s_subb_u32 s15, s15, s5
	s_cbranch_execnz .LBB53_4
.LBB53_3:
	v_cvt_f32_u32_e32 v1, s8
	s_sub_i32 s3, 0, s8
	s_mov_b32 s15, 0
	v_rcp_iflag_f32_e32 v1, v1
	s_nop 0
	v_mul_f32_e32 v1, 0x4f7ffffe, v1
	v_cvt_u32_f32_e32 v1, v1
	s_nop 0
	v_readfirstlane_b32 s4, v1
	s_mul_i32 s3, s3, s4
	s_mul_hi_u32 s3, s4, s3
	s_add_i32 s4, s4, s3
	s_mul_hi_u32 s3, s28, s4
	s_mul_i32 s5, s3, s8
	s_sub_i32 s5, s28, s5
	s_add_i32 s4, s3, 1
	s_sub_i32 s6, s5, s8
	s_cmp_ge_u32 s5, s8
	s_cselect_b32 s3, s4, s3
	s_cselect_b32 s5, s6, s5
	s_add_i32 s4, s3, 1
	s_cmp_ge_u32 s5, s8
	s_cselect_b32 s14, s4, s3
.LBB53_4:
	s_load_dwordx2 s[30:31], s[0:1], 0x370
	s_mov_b32 s4, 0
	s_mov_b32 s5, s27
                                        ; implicit-def: $vgpr64 : SGPR spill to VGPR lane
	s_cmp_lg_u64 s[4:5], 0
	v_writelane_b32 v64, s26, 0
	s_nop 1
	v_writelane_b32 v64, s27, 1
	s_cbranch_scc0 .LBB53_306
; %bb.5:
	s_ashr_i32 s4, s27, 31
	s_add_u32 s6, s26, s4
	s_mov_b32 s5, s4
	s_addc_u32 s7, s27, s4
	s_xor_b64 s[16:17], s[6:7], s[4:5]
	v_cvt_f32_u32_e32 v1, s16
	v_cvt_f32_u32_e32 v2, s17
	s_sub_u32 s3, 0, s16
	s_subb_u32 s13, 0, s17
	v_fmamk_f32 v1, v2, 0x4f800000, v1
	v_rcp_f32_e32 v1, v1
	s_nop 0
	v_mul_f32_e32 v1, 0x5f7ffffc, v1
	v_mul_f32_e32 v2, 0x2f800000, v1
	v_trunc_f32_e32 v2, v2
	v_fmamk_f32 v1, v2, 0xcf800000, v1
	v_cvt_u32_f32_e32 v2, v2
	v_cvt_u32_f32_e32 v1, v1
	v_readfirstlane_b32 s20, v2
	v_readfirstlane_b32 s18, v1
	s_mul_i32 s19, s3, s20
	s_mul_hi_u32 s22, s3, s18
	s_mul_i32 s21, s13, s18
	s_add_i32 s19, s22, s19
	s_add_i32 s19, s19, s21
	s_mul_i32 s23, s3, s18
	s_mul_i32 s22, s18, s19
	s_mul_hi_u32 s24, s18, s23
	s_mul_hi_u32 s21, s18, s19
	s_add_u32 s22, s24, s22
	s_addc_u32 s21, 0, s21
	s_mul_hi_u32 s25, s20, s23
	s_mul_i32 s23, s20, s23
	s_add_u32 s22, s22, s23
	s_mul_hi_u32 s24, s20, s19
	s_addc_u32 s21, s21, s25
	s_addc_u32 s22, s24, 0
	s_mul_i32 s19, s20, s19
	s_add_u32 s19, s21, s19
	s_addc_u32 s21, 0, s22
	s_add_u32 s22, s18, s19
	s_cselect_b64 s[18:19], -1, 0
	s_cmp_lg_u64 s[18:19], 0
	s_addc_u32 s20, s20, s21
	s_mul_i32 s18, s3, s20
	s_mul_hi_u32 s19, s3, s22
	s_add_i32 s18, s19, s18
	s_mul_i32 s13, s13, s22
	s_add_i32 s18, s18, s13
	s_mul_i32 s3, s3, s22
	s_mul_hi_u32 s19, s20, s3
	s_mul_i32 s21, s20, s3
	s_mul_i32 s24, s22, s18
	s_mul_hi_u32 s3, s22, s3
	s_mul_hi_u32 s23, s22, s18
	s_add_u32 s3, s3, s24
	s_addc_u32 s23, 0, s23
	s_add_u32 s3, s3, s21
	s_mul_hi_u32 s13, s20, s18
	s_addc_u32 s3, s23, s19
	s_addc_u32 s13, s13, 0
	s_mul_i32 s18, s20, s18
	s_add_u32 s3, s3, s18
	s_addc_u32 s13, 0, s13
	s_add_u32 s3, s22, s3
	s_cselect_b64 s[18:19], -1, 0
	s_cmp_lg_u64 s[18:19], 0
	s_addc_u32 s13, s20, s13
	s_add_u32 s18, s28, 0
	s_addc_u32 s19, 0, 0
	s_xor_b64 s[18:19], s[18:19], 0
	s_mul_i32 s21, s18, s13
	s_mul_hi_u32 s22, s18, s3
	s_mul_hi_u32 s20, s18, s13
	s_add_u32 s21, s22, s21
	s_addc_u32 s20, 0, s20
	s_mul_hi_u32 s23, s19, s3
	s_mul_i32 s3, s19, s3
	s_add_u32 s3, s21, s3
	s_mul_hi_u32 s22, s19, s13
	s_addc_u32 s3, s20, s23
	s_addc_u32 s20, s22, 0
	s_mul_i32 s13, s19, s13
	s_add_u32 s3, s3, s13
	s_addc_u32 s13, 0, s20
	s_mul_i32 s20, s16, s13
	s_mul_hi_u32 s21, s16, s3
	s_add_i32 s20, s21, s20
	s_mul_i32 s21, s17, s3
	s_add_i32 s24, s20, s21
	s_sub_i32 s22, s19, s24
	s_mul_i32 s20, s16, s3
	s_sub_u32 s18, s18, s20
	s_cselect_b64 s[20:21], -1, 0
	s_cmp_lg_u64 s[20:21], 0
	s_subb_u32 s25, s22, s17
	s_sub_u32 s26, s18, s16
	s_cselect_b64 s[22:23], -1, 0
	s_cmp_lg_u64 s[22:23], 0
	s_subb_u32 s22, s25, 0
	s_cmp_ge_u32 s22, s17
	s_cselect_b32 s23, -1, 0
	s_cmp_ge_u32 s26, s16
	s_cselect_b32 s25, -1, 0
	s_cmp_eq_u32 s22, s17
	s_cselect_b32 s22, s25, s23
	s_add_u32 s23, s3, 1
	s_addc_u32 s25, s13, 0
	s_add_u32 s26, s3, 2
	s_addc_u32 s27, s13, 0
	s_cmp_lg_u32 s22, 0
	s_cselect_b32 s22, s26, s23
	s_cselect_b32 s23, s27, s25
	s_cmp_lg_u64 s[20:21], 0
	s_subb_u32 s19, s19, s24
	s_cmp_ge_u32 s19, s17
	s_cselect_b32 s20, -1, 0
	s_cmp_ge_u32 s18, s16
	s_cselect_b32 s16, -1, 0
	s_cmp_eq_u32 s19, s17
	s_cselect_b32 s16, s16, s20
	s_cmp_lg_u32 s16, 0
	s_cselect_b32 s17, s23, s13
	s_cselect_b32 s16, s22, s3
	s_xor_b64 s[4:5], 0, s[4:5]
	s_load_dwordx2 s[26:27], s[0:1], 0x1d0
	s_xor_b64 s[16:17], s[16:17], s[4:5]
	s_sub_u32 s4, s16, s4
	s_subb_u32 s5, s17, s5
	v_writelane_b32 v64, s4, 2
	s_nop 1
	v_writelane_b32 v64, s5, 3
	s_cbranch_execnz .LBB53_7
.LBB53_6:
	s_waitcnt lgkmcnt(0)
	v_cvt_f32_u32_e32 v1, s26
	s_sub_i32 s3, 0, s26
	s_mov_b32 s7, 0
	v_rcp_iflag_f32_e32 v1, v1
	s_nop 0
	v_mul_f32_e32 v1, 0x4f7ffffe, v1
	v_cvt_u32_f32_e32 v1, v1
	s_nop 0
	v_readfirstlane_b32 s4, v1
	s_mul_i32 s3, s3, s4
	s_mul_hi_u32 s3, s4, s3
	s_add_i32 s4, s4, s3
	s_mul_hi_u32 s3, s28, s4
	s_mul_i32 s5, s3, s26
	s_sub_i32 s5, s28, s5
	s_add_i32 s4, s3, 1
	s_sub_i32 s6, s5, s26
	s_cmp_ge_u32 s5, s26
	s_cselect_b32 s3, s4, s3
	s_cselect_b32 s5, s6, s5
	s_add_i32 s4, s3, 1
	s_cmp_ge_u32 s5, s26
	s_cselect_b32 s6, s4, s3
	v_writelane_b32 v64, s6, 2
	s_nop 1
	v_writelane_b32 v64, s7, 3
.LBB53_7:
	s_mov_b32 s4, 0
	s_waitcnt lgkmcnt(0)
	s_mov_b32 s5, s31
	s_cmp_lg_u64 s[4:5], 0
	s_cbranch_scc0 .LBB53_307
; %bb.8:
	s_ashr_i32 s6, s31, 31
	s_add_u32 s4, s30, s6
	s_mov_b32 s7, s6
	s_addc_u32 s5, s31, s6
	s_xor_b64 s[16:17], s[4:5], s[6:7]
	v_cvt_f32_u32_e32 v1, s16
	v_cvt_f32_u32_e32 v2, s17
	s_sub_u32 s3, 0, s16
	s_subb_u32 s13, 0, s17
	v_fmamk_f32 v1, v2, 0x4f800000, v1
	v_rcp_f32_e32 v1, v1
	s_nop 0
	v_mul_f32_e32 v1, 0x5f7ffffc, v1
	v_mul_f32_e32 v2, 0x2f800000, v1
	v_trunc_f32_e32 v2, v2
	v_fmamk_f32 v1, v2, 0xcf800000, v1
	v_cvt_u32_f32_e32 v2, v2
	v_cvt_u32_f32_e32 v1, v1
	v_readfirstlane_b32 s20, v2
	v_readfirstlane_b32 s18, v1
	s_mul_i32 s19, s3, s20
	s_mul_hi_u32 s22, s3, s18
	s_mul_i32 s21, s13, s18
	s_add_i32 s19, s22, s19
	s_add_i32 s19, s19, s21
	s_mul_i32 s23, s3, s18
	s_mul_i32 s22, s18, s19
	s_mul_hi_u32 s24, s18, s23
	s_mul_hi_u32 s21, s18, s19
	s_add_u32 s22, s24, s22
	s_addc_u32 s21, 0, s21
	s_mul_hi_u32 s25, s20, s23
	s_mul_i32 s23, s20, s23
	s_add_u32 s22, s22, s23
	s_mul_hi_u32 s24, s20, s19
	s_addc_u32 s21, s21, s25
	s_addc_u32 s22, s24, 0
	s_mul_i32 s19, s20, s19
	s_add_u32 s19, s21, s19
	s_addc_u32 s21, 0, s22
	s_add_u32 s22, s18, s19
	s_cselect_b64 s[18:19], -1, 0
	s_cmp_lg_u64 s[18:19], 0
	s_addc_u32 s20, s20, s21
	s_mul_i32 s18, s3, s20
	s_mul_hi_u32 s19, s3, s22
	s_add_i32 s18, s19, s18
	s_mul_i32 s13, s13, s22
	s_add_i32 s18, s18, s13
	s_mul_i32 s3, s3, s22
	s_mul_hi_u32 s19, s20, s3
	s_mul_i32 s21, s20, s3
	s_mul_i32 s24, s22, s18
	s_mul_hi_u32 s3, s22, s3
	s_mul_hi_u32 s23, s22, s18
	s_add_u32 s3, s3, s24
	s_addc_u32 s23, 0, s23
	s_add_u32 s3, s3, s21
	s_mul_hi_u32 s13, s20, s18
	s_addc_u32 s3, s23, s19
	s_addc_u32 s13, s13, 0
	s_mul_i32 s18, s20, s18
	s_add_u32 s3, s3, s18
	s_addc_u32 s13, 0, s13
	s_add_u32 s3, s22, s3
	s_cselect_b64 s[18:19], -1, 0
	s_cmp_lg_u64 s[18:19], 0
	s_addc_u32 s13, s20, s13
	s_add_u32 s18, s28, 0
	s_addc_u32 s19, 0, 0
	s_xor_b64 s[18:19], s[18:19], 0
	s_mul_i32 s21, s18, s13
	s_mul_hi_u32 s22, s18, s3
	s_mul_hi_u32 s20, s18, s13
	s_add_u32 s21, s22, s21
	s_addc_u32 s20, 0, s20
	s_mul_hi_u32 s23, s19, s3
	s_mul_i32 s3, s19, s3
	s_add_u32 s3, s21, s3
	s_mul_hi_u32 s22, s19, s13
	s_addc_u32 s3, s20, s23
	s_addc_u32 s20, s22, 0
	s_mul_i32 s13, s19, s13
	s_add_u32 s3, s3, s13
	s_addc_u32 s13, 0, s20
	s_mul_i32 s20, s16, s13
	s_mul_hi_u32 s21, s16, s3
	s_add_i32 s20, s21, s20
	s_mul_i32 s21, s17, s3
	s_add_i32 s24, s20, s21
	s_sub_i32 s22, s19, s24
	s_mul_i32 s20, s16, s3
	s_sub_u32 s18, s18, s20
	s_cselect_b64 s[20:21], -1, 0
	s_cmp_lg_u64 s[20:21], 0
	s_subb_u32 s25, s22, s17
	s_sub_u32 s26, s18, s16
	s_cselect_b64 s[22:23], -1, 0
	s_cmp_lg_u64 s[22:23], 0
	s_subb_u32 s22, s25, 0
	s_cmp_ge_u32 s22, s17
	s_cselect_b32 s23, -1, 0
	s_cmp_ge_u32 s26, s16
	s_cselect_b32 s25, -1, 0
	s_cmp_eq_u32 s22, s17
	s_cselect_b32 s22, s25, s23
	s_add_u32 s23, s3, 1
	s_addc_u32 s25, s13, 0
	s_add_u32 s26, s3, 2
	s_addc_u32 s27, s13, 0
	s_cmp_lg_u32 s22, 0
	s_cselect_b32 s22, s26, s23
	s_cselect_b32 s23, s27, s25
	s_cmp_lg_u64 s[20:21], 0
	s_subb_u32 s19, s19, s24
	s_cmp_ge_u32 s19, s17
	s_cselect_b32 s20, -1, 0
	s_cmp_ge_u32 s18, s16
	s_cselect_b32 s16, -1, 0
	s_cmp_eq_u32 s19, s17
	s_cselect_b32 s16, s16, s20
	s_cmp_lg_u32 s16, 0
	s_cselect_b32 s17, s23, s13
	s_cselect_b32 s16, s22, s3
	s_xor_b64 s[6:7], 0, s[6:7]
	s_xor_b64 s[16:17], s[16:17], s[6:7]
	s_sub_u32 s6, s16, s6
	s_subb_u32 s7, s17, s7
	v_writelane_b32 v64, s6, 4
	s_nop 1
	v_writelane_b32 v64, s7, 5
	s_load_dwordx2 s[18:19], s[0:1], 0x0
	s_cbranch_execnz .LBB53_10
.LBB53_9:
	v_cvt_f32_u32_e32 v1, s30
	s_sub_i32 s3, 0, s30
	s_mov_b32 s7, 0
	v_rcp_iflag_f32_e32 v1, v1
	s_nop 0
	v_mul_f32_e32 v1, 0x4f7ffffe, v1
	v_cvt_u32_f32_e32 v1, v1
	s_nop 0
	v_readfirstlane_b32 s4, v1
	s_mul_i32 s3, s3, s4
	s_mul_hi_u32 s3, s4, s3
	s_add_i32 s4, s4, s3
	s_mul_hi_u32 s3, s28, s4
	s_mul_i32 s5, s3, s30
	s_sub_i32 s5, s28, s5
	s_add_i32 s4, s3, 1
	s_sub_i32 s6, s5, s30
	s_cmp_ge_u32 s5, s30
	s_cselect_b32 s3, s4, s3
	s_cselect_b32 s5, s6, s5
	s_add_i32 s4, s3, 1
	s_cmp_ge_u32 s5, s30
	s_cselect_b32 s6, s4, s3
	v_writelane_b32 v64, s6, 4
	s_nop 1
	v_writelane_b32 v64, s7, 5
.LBB53_10:
	s_load_dwordx2 s[4:5], s[0:1], 0x360
	v_writelane_b32 v64, s30, 6
	s_mov_b32 s89, 0
	v_cmp_eq_u32_e64 s[20:21], 0, v0
	v_writelane_b32 v64, s31, 7
	s_waitcnt lgkmcnt(0)
	v_writelane_b32 v64, s4, 8
	s_nop 1
	v_writelane_b32 v64, s5, 9
	s_load_dwordx2 s[4:5], s[0:1], 0x1c0
	s_waitcnt lgkmcnt(0)
	v_writelane_b32 v64, s4, 10
	s_nop 1
	v_writelane_b32 v64, s5, 11
	s_load_dwordx4 s[4:7], s[0:1], 0xd0
	s_mov_b64 s[16:17], exec
	v_writelane_b32 v64, s20, 12
	s_nop 1
	v_writelane_b32 v64, s21, 13
	s_and_b64 s[20:21], s[16:17], s[20:21]
	s_mov_b64 exec, s[20:21]
	s_cbranch_execz .LBB53_12
; %bb.11:
	v_mov_b32_e32 v2, 0
	v_mov_b32_e32 v4, s60
	;; [unrolled: 1-line block ×4, first 2 shown]
	ds_write_b32 v2, v2 offset:5136
	ds_write_b128 v2, v[2:5] offset:5120
.LBB53_12:
	s_or_b64 exec, exec, s[16:17]
	s_load_dwordx4 s[20:23], s[0:1], 0x430
                                        ; kill: killed $sgpr0 killed $sgpr1
	v_mbcnt_lo_u32_b32 v1, -1, 0
	v_mbcnt_hi_u32_b32 v44, -1, v1
	v_cmp_gt_u32_e32 vcc, 64, v0
	v_mov_b64_e32 v[4:5], 0x300
	s_waitcnt lgkmcnt(0)
	v_writelane_b32 v64, s20, 14
	v_mov_b32_e32 v3, 0
	v_mov_b32_e32 v1, v3
	v_writelane_b32 v64, s21, 15
	v_writelane_b32 v64, s22, 16
	;; [unrolled: 1-line block ×3, first 2 shown]
	s_load_dwordx4 s[20:23], s[0:1], 0x290
	s_mul_i32 s0, s14, s9
	s_mul_hi_u32 s1, s14, s8
	s_add_i32 s0, s1, s0
	s_mul_i32 s1, s15, s8
	s_add_i32 s0, s0, s1
	s_mul_i32 s1, s14, s8
	s_sub_u32 s3, s28, s1
	s_subb_u32 s0, 0, s0
	s_mul_i32 s1, s3, s7
	s_mul_hi_u32 s7, s3, s6
	s_add_i32 s1, s7, s1
	s_mul_i32 s0, s0, s6
	s_waitcnt lgkmcnt(0)
	v_writelane_b32 v64, s20, 18
	s_add_i32 s1, s1, s0
	s_mul_i32 s0, s3, s6
	s_mul_i32 s3, s14, s5
	s_mul_hi_u32 s5, s14, s4
	v_writelane_b32 v64, s21, 19
	s_add_i32 s3, s5, s3
	s_mul_i32 s5, s15, s4
	v_writelane_b32 v64, s22, 20
	s_add_i32 s5, s3, s5
	s_mul_i32 s4, s14, s4
	v_writelane_b32 v64, s23, 21
	s_mov_b32 s8, s28
	s_lshl_b64 s[6:7], s[4:5], 2
	v_writelane_b32 v64, s8, 22
	s_add_u32 s3, s18, s6
	s_addc_u32 s4, s19, s7
	v_writelane_b32 v64, s9, 23
	s_lshl_b64 s[8:9], s[0:1], 2
	s_add_u32 s92, s3, s8
	v_cmp_gt_i32_e64 s[0:1], 4, v44
	s_addc_u32 s93, s4, s9
	s_and_b64 s[96:97], vcc, s[0:1]
	v_cmp_gt_u32_e64 s[0:1], 2, v0
	s_barrier
	s_nop 0
	v_writelane_b32 v64, s0, 24
	v_lshlrev_b64 v[8:9], v44, -1
	s_nop 0
	v_writelane_b32 v64, s1, 25
	v_cmp_gt_i64_e64 s[0:1], s[60:61], v[4:5]
	v_not_b32_e32 v18, v8
	v_mov_b32_e32 v8, s61
	v_writelane_b32 v64, s0, 26
	v_not_b32_e32 v19, v9
	v_mov_b32_e32 v11, -1
	v_writelane_b32 v64, s1, 27
	v_cmp_gt_u64_e64 s[0:1], s[60:61], v[0:1]
	v_not_b32_e32 v10, v0
	v_lshlrev_b32_e32 v48, 4, v0
	v_writelane_b32 v64, s0, 28
	v_cmp_eq_u32_e64 s[4:5], 0, v44
	v_lshlrev_b32_e32 v14, 2, v0
	v_writelane_b32 v64, s1, 29
	v_mad_u64_u32 v[4:5], s[0:1], s66, v0, 0
	v_mov_b32_e32 v2, v5
	v_mad_u64_u32 v[6:7], s[0:1], s67, v0, v[2:3]
	v_cmp_gt_i64_e64 s[0:1], s[60:61], v[0:1]
	v_lshlrev_b32_e32 v2, 2, v44
	v_and_b32_e32 v46, 0x100, v2
	v_writelane_b32 v64, s0, 30
	v_lshrrev_b32_e32 v2, 1, v0
	v_and_b32_e32 v2, 0x1e0, v2
	v_writelane_b32 v64, s1, 31
	s_load_dword s0, s[10:11], 0xc
	v_or_b32_e32 v47, 0xc00, v2
	v_add_u32_e32 v2, 2, v0
	v_cmp_gt_i64_e32 vcc, s[60:61], v[2:3]
	v_mov_b32_e32 v5, v6
	s_waitcnt lgkmcnt(0)
	s_and_b32 s86, s0, 0xffff
	s_bfe_u32 s0, s0, 0xa0006
	s_cmp_gt_u32 s86, 63
	s_cselect_b64 s[14:15], -1, 0
	s_add_u32 s1, s86, -1
	v_writelane_b32 v64, s14, 32
	s_addc_u32 s3, 0, -1
	v_cndmask_b32_e32 v9, 0, v8, vcc
	v_mov_b32_e32 v8, s60
	v_writelane_b32 v64, s15, 33
	s_add_u32 s72, s1, s60
	v_cndmask_b32_e32 v8, v2, v8, vcc
	v_writelane_b32 v64, s1, 34
	s_addc_u32 s71, s3, s61
	v_lshl_add_u64 v[8:9], v[8:9], 0, v[10:11]
	v_writelane_b32 v64, s3, 35
	s_cmp_lt_u32 s2, s12
	v_cmp_lt_u64_e64 s[2:3], 1, v[8:9]
	s_cselect_b32 s1, 12, 18
	v_and_b32_e32 v20, -2, v8
	v_writelane_b32 v64, s2, 36
	v_mov_b32_e32 v21, v9
	s_add_u32 s94, s10, s1
	v_writelane_b32 v64, s3, 37
	v_cmp_ne_u64_e64 s[2:3], v[8:9], v[20:21]
	s_addc_u32 s95, s11, 0
	s_add_i32 s1, s0, -1
	v_writelane_b32 v64, s2, 38
	s_and_b32 s1, s1, 0xffff
	v_or_b32_e32 v8, 12, v48
	v_writelane_b32 v64, s3, 39
	s_bfe_u32 s2, s86, 0x30006
	s_cmp_gt_u32 s1, 6
	s_cselect_b64 s[10:11], -1, 0
	v_writelane_b32 v64, s10, 40
	s_and_b32 s82, s0, 0x3f8
	s_cmp_lg_u32 s2, 0
	v_writelane_b32 v64, s11, 41
	v_writelane_b32 v64, s2, 42
	s_cselect_b64 s[0:1], -1, 0
	v_writelane_b32 v64, s0, 43
	v_lshlrev_b64 v[6:7], 2, v[4:5]
	v_lshl_add_u64 v[16:17], s[92:93], 0, v[6:7]
	v_writelane_b32 v64, s1, 44
	s_add_u32 s0, s6, s8
	s_addc_u32 s1, s7, s9
	s_add_u32 s2, s18, s0
	s_addc_u32 s3, s19, s1
	s_lshl_b64 s[0:1], s[66:67], 2
	v_writelane_b32 v64, s0, 45
	v_add_u32_e32 v45, 0xc00, v14
	v_mov_b32_e32 v15, v3
	v_writelane_b32 v64, s1, 46
	v_mad_u64_u32 v[24:25], s[0:1], s66, v8, 0
	v_mov_b32_e32 v2, v25
	v_mad_u64_u32 v[8:9], s[0:1], s67, v8, v[2:3]
	v_mov_b32_e32 v25, v8
	v_or_b32_e32 v8, 8, v48
	v_mad_u64_u32 v[26:27], s[0:1], s66, v8, 0
	v_mov_b32_e32 v2, v27
	v_mad_u64_u32 v[8:9], s[0:1], s67, v8, v[2:3]
	v_writelane_b32 v64, s2, 47
	v_mov_b32_e32 v27, v8
	v_or_b32_e32 v8, 4, v48
	v_writelane_b32 v64, s3, 48
	v_mad_u64_u32 v[28:29], s[0:1], s66, v8, 0
	v_writelane_b32 v64, s92, 49
	v_mov_b32_e32 v2, v29
	v_mad_u64_u32 v[8:9], s[0:1], s67, v8, v[2:3]
	v_writelane_b32 v64, s93, 50
	v_writelane_b32 v64, s94, 51
	s_mul_i32 s0, s67, s86
	s_mul_hi_u32 s1, s66, s86
	v_writelane_b32 v64, s95, 52
	s_add_i32 s1, s1, s0
	s_mul_i32 s0, s66, s86
	v_writelane_b32 v64, s4, 53
	v_mov_b32_e32 v2, 0xc00
	s_lshl_b64 s[52:53], s[0:1], 2
	v_writelane_b32 v64, s5, 54
	s_mov_b32 s87, s89
	v_lshl_add_u64 v[22:23], v[20:21], 0, v[0:1]
	s_mov_b32 s33, s66
	s_mov_b32 s16, s67
	s_lshl_b64 s[74:75], s[66:67], 4
	v_mov_b32_e32 v29, v8
	v_lshlrev_b64 v[30:31], 4, v[4:5]
	v_lshl_add_u64 v[32:33], s[60:61], 0, v[0:1]
	v_lshl_or_b32 v49, v44, 3, v2
	v_lshl_add_u64 v[12:13], s[2:3], 0, v[6:7]
	s_lshl_b32 s83, s86, 2
	s_mov_b32 s98, 30
	s_mov_b64 s[14:15], 0
	v_mov_b64_e32 v[38:39], s[62:63]
	v_mov_b64_e32 v[54:55], s[60:61]
	v_mov_b32_e32 v34, 1.0
	v_bfrev_b32_e32 v51, 1
	v_mov_b32_e32 v37, 0
	s_mov_b32 s90, 0
	v_mov_b32_e32 v50, 0
	v_mov_b32_e32 v52, 0
	v_writelane_b32 v64, s52, 55
                                        ; implicit-def: $sgpr62_sgpr63
                                        ; implicit-def: $sgpr12_sgpr13
                                        ; implicit-def: $sgpr78_sgpr79
                                        ; implicit-def: $sgpr10_sgpr11
                                        ; implicit-def: $sgpr64_sgpr65
                                        ; implicit-def: $sgpr80_sgpr81
	s_nop 1
	v_writelane_b32 v64, s53, 56
	s_branch .LBB53_16
.LBB53_13:                              ;   in Loop: Header=BB53_16 Depth=1
	s_or_b64 exec, exec, s[20:21]
	s_and_b64 s[8:9], s[8:9], exec
	s_andn2_b64 s[28:29], s[28:29], exec
	s_andn2_b64 s[0:1], s[0:1], exec
	s_orn2_b64 s[20:21], s[6:7], exec
.LBB53_14:                              ;   in Loop: Header=BB53_16 Depth=1
	s_or_b64 exec, exec, s[2:3]
	s_andn2_b64 s[2:3], s[80:81], exec
	s_and_b64 s[6:7], s[8:9], exec
	s_or_b64 s[80:81], s[2:3], s[6:7]
	s_andn2_b64 s[2:3], s[64:65], exec
	s_and_b64 s[6:7], s[28:29], exec
	s_or_b64 s[64:65], s[2:3], s[6:7]
	;; [unrolled: 3-line block ×3, first 2 shown]
	s_orn2_b64 s[0:1], s[20:21], exec
.LBB53_15:                              ;   in Loop: Header=BB53_16 Depth=1
	s_or_b64 exec, exec, s[18:19]
	s_and_b64 s[0:1], exec, s[0:1]
	s_or_b64 s[14:15], s[0:1], s[14:15]
	s_andn2_b64 s[0:1], s[78:79], exec
	s_and_b64 s[2:3], s[80:81], exec
	s_or_b64 s[78:79], s[0:1], s[2:3]
	s_andn2_b64 s[0:1], s[12:13], exec
	s_and_b64 s[2:3], s[64:65], exec
	;; [unrolled: 3-line block ×3, first 2 shown]
	s_or_b64 s[62:63], s[0:1], s[2:3]
	v_mov_b64_e32 v[38:39], v[8:9]
	s_andn2_b64 exec, exec, s[14:15]
	s_cbranch_execz .LBB53_288
.LBB53_16:                              ; =>This Loop Header: Depth=1
                                        ;     Child Loop BB53_22 Depth 2
                                        ;     Child Loop BB53_36 Depth 2
	;; [unrolled: 1-line block ×17, first 2 shown]
	ds_read_b128 v[4:7], v3 offset:5120
	s_waitcnt lgkmcnt(0)
	v_readfirstlane_b32 s77, v5
	v_readfirstlane_b32 s76, v4
	s_nop 1
	v_cmp_gt_i64_e64 s[0:1], s[76:77], 0
	s_and_b64 vcc, exec, s[0:1]
	s_cbranch_vccnz .LBB53_49
; %bb.17:                               ;   in Loop: Header=BB53_16 Depth=1
	v_readlane_b32 s0, v64, 26
	v_readlane_b32 s1, v64, 27
	s_and_b64 vcc, exec, s[0:1]
	s_cbranch_vccz .LBB53_30
; %bb.18:                               ;   in Loop: Header=BB53_16 Depth=1
	s_mov_b64 s[0:1], 0x301
	v_cmp_gt_i64_e32 vcc, s[0:1], v[6:7]
	s_mov_b64 s[6:7], 0
	s_mov_b64 s[0:1], 0
	s_cbranch_vccz .LBB53_31
; %bb.19:                               ;   in Loop: Header=BB53_16 Depth=1
	s_mov_b64 s[8:9], exec
	v_readlane_b32 s0, v64, 28
	v_readlane_b32 s1, v64, 29
	s_and_b64 s[0:1], s[8:9], s[0:1]
	s_mov_b64 exec, s[0:1]
	s_cbranch_execz .LBB53_83
; %bb.20:                               ;   in Loop: Header=BB53_16 Depth=1
	global_load_ushort v6, v3, s[94:95]
	global_load_dword v8, v[16:17], off
	v_readlane_b32 s0, v64, 47
	v_readlane_b32 s1, v64, 48
	;; [unrolled: 1-line block ×4, first 2 shown]
	v_mov_b64_e32 v[4:5], s[0:1]
	s_mov_b64 s[18:19], 0
	s_waitcnt vmcnt(1)
	v_and_b32_e32 v2, 0xffff, v6
	v_readfirstlane_b32 s0, v6
	v_lshl_add_u64 v[6:7], v[0:1], 0, v[2:3]
	s_and_b32 s2, 0xffff, s0
	v_mad_u64_u32 v[4:5], s[0:1], s20, v6, v[4:5]
	v_mul_lo_u32 v7, s20, v7
	v_mul_lo_u32 v9, s21, v6
	s_mul_i32 s0, s21, s2
	s_mul_hi_u32 s1, s20, s2
	s_mul_i32 s20, s20, s2
	v_add3_u32 v5, v9, v5, v7
	s_add_i32 s21, s1, s0
	v_mov_b64_e32 v[6:7], v[0:1]
	s_branch .LBB53_22
.LBB53_21:                              ;   in Loop: Header=BB53_22 Depth=2
	s_or_b64 exec, exec, s[2:3]
	v_lshl_add_u64 v[4:5], v[4:5], 0, s[20:21]
	v_mov_b32_e32 v8, v9
	s_andn2_b64 exec, exec, s[18:19]
	s_cbranch_execz .LBB53_83
.LBB53_22:                              ;   Parent Loop BB53_16 Depth=1
                                        ; =>  This Inner Loop Header: Depth=2
	v_lshl_add_u64 v[6:7], v[6:7], 0, v[2:3]
	v_cmp_gt_i64_e64 s[0:1], s[60:61], v[6:7]
	v_cmp_le_i64_e32 vcc, s[60:61], v[6:7]
	s_waitcnt lgkmcnt(0)
	v_mov_b32_e32 v10, 0
	v_mov_b32_e32 v9, 0
	s_and_saveexec_b64 s[2:3], s[0:1]
	s_cbranch_execz .LBB53_24
; %bb.23:                               ;   in Loop: Header=BB53_22 Depth=2
	global_load_dword v9, v[4:5], off
.LBB53_24:                              ;   in Loop: Header=BB53_22 Depth=2
	s_or_b64 exec, exec, s[2:3]
	s_waitcnt vmcnt(0)
	v_cmp_lt_i32_e64 s[0:1], -1, v8
	s_nop 1
	v_cndmask_b32_e64 v11, -1, v51, s[0:1]
	v_xor_b32_e32 v11, v11, v8
	v_cmp_o_f32_e64 s[0:1], v8, v8
	s_nop 1
	v_cndmask_b32_e64 v11, -1, v11, s[0:1]
	v_and_b32_e32 v11, v11, v52
	v_cmp_eq_u32_e64 s[0:1], v11, v50
	s_cmp_lg_u64 s[0:1], 0
	s_cselect_b64 s[2:3], -1, 0
	s_and_b64 s[2:3], s[4:5], s[2:3]
	s_and_saveexec_b64 s[22:23], s[2:3]
	s_cbranch_execz .LBB53_28
; %bb.25:                               ;   in Loop: Header=BB53_22 Depth=2
	s_mov_b64 s[26:27], exec
	v_mbcnt_lo_u32_b32 v10, s26, 0
	v_mbcnt_hi_u32_b32 v10, s27, v10
	s_bcnt1_i32_b64 s28, s[0:1]
	v_cmp_eq_u32_e64 s[2:3], 0, v10
                                        ; implicit-def: $vgpr11
	s_and_saveexec_b64 s[24:25], s[2:3]
; %bb.26:                               ;   in Loop: Header=BB53_22 Depth=2
	s_bcnt1_i32_b64 s2, s[26:27]
	s_mul_i32 s2, s28, s2
	v_mov_b32_e32 v11, s2
	ds_add_rtn_u32 v11, v3, v11 offset:5136
; %bb.27:                               ;   in Loop: Header=BB53_22 Depth=2
	s_or_b64 exec, exec, s[24:25]
	s_waitcnt lgkmcnt(0)
	v_readfirstlane_b32 s2, v11
	s_nop 1
	v_mov_b32_e32 v11, s2
	v_mad_u32_u24 v10, s28, v10, v11
.LBB53_28:                              ;   in Loop: Header=BB53_22 Depth=2
	s_or_b64 exec, exec, s[22:23]
	ds_bpermute_b32 v10, v46, v10
	s_and_b64 s[2:3], exec, vcc
	s_or_b64 s[18:19], s[2:3], s[18:19]
	s_and_saveexec_b64 s[2:3], s[0:1]
	s_cbranch_execz .LBB53_21
; %bb.29:                               ;   in Loop: Header=BB53_22 Depth=2
	v_and_b32_e32 v35, s0, v18
	v_and_b32_e32 v11, s1, v19
	v_bcnt_u32_b32 v35, v35, 0
	v_bcnt_u32_b32 v11, v11, v35
	v_lshlrev_b32_e32 v11, 2, v11
	s_waitcnt lgkmcnt(0)
	v_lshl_add_u32 v10, v10, 2, v11
	ds_write_b32 v10, v8
	s_branch .LBB53_21
.LBB53_30:                              ;   in Loop: Header=BB53_16 Depth=1
	s_mov_b64 s[6:7], -1
	s_mov_b64 s[0:1], 0
.LBB53_31:                              ;   in Loop: Header=BB53_16 Depth=1
	s_and_b64 vcc, exec, s[6:7]
	s_cbranch_vccz .LBB53_47
.LBB53_32:                              ;   in Loop: Header=BB53_16 Depth=1
	s_mov_b64 s[0:1], exec
	v_readlane_b32 s2, v64, 30
	v_readlane_b32 s3, v64, 31
	s_and_b64 s[2:3], s[0:1], s[2:3]
	s_mov_b64 exec, s[2:3]
	s_cbranch_execz .LBB53_44
; %bb.33:                               ;   in Loop: Header=BB53_16 Depth=1
	global_load_ushort v2, v3, s[94:95]
	global_load_dword v10, v[16:17], off
	v_mov_b32_e32 v8, v0
	s_waitcnt vmcnt(1)
	v_readfirstlane_b32 s6, v2
	v_add_u32_sdwa v2, v2, v0 dst_sel:DWORD dst_unused:UNUSED_PAD src0_sel:WORD_0 src1_sel:DWORD
	v_cmp_gt_i64_e32 vcc, s[60:61], v[2:3]
	s_and_saveexec_b64 s[2:3], vcc
	s_cbranch_execz .LBB53_43
; %bb.34:                               ;   in Loop: Header=BB53_16 Depth=1
	s_and_b32 s88, s6, 0xffff
	s_cmp_eq_u32 s88, 1
	v_readlane_b32 s8, v64, 36
	s_cselect_b64 s[6:7], -1, 0
	v_readlane_b32 s9, v64, 37
	s_and_b64 s[18:19], s[8:9], s[6:7]
	s_mov_b64 s[8:9], -1
	v_mov_b64_e32 v[6:7], v[0:1]
	v_mov_b64_e32 v[4:5], v[2:3]
                                        ; implicit-def: $vgpr11
                                        ; implicit-def: $vgpr8_vgpr9
	s_and_saveexec_b64 s[6:7], s[18:19]
	s_cbranch_execz .LBB53_38
; %bb.35:                               ;   in Loop: Header=BB53_16 Depth=1
	v_lshl_add_u64 v[4:5], v[2:3], 0, 1
	v_mov_b64_e32 v[6:7], v[4:5]
	s_mov_b64 s[8:9], 0
	v_mov_b64_e32 v[8:9], v[20:21]
	v_mov_b32_e32 v35, v14
	v_mov_b64_e32 v[4:5], v[2:3]
.LBB53_36:                              ;   Parent Loop BB53_16 Depth=1
                                        ; =>  This Inner Loop Header: Depth=2
	v_mul_lo_u32 v53, v5, s33
	v_mul_lo_u32 v56, v4, s16
	v_mad_u64_u32 v[42:43], s[18:19], v4, s33, 0
	v_mul_lo_u32 v11, v7, s66
	v_mul_lo_u32 v36, v6, s67
	v_mad_u64_u32 v[40:41], s[18:19], v6, s66, 0
	v_add3_u32 v43, v43, v56, v53
	v_add3_u32 v41, v41, v36, v11
	v_lshl_add_u64 v[42:43], v[42:43], 2, s[92:93]
	v_lshl_add_u64 v[40:41], v[40:41], 2, s[92:93]
	global_load_dword v36, v[42:43], off
	global_load_dword v11, v[40:41], off
	v_lshl_add_u64 v[8:9], v[8:9], 0, -2
	v_cmp_eq_u64_e32 vcc, 0, v[8:9]
	v_lshl_add_u64 v[6:7], v[6:7], 0, 2
	v_lshl_add_u64 v[4:5], v[4:5], 0, 2
	s_or_b64 s[8:9], vcc, s[8:9]
	s_waitcnt vmcnt(1)
	ds_write2_b32 v35, v10, v36 offset1:1
	v_add_u32_e32 v35, 8, v35
	s_waitcnt vmcnt(0)
	v_mov_b32_e32 v10, v11
	s_andn2_b64 exec, exec, s[8:9]
	s_cbranch_execnz .LBB53_36
; %bb.37:                               ;   in Loop: Header=BB53_16 Depth=1
	s_or_b64 exec, exec, s[8:9]
	v_readlane_b32 s8, v64, 38
	v_lshl_add_u64 v[4:5], v[2:3], 0, v[20:21]
	v_readlane_b32 s9, v64, 39
	v_lshl_add_u64 v[8:9], v[4:5], 0, -1
	s_orn2_b64 s[8:9], s[8:9], exec
	v_mov_b32_e32 v10, v11
	v_mov_b64_e32 v[6:7], v[22:23]
.LBB53_38:                              ;   in Loop: Header=BB53_16 Depth=1
	s_or_b64 exec, exec, s[6:7]
	s_and_saveexec_b64 s[6:7], s[8:9]
	s_cbranch_execz .LBB53_42
; %bb.39:                               ;   in Loop: Header=BB53_16 Depth=1
	v_readlane_b32 s20, v64, 47
	v_readlane_b32 s21, v64, 48
	;; [unrolled: 1-line block ×4, first 2 shown]
	v_mov_b64_e32 v[8:9], s[20:21]
	v_mad_u64_u32 v[8:9], s[20:21], s22, v4, v[8:9]
	s_sub_u32 s8, 0, s88
	v_mul_lo_u32 v2, s22, v5
	v_mul_lo_u32 v7, s23, v4
	s_mul_i32 s20, s23, s88
	s_mul_hi_u32 s21, s22, s88
	s_mov_b64 s[18:19], 0
	s_subb_u32 s9, 0, 0
	v_add3_u32 v9, v7, v9, v2
	s_add_i32 s21, s21, s20
	s_mul_i32 s20, s22, s88
.LBB53_40:                              ;   Parent Loop BB53_16 Depth=1
                                        ; =>  This Inner Loop Header: Depth=2
	global_load_dword v11, v[8:9], off
	v_mov_b64_e32 v[40:41], v[4:5]
	v_lshl_add_u64 v[4:5], v[40:41], 0, s[88:89]
	v_lshlrev_b32_e32 v2, 2, v6
	v_cmp_le_i64_e32 vcc, s[60:61], v[4:5]
	v_lshl_add_u64 v[8:9], v[8:9], 0, s[20:21]
	s_waitcnt vmcnt(1)
	ds_write_b32 v2, v10
	v_mov_b64_e32 v[6:7], v[40:41]
	s_or_b64 s[18:19], vcc, s[18:19]
	s_waitcnt vmcnt(0)
	v_mov_b32_e32 v10, v11
	s_andn2_b64 exec, exec, s[18:19]
	s_cbranch_execnz .LBB53_40
; %bb.41:                               ;   in Loop: Header=BB53_16 Depth=1
	s_or_b64 exec, exec, s[18:19]
	v_lshl_add_u64 v[8:9], s[8:9], 0, v[4:5]
.LBB53_42:                              ;   in Loop: Header=BB53_16 Depth=1
	s_or_b64 exec, exec, s[6:7]
	s_waitcnt vmcnt(0)
	v_mov_b32_e32 v10, v11
.LBB53_43:                              ;   in Loop: Header=BB53_16 Depth=1
	s_or_b64 exec, exec, s[2:3]
	v_lshlrev_b32_e32 v2, 2, v8
	s_waitcnt vmcnt(0)
	ds_write_b32 v2, v10
.LBB53_44:                              ;   in Loop: Header=BB53_16 Depth=1
	s_or_b64 exec, exec, s[0:1]
	s_waitcnt lgkmcnt(0)
	s_barrier
	s_mov_b64 s[0:1], exec
	v_readlane_b32 s2, v64, 12
	v_readlane_b32 s3, v64, 13
	s_and_b64 s[2:3], s[0:1], s[2:3]
	s_mov_b64 exec, s[2:3]
; %bb.45:                               ;   in Loop: Header=BB53_16 Depth=1
	ds_write_b64 v3, v[54:55] offset:5120
; %bb.46:                               ;   in Loop: Header=BB53_16 Depth=1
	s_or_b64 exec, exec, s[0:1]
	s_mov_b64 s[0:1], -1
	s_waitcnt lgkmcnt(0)
	s_barrier
.LBB53_47:                              ;   in Loop: Header=BB53_16 Depth=1
	s_and_b64 vcc, exec, s[0:1]
	s_cbranch_vccz .LBB53_49
; %bb.48:                               ;   in Loop: Header=BB53_16 Depth=1
	ds_read_b64 v[4:5], v3 offset:5120
	s_waitcnt lgkmcnt(0)
	v_readfirstlane_b32 s76, v4
.LBB53_49:                              ;   in Loop: Header=BB53_16 Depth=1
	s_cmp_lt_i32 s76, 1
	s_mov_b64 s[0:1], -1
                                        ; implicit-def: $vgpr4_vgpr5
                                        ; implicit-def: $vgpr8_vgpr9
	s_cbranch_scc1 .LBB53_59
; %bb.50:                               ;   in Loop: Header=BB53_16 Depth=1
	s_and_b64 vcc, exec, s[0:1]
	s_cbranch_vccnz .LBB53_73
.LBB53_51:                              ;   in Loop: Header=BB53_16 Depth=1
	s_lshl_b32 s2, s90, 6
	s_and_saveexec_b64 s[0:1], s[4:5]
	s_cbranch_execz .LBB53_53
.LBB53_52:                              ;   in Loop: Header=BB53_16 Depth=1
	v_lshl_add_u32 v2, s2, 3, v47
	ds_write_b128 v2, v[4:7]
	ds_write_b128 v2, v[8:11] offset:16
.LBB53_53:                              ;   in Loop: Header=BB53_16 Depth=1
	s_or_b64 exec, exec, s[0:1]
	s_waitcnt lgkmcnt(0)
	s_barrier
	s_and_saveexec_b64 s[0:1], s[96:97]
	s_cbranch_execz .LBB53_91
; %bb.54:                               ;   in Loop: Header=BB53_16 Depth=1
	v_readlane_b32 s6, v64, 32
	v_readlane_b32 s7, v64, 33
	s_andn2_b64 vcc, exec, s[6:7]
	v_mov_b64_e32 v[4:5], 0
	s_cbranch_vccnz .LBB53_90
; %bb.55:                               ;   in Loop: Header=BB53_16 Depth=1
	v_readlane_b32 s6, v64, 40
	v_readlane_b32 s7, v64, 41
	s_andn2_b64 vcc, exec, s[6:7]
	s_cbranch_vccnz .LBB53_86
; %bb.56:                               ;   in Loop: Header=BB53_16 Depth=1
	v_lshl_add_u32 v2, s90, 9, v49
	v_mov_b64_e32 v[4:5], 0
	s_mov_b32 s3, 0
.LBB53_57:                              ;   Parent Loop BB53_16 Depth=1
                                        ; =>  This Inner Loop Header: Depth=2
	ds_read2_b64 v[6:9], v2 offset1:4
	ds_read2_b64 v[40:43], v2 offset0:8 offset1:12
	ds_read2_b64 v[56:59], v2 offset0:16 offset1:20
	;; [unrolled: 1-line block ×3, first 2 shown]
	s_add_i32 s3, s3, 8
	s_waitcnt lgkmcnt(3)
	v_lshl_add_u64 v[4:5], v[6:7], 0, v[4:5]
	v_lshl_add_u64 v[4:5], v[8:9], 0, v[4:5]
	s_waitcnt lgkmcnt(2)
	v_lshl_add_u64 v[4:5], v[40:41], 0, v[4:5]
	v_lshl_add_u64 v[4:5], v[42:43], 0, v[4:5]
	;; [unrolled: 3-line block ×3, first 2 shown]
	s_waitcnt lgkmcnt(0)
	v_lshl_add_u64 v[4:5], v[60:61], 0, v[4:5]
	v_add_u32_e32 v2, 0x100, v2
	s_cmp_eq_u32 s82, s3
	v_lshl_add_u64 v[4:5], v[62:63], 0, v[4:5]
	s_cbranch_scc0 .LBB53_57
; %bb.58:                               ;   in Loop: Header=BB53_16 Depth=1
	s_mov_b32 s3, s82
	s_branch .LBB53_87
.LBB53_59:                              ;   in Loop: Header=BB53_16 Depth=1
	global_load_ushort v2, v3, s[94:95]
	s_mov_b32 s0, s89
	s_waitcnt vmcnt(0)
	v_readfirstlane_b32 s1, v2
	s_and_b32 s84, s1, 0xffff
	s_lshl_b32 s88, s84, 2
	s_mov_b32 s1, s61
	s_cmp_lg_u64 s[0:1], 0
	s_cbranch_scc0 .LBB53_82
; %bb.60:                               ;   in Loop: Header=BB53_16 Depth=1
	s_add_u32 s0, s88, 0
	s_addc_u32 s1, 0, 0
	s_xor_b64 s[0:1], s[0:1], 0
	v_cvt_f32_u32_e32 v2, s0
	v_cvt_f32_u32_e32 v4, s1
	s_sub_u32 s6, 0, s0
	s_subb_u32 s7, 0, s1
	v_fmac_f32_e32 v2, 0x4f800000, v4
	v_rcp_f32_e32 v2, v2
	s_nop 0
	v_mul_f32_e32 v2, 0x5f7ffffc, v2
	v_mul_f32_e32 v4, 0x2f800000, v2
	v_trunc_f32_e32 v4, v4
	v_fmac_f32_e32 v2, 0xcf800000, v4
	v_cvt_u32_f32_e32 v4, v4
	v_cvt_u32_f32_e32 v2, v2
	v_readfirstlane_b32 s8, v4
	v_readfirstlane_b32 s2, v2
	s_mul_i32 s3, s6, s8
	s_mul_hi_u32 s18, s6, s2
	s_mul_i32 s9, s7, s2
	s_add_i32 s3, s18, s3
	s_mul_i32 s19, s6, s2
	s_add_i32 s3, s3, s9
	s_mul_i32 s18, s2, s3
	s_mul_hi_u32 s20, s2, s19
	s_mul_hi_u32 s9, s2, s3
	s_add_u32 s18, s20, s18
	s_addc_u32 s9, 0, s9
	s_mul_hi_u32 s21, s8, s19
	s_mul_i32 s19, s8, s19
	s_add_u32 s18, s18, s19
	s_mul_hi_u32 s20, s8, s3
	s_addc_u32 s9, s9, s21
	s_addc_u32 s18, s20, 0
	s_mul_i32 s3, s8, s3
	s_add_u32 s3, s9, s3
	s_addc_u32 s9, 0, s18
	s_add_u32 s18, s2, s3
	s_cselect_b64 s[2:3], -1, 0
	s_cmp_lg_u64 s[2:3], 0
	s_addc_u32 s8, s8, s9
	s_mul_i32 s2, s6, s8
	s_mul_hi_u32 s3, s6, s18
	s_add_i32 s2, s3, s2
	s_mul_i32 s7, s7, s18
	s_add_i32 s2, s2, s7
	s_mul_i32 s6, s6, s18
	s_mul_hi_u32 s7, s8, s6
	s_mul_i32 s9, s8, s6
	s_mul_i32 s20, s18, s2
	s_mul_hi_u32 s6, s18, s6
	s_mul_hi_u32 s19, s18, s2
	s_add_u32 s6, s6, s20
	s_addc_u32 s19, 0, s19
	s_add_u32 s6, s6, s9
	s_mul_hi_u32 s3, s8, s2
	s_addc_u32 s6, s19, s7
	s_addc_u32 s3, s3, 0
	s_mul_i32 s2, s8, s2
	s_add_u32 s2, s6, s2
	s_addc_u32 s6, 0, s3
	s_add_u32 s9, s18, s2
	s_cselect_b64 s[2:3], -1, 0
	s_cmp_lg_u64 s[2:3], 0
	s_addc_u32 s8, s8, s6
	s_ashr_i32 s2, s61, 31
	s_add_u32 s6, s60, s2
	s_mov_b32 s3, s2
	s_addc_u32 s7, s61, s2
	s_xor_b64 s[6:7], s[6:7], s[2:3]
	s_mul_i32 s19, s6, s8
	s_mul_hi_u32 s20, s6, s9
	s_mul_hi_u32 s18, s6, s8
	s_add_u32 s19, s20, s19
	s_addc_u32 s18, 0, s18
	s_mul_hi_u32 s21, s7, s9
	s_mul_i32 s9, s7, s9
	s_add_u32 s9, s19, s9
	s_mul_hi_u32 s20, s7, s8
	s_addc_u32 s9, s18, s21
	s_addc_u32 s18, s20, 0
	s_mul_i32 s8, s7, s8
	s_add_u32 s8, s9, s8
	s_addc_u32 s9, 0, s18
	s_mul_i32 s9, s0, s9
	s_mul_hi_u32 s18, s0, s8
	s_add_i32 s9, s18, s9
	s_mul_i32 s18, s1, s8
	s_add_i32 s20, s9, s18
	s_sub_i32 s18, s7, s20
	s_mul_i32 s8, s0, s8
	s_sub_u32 s6, s6, s8
	s_cselect_b64 s[8:9], -1, 0
	s_cmp_lg_u64 s[8:9], 0
	s_subb_u32 s21, s18, s1
	s_sub_u32 s22, s6, s0
	s_cselect_b64 s[18:19], -1, 0
	s_cmp_lg_u64 s[18:19], 0
	s_subb_u32 s23, s21, 0
	s_cmp_ge_u32 s23, s1
	s_cselect_b32 s24, -1, 0
	s_cmp_ge_u32 s22, s0
	s_cselect_b32 s25, -1, 0
	s_cmp_eq_u32 s23, s1
	s_cselect_b32 s24, s25, s24
	s_cmp_lg_u64 s[18:19], 0
	s_subb_u32 s21, s21, s1
	s_sub_u32 s25, s22, s0
	s_cselect_b64 s[18:19], -1, 0
	s_cmp_lg_u64 s[18:19], 0
	s_subb_u32 s18, s21, 0
	s_cmp_lg_u32 s24, 0
	s_cselect_b32 s19, s25, s22
	s_cselect_b32 s18, s18, s23
	s_cmp_lg_u64 s[8:9], 0
	s_subb_u32 s7, s7, s20
	s_cmp_ge_u32 s7, s1
	s_cselect_b32 s8, -1, 0
	s_cmp_ge_u32 s6, s0
	s_cselect_b32 s0, -1, 0
	s_cmp_eq_u32 s7, s1
	s_cselect_b32 s0, s0, s8
	s_cmp_lg_u32 s0, 0
	s_cselect_b32 s1, s18, s7
	s_cselect_b32 s0, s19, s6
	s_xor_b64 s[0:1], s[0:1], s[2:3]
	s_sub_u32 s68, s0, s2
	s_subb_u32 s69, s1, s2
	s_cbranch_execnz .LBB53_62
.LBB53_61:                              ;   in Loop: Header=BB53_16 Depth=1
	v_cvt_f32_u32_e32 v2, s88
	s_sub_i32 s0, 0, s88
	s_mov_b32 s69, s89
	v_rcp_iflag_f32_e32 v2, v2
	s_nop 0
	v_mul_f32_e32 v2, 0x4f7ffffe, v2
	v_cvt_u32_f32_e32 v2, v2
	s_nop 0
	v_readfirstlane_b32 s1, v2
	s_mul_i32 s0, s0, s1
	s_mul_hi_u32 s0, s1, s0
	s_add_i32 s1, s1, s0
	s_mul_hi_u32 s0, s60, s1
	s_mul_i32 s0, s0, s88
	s_sub_i32 s0, s60, s0
	s_sub_i32 s1, s0, s88
	s_cmp_ge_u32 s0, s88
	s_cselect_b32 s0, s1, s0
	s_sub_i32 s1, s0, s88
	s_cmp_ge_u32 s0, s88
	s_cselect_b32 s68, s1, s0
.LBB53_62:                              ;   in Loop: Header=BB53_16 Depth=1
	s_sub_u32 s24, s60, s68
	s_subb_u32 s25, s61, s69
	s_mov_b32 s85, s89
	v_cmp_gt_i64_e32 vcc, s[24:25], v[14:15]
	v_mov_b64_e32 v[4:5], 0
	v_mov_b64_e32 v[6:7], 0
	;; [unrolled: 1-line block ×4, first 2 shown]
	s_and_saveexec_b64 s[58:59], vcc
	s_cbranch_execz .LBB53_66
; %bb.63:                               ;   in Loop: Header=BB53_16 Depth=1
	s_mul_i32 s0, s75, s84
	s_mul_hi_u32 s1, s74, s84
	s_mov_b32 s4, s16
	s_mov_b32 s16, s33
	;; [unrolled: 1-line block ×4, first 2 shown]
	s_mov_b64 s[72:73], s[96:97]
	s_add_i32 s77, s1, s0
	s_mov_b64 s[70:71], 0
	s_mov_b64 s[8:9], 0
	;; [unrolled: 1-line block ×5, first 2 shown]
	v_mov_b64_e32 v[40:41], v[14:15]
.LBB53_64:                              ;   Parent Loop BB53_16 Depth=1
                                        ; =>  This Inner Loop Header: Depth=2
	v_lshl_add_u64 v[4:5], s[92:93], 0, v[30:31]
	v_lshl_add_u64 v[6:7], s[92:93], 0, v[28:29]
	;; [unrolled: 1-line block ×4, first 2 shown]
	global_load_dword v2, v[4:5], off
	s_nop 0
	global_load_dword v4, v[6:7], off
	global_load_dword v5, v[8:9], off
	s_nop 0
	global_load_dword v6, v[10:11], off
	s_mul_i32 s99, s74, s84
	v_lshl_add_u64 v[40:41], v[40:41], 0, s[88:89]
	v_cmp_le_i64_e32 vcc, s[24:25], v[40:41]
	s_waitcnt vmcnt(3)
	v_cmp_lt_i32_e64 s[0:1], -1, v2
	s_nop 1
	v_cndmask_b32_e64 v7, -1, v51, s[0:1]
	s_waitcnt vmcnt(2)
	v_cmp_lt_i32_e64 s[0:1], -1, v4
	s_waitcnt vmcnt(1)
	v_cmp_o_f32_e64 s[2:3], v5, v5
	s_waitcnt vmcnt(0)
	v_cmp_o_f32_e64 s[18:19], v6, v6
	v_cndmask_b32_e64 v8, -1, v51, s[0:1]
	v_cmp_lt_i32_e64 s[0:1], -1, v5
	v_xor_b32_e32 v8, v8, v4
	v_cmp_o_f32_e64 s[20:21], v2, v2
	v_cndmask_b32_e64 v9, -1, v51, s[0:1]
	v_cmp_lt_i32_e64 s[0:1], -1, v6
	s_nop 1
	v_cndmask_b32_e64 v10, -1, v51, s[0:1]
	v_cmp_o_f32_e64 s[0:1], v4, v4
	v_xor_b32_e32 v4, v9, v5
	v_xor_b32_e32 v5, v10, v6
	;; [unrolled: 1-line block ×3, first 2 shown]
	v_cndmask_b32_e64 v2, -1, v6, s[20:21]
	v_cndmask_b32_e64 v6, -1, v8, s[0:1]
	v_and_b32_e32 v7, v2, v52
	v_bfe_u32 v2, v2, s98, 2
	v_cndmask_b32_e64 v4, -1, v4, s[2:3]
	v_and_b32_e32 v8, v6, v52
	v_bfe_u32 v6, v6, s98, 2
	v_cmp_eq_u32_e64 s[0:1], v7, v50
	v_cmp_eq_u32_e64 s[22:23], 0, v2
	v_cndmask_b32_e64 v5, -1, v5, s[18:19]
	v_and_b32_e32 v9, v4, v52
	v_bfe_u32 v4, v4, s98, 2
	v_cmp_eq_u32_e64 s[2:3], v8, v50
	v_cmp_eq_u32_e64 s[26:27], 0, v6
	s_and_b64 s[22:23], s[0:1], s[22:23]
	v_and_b32_e32 v10, v5, v52
	v_bfe_u32 v5, v5, s98, 2
	v_cmp_eq_u32_e64 s[18:19], v9, v50
	v_cmp_eq_u32_e64 s[28:29], 0, v4
	;; [unrolled: 1-line block ×5, first 2 shown]
	v_cndmask_b32_e64 v2, 0, 1, s[22:23]
	s_and_b64 s[22:23], s[2:3], s[26:27]
	v_cmp_eq_u32_e64 s[20:21], v10, v50
	v_cmp_eq_u32_e64 s[30:31], 0, v5
	;; [unrolled: 1-line block ×5, first 2 shown]
	v_cndmask_b32_e64 v4, 0, 1, s[22:23]
	s_and_b64 s[22:23], s[18:19], s[28:29]
	v_cmp_eq_u32_e64 s[40:41], 1, v5
	v_cmp_eq_u32_e64 s[48:49], 2, v5
	v_cmp_eq_u32_e64 s[56:57], 3, v5
	v_cndmask_b32_e64 v5, 0, 1, s[22:23]
	s_and_b64 s[22:23], s[20:21], s[30:31]
	v_cmp_eq_u32_e64 s[36:37], 1, v6
	v_cmp_eq_u32_e64 s[44:45], 2, v6
	;; [unrolled: 1-line block ×3, first 2 shown]
	v_cndmask_b32_e64 v6, 0, 1, s[22:23]
	v_cmp_ne_u32_e64 s[22:23], 0, v2
	v_cmp_ne_u32_e64 s[26:27], 0, v4
	v_cmp_ne_u32_e64 s[28:29], 0, v5
	v_cmp_ne_u32_e64 s[30:31], 0, v6
	s_bcnt1_i32_b64 s22, s[22:23]
	s_bcnt1_i32_b64 s23, s[26:27]
	s_bcnt1_i32_b64 s26, s[28:29]
	s_bcnt1_i32_b64 s27, s[30:31]
	s_add_u32 s22, s22, s94
	s_addc_u32 s28, 0, s95
	s_add_u32 s22, s22, s23
	s_addc_u32 s23, s28, 0
	s_add_u32 s22, s22, s26
	s_addc_u32 s23, s23, 0
	s_add_u32 s94, s22, s27
	s_addc_u32 s95, s23, 0
	s_and_b64 s[22:23], s[0:1], s[34:35]
	v_cndmask_b32_e64 v2, 0, 1, s[22:23]
	s_and_b64 s[22:23], s[2:3], s[36:37]
	v_cndmask_b32_e64 v6, 0, 1, s[22:23]
	s_and_b64 s[22:23], s[18:19], s[38:39]
	v_cndmask_b32_e64 v7, 0, 1, s[22:23]
	s_and_b64 s[22:23], s[20:21], s[40:41]
	v_cndmask_b32_e64 v8, 0, 1, s[22:23]
	v_cmp_ne_u32_e64 s[22:23], 0, v2
	v_cmp_ne_u32_e64 s[26:27], 0, v6
	v_cmp_ne_u32_e64 s[28:29], 0, v7
	v_cmp_ne_u32_e64 s[30:31], 0, v8
	s_bcnt1_i32_b64 s22, s[22:23]
	s_bcnt1_i32_b64 s23, s[26:27]
	s_bcnt1_i32_b64 s26, s[28:29]
	s_bcnt1_i32_b64 s27, s[30:31]
	s_add_u32 s6, s22, s6
	s_addc_u32 s7, 0, s7
	s_add_u32 s6, s6, s23
	s_addc_u32 s7, s7, 0
	s_add_u32 s6, s6, s26
	s_addc_u32 s7, s7, 0
	s_add_u32 s6, s6, s27
	s_addc_u32 s7, s7, 0
	s_and_b64 s[22:23], s[0:1], s[42:43]
	v_cndmask_b32_e64 v2, 0, 1, s[22:23]
	s_and_b64 s[22:23], s[2:3], s[44:45]
	v_cndmask_b32_e64 v8, 0, 1, s[22:23]
	s_and_b64 s[22:23], s[18:19], s[46:47]
	v_cndmask_b32_e64 v9, 0, 1, s[22:23]
	s_and_b64 s[22:23], s[20:21], s[48:49]
	;; [unrolled: 24-line block ×3, first 2 shown]
	v_cndmask_b32_e64 v35, 0, 1, s[0:1]
	v_cmp_ne_u32_e64 s[0:1], 0, v2
	v_cmp_ne_u32_e64 s[2:3], 0, v10
	;; [unrolled: 1-line block ×4, first 2 shown]
	s_bcnt1_i32_b64 s0, s[0:1]
	s_bcnt1_i32_b64 s1, s[2:3]
	;; [unrolled: 1-line block ×4, first 2 shown]
	s_add_u32 s0, s0, s8
	s_addc_u32 s8, 0, s9
	s_add_u32 s0, s0, s1
	s_addc_u32 s1, s8, 0
	;; [unrolled: 2-line block ×5, first 2 shown]
	v_mov_b64_e32 v[4:5], s[94:95]
	v_mov_b64_e32 v[6:7], s[6:7]
	;; [unrolled: 1-line block ×3, first 2 shown]
	s_or_b64 s[70:71], vcc, s[70:71]
	v_mov_b64_e32 v[10:11], s[8:9]
	s_andn2_b64 exec, exec, s[70:71]
	s_cbranch_execnz .LBB53_64
; %bb.65:                               ;   in Loop: Header=BB53_16 Depth=1
	s_or_b64 exec, exec, s[70:71]
	s_mov_b64 s[96:97], s[72:73]
	s_mov_b32 s72, s33
	v_readlane_b32 s92, v64, 49
	v_readlane_b32 s94, v64, 51
	s_mov_b32 s33, s16
	s_mov_b32 s16, s4
	v_readlane_b32 s4, v64, 53
	v_readlane_b32 s52, v64, 55
	s_mov_b32 s71, s17
	v_readlane_b32 s93, v64, 50
	v_readlane_b32 s95, v64, 52
	;; [unrolled: 1-line block ×4, first 2 shown]
.LBB53_66:                              ;   in Loop: Header=BB53_16 Depth=1
	s_or_b64 exec, exec, s[58:59]
	v_lshl_add_u64 v[40:41], s[24:25], 0, v[0:1]
	v_cmp_gt_i64_e32 vcc, s[60:61], v[40:41]
	s_and_saveexec_b64 s[2:3], vcc
	s_cbranch_execz .LBB53_72
; %bb.67:                               ;   in Loop: Header=BB53_16 Depth=1
	v_mul_lo_u32 v2, v41, s66
	v_mul_lo_u32 v35, v40, s67
	v_mad_u64_u32 v[42:43], s[0:1], v40, s66, 0
	v_add3_u32 v43, v43, v35, v2
	v_lshl_add_u64 v[42:43], v[42:43], 2, s[92:93]
	global_load_dword v2, v[42:43], off
	v_lshl_add_u64 v[42:43], v[32:33], 0, s[84:85]
	v_readlane_b32 s0, v64, 47
	v_mov_b32_e32 v35, s69
	v_subrev_co_u32_e32 v36, vcc, s68, v42
	v_readlane_b32 s1, v64, 48
	s_nop 0
	v_subb_co_u32_e32 v35, vcc, v43, v35, vcc
	v_readlane_b32 s6, v64, 45
	v_mov_b64_e32 v[42:43], s[0:1]
	v_readlane_b32 s7, v64, 46
	v_mad_u64_u32 v[42:43], s[0:1], s6, v36, v[42:43]
	v_mul_lo_u32 v35, s6, v35
	v_mul_lo_u32 v53, s7, v36
	s_mul_i32 s0, s7, s84
	s_mul_hi_u32 s1, s6, s84
	v_add3_u32 v43, v53, v43, v35
	s_add_i32 s7, s1, s0
	s_mul_i32 s6, s6, s84
	s_mov_b64 s[8:9], 0
	s_branch .LBB53_69
.LBB53_68:                              ;   in Loop: Header=BB53_69 Depth=2
	s_or_b64 exec, exec, s[18:19]
	s_and_b64 s[0:1], exec, vcc
	s_waitcnt vmcnt(0)
	v_cmp_lt_i32_e32 vcc, -1, v2
	s_or_b64 s[8:9], s[0:1], s[8:9]
	v_lshl_add_u64 v[42:43], v[42:43], 0, s[6:7]
	v_cndmask_b32_e32 v36, -1, v51, vcc
	v_xor_b32_e32 v36, v36, v2
	v_cmp_o_f32_e32 vcc, v2, v2
	s_nop 1
	v_cndmask_b32_e32 v2, -1, v36, vcc
	v_and_b32_e32 v36, v2, v52
	v_bfe_u32 v2, v2, s98, 2
	v_cmp_eq_u32_e32 vcc, v36, v50
	v_cmp_eq_u32_e64 s[0:1], 0, v2
	s_and_b64 s[0:1], vcc, s[0:1]
	s_nop 0
	v_cndmask_b32_e64 v36, 0, 1, s[0:1]
	v_cmp_ne_u32_e64 s[0:1], 0, v36
	s_bcnt1_i32_b64 s88, s[0:1]
	v_cmp_eq_u32_e64 s[0:1], 1, v2
	s_and_b64 s[0:1], vcc, s[0:1]
	v_lshl_add_u64 v[4:5], s[88:89], 0, v[4:5]
	v_cndmask_b32_e64 v36, 0, 1, s[0:1]
	v_cmp_ne_u32_e64 s[0:1], 0, v36
	s_bcnt1_i32_b64 s88, s[0:1]
	v_cmp_eq_u32_e64 s[0:1], 2, v2
	s_and_b64 s[0:1], vcc, s[0:1]
	v_lshl_add_u64 v[6:7], s[88:89], 0, v[6:7]
	;; [unrolled: 6-line block ×3, first 2 shown]
	v_cndmask_b32_e64 v2, 0, 1, s[0:1]
	v_cmp_ne_u32_e32 vcc, 0, v2
	s_bcnt1_i32_b64 s88, vcc
	v_lshl_add_u64 v[10:11], s[88:89], 0, v[10:11]
	v_mov_b32_e32 v2, v35
	s_andn2_b64 exec, exec, s[8:9]
	s_cbranch_execz .LBB53_71
.LBB53_69:                              ;   Parent Loop BB53_16 Depth=1
                                        ; =>  This Inner Loop Header: Depth=2
	v_lshl_add_u64 v[40:41], v[40:41], 0, s[84:85]
	v_cmp_gt_i64_e64 s[0:1], s[60:61], v[40:41]
	v_cmp_le_i64_e32 vcc, s[60:61], v[40:41]
	v_mov_b32_e32 v35, 0
	s_and_saveexec_b64 s[18:19], s[0:1]
	s_cbranch_execz .LBB53_68
; %bb.70:                               ;   in Loop: Header=BB53_69 Depth=2
	global_load_dword v35, v[42:43], off
	s_branch .LBB53_68
.LBB53_71:                              ;   in Loop: Header=BB53_16 Depth=1
	s_or_b64 exec, exec, s[8:9]
.LBB53_72:                              ;   in Loop: Header=BB53_16 Depth=1
	s_or_b64 exec, exec, s[2:3]
	s_branch .LBB53_51
.LBB53_73:                              ;   in Loop: Header=BB53_16 Depth=1
	global_load_ushort v2, v3, s[94:95]
	v_mov_b64_e32 v[8:9], 0
	s_waitcnt vmcnt(0)
	v_readfirstlane_b32 s0, v2
	s_and_b32 s0, 0xffff, s0
	s_lshl_b32 s68, s0, 2
	v_cvt_f32_u32_e32 v4, s68
	s_sub_i32 s1, 0, s68
	v_rcp_iflag_f32_e32 v6, v4
	v_mov_b64_e32 v[4:5], 0
	v_mul_f32_e32 v6, 0x4f7ffffe, v6
	v_cvt_u32_f32_e32 v10, v6
	v_mov_b64_e32 v[6:7], 0
	v_readfirstlane_b32 s2, v10
	s_mul_i32 s1, s1, s2
	s_mul_hi_u32 s1, s2, s1
	s_add_i32 s2, s2, s1
	s_mul_hi_u32 s1, s76, s2
	s_mul_i32 s2, s1, s68
	s_sub_i32 s2, s76, s2
	s_add_i32 s3, s1, 1
	s_sub_i32 s6, s2, s68
	s_cmp_ge_u32 s2, s68
	s_cselect_b32 s1, s3, s1
	s_cselect_b32 s2, s6, s2
	s_add_i32 s3, s1, 1
	s_cmp_ge_u32 s2, s68
	s_cselect_b32 s1, s3, s1
	s_mul_hi_u32 s7, s0, s1
	s_mul_i32 s6, s0, s1
	s_lshl_b64 s[8:9], s[6:7], 2
	v_cmp_gt_u64_e32 vcc, s[8:9], v[14:15]
	v_mov_b64_e32 v[10:11], 0
	s_and_saveexec_b64 s[24:25], vcc
	s_cbranch_execz .LBB53_77
; %bb.74:                               ;   in Loop: Header=BB53_16 Depth=1
	s_mov_b32 s69, s89
	s_mov_b32 s17, s71
	s_mov_b32 s7, s98
	s_lshl_b32 s77, s0, 4
	s_mov_b64 s[58:59], 0
	v_mov_b32_e32 v35, v48
	s_mov_b64 s[70:71], 0
	s_mov_b64 s[94:95], 0
	;; [unrolled: 1-line block ×4, first 2 shown]
	v_mov_b64_e32 v[40:41], v[14:15]
.LBB53_75:                              ;   Parent Loop BB53_16 Depth=1
                                        ; =>  This Inner Loop Header: Depth=2
	ds_read_b128 v[4:7], v35
	v_lshl_add_u64 v[40:41], v[40:41], 0, s[68:69]
	v_cmp_le_u64_e32 vcc, s[8:9], v[40:41]
	v_add_u32_e32 v35, s77, v35
	s_waitcnt lgkmcnt(0)
	v_cmp_lt_i32_e64 s[0:1], -1, v5
	v_cmp_o_f32_e64 s[2:3], v6, v6
	s_nop 0
	v_cndmask_b32_e64 v8, -1, v51, s[0:1]
	v_cmp_lt_i32_e64 s[0:1], -1, v4
	v_cmp_o_f32_e64 s[18:19], v7, v7
	v_cmp_o_f32_e64 s[20:21], v5, v5
	v_cndmask_b32_e64 v9, -1, v51, s[0:1]
	v_cmp_lt_i32_e64 s[0:1], -1, v7
	v_xor_b32_e32 v9, v9, v4
	s_nop 0
	v_cndmask_b32_e64 v10, -1, v51, s[0:1]
	v_cmp_lt_i32_e64 s[0:1], -1, v6
	s_nop 1
	v_cndmask_b32_e64 v11, -1, v51, s[0:1]
	v_cmp_o_f32_e64 s[0:1], v4, v4
	v_xor_b32_e32 v4, v11, v6
	v_xor_b32_e32 v6, v10, v7
	v_xor_b32_e32 v7, v8, v5
	v_cndmask_b32_e64 v5, -1, v7, s[20:21]
	v_cndmask_b32_e64 v7, -1, v9, s[0:1]
	v_and_b32_e32 v8, v7, v52
	v_lshrrev_b32_e32 v7, s98, v7
	v_cndmask_b32_e64 v4, -1, v4, s[2:3]
	v_and_b32_e32 v9, v5, v52
	v_lshrrev_b32_e32 v5, s7, v5
	v_and_b32_e32 v7, 3, v7
	v_and_b32_e32 v10, v4, v52
	v_lshrrev_b32_e32 v4, s98, v4
	v_cmp_eq_u32_e64 s[2:3], v8, v50
	v_and_b32_e32 v5, 3, v5
	v_cmp_eq_u32_e64 s[28:29], 0, v7
	v_cmp_eq_u32_e64 s[26:27], v9, v50
	v_and_b32_e32 v4, 3, v4
	v_cmp_eq_u32_e64 s[30:31], 0, v5
	s_and_b64 s[28:29], s[2:3], s[28:29]
	v_cmp_eq_u32_e64 s[46:47], 0, v4
	v_cmp_eq_u32_e64 s[50:51], 1, v4
	;; [unrolled: 1-line block ×4, first 2 shown]
	v_cndmask_b32_e64 v4, 0, 1, s[28:29]
	s_and_b64 s[28:29], s[26:27], s[30:31]
	v_cmp_eq_u32_e64 s[36:37], 1, v5
	v_cmp_eq_u32_e64 s[40:41], 2, v5
	v_cmp_eq_u32_e64 s[42:43], 3, v5
	v_cndmask_b32_e64 v5, 0, 1, s[28:29]
	v_cmp_ne_u32_e64 s[28:29], 0, v4
	v_cmp_ne_u32_e64 s[30:31], 0, v5
	s_bcnt1_i32_b64 s28, s[28:29]
	s_bcnt1_i32_b64 s29, s[30:31]
	s_add_u32 s28, s28, s84
	s_addc_u32 s30, 0, s85
	v_cmp_eq_u32_e64 s[34:35], 1, v7
	s_add_u32 s84, s28, s29
	s_addc_u32 s85, s30, 0
	s_and_b64 s[28:29], s[2:3], s[34:35]
	v_cndmask_b32_e64 v4, 0, 1, s[28:29]
	s_and_b64 s[28:29], s[26:27], s[36:37]
	v_cndmask_b32_e64 v5, 0, 1, s[28:29]
	v_cmp_ne_u32_e64 s[28:29], 0, v4
	v_cmp_ne_u32_e64 s[30:31], 0, v5
	s_bcnt1_i32_b64 s28, s[28:29]
	s_bcnt1_i32_b64 s29, s[30:31]
	s_add_u32 s28, s28, s92
	s_addc_u32 s30, 0, s93
	v_cmp_eq_u32_e64 s[38:39], 2, v7
	s_add_u32 s34, s28, s29
	s_addc_u32 s35, s30, 0
	s_and_b64 s[28:29], s[2:3], s[38:39]
	v_cndmask_b32_e64 v4, 0, 1, s[28:29]
	s_and_b64 s[28:29], s[26:27], s[40:41]
	v_cndmask_b32_e64 v5, 0, 1, s[28:29]
	v_cmp_ne_u32_e64 s[28:29], 0, v4
	v_cmp_ne_u32_e64 s[30:31], 0, v5
	s_bcnt1_i32_b64 s28, s[28:29]
	s_bcnt1_i32_b64 s29, s[30:31]
	v_cndmask_b32_e64 v6, -1, v6, s[18:19]
	s_add_u32 s28, s28, s94
	v_and_b32_e32 v11, v6, v52
	v_lshrrev_b32_e32 v6, s7, v6
	s_addc_u32 s30, 0, s95
	v_cmp_eq_u32_e64 s[18:19], v10, v50
	v_and_b32_e32 v6, 3, v6
	s_add_u32 s36, s28, s29
	v_cmp_eq_u32_e64 s[0:1], v11, v50
	v_cmp_eq_u32_e64 s[44:45], 3, v7
	;; [unrolled: 1-line block ×3, first 2 shown]
	s_addc_u32 s37, s30, 0
	s_and_b64 s[28:29], s[18:19], s[46:47]
	v_cndmask_b32_e64 v4, 0, 1, s[28:29]
	s_and_b64 s[28:29], s[0:1], s[48:49]
	s_and_b64 s[2:3], s[2:3], s[44:45]
	v_cmp_eq_u32_e64 s[52:53], 1, v6
	v_cmp_eq_u32_e64 s[56:57], 2, v6
	;; [unrolled: 1-line block ×3, first 2 shown]
	v_cndmask_b32_e64 v5, 0, 1, s[28:29]
	v_cndmask_b32_e64 v6, 0, 1, s[2:3]
	s_and_b64 s[2:3], s[26:27], s[42:43]
	v_cndmask_b32_e64 v7, 0, 1, s[2:3]
	v_cmp_ne_u32_e64 s[2:3], 0, v4
	v_cmp_ne_u32_e64 s[26:27], 0, v5
	s_bcnt1_i32_b64 s2, s[2:3]
	s_bcnt1_i32_b64 s3, s[26:27]
	s_add_u32 s2, s84, s2
	s_addc_u32 s26, s85, 0
	s_add_u32 s84, s2, s3
	s_addc_u32 s85, s26, 0
	s_and_b64 s[2:3], s[18:19], s[50:51]
	v_cmp_ne_u32_e64 s[28:29], 0, v6
	v_cndmask_b32_e64 v6, 0, 1, s[2:3]
	s_and_b64 s[2:3], s[0:1], s[52:53]
	v_cmp_ne_u32_e64 s[30:31], 0, v7
	v_cndmask_b32_e64 v7, 0, 1, s[2:3]
	v_cmp_ne_u32_e64 s[2:3], 0, v6
	v_cmp_ne_u32_e64 s[26:27], 0, v7
	s_bcnt1_i32_b64 s2, s[2:3]
	s_bcnt1_i32_b64 s3, s[26:27]
	s_add_u32 s2, s34, s2
	s_addc_u32 s26, s35, 0
	s_add_u32 s92, s2, s3
	s_addc_u32 s93, s26, 0
	s_and_b64 s[2:3], s[18:19], s[54:55]
	v_cndmask_b32_e64 v8, 0, 1, s[2:3]
	s_and_b64 s[2:3], s[0:1], s[56:57]
	v_cndmask_b32_e64 v9, 0, 1, s[2:3]
	v_cmp_ne_u32_e64 s[2:3], 0, v8
	v_cmp_ne_u32_e64 s[26:27], 0, v9
	s_bcnt1_i32_b64 s2, s[2:3]
	s_bcnt1_i32_b64 s3, s[26:27]
	s_add_u32 s2, s36, s2
	s_addc_u32 s26, s37, 0
	s_add_u32 s94, s2, s3
	s_addc_u32 s95, s26, 0
	s_and_b64 s[2:3], s[18:19], s[22:23]
	s_and_b64 s[0:1], s[0:1], s[20:21]
	v_cndmask_b32_e64 v10, 0, 1, s[2:3]
	v_cndmask_b32_e64 v11, 0, 1, s[0:1]
	v_cmp_ne_u32_e64 s[0:1], 0, v10
	v_cmp_ne_u32_e64 s[2:3], 0, v11
	s_bcnt1_i32_b64 s26, s[28:29]
	s_bcnt1_i32_b64 s27, s[30:31]
	;; [unrolled: 1-line block ×4, first 2 shown]
	s_add_u32 s2, s26, s70
	s_addc_u32 s3, 0, s71
	s_add_u32 s2, s2, s27
	s_addc_u32 s3, s3, 0
	;; [unrolled: 2-line block ×4, first 2 shown]
	v_mov_b64_e32 v[4:5], s[84:85]
	v_mov_b64_e32 v[6:7], s[92:93]
	;; [unrolled: 1-line block ×3, first 2 shown]
	s_or_b64 s[58:59], vcc, s[58:59]
	v_mov_b64_e32 v[10:11], s[70:71]
	s_andn2_b64 exec, exec, s[58:59]
	s_cbranch_execnz .LBB53_75
; %bb.76:                               ;   in Loop: Header=BB53_16 Depth=1
	s_or_b64 exec, exec, s[58:59]
	v_readlane_b32 s92, v64, 49
	v_readlane_b32 s94, v64, 51
	;; [unrolled: 1-line block ×4, first 2 shown]
	s_mov_b32 s71, s17
	v_readlane_b32 s93, v64, 50
	v_readlane_b32 s95, v64, 52
	;; [unrolled: 1-line block ×4, first 2 shown]
.LBB53_77:                              ;   in Loop: Header=BB53_16 Depth=1
	s_or_b64 exec, exec, s[24:25]
	s_and_b32 s24, s76, 0x7fffffff
	s_mov_b32 s25, s89
	v_lshl_add_u64 v[40:41], s[8:9], 0, v[0:1]
	v_and_b32_e32 v2, 0xffff, v2
	v_cmp_gt_u64_e32 vcc, s[24:25], v[40:41]
	s_and_saveexec_b64 s[8:9], vcc
	s_cbranch_execz .LBB53_81
; %bb.78:                               ;   in Loop: Header=BB53_16 Depth=1
	v_lshl_add_u32 v35, s6, 4, v14
	s_mov_b64 s[6:7], 0
.LBB53_79:                              ;   Parent Loop BB53_16 Depth=1
                                        ; =>  This Inner Loop Header: Depth=2
	ds_read_b32 v36, v35
	v_lshl_add_u64 v[40:41], v[40:41], 0, v[2:3]
	v_cmp_le_u64_e32 vcc, s[24:25], v[40:41]
	v_add_u32_e32 v35, s68, v35
	s_waitcnt lgkmcnt(0)
	v_cmp_lt_i32_e64 s[0:1], -1, v36
	s_nop 1
	v_cndmask_b32_e64 v42, -1, v51, s[0:1]
	v_xor_b32_e32 v42, v42, v36
	v_cmp_o_f32_e64 s[0:1], v36, v36
	s_nop 1
	v_cndmask_b32_e64 v36, -1, v42, s[0:1]
	v_and_b32_e32 v42, v36, v52
	v_bfe_u32 v36, v36, s98, 2
	v_cmp_eq_u32_e64 s[0:1], v42, v50
	v_cmp_eq_u32_e64 s[2:3], 0, v36
	;; [unrolled: 1-line block ×3, first 2 shown]
	s_and_b64 s[2:3], s[0:1], s[2:3]
	v_cmp_eq_u32_e64 s[20:21], 2, v36
	v_cmp_eq_u32_e64 s[22:23], 3, v36
	v_cndmask_b32_e64 v36, 0, 1, s[2:3]
	s_and_b64 s[2:3], s[0:1], s[18:19]
	v_cndmask_b32_e64 v42, 0, 1, s[2:3]
	s_and_b64 s[2:3], s[0:1], s[20:21]
	s_and_b64 s[0:1], s[0:1], s[22:23]
	v_cndmask_b32_e64 v53, 0, 1, s[0:1]
	v_cmp_ne_u32_e64 s[0:1], 0, v36
	v_cndmask_b32_e64 v43, 0, 1, s[2:3]
	v_cmp_ne_u32_e64 s[2:3], 0, v42
	s_bcnt1_i32_b64 s88, s[0:1]
	v_cmp_ne_u32_e64 s[18:19], 0, v43
	v_lshl_add_u64 v[4:5], s[88:89], 0, v[4:5]
	s_bcnt1_i32_b64 s88, s[2:3]
	v_cmp_ne_u32_e64 s[20:21], 0, v53
	v_lshl_add_u64 v[6:7], s[88:89], 0, v[6:7]
	s_bcnt1_i32_b64 s88, s[18:19]
	v_lshl_add_u64 v[8:9], s[88:89], 0, v[8:9]
	s_bcnt1_i32_b64 s88, s[20:21]
	s_or_b64 s[6:7], vcc, s[6:7]
	v_lshl_add_u64 v[10:11], s[88:89], 0, v[10:11]
	s_andn2_b64 exec, exec, s[6:7]
	s_cbranch_execnz .LBB53_79
; %bb.80:                               ;   in Loop: Header=BB53_16 Depth=1
	s_or_b64 exec, exec, s[6:7]
.LBB53_81:                              ;   in Loop: Header=BB53_16 Depth=1
	s_or_b64 exec, exec, s[8:9]
	s_lshl_b32 s2, s90, 6
	s_and_saveexec_b64 s[0:1], s[4:5]
	s_cbranch_execnz .LBB53_52
	s_branch .LBB53_53
.LBB53_82:                              ;   in Loop: Header=BB53_16 Depth=1
                                        ; implicit-def: $sgpr68_sgpr69
	s_branch .LBB53_61
.LBB53_83:                              ;   in Loop: Header=BB53_16 Depth=1
	s_or_b64 exec, exec, s[8:9]
	s_waitcnt lgkmcnt(0)
	s_barrier
	s_mov_b64 s[0:1], exec
	v_readlane_b32 s2, v64, 12
	v_readlane_b32 s3, v64, 13
	s_and_b64 s[2:3], s[0:1], s[2:3]
	s_mov_b64 exec, s[2:3]
	s_cbranch_execz .LBB53_85
; %bb.84:                               ;   in Loop: Header=BB53_16 Depth=1
	ds_read_b32 v4, v3 offset:5136
	s_waitcnt lgkmcnt(0)
	v_ashrrev_i32_e32 v5, 31, v4
	ds_write_b64 v3, v[4:5] offset:5120
.LBB53_85:                              ;   in Loop: Header=BB53_16 Depth=1
	s_or_b64 exec, exec, s[0:1]
	s_waitcnt lgkmcnt(0)
	s_barrier
	s_mov_b64 s[0:1], -1
	s_and_b64 vcc, exec, s[6:7]
	s_cbranch_vccnz .LBB53_32
	s_branch .LBB53_47
.LBB53_86:                              ;   in Loop: Header=BB53_16 Depth=1
	s_mov_b32 s3, 0
	v_mov_b64_e32 v[4:5], 0
.LBB53_87:                              ;   in Loop: Header=BB53_16 Depth=1
	v_readlane_b32 s6, v64, 43
	v_readlane_b32 s7, v64, 44
	s_andn2_b64 vcc, exec, s[6:7]
	s_cbranch_vccnz .LBB53_90
; %bb.88:                               ;   in Loop: Header=BB53_16 Depth=1
	s_lshl_b32 s6, s90, 9
	s_lshl_b32 s3, s3, 5
	s_add_i32 s6, s6, s3
	v_add_u32_e32 v2, s6, v49
	v_readlane_b32 s3, v64, 42
.LBB53_89:                              ;   Parent Loop BB53_16 Depth=1
                                        ; =>  This Inner Loop Header: Depth=2
	ds_read_b64 v[6:7], v2
	s_add_i32 s3, s3, -1
	v_add_u32_e32 v2, 32, v2
	s_cmp_lg_u32 s3, 0
	s_waitcnt lgkmcnt(0)
	v_lshl_add_u64 v[4:5], v[6:7], 0, v[4:5]
	s_cbranch_scc1 .LBB53_89
.LBB53_90:                              ;   in Loop: Header=BB53_16 Depth=1
	v_add_lshl_u32 v2, s2, v44, 3
	ds_write_b64 v2, v[4:5] offset:3072
.LBB53_91:                              ;   in Loop: Header=BB53_16 Depth=1
	s_or_b64 exec, exec, s[0:1]
	s_lshl_b32 s0, s2, 3
	v_mov_b32_e32 v2, s0
	s_waitcnt lgkmcnt(0)
	s_barrier
	ds_read_b128 v[8:11], v2 offset:3088
	ds_read_b128 v[4:7], v2 offset:3072
	s_lshl_b32 s68, 3, s98
	v_cmp_eq_u64_e64 s[0:1], 1, v[38:39]
	s_not_b32 s54, s68
	s_waitcnt lgkmcnt(1)
	v_readfirstlane_b32 s26, v8
	s_waitcnt lgkmcnt(0)
	v_cmp_eq_u64_e32 vcc, 1, v[4:5]
	v_readfirstlane_b32 s27, v9
	v_readfirstlane_b32 s2, v10
	;; [unrolled: 1-line block ×3, first 2 shown]
	s_and_b64 s[20:21], vcc, s[0:1]
	s_mov_b64 s[0:1], -1
	s_mov_b64 s[22:23], -1
                                        ; implicit-def: $sgpr8_sgpr9
                                        ; implicit-def: $sgpr6_sgpr7
	s_and_saveexec_b64 s[18:19], s[20:21]
	s_cbranch_execz .LBB53_125
; %bb.92:                               ;   in Loop: Header=BB53_16 Depth=1
	ds_read_b64 v[8:9], v3 offset:5120
	s_waitcnt lgkmcnt(0)
	s_barrier
	v_readfirstlane_b32 s22, v8
	v_readfirstlane_b32 s23, v9
	s_mov_b64 s[6:7], exec
	v_readlane_b32 s8, v64, 24
	v_readlane_b32 s9, v64, 25
	s_and_b64 s[8:9], s[6:7], s[8:9]
	s_mov_b64 exec, s[8:9]
; %bb.93:                               ;   in Loop: Header=BB53_16 Depth=1
	ds_write_b32 v45, v3
; %bb.94:                               ;   in Loop: Header=BB53_16 Depth=1
	s_or_b64 exec, exec, s[6:7]
	v_cmp_lt_i64_e64 s[24:25], s[22:23], 1
	v_and_b32_e32 v50, s54, v50
	v_or_b32_e32 v52, s68, v52
	s_mov_b64 s[6:7], -1
	s_mov_b64 s[8:9], 0
	s_and_b64 vcc, exec, s[24:25]
	s_mov_b64 s[24:25], 0
	s_mov_b64 s[28:29], -1
	s_waitcnt lgkmcnt(0)
	s_barrier
                                        ; implicit-def: $vgpr37
	s_cbranch_vccz .LBB53_109
; %bb.95:                               ;   in Loop: Header=BB53_16 Depth=1
	s_mov_b32 s70, s89
	s_cmp_lg_u64 s[70:71], 0
	s_cbranch_scc0 .LBB53_152
; %bb.96:                               ;   in Loop: Header=BB53_16 Depth=1
	s_add_u32 s24, s86, 0
	s_addc_u32 s25, 0, 0
	s_xor_b64 s[24:25], s[24:25], 0
	v_cvt_f32_u32_e32 v2, s24
	v_cvt_f32_u32_e32 v8, s25
	s_sub_u32 s30, 0, s24
	s_subb_u32 s31, 0, s25
	v_fmac_f32_e32 v2, 0x4f800000, v8
	v_rcp_f32_e32 v2, v2
	s_nop 0
	v_mul_f32_e32 v2, 0x5f7ffffc, v2
	v_mul_f32_e32 v8, 0x2f800000, v2
	v_trunc_f32_e32 v8, v8
	v_fmac_f32_e32 v2, 0xcf800000, v8
	v_cvt_u32_f32_e32 v8, v8
	v_cvt_u32_f32_e32 v2, v2
	v_readfirstlane_b32 s34, v8
	v_readfirstlane_b32 s28, v2
	s_mul_i32 s29, s30, s34
	s_mul_hi_u32 s36, s30, s28
	s_mul_i32 s35, s31, s28
	s_add_i32 s29, s36, s29
	s_mul_i32 s37, s30, s28
	s_add_i32 s29, s29, s35
	s_mul_i32 s36, s28, s29
	s_mul_hi_u32 s38, s28, s37
	s_mul_hi_u32 s35, s28, s29
	s_add_u32 s36, s38, s36
	s_addc_u32 s35, 0, s35
	s_mul_hi_u32 s39, s34, s37
	s_mul_i32 s37, s34, s37
	s_add_u32 s36, s36, s37
	s_mul_hi_u32 s38, s34, s29
	s_addc_u32 s35, s35, s39
	s_addc_u32 s36, s38, 0
	s_mul_i32 s29, s34, s29
	s_add_u32 s29, s35, s29
	s_addc_u32 s35, 0, s36
	s_add_u32 s36, s28, s29
	s_cselect_b64 s[28:29], -1, 0
	s_cmp_lg_u64 s[28:29], 0
	s_addc_u32 s34, s34, s35
	s_mul_i32 s28, s30, s34
	s_mul_hi_u32 s29, s30, s36
	s_add_i32 s28, s29, s28
	s_mul_i32 s31, s31, s36
	s_add_i32 s28, s28, s31
	s_mul_i32 s30, s30, s36
	s_mul_hi_u32 s31, s34, s30
	s_mul_i32 s35, s34, s30
	s_mul_i32 s38, s36, s28
	s_mul_hi_u32 s30, s36, s30
	s_mul_hi_u32 s37, s36, s28
	s_add_u32 s30, s30, s38
	s_addc_u32 s37, 0, s37
	s_add_u32 s30, s30, s35
	s_mul_hi_u32 s29, s34, s28
	s_addc_u32 s30, s37, s31
	s_addc_u32 s29, s29, 0
	s_mul_i32 s28, s34, s28
	s_add_u32 s28, s30, s28
	s_addc_u32 s30, 0, s29
	s_add_u32 s35, s36, s28
	s_cselect_b64 s[28:29], -1, 0
	s_cmp_lg_u64 s[28:29], 0
	s_addc_u32 s34, s34, s30
	s_ashr_i32 s28, s71, 31
	s_add_u32 s30, s72, s28
	s_mov_b32 s29, s28
	s_addc_u32 s31, s71, s28
	s_xor_b64 s[30:31], s[30:31], s[28:29]
	s_mul_i32 s37, s30, s34
	s_mul_hi_u32 s38, s30, s35
	s_mul_hi_u32 s36, s30, s34
	s_add_u32 s37, s38, s37
	s_addc_u32 s36, 0, s36
	s_mul_hi_u32 s39, s31, s35
	s_mul_i32 s35, s31, s35
	s_add_u32 s35, s37, s35
	s_mul_hi_u32 s38, s31, s34
	s_addc_u32 s35, s36, s39
	s_addc_u32 s36, s38, 0
	s_mul_i32 s34, s31, s34
	s_add_u32 s34, s35, s34
	s_addc_u32 s35, 0, s36
	s_mul_i32 s35, s24, s35
	s_mul_hi_u32 s36, s24, s34
	s_add_i32 s35, s36, s35
	s_mul_i32 s36, s25, s34
	s_add_i32 s38, s35, s36
	s_sub_i32 s36, s31, s38
	s_mul_i32 s34, s24, s34
	s_sub_u32 s30, s30, s34
	s_cselect_b64 s[34:35], -1, 0
	s_cmp_lg_u64 s[34:35], 0
	s_subb_u32 s39, s36, s25
	s_sub_u32 s40, s30, s24
	s_cselect_b64 s[36:37], -1, 0
	s_cmp_lg_u64 s[36:37], 0
	s_subb_u32 s41, s39, 0
	s_cmp_ge_u32 s41, s25
	s_cselect_b32 s42, -1, 0
	s_cmp_ge_u32 s40, s24
	s_cselect_b32 s43, -1, 0
	s_cmp_eq_u32 s41, s25
	s_cselect_b32 s42, s43, s42
	s_cmp_lg_u64 s[36:37], 0
	s_subb_u32 s39, s39, s25
	s_sub_u32 s43, s40, s24
	s_cselect_b64 s[36:37], -1, 0
	s_cmp_lg_u64 s[36:37], 0
	s_subb_u32 s36, s39, 0
	s_cmp_lg_u32 s42, 0
	s_cselect_b32 s37, s43, s40
	s_cselect_b32 s36, s36, s41
	s_cmp_lg_u64 s[34:35], 0
	s_subb_u32 s31, s31, s38
	s_cmp_ge_u32 s31, s25
	s_cselect_b32 s34, -1, 0
	s_cmp_ge_u32 s30, s24
	s_cselect_b32 s24, -1, 0
	s_cmp_eq_u32 s31, s25
	s_cselect_b32 s24, s24, s34
	s_cmp_lg_u32 s24, 0
	s_cselect_b32 s25, s36, s31
	s_cselect_b32 s24, s37, s30
	s_xor_b64 s[24:25], s[24:25], s[28:29]
	s_sub_u32 s24, s24, s28
	s_subb_u32 s25, s25, s28
	s_cbranch_execnz .LBB53_98
.LBB53_97:                              ;   in Loop: Header=BB53_16 Depth=1
	v_cvt_f32_u32_e32 v2, s86
	s_sub_i32 s24, 0, s86
	v_rcp_iflag_f32_e32 v2, v2
	s_nop 0
	v_mul_f32_e32 v2, 0x4f7ffffe, v2
	v_cvt_u32_f32_e32 v2, v2
	s_nop 0
	v_readfirstlane_b32 s25, v2
	s_mul_i32 s24, s24, s25
	s_mul_hi_u32 s24, s25, s24
	s_add_i32 s25, s25, s24
	s_mul_hi_u32 s24, s72, s25
	s_mul_i32 s24, s24, s86
	s_sub_i32 s24, s72, s24
	s_sub_i32 s25, s24, s86
	s_cmp_ge_u32 s24, s86
	s_cselect_b32 s24, s25, s24
	s_sub_i32 s25, s24, s86
	s_cmp_ge_u32 s24, s86
	s_cselect_b32 s88, s25, s24
	s_mov_b64 s[24:25], s[88:89]
.LBB53_98:                              ;   in Loop: Header=BB53_16 Depth=1
	s_sub_u32 s34, s72, s24
	s_subb_u32 s35, s71, s25
	v_cmp_gt_i64_e32 vcc, s[34:35], v[0:1]
	s_mov_b64 s[28:29], 0
	s_mov_b64 s[24:25], 0
                                        ; implicit-def: $vgpr37
	s_and_saveexec_b64 s[30:31], vcc
	s_cbranch_execz .LBB53_108
; %bb.99:                               ;   in Loop: Header=BB53_16 Depth=1
	v_mov_b64_e32 v[8:9], v[12:13]
	v_mov_b64_e32 v[10:11], v[0:1]
                                        ; implicit-def: $sgpr36_sgpr37
	s_branch .LBB53_103
.LBB53_100:                             ;   in Loop: Header=BB53_103 Depth=2
	s_or_b64 exec, exec, s[38:39]
	s_waitcnt lgkmcnt(0)
	s_barrier
	ds_read_b64 v[36:37], v3 offset:3072
	s_waitcnt lgkmcnt(0)
	s_barrier
	v_cmp_neq_f32_e32 vcc, 0, v36
	s_cbranch_vccnz .LBB53_106
; %bb.101:                              ;   in Loop: Header=BB53_103 Depth=2
	v_lshl_add_u64 v[10:11], v[10:11], 0, s[86:87]
	v_cmp_le_i64_e32 vcc, s[34:35], v[10:11]
	v_lshl_add_u64 v[8:9], v[8:9], 0, s[52:53]
	s_mov_b64 s[38:39], 0
	s_orn2_b64 s[40:41], vcc, exec
.LBB53_102:                             ;   in Loop: Header=BB53_103 Depth=2
	s_and_b64 s[40:41], exec, s[40:41]
	s_or_b64 s[24:25], s[40:41], s[24:25]
	s_andn2_b64 s[36:37], s[36:37], exec
	s_and_b64 s[38:39], s[38:39], exec
	s_or_b64 s[36:37], s[36:37], s[38:39]
	s_andn2_b64 exec, exec, s[24:25]
	s_cbranch_execz .LBB53_107
.LBB53_103:                             ;   Parent Loop BB53_16 Depth=1
                                        ; =>  This Inner Loop Header: Depth=2
	v_cmp_gt_i64_e32 vcc, s[60:61], v[10:11]
	s_and_saveexec_b64 s[38:39], vcc
	s_cbranch_execz .LBB53_100
; %bb.104:                              ;   in Loop: Header=BB53_103 Depth=2
	global_load_dword v35, v[8:9], off
	s_waitcnt vmcnt(0)
	v_cmp_lt_i32_e32 vcc, -1, v35
	s_nop 1
	v_cndmask_b32_e32 v2, -1, v51, vcc
	v_xor_b32_e32 v2, v2, v35
	v_cmp_o_f32_e32 vcc, v35, v35
	s_nop 1
	v_cndmask_b32_e32 v2, -1, v2, vcc
	v_and_b32_e32 v2, v2, v52
	v_cmp_eq_u32_e32 vcc, v2, v50
	s_and_b64 exec, exec, vcc
	s_cbranch_execz .LBB53_100
; %bb.105:                              ;   in Loop: Header=BB53_103 Depth=2
	ds_write_b64 v3, v[34:35] offset:3072
	s_branch .LBB53_100
.LBB53_106:                             ;   in Loop: Header=BB53_103 Depth=2
	s_mov_b64 s[40:41], -1
                                        ; implicit-def: $vgpr10_vgpr11
                                        ; implicit-def: $vgpr8_vgpr9
	s_mov_b64 s[38:39], -1
	s_branch .LBB53_102
.LBB53_107:                             ;   in Loop: Header=BB53_16 Depth=1
	s_or_b64 exec, exec, s[24:25]
	s_and_b64 s[24:25], s[36:37], exec
.LBB53_108:                             ;   in Loop: Header=BB53_16 Depth=1
	s_or_b64 exec, exec, s[30:31]
.LBB53_109:                             ;   in Loop: Header=BB53_16 Depth=1
	s_and_b64 vcc, exec, s[28:29]
	s_cbranch_vccz .LBB53_124
; %bb.110:                              ;   in Loop: Header=BB53_16 Depth=1
	v_readlane_b32 s6, v64, 34
	s_add_u32 s30, s22, s6
	v_readlane_b32 s6, v64, 35
	s_addc_u32 s7, s23, s6
	s_mov_b32 s6, s89
	s_cmp_lg_u64 s[6:7], 0
	s_cbranch_scc0 .LBB53_153
; %bb.111:                              ;   in Loop: Header=BB53_16 Depth=1
	s_add_u32 s8, s86, 0
	s_addc_u32 s9, 0, 0
	s_xor_b64 s[8:9], s[8:9], 0
	v_cvt_f32_u32_e32 v2, s8
	v_cvt_f32_u32_e32 v8, s9
	s_sub_u32 s6, 0, s8
	s_subb_u32 s31, 0, s9
	v_fmac_f32_e32 v2, 0x4f800000, v8
	v_rcp_f32_e32 v2, v2
	s_nop 0
	v_mul_f32_e32 v2, 0x5f7ffffc, v2
	v_mul_f32_e32 v8, 0x2f800000, v2
	v_trunc_f32_e32 v8, v8
	v_fmac_f32_e32 v2, 0xcf800000, v8
	v_cvt_u32_f32_e32 v8, v8
	v_cvt_u32_f32_e32 v2, v2
	v_readfirstlane_b32 s34, v8
	v_readfirstlane_b32 s28, v2
	s_mul_i32 s29, s6, s34
	s_mul_hi_u32 s36, s6, s28
	s_mul_i32 s35, s31, s28
	s_add_i32 s29, s36, s29
	s_mul_i32 s37, s6, s28
	s_add_i32 s29, s29, s35
	s_mul_i32 s36, s28, s29
	s_mul_hi_u32 s38, s28, s37
	s_mul_hi_u32 s35, s28, s29
	s_add_u32 s36, s38, s36
	s_addc_u32 s35, 0, s35
	s_mul_hi_u32 s39, s34, s37
	s_mul_i32 s37, s34, s37
	s_add_u32 s36, s36, s37
	s_mul_hi_u32 s38, s34, s29
	s_addc_u32 s35, s35, s39
	s_addc_u32 s36, s38, 0
	s_mul_i32 s29, s34, s29
	s_add_u32 s29, s35, s29
	s_addc_u32 s35, 0, s36
	s_add_u32 s36, s28, s29
	s_cselect_b64 s[28:29], -1, 0
	s_cmp_lg_u64 s[28:29], 0
	s_addc_u32 s34, s34, s35
	s_mul_i32 s28, s6, s34
	s_mul_hi_u32 s29, s6, s36
	s_add_i32 s28, s29, s28
	s_mul_i32 s31, s31, s36
	s_add_i32 s28, s28, s31
	s_mul_i32 s6, s6, s36
	s_mul_hi_u32 s31, s34, s6
	s_mul_i32 s35, s34, s6
	s_mul_i32 s38, s36, s28
	s_mul_hi_u32 s6, s36, s6
	s_mul_hi_u32 s37, s36, s28
	s_add_u32 s6, s6, s38
	s_addc_u32 s37, 0, s37
	s_add_u32 s6, s6, s35
	s_mul_hi_u32 s29, s34, s28
	s_addc_u32 s6, s37, s31
	s_addc_u32 s29, s29, 0
	s_mul_i32 s28, s34, s28
	s_add_u32 s6, s6, s28
	s_addc_u32 s31, 0, s29
	s_add_u32 s6, s36, s6
	s_cselect_b64 s[28:29], -1, 0
	s_cmp_lg_u64 s[28:29], 0
	s_addc_u32 s31, s34, s31
	s_ashr_i32 s28, s7, 31
	s_add_u32 s34, s30, s28
	s_mov_b32 s29, s28
	s_addc_u32 s35, s7, s28
	s_xor_b64 s[34:35], s[34:35], s[28:29]
	s_mul_i32 s37, s34, s31
	s_mul_hi_u32 s38, s34, s6
	s_mul_hi_u32 s36, s34, s31
	s_add_u32 s37, s38, s37
	s_addc_u32 s36, 0, s36
	s_mul_hi_u32 s39, s35, s6
	s_mul_i32 s6, s35, s6
	s_add_u32 s6, s37, s6
	s_mul_hi_u32 s38, s35, s31
	s_addc_u32 s6, s36, s39
	s_addc_u32 s36, s38, 0
	s_mul_i32 s31, s35, s31
	s_add_u32 s6, s6, s31
	s_addc_u32 s31, 0, s36
	s_mul_i32 s31, s8, s31
	s_mul_hi_u32 s36, s8, s6
	s_add_i32 s31, s36, s31
	s_mul_i32 s36, s9, s6
	s_add_i32 s31, s31, s36
	s_sub_i32 s38, s35, s31
	s_mul_i32 s6, s8, s6
	s_sub_u32 s6, s34, s6
	s_cselect_b64 s[36:37], -1, 0
	s_cmp_lg_u64 s[36:37], 0
	s_subb_u32 s34, s38, s9
	s_sub_u32 s40, s6, s8
	s_cselect_b64 s[38:39], -1, 0
	s_cmp_lg_u64 s[38:39], 0
	s_subb_u32 s41, s34, 0
	s_cmp_ge_u32 s41, s9
	s_cselect_b32 s42, -1, 0
	s_cmp_ge_u32 s40, s8
	s_cselect_b32 s43, -1, 0
	s_cmp_eq_u32 s41, s9
	s_cselect_b32 s42, s43, s42
	s_cmp_lg_u64 s[38:39], 0
	s_subb_u32 s34, s34, s9
	s_sub_u32 s43, s40, s8
	s_cselect_b64 s[38:39], -1, 0
	s_cmp_lg_u64 s[38:39], 0
	s_subb_u32 s34, s34, 0
	s_cmp_lg_u32 s42, 0
	s_cselect_b32 s38, s43, s40
	s_cselect_b32 s34, s34, s41
	s_cmp_lg_u64 s[36:37], 0
	s_subb_u32 s31, s35, s31
	s_cmp_ge_u32 s31, s9
	s_cselect_b32 s35, -1, 0
	s_cmp_ge_u32 s6, s8
	s_cselect_b32 s8, -1, 0
	s_cmp_eq_u32 s31, s9
	s_cselect_b32 s8, s8, s35
	s_cmp_lg_u32 s8, 0
	s_cselect_b32 s9, s34, s31
	s_cselect_b32 s8, s38, s6
	s_xor_b64 s[8:9], s[8:9], s[28:29]
	s_sub_u32 s8, s8, s28
	s_subb_u32 s9, s9, s28
	s_cbranch_execnz .LBB53_113
.LBB53_112:                             ;   in Loop: Header=BB53_16 Depth=1
	v_cvt_f32_u32_e32 v2, s86
	s_sub_i32 s6, 0, s86
	v_rcp_iflag_f32_e32 v2, v2
	s_nop 0
	v_mul_f32_e32 v2, 0x4f7ffffe, v2
	v_cvt_u32_f32_e32 v2, v2
	s_nop 0
	v_readfirstlane_b32 s8, v2
	s_mul_i32 s6, s6, s8
	s_mul_hi_u32 s6, s8, s6
	s_add_i32 s8, s8, s6
	s_mul_hi_u32 s6, s30, s8
	s_mul_i32 s6, s6, s86
	s_sub_i32 s6, s30, s6
	s_sub_i32 s8, s6, s86
	s_cmp_ge_u32 s6, s86
	s_cselect_b32 s6, s8, s6
	s_sub_i32 s8, s6, s86
	s_cmp_ge_u32 s6, s86
	s_cselect_b32 s88, s8, s6
	s_mov_b64 s[8:9], s[88:89]
.LBB53_113:                             ;   in Loop: Header=BB53_16 Depth=1
	s_sub_u32 s8, s30, s8
	s_subb_u32 s9, s7, s9
	v_cmp_gt_i64_e32 vcc, s[8:9], v[0:1]
                                        ; implicit-def: $vgpr37
	s_and_saveexec_b64 s[6:7], vcc
	s_cbranch_execz .LBB53_123
; %bb.114:                              ;   in Loop: Header=BB53_16 Depth=1
	s_mov_b64 s[28:29], 0
	v_mov_b32_e32 v2, v14
	v_mov_b64_e32 v[8:9], v[0:1]
                                        ; implicit-def: $sgpr30_sgpr31
	s_branch .LBB53_118
.LBB53_115:                             ;   in Loop: Header=BB53_118 Depth=2
	s_or_b64 exec, exec, s[34:35]
	s_waitcnt lgkmcnt(0)
	s_barrier
	ds_read_b64 v[36:37], v3 offset:3072
	s_waitcnt lgkmcnt(0)
	s_barrier
	v_cmp_neq_f32_e32 vcc, 0, v36
	s_cbranch_vccnz .LBB53_121
; %bb.116:                              ;   in Loop: Header=BB53_118 Depth=2
	v_lshl_add_u64 v[8:9], v[8:9], 0, s[86:87]
	v_cmp_le_i64_e32 vcc, s[8:9], v[8:9]
	v_add_u32_e32 v2, s83, v2
	s_mov_b64 s[34:35], 0
	s_orn2_b64 s[36:37], vcc, exec
.LBB53_117:                             ;   in Loop: Header=BB53_118 Depth=2
	s_and_b64 s[36:37], exec, s[36:37]
	s_or_b64 s[28:29], s[36:37], s[28:29]
	s_andn2_b64 s[30:31], s[30:31], exec
	s_and_b64 s[34:35], s[34:35], exec
	s_or_b64 s[30:31], s[30:31], s[34:35]
	s_andn2_b64 exec, exec, s[28:29]
	s_cbranch_execz .LBB53_122
.LBB53_118:                             ;   Parent Loop BB53_16 Depth=1
                                        ; =>  This Inner Loop Header: Depth=2
	v_cmp_gt_u64_e32 vcc, s[22:23], v[8:9]
	s_and_saveexec_b64 s[34:35], vcc
	s_cbranch_execz .LBB53_115
; %bb.119:                              ;   in Loop: Header=BB53_118 Depth=2
	ds_read_b32 v35, v2
	s_waitcnt lgkmcnt(0)
	v_cmp_lt_i32_e32 vcc, -1, v35
	s_nop 1
	v_cndmask_b32_e32 v10, -1, v51, vcc
	v_xor_b32_e32 v10, v10, v35
	v_cmp_o_f32_e32 vcc, v35, v35
	s_nop 1
	v_cndmask_b32_e32 v10, -1, v10, vcc
	v_and_b32_e32 v10, v10, v52
	v_cmp_eq_u32_e32 vcc, v10, v50
	s_and_b64 exec, exec, vcc
	s_cbranch_execz .LBB53_115
; %bb.120:                              ;   in Loop: Header=BB53_118 Depth=2
	ds_write_b64 v3, v[34:35] offset:3072
	s_branch .LBB53_115
.LBB53_121:                             ;   in Loop: Header=BB53_118 Depth=2
	s_mov_b64 s[36:37], -1
                                        ; implicit-def: $vgpr8_vgpr9
                                        ; implicit-def: $vgpr2
	s_mov_b64 s[34:35], -1
	s_branch .LBB53_117
.LBB53_122:                             ;   in Loop: Header=BB53_16 Depth=1
	s_or_b64 exec, exec, s[28:29]
	s_andn2_b64 s[8:9], s[24:25], exec
	s_and_b64 s[22:23], s[30:31], exec
	s_or_b64 s[24:25], s[8:9], s[22:23]
.LBB53_123:                             ;   in Loop: Header=BB53_16 Depth=1
	s_or_b64 exec, exec, s[6:7]
	s_mov_b64 s[6:7], 0
	s_mov_b64 s[8:9], -1
.LBB53_124:                             ;   in Loop: Header=BB53_16 Depth=1
	s_orn2_b64 s[22:23], s[24:25], exec
.LBB53_125:                             ;   in Loop: Header=BB53_16 Depth=1
	s_or_b64 exec, exec, s[18:19]
	s_andn2_b64 s[18:19], s[64:65], exec
	s_and_b64 s[8:9], s[8:9], exec
	s_or_b64 s[64:65], s[18:19], s[8:9]
	s_andn2_b64 s[8:9], s[10:11], exec
	s_and_b64 s[6:7], s[6:7], exec
	s_andn2_b64 s[80:81], s[80:81], exec
	s_or_b64 s[10:11], s[8:9], s[6:7]
                                        ; implicit-def: $vgpr8_vgpr9
	s_and_saveexec_b64 s[18:19], s[22:23]
	s_cbranch_execz .LBB53_15
; %bb.126:                              ;   in Loop: Header=BB53_16 Depth=1
	s_xor_b64 s[6:7], s[20:21], -1
	v_mov_b32_e32 v2, 1
	s_mov_b64 s[8:9], 0
	v_mov_b64_e32 v[8:9], 1
	s_and_saveexec_b64 s[0:1], s[6:7]
	s_cbranch_execz .LBB53_135
; %bb.127:                              ;   in Loop: Header=BB53_16 Depth=1
	v_cmp_le_i64_e32 vcc, v[38:39], v[4:5]
	s_and_saveexec_b64 s[6:7], vcc
	s_xor_b64 s[6:7], exec, s[6:7]
	s_cbranch_execz .LBB53_132
; %bb.128:                              ;   in Loop: Header=BB53_16 Depth=1
	ds_read_b64 v[8:9], v3 offset:5120
	v_and_b32_e32 v50, s54, v50
	v_or_b32_e32 v52, s68, v52
	s_waitcnt lgkmcnt(0)
	v_cmp_ne_u64_e32 vcc, 0, v[8:9]
	s_cbranch_vccnz .LBB53_132
; %bb.129:                              ;   in Loop: Header=BB53_16 Depth=1
	s_mov_b64 s[8:9], exec
	v_readlane_b32 s20, v64, 12
	v_readlane_b32 s21, v64, 13
	s_and_b64 s[20:21], s[8:9], s[20:21]
	s_mov_b64 exec, s[20:21]
; %bb.130:                              ;   in Loop: Header=BB53_16 Depth=1
	ds_write_b64 v3, v[4:5] offset:5128
; %bb.131:                              ;   in Loop: Header=BB53_16 Depth=1
	s_or_b64 exec, exec, s[8:9]
	s_waitcnt lgkmcnt(0)
	s_barrier
.LBB53_132:                             ;   in Loop: Header=BB53_16 Depth=1
	s_or_saveexec_b64 s[6:7], s[6:7]
	s_mov_b64 s[8:9], 0
	v_mov_b32_e32 v2, 8
	s_xor_b64 exec, exec, s[6:7]
; %bb.133:                              ;   in Loop: Header=BB53_16 Depth=1
	v_sub_co_u32_e32 v38, vcc, v38, v4
	s_mov_b64 s[8:9], exec
	s_nop 0
	v_subb_co_u32_e32 v39, vcc, v39, v5, vcc
	v_mov_b32_e32 v2, 0
; %bb.134:                              ;   in Loop: Header=BB53_16 Depth=1
	s_or_b64 exec, exec, s[6:7]
	s_and_b64 s[8:9], s[8:9], exec
	v_mov_b64_e32 v[8:9], v[38:39]
.LBB53_135:                             ;   in Loop: Header=BB53_16 Depth=1
	s_or_b64 exec, exec, s[0:1]
	s_mov_b64 s[20:21], -1
	s_mov_b64 s[6:7], -1
                                        ; implicit-def: $sgpr0_sgpr1
                                        ; implicit-def: $sgpr28_sgpr29
	s_and_saveexec_b64 s[22:23], s[8:9]
	s_xor_b64 s[22:23], exec, s[22:23]
	s_cbranch_execz .LBB53_283
; %bb.136:                              ;   in Loop: Header=BB53_16 Depth=1
	v_cmp_eq_u64_e32 vcc, 1, v[6:7]
	v_cmp_eq_u64_e64 s[0:1], 1, v[8:9]
	s_and_b64 s[34:35], vcc, s[0:1]
                                        ; implicit-def: $sgpr28_sgpr29
                                        ; implicit-def: $sgpr0_sgpr1
	s_and_saveexec_b64 s[30:31], s[34:35]
	s_cbranch_execz .LBB53_172
; %bb.137:                              ;   in Loop: Header=BB53_16 Depth=1
	ds_read_b64 v[4:5], v3 offset:5120
	s_waitcnt lgkmcnt(0)
	s_barrier
	v_readfirstlane_b32 s36, v4
	v_readfirstlane_b32 s37, v5
	s_mov_b64 s[0:1], exec
	v_readlane_b32 s6, v64, 24
	v_readlane_b32 s7, v64, 25
	s_and_b64 s[6:7], s[0:1], s[6:7]
	s_mov_b64 exec, s[6:7]
; %bb.138:                              ;   in Loop: Header=BB53_16 Depth=1
	ds_write_b32 v45, v3
; %bb.139:                              ;   in Loop: Header=BB53_16 Depth=1
	s_or_b64 exec, exec, s[0:1]
	v_and_b32_e32 v4, s54, v50
	v_cmp_gt_i64_e64 s[6:7], s[36:37], 0
	v_lshl_or_b32 v50, 1, s98, v4
	v_or_b32_e32 v52, s68, v52
	s_mov_b64 s[0:1], -1
	s_mov_b64 s[28:29], 0
	s_and_b64 vcc, exec, s[6:7]
	s_mov_b64 s[6:7], 0
	s_mov_b64 s[8:9], -1
	s_waitcnt lgkmcnt(0)
	s_barrier
                                        ; implicit-def: $vgpr37
	s_cbranch_vccnz .LBB53_156
; %bb.140:                              ;   in Loop: Header=BB53_16 Depth=1
	s_mov_b32 s70, s89
	s_cmp_lg_u64 s[70:71], 0
	s_cbranch_scc0 .LBB53_200
; %bb.141:                              ;   in Loop: Header=BB53_16 Depth=1
	s_add_u32 s6, s86, 0
	s_addc_u32 s7, 0, 0
	s_xor_b64 s[6:7], s[6:7], 0
	v_cvt_f32_u32_e32 v4, s6
	v_cvt_f32_u32_e32 v5, s7
	s_sub_u32 s24, 0, s6
	s_subb_u32 s25, 0, s7
	v_fmac_f32_e32 v4, 0x4f800000, v5
	v_rcp_f32_e32 v4, v4
	s_nop 0
	v_mul_f32_e32 v4, 0x5f7ffffc, v4
	v_mul_f32_e32 v5, 0x2f800000, v4
	v_trunc_f32_e32 v5, v5
	v_fmac_f32_e32 v4, 0xcf800000, v5
	v_cvt_u32_f32_e32 v5, v5
	v_cvt_u32_f32_e32 v4, v4
	v_readfirstlane_b32 s38, v5
	v_readfirstlane_b32 s8, v4
	s_mul_i32 s9, s24, s38
	s_mul_hi_u32 s40, s24, s8
	s_mul_i32 s39, s25, s8
	s_add_i32 s9, s40, s9
	s_mul_i32 s41, s24, s8
	s_add_i32 s9, s9, s39
	s_mul_i32 s40, s8, s9
	s_mul_hi_u32 s42, s8, s41
	s_mul_hi_u32 s39, s8, s9
	s_add_u32 s40, s42, s40
	s_addc_u32 s39, 0, s39
	s_mul_hi_u32 s43, s38, s41
	s_mul_i32 s41, s38, s41
	s_add_u32 s40, s40, s41
	s_mul_hi_u32 s42, s38, s9
	s_addc_u32 s39, s39, s43
	s_addc_u32 s40, s42, 0
	s_mul_i32 s9, s38, s9
	s_add_u32 s9, s39, s9
	s_addc_u32 s39, 0, s40
	s_add_u32 s40, s8, s9
	s_cselect_b64 s[8:9], -1, 0
	s_cmp_lg_u64 s[8:9], 0
	s_addc_u32 s38, s38, s39
	s_mul_i32 s8, s24, s38
	s_mul_hi_u32 s9, s24, s40
	s_add_i32 s8, s9, s8
	s_mul_i32 s25, s25, s40
	s_add_i32 s8, s8, s25
	s_mul_i32 s24, s24, s40
	s_mul_hi_u32 s25, s38, s24
	s_mul_i32 s39, s38, s24
	s_mul_i32 s42, s40, s8
	s_mul_hi_u32 s24, s40, s24
	s_mul_hi_u32 s41, s40, s8
	s_add_u32 s24, s24, s42
	s_addc_u32 s41, 0, s41
	s_add_u32 s24, s24, s39
	s_mul_hi_u32 s9, s38, s8
	s_addc_u32 s24, s41, s25
	s_addc_u32 s9, s9, 0
	s_mul_i32 s8, s38, s8
	s_add_u32 s8, s24, s8
	s_addc_u32 s24, 0, s9
	s_add_u32 s39, s40, s8
	s_cselect_b64 s[8:9], -1, 0
	s_cmp_lg_u64 s[8:9], 0
	s_addc_u32 s38, s38, s24
	s_ashr_i32 s8, s71, 31
	s_add_u32 s24, s72, s8
	s_mov_b32 s9, s8
	s_addc_u32 s25, s71, s8
	s_xor_b64 s[24:25], s[24:25], s[8:9]
	s_mul_i32 s41, s24, s38
	s_mul_hi_u32 s42, s24, s39
	s_mul_hi_u32 s40, s24, s38
	s_add_u32 s41, s42, s41
	s_addc_u32 s40, 0, s40
	s_mul_hi_u32 s43, s25, s39
	s_mul_i32 s39, s25, s39
	s_add_u32 s39, s41, s39
	s_mul_hi_u32 s42, s25, s38
	s_addc_u32 s39, s40, s43
	s_addc_u32 s40, s42, 0
	s_mul_i32 s38, s25, s38
	s_add_u32 s38, s39, s38
	s_addc_u32 s39, 0, s40
	s_mul_i32 s39, s6, s39
	s_mul_hi_u32 s40, s6, s38
	s_add_i32 s39, s40, s39
	s_mul_i32 s40, s7, s38
	s_add_i32 s42, s39, s40
	s_sub_i32 s40, s25, s42
	s_mul_i32 s38, s6, s38
	s_sub_u32 s24, s24, s38
	s_cselect_b64 s[38:39], -1, 0
	s_cmp_lg_u64 s[38:39], 0
	s_subb_u32 s43, s40, s7
	s_sub_u32 s44, s24, s6
	s_cselect_b64 s[40:41], -1, 0
	s_cmp_lg_u64 s[40:41], 0
	s_subb_u32 s45, s43, 0
	s_cmp_ge_u32 s45, s7
	s_cselect_b32 s46, -1, 0
	s_cmp_ge_u32 s44, s6
	s_cselect_b32 s47, -1, 0
	s_cmp_eq_u32 s45, s7
	s_cselect_b32 s46, s47, s46
	s_cmp_lg_u64 s[40:41], 0
	s_subb_u32 s43, s43, s7
	s_sub_u32 s47, s44, s6
	s_cselect_b64 s[40:41], -1, 0
	s_cmp_lg_u64 s[40:41], 0
	s_subb_u32 s40, s43, 0
	s_cmp_lg_u32 s46, 0
	s_cselect_b32 s41, s47, s44
	s_cselect_b32 s40, s40, s45
	s_cmp_lg_u64 s[38:39], 0
	s_subb_u32 s25, s25, s42
	s_cmp_ge_u32 s25, s7
	s_cselect_b32 s38, -1, 0
	s_cmp_ge_u32 s24, s6
	s_cselect_b32 s6, -1, 0
	s_cmp_eq_u32 s25, s7
	s_cselect_b32 s6, s6, s38
	s_cmp_lg_u32 s6, 0
	s_cselect_b32 s7, s40, s25
	s_cselect_b32 s6, s41, s24
	s_xor_b64 s[6:7], s[6:7], s[8:9]
	s_sub_u32 s6, s6, s8
	s_subb_u32 s7, s7, s8
	s_cbranch_execnz .LBB53_143
.LBB53_142:                             ;   in Loop: Header=BB53_16 Depth=1
	v_cvt_f32_u32_e32 v4, s86
	s_sub_i32 s6, 0, s86
	v_rcp_iflag_f32_e32 v4, v4
	s_nop 0
	v_mul_f32_e32 v4, 0x4f7ffffe, v4
	v_cvt_u32_f32_e32 v4, v4
	s_nop 0
	v_readfirstlane_b32 s7, v4
	s_mul_i32 s6, s6, s7
	s_mul_hi_u32 s6, s7, s6
	s_add_i32 s7, s7, s6
	s_mul_hi_u32 s6, s72, s7
	s_mul_i32 s6, s6, s86
	s_sub_i32 s6, s72, s6
	s_sub_i32 s7, s6, s86
	s_cmp_ge_u32 s6, s86
	s_cselect_b32 s6, s7, s6
	s_sub_i32 s7, s6, s86
	s_cmp_ge_u32 s6, s86
	s_cselect_b32 s88, s7, s6
	s_mov_b64 s[6:7], s[88:89]
.LBB53_143:                             ;   in Loop: Header=BB53_16 Depth=1
	s_sub_u32 s38, s72, s6
	s_subb_u32 s39, s71, s7
	v_cmp_gt_i64_e32 vcc, s[38:39], v[0:1]
	s_mov_b64 s[8:9], 0
	s_mov_b64 s[6:7], 0
                                        ; implicit-def: $vgpr37
	s_and_saveexec_b64 s[24:25], vcc
	s_cbranch_execz .LBB53_155
; %bb.144:                              ;   in Loop: Header=BB53_16 Depth=1
	v_mov_b64_e32 v[4:5], v[12:13]
	v_mov_b64_e32 v[10:11], v[0:1]
                                        ; implicit-def: $sgpr40_sgpr41
	s_branch .LBB53_148
.LBB53_145:                             ;   in Loop: Header=BB53_148 Depth=2
	s_or_b64 exec, exec, s[42:43]
	s_waitcnt lgkmcnt(0)
	s_barrier
	ds_read_b64 v[36:37], v3 offset:3072
	s_waitcnt lgkmcnt(0)
	s_barrier
	v_cmp_neq_f32_e32 vcc, 0, v36
	s_cbranch_vccnz .LBB53_151
; %bb.146:                              ;   in Loop: Header=BB53_148 Depth=2
	v_lshl_add_u64 v[10:11], v[10:11], 0, s[86:87]
	v_cmp_le_i64_e32 vcc, s[38:39], v[10:11]
	v_lshl_add_u64 v[4:5], v[4:5], 0, s[52:53]
	s_mov_b64 s[42:43], 0
	s_orn2_b64 s[44:45], vcc, exec
.LBB53_147:                             ;   in Loop: Header=BB53_148 Depth=2
	s_and_b64 s[44:45], exec, s[44:45]
	s_or_b64 s[6:7], s[44:45], s[6:7]
	s_andn2_b64 s[40:41], s[40:41], exec
	s_and_b64 s[42:43], s[42:43], exec
	s_or_b64 s[40:41], s[40:41], s[42:43]
	s_andn2_b64 exec, exec, s[6:7]
	s_cbranch_execz .LBB53_154
.LBB53_148:                             ;   Parent Loop BB53_16 Depth=1
                                        ; =>  This Inner Loop Header: Depth=2
	v_cmp_gt_i64_e32 vcc, s[60:61], v[10:11]
	s_and_saveexec_b64 s[42:43], vcc
	s_cbranch_execz .LBB53_145
; %bb.149:                              ;   in Loop: Header=BB53_148 Depth=2
	global_load_dword v35, v[4:5], off
	s_waitcnt vmcnt(0)
	v_cmp_lt_i32_e32 vcc, -1, v35
	s_nop 1
	v_cndmask_b32_e32 v36, -1, v51, vcc
	v_xor_b32_e32 v36, v36, v35
	v_cmp_o_f32_e32 vcc, v35, v35
	s_nop 1
	v_cndmask_b32_e32 v36, -1, v36, vcc
	v_and_b32_e32 v36, v36, v52
	v_cmp_eq_u32_e32 vcc, v36, v50
	s_and_b64 exec, exec, vcc
	s_cbranch_execz .LBB53_145
; %bb.150:                              ;   in Loop: Header=BB53_148 Depth=2
	ds_write_b64 v3, v[34:35] offset:3072
	s_branch .LBB53_145
.LBB53_151:                             ;   in Loop: Header=BB53_148 Depth=2
	s_mov_b64 s[44:45], -1
                                        ; implicit-def: $vgpr10_vgpr11
                                        ; implicit-def: $vgpr4_vgpr5
	s_mov_b64 s[42:43], -1
	s_branch .LBB53_147
.LBB53_152:                             ;   in Loop: Header=BB53_16 Depth=1
                                        ; implicit-def: $sgpr24_sgpr25
	s_andn2_b64 vcc, exec, s[28:29]
	s_cbranch_vccz .LBB53_97
	s_branch .LBB53_98
.LBB53_153:                             ;   in Loop: Header=BB53_16 Depth=1
                                        ; implicit-def: $sgpr8_sgpr9
	s_branch .LBB53_112
.LBB53_154:                             ;   in Loop: Header=BB53_16 Depth=1
	s_or_b64 exec, exec, s[6:7]
	s_and_b64 s[6:7], s[40:41], exec
.LBB53_155:                             ;   in Loop: Header=BB53_16 Depth=1
	s_or_b64 exec, exec, s[24:25]
.LBB53_156:                             ;   in Loop: Header=BB53_16 Depth=1
	s_and_b64 vcc, exec, s[8:9]
	s_cbranch_vccz .LBB53_171
; %bb.157:                              ;   in Loop: Header=BB53_16 Depth=1
	v_readlane_b32 s0, v64, 34
	s_add_u32 s28, s36, s0
	v_readlane_b32 s0, v64, 35
	s_addc_u32 s1, s37, s0
	s_mov_b32 s0, s89
	s_cmp_lg_u64 s[0:1], 0
	s_cbranch_scc0 .LBB53_201
; %bb.158:                              ;   in Loop: Header=BB53_16 Depth=1
	s_add_u32 s8, s86, 0
	s_addc_u32 s9, 0, 0
	s_xor_b64 s[8:9], s[8:9], 0
	v_cvt_f32_u32_e32 v4, s8
	v_cvt_f32_u32_e32 v5, s9
	s_sub_u32 s0, 0, s8
	s_subb_u32 s29, 0, s9
	v_fmac_f32_e32 v4, 0x4f800000, v5
	v_rcp_f32_e32 v4, v4
	s_nop 0
	v_mul_f32_e32 v4, 0x5f7ffffc, v4
	v_mul_f32_e32 v5, 0x2f800000, v4
	v_trunc_f32_e32 v5, v5
	v_fmac_f32_e32 v4, 0xcf800000, v5
	v_cvt_u32_f32_e32 v5, v5
	v_cvt_u32_f32_e32 v4, v4
	v_readfirstlane_b32 s38, v5
	v_readfirstlane_b32 s24, v4
	s_mul_i32 s25, s0, s38
	s_mul_hi_u32 s40, s0, s24
	s_mul_i32 s39, s29, s24
	s_add_i32 s25, s40, s25
	s_mul_i32 s41, s0, s24
	s_add_i32 s25, s25, s39
	s_mul_i32 s40, s24, s25
	s_mul_hi_u32 s42, s24, s41
	s_mul_hi_u32 s39, s24, s25
	s_add_u32 s40, s42, s40
	s_addc_u32 s39, 0, s39
	s_mul_hi_u32 s43, s38, s41
	s_mul_i32 s41, s38, s41
	s_add_u32 s40, s40, s41
	s_mul_hi_u32 s42, s38, s25
	s_addc_u32 s39, s39, s43
	s_addc_u32 s40, s42, 0
	s_mul_i32 s25, s38, s25
	s_add_u32 s25, s39, s25
	s_addc_u32 s39, 0, s40
	s_add_u32 s40, s24, s25
	s_cselect_b64 s[24:25], -1, 0
	s_cmp_lg_u64 s[24:25], 0
	s_addc_u32 s38, s38, s39
	s_mul_i32 s24, s0, s38
	s_mul_hi_u32 s25, s0, s40
	s_add_i32 s24, s25, s24
	s_mul_i32 s29, s29, s40
	s_add_i32 s24, s24, s29
	s_mul_i32 s0, s0, s40
	s_mul_hi_u32 s29, s38, s0
	s_mul_i32 s39, s38, s0
	s_mul_i32 s42, s40, s24
	s_mul_hi_u32 s0, s40, s0
	s_mul_hi_u32 s41, s40, s24
	s_add_u32 s0, s0, s42
	s_addc_u32 s41, 0, s41
	s_add_u32 s0, s0, s39
	s_mul_hi_u32 s25, s38, s24
	s_addc_u32 s0, s41, s29
	s_addc_u32 s25, s25, 0
	s_mul_i32 s24, s38, s24
	s_add_u32 s0, s0, s24
	s_addc_u32 s29, 0, s25
	s_add_u32 s0, s40, s0
	s_cselect_b64 s[24:25], -1, 0
	s_cmp_lg_u64 s[24:25], 0
	s_addc_u32 s29, s38, s29
	s_ashr_i32 s24, s1, 31
	s_add_u32 s38, s28, s24
	s_mov_b32 s25, s24
	s_addc_u32 s39, s1, s24
	s_xor_b64 s[38:39], s[38:39], s[24:25]
	s_mul_i32 s41, s38, s29
	s_mul_hi_u32 s42, s38, s0
	s_mul_hi_u32 s40, s38, s29
	s_add_u32 s41, s42, s41
	s_addc_u32 s40, 0, s40
	s_mul_hi_u32 s43, s39, s0
	s_mul_i32 s0, s39, s0
	s_add_u32 s0, s41, s0
	s_mul_hi_u32 s42, s39, s29
	s_addc_u32 s0, s40, s43
	s_addc_u32 s40, s42, 0
	s_mul_i32 s29, s39, s29
	s_add_u32 s0, s0, s29
	s_addc_u32 s29, 0, s40
	s_mul_i32 s29, s8, s29
	s_mul_hi_u32 s40, s8, s0
	s_add_i32 s29, s40, s29
	s_mul_i32 s40, s9, s0
	s_add_i32 s29, s29, s40
	s_sub_i32 s42, s39, s29
	s_mul_i32 s0, s8, s0
	s_sub_u32 s0, s38, s0
	s_cselect_b64 s[40:41], -1, 0
	s_cmp_lg_u64 s[40:41], 0
	s_subb_u32 s38, s42, s9
	s_sub_u32 s44, s0, s8
	s_cselect_b64 s[42:43], -1, 0
	s_cmp_lg_u64 s[42:43], 0
	s_subb_u32 s45, s38, 0
	s_cmp_ge_u32 s45, s9
	s_cselect_b32 s46, -1, 0
	s_cmp_ge_u32 s44, s8
	s_cselect_b32 s47, -1, 0
	s_cmp_eq_u32 s45, s9
	s_cselect_b32 s46, s47, s46
	s_cmp_lg_u64 s[42:43], 0
	s_subb_u32 s38, s38, s9
	s_sub_u32 s47, s44, s8
	s_cselect_b64 s[42:43], -1, 0
	s_cmp_lg_u64 s[42:43], 0
	s_subb_u32 s38, s38, 0
	s_cmp_lg_u32 s46, 0
	s_cselect_b32 s42, s47, s44
	s_cselect_b32 s38, s38, s45
	s_cmp_lg_u64 s[40:41], 0
	s_subb_u32 s29, s39, s29
	s_cmp_ge_u32 s29, s9
	s_cselect_b32 s39, -1, 0
	s_cmp_ge_u32 s0, s8
	s_cselect_b32 s8, -1, 0
	s_cmp_eq_u32 s29, s9
	s_cselect_b32 s8, s8, s39
	s_cmp_lg_u32 s8, 0
	s_cselect_b32 s9, s38, s29
	s_cselect_b32 s8, s42, s0
	s_xor_b64 s[8:9], s[8:9], s[24:25]
	s_sub_u32 s8, s8, s24
	s_subb_u32 s9, s9, s24
	s_cbranch_execnz .LBB53_160
.LBB53_159:                             ;   in Loop: Header=BB53_16 Depth=1
	v_cvt_f32_u32_e32 v4, s86
	s_sub_i32 s0, 0, s86
	v_rcp_iflag_f32_e32 v4, v4
	s_nop 0
	v_mul_f32_e32 v4, 0x4f7ffffe, v4
	v_cvt_u32_f32_e32 v4, v4
	s_nop 0
	v_readfirstlane_b32 s8, v4
	s_mul_i32 s0, s0, s8
	s_mul_hi_u32 s0, s8, s0
	s_add_i32 s8, s8, s0
	s_mul_hi_u32 s0, s28, s8
	s_mul_i32 s0, s0, s86
	s_sub_i32 s0, s28, s0
	s_sub_i32 s8, s0, s86
	s_cmp_ge_u32 s0, s86
	s_cselect_b32 s0, s8, s0
	s_sub_i32 s8, s0, s86
	s_cmp_ge_u32 s0, s86
	s_cselect_b32 s88, s8, s0
	s_mov_b64 s[8:9], s[88:89]
.LBB53_160:                             ;   in Loop: Header=BB53_16 Depth=1
	s_sub_u32 s8, s28, s8
	s_subb_u32 s9, s1, s9
	v_cmp_gt_i64_e32 vcc, s[8:9], v[0:1]
                                        ; implicit-def: $vgpr37
	s_and_saveexec_b64 s[0:1], vcc
	s_cbranch_execz .LBB53_170
; %bb.161:                              ;   in Loop: Header=BB53_16 Depth=1
	s_mov_b64 s[24:25], 0
	v_mov_b32_e32 v10, v14
	v_mov_b64_e32 v[4:5], v[0:1]
                                        ; implicit-def: $sgpr28_sgpr29
	s_branch .LBB53_165
.LBB53_162:                             ;   in Loop: Header=BB53_165 Depth=2
	s_or_b64 exec, exec, s[38:39]
	s_waitcnt lgkmcnt(0)
	s_barrier
	ds_read_b64 v[36:37], v3 offset:3072
	s_waitcnt lgkmcnt(0)
	s_barrier
	v_cmp_eq_f32_e32 vcc, 0, v36
	s_cbranch_vccz .LBB53_168
; %bb.163:                              ;   in Loop: Header=BB53_165 Depth=2
	v_lshl_add_u64 v[4:5], v[4:5], 0, s[86:87]
	v_cmp_le_i64_e32 vcc, s[8:9], v[4:5]
	v_add_u32_e32 v10, s83, v10
	s_mov_b64 s[38:39], 0
	s_orn2_b64 s[40:41], vcc, exec
.LBB53_164:                             ;   in Loop: Header=BB53_165 Depth=2
	s_and_b64 s[40:41], exec, s[40:41]
	s_or_b64 s[24:25], s[40:41], s[24:25]
	s_andn2_b64 s[28:29], s[28:29], exec
	s_and_b64 s[38:39], s[38:39], exec
	s_or_b64 s[28:29], s[28:29], s[38:39]
	s_andn2_b64 exec, exec, s[24:25]
	s_cbranch_execz .LBB53_169
.LBB53_165:                             ;   Parent Loop BB53_16 Depth=1
                                        ; =>  This Inner Loop Header: Depth=2
	v_cmp_gt_u64_e32 vcc, s[36:37], v[4:5]
	s_and_saveexec_b64 s[38:39], vcc
	s_cbranch_execz .LBB53_162
; %bb.166:                              ;   in Loop: Header=BB53_165 Depth=2
	ds_read_b32 v35, v10
	s_waitcnt lgkmcnt(0)
	v_cmp_lt_i32_e32 vcc, -1, v35
	s_nop 1
	v_cndmask_b32_e32 v11, -1, v51, vcc
	v_xor_b32_e32 v11, v11, v35
	v_cmp_o_f32_e32 vcc, v35, v35
	s_nop 1
	v_cndmask_b32_e32 v11, -1, v11, vcc
	v_and_b32_e32 v11, v11, v52
	v_cmp_eq_u32_e32 vcc, v11, v50
	s_and_b64 exec, exec, vcc
	s_cbranch_execz .LBB53_162
; %bb.167:                              ;   in Loop: Header=BB53_165 Depth=2
	ds_write_b64 v3, v[34:35] offset:3072
	s_branch .LBB53_162
.LBB53_168:                             ;   in Loop: Header=BB53_165 Depth=2
	s_mov_b64 s[40:41], -1
                                        ; implicit-def: $vgpr4_vgpr5
                                        ; implicit-def: $vgpr10
	s_mov_b64 s[38:39], -1
	s_branch .LBB53_164
.LBB53_169:                             ;   in Loop: Header=BB53_16 Depth=1
	s_or_b64 exec, exec, s[24:25]
	s_andn2_b64 s[6:7], s[6:7], exec
	s_and_b64 s[8:9], s[28:29], exec
	s_or_b64 s[6:7], s[6:7], s[8:9]
.LBB53_170:                             ;   in Loop: Header=BB53_16 Depth=1
	s_or_b64 exec, exec, s[0:1]
	s_mov_b64 s[0:1], 0
	s_mov_b64 s[28:29], -1
.LBB53_171:                             ;   in Loop: Header=BB53_16 Depth=1
	s_orn2_b64 s[6:7], s[6:7], exec
.LBB53_172:                             ;   in Loop: Header=BB53_16 Depth=1
	s_or_b64 exec, exec, s[30:31]
	s_mov_b64 s[8:9], 0
	s_and_saveexec_b64 s[30:31], s[6:7]
	s_cbranch_execz .LBB53_282
; %bb.173:                              ;   in Loop: Header=BB53_16 Depth=1
	s_xor_b64 s[24:25], s[34:35], -1
	v_mov_b32_e32 v2, 1
	v_mov_b64_e32 v[4:5], 1
	s_and_saveexec_b64 s[6:7], s[24:25]
	s_cbranch_execz .LBB53_183
; %bb.174:                              ;   in Loop: Header=BB53_16 Depth=1
	v_cmp_le_i64_e32 vcc, v[8:9], v[6:7]
	s_and_saveexec_b64 s[8:9], vcc
	s_xor_b64 s[8:9], exec, s[8:9]
	s_cbranch_execz .LBB53_180
; %bb.175:                              ;   in Loop: Header=BB53_16 Depth=1
	ds_read_b64 v[4:5], v3 offset:5120
	v_and_b32_e32 v2, s54, v50
	v_lshl_or_b32 v50, 1, s98, v2
	v_or_b32_e32 v52, s68, v52
	s_waitcnt lgkmcnt(0)
	v_cmp_ne_u64_e32 vcc, 0, v[4:5]
	s_cbranch_vccnz .LBB53_179
; %bb.176:                              ;   in Loop: Header=BB53_16 Depth=1
	s_mov_b64 s[24:25], exec
	v_readlane_b32 s34, v64, 12
	v_readlane_b32 s35, v64, 13
	s_and_b64 s[34:35], s[24:25], s[34:35]
	s_mov_b64 exec, s[34:35]
; %bb.177:                              ;   in Loop: Header=BB53_16 Depth=1
	ds_write_b64 v3, v[6:7] offset:5128
; %bb.178:                              ;   in Loop: Header=BB53_16 Depth=1
	s_or_b64 exec, exec, s[24:25]
	s_waitcnt lgkmcnt(0)
	s_barrier
.LBB53_179:                             ;   in Loop: Header=BB53_16 Depth=1
                                        ; implicit-def: $vgpr4_vgpr5_vgpr6_vgpr7
.LBB53_180:                             ;   in Loop: Header=BB53_16 Depth=1
	s_or_saveexec_b64 s[8:9], s[8:9]
	s_mov_b64 s[24:25], 0
	v_mov_b32_e32 v2, 8
	s_xor_b64 exec, exec, s[8:9]
; %bb.181:                              ;   in Loop: Header=BB53_16 Depth=1
	v_sub_co_u32_e32 v8, vcc, v8, v6
	s_mov_b64 s[24:25], exec
	s_nop 0
	v_subb_co_u32_e32 v9, vcc, v9, v7, vcc
	v_mov_b32_e32 v2, 0
; %bb.182:                              ;   in Loop: Header=BB53_16 Depth=1
	s_or_b64 exec, exec, s[8:9]
	s_and_b64 s[8:9], s[24:25], exec
	v_mov_b64_e32 v[4:5], v[8:9]
.LBB53_183:                             ;   in Loop: Header=BB53_16 Depth=1
	s_or_b64 exec, exec, s[6:7]
	s_mov_b64 s[6:7], -1
                                        ; implicit-def: $sgpr36_sgpr37
                                        ; implicit-def: $sgpr38_sgpr39
	s_and_saveexec_b64 s[34:35], s[8:9]
	s_cbranch_execz .LBB53_281
; %bb.184:                              ;   in Loop: Header=BB53_16 Depth=1
	s_cmp_eq_u64 s[26:27], 1
	s_cselect_b64 s[6:7], -1, 0
	v_cmp_eq_u64_e32 vcc, 1, v[4:5]
	s_and_b64 s[42:43], s[6:7], vcc
	s_mov_b64 s[6:7], -1
                                        ; implicit-def: $sgpr38_sgpr39
                                        ; implicit-def: $sgpr36_sgpr37
	s_and_saveexec_b64 s[40:41], s[42:43]
	s_cbranch_execz .LBB53_220
; %bb.185:                              ;   in Loop: Header=BB53_16 Depth=1
	ds_read_b64 v[6:7], v3 offset:5120
	s_waitcnt lgkmcnt(0)
	s_barrier
	v_readfirstlane_b32 s44, v6
	v_readfirstlane_b32 s45, v7
	s_mov_b64 s[6:7], exec
	v_readlane_b32 s8, v64, 24
	v_readlane_b32 s9, v64, 25
	s_and_b64 s[8:9], s[6:7], s[8:9]
	s_mov_b64 exec, s[8:9]
; %bb.186:                              ;   in Loop: Header=BB53_16 Depth=1
	ds_write_b32 v45, v3
; %bb.187:                              ;   in Loop: Header=BB53_16 Depth=1
	s_or_b64 exec, exec, s[6:7]
	v_and_b32_e32 v6, s54, v50
	v_cmp_gt_i64_e64 s[6:7], s[44:45], 0
	v_lshl_or_b32 v50, 2, s98, v6
	v_or_b32_e32 v52, s68, v52
	s_mov_b64 s[36:37], -1
	s_mov_b64 s[38:39], 0
	s_and_b64 vcc, exec, s[6:7]
	s_mov_b64 s[6:7], 0
	s_mov_b64 s[8:9], -1
	s_waitcnt lgkmcnt(0)
	s_barrier
                                        ; implicit-def: $vgpr37
	s_cbranch_vccnz .LBB53_204
; %bb.188:                              ;   in Loop: Header=BB53_16 Depth=1
	s_mov_b32 s70, s89
	s_cmp_lg_u64 s[70:71], 0
	s_cbranch_scc0 .LBB53_247
; %bb.189:                              ;   in Loop: Header=BB53_16 Depth=1
	s_add_u32 s6, s86, 0
	s_addc_u32 s7, 0, 0
	s_xor_b64 s[6:7], s[6:7], 0
	v_cvt_f32_u32_e32 v6, s6
	v_cvt_f32_u32_e32 v7, s7
	s_sub_u32 s24, 0, s6
	s_subb_u32 s25, 0, s7
	v_fmac_f32_e32 v6, 0x4f800000, v7
	v_rcp_f32_e32 v6, v6
	s_nop 0
	v_mul_f32_e32 v6, 0x5f7ffffc, v6
	v_mul_f32_e32 v7, 0x2f800000, v6
	v_trunc_f32_e32 v7, v7
	v_fmac_f32_e32 v6, 0xcf800000, v7
	v_cvt_u32_f32_e32 v7, v7
	v_cvt_u32_f32_e32 v6, v6
	v_readfirstlane_b32 s46, v7
	v_readfirstlane_b32 s8, v6
	s_mul_i32 s9, s24, s46
	s_mul_hi_u32 s48, s24, s8
	s_mul_i32 s47, s25, s8
	s_add_i32 s9, s48, s9
	s_mul_i32 s49, s24, s8
	s_add_i32 s9, s9, s47
	s_mul_i32 s48, s8, s9
	s_mul_hi_u32 s50, s8, s49
	s_mul_hi_u32 s47, s8, s9
	s_add_u32 s48, s50, s48
	s_addc_u32 s47, 0, s47
	s_mul_hi_u32 s51, s46, s49
	s_mul_i32 s49, s46, s49
	s_add_u32 s48, s48, s49
	s_mul_hi_u32 s50, s46, s9
	s_addc_u32 s47, s47, s51
	s_addc_u32 s48, s50, 0
	s_mul_i32 s9, s46, s9
	s_add_u32 s9, s47, s9
	s_addc_u32 s47, 0, s48
	s_add_u32 s48, s8, s9
	s_cselect_b64 s[8:9], -1, 0
	s_cmp_lg_u64 s[8:9], 0
	s_addc_u32 s46, s46, s47
	s_mul_i32 s8, s24, s46
	s_mul_hi_u32 s9, s24, s48
	s_add_i32 s8, s9, s8
	s_mul_i32 s25, s25, s48
	s_add_i32 s8, s8, s25
	s_mul_i32 s24, s24, s48
	s_mul_hi_u32 s25, s46, s24
	s_mul_i32 s47, s46, s24
	s_mul_i32 s50, s48, s8
	s_mul_hi_u32 s24, s48, s24
	s_mul_hi_u32 s49, s48, s8
	s_add_u32 s24, s24, s50
	s_addc_u32 s49, 0, s49
	s_add_u32 s24, s24, s47
	s_mul_hi_u32 s9, s46, s8
	s_addc_u32 s24, s49, s25
	s_addc_u32 s9, s9, 0
	s_mul_i32 s8, s46, s8
	s_add_u32 s8, s24, s8
	s_addc_u32 s24, 0, s9
	s_add_u32 s47, s48, s8
	s_cselect_b64 s[8:9], -1, 0
	s_cmp_lg_u64 s[8:9], 0
	s_addc_u32 s46, s46, s24
	s_ashr_i32 s8, s71, 31
	s_add_u32 s24, s72, s8
	s_mov_b32 s9, s8
	s_addc_u32 s25, s71, s8
	s_xor_b64 s[24:25], s[24:25], s[8:9]
	s_mul_i32 s49, s24, s46
	s_mul_hi_u32 s50, s24, s47
	s_mul_hi_u32 s48, s24, s46
	s_add_u32 s49, s50, s49
	s_addc_u32 s48, 0, s48
	s_mul_hi_u32 s51, s25, s47
	s_mul_i32 s47, s25, s47
	s_add_u32 s47, s49, s47
	s_mul_hi_u32 s50, s25, s46
	s_addc_u32 s47, s48, s51
	s_addc_u32 s48, s50, 0
	s_mul_i32 s46, s25, s46
	s_add_u32 s46, s47, s46
	s_addc_u32 s47, 0, s48
	s_mul_i32 s47, s6, s47
	s_mul_hi_u32 s48, s6, s46
	s_add_i32 s47, s48, s47
	s_mul_i32 s48, s7, s46
	s_add_i32 s50, s47, s48
	s_sub_i32 s48, s25, s50
	s_mul_i32 s46, s6, s46
	s_sub_u32 s24, s24, s46
	s_cselect_b64 s[46:47], -1, 0
	s_cmp_lg_u64 s[46:47], 0
	s_subb_u32 s51, s48, s7
	s_sub_u32 s52, s24, s6
	s_cselect_b64 s[48:49], -1, 0
	s_cmp_lg_u64 s[48:49], 0
	s_subb_u32 s53, s51, 0
	s_cmp_ge_u32 s53, s7
	s_cselect_b32 s55, -1, 0
	s_cmp_ge_u32 s52, s6
	s_cselect_b32 s56, -1, 0
	s_cmp_eq_u32 s53, s7
	s_cselect_b32 s55, s56, s55
	s_cmp_lg_u64 s[48:49], 0
	s_subb_u32 s51, s51, s7
	s_sub_u32 s56, s52, s6
	s_cselect_b64 s[48:49], -1, 0
	s_cmp_lg_u64 s[48:49], 0
	s_subb_u32 s48, s51, 0
	s_cmp_lg_u32 s55, 0
	s_cselect_b32 s49, s56, s52
	s_cselect_b32 s48, s48, s53
	s_cmp_lg_u64 s[46:47], 0
	s_subb_u32 s25, s25, s50
	s_cmp_ge_u32 s25, s7
	s_cselect_b32 s46, -1, 0
	s_cmp_ge_u32 s24, s6
	s_cselect_b32 s6, -1, 0
	s_cmp_eq_u32 s25, s7
	s_cselect_b32 s6, s6, s46
	s_cmp_lg_u32 s6, 0
	s_cselect_b32 s7, s48, s25
	s_cselect_b32 s6, s49, s24
	s_xor_b64 s[6:7], s[6:7], s[8:9]
	s_sub_u32 s6, s6, s8
	s_subb_u32 s7, s7, s8
	s_cbranch_execnz .LBB53_191
.LBB53_190:                             ;   in Loop: Header=BB53_16 Depth=1
	v_cvt_f32_u32_e32 v6, s86
	s_sub_i32 s6, 0, s86
	v_rcp_iflag_f32_e32 v6, v6
	s_nop 0
	v_mul_f32_e32 v6, 0x4f7ffffe, v6
	v_cvt_u32_f32_e32 v6, v6
	s_nop 0
	v_readfirstlane_b32 s7, v6
	s_mul_i32 s6, s6, s7
	s_mul_hi_u32 s6, s7, s6
	s_add_i32 s7, s7, s6
	s_mul_hi_u32 s6, s72, s7
	s_mul_i32 s6, s6, s86
	s_sub_i32 s6, s72, s6
	s_sub_i32 s7, s6, s86
	s_cmp_ge_u32 s6, s86
	s_cselect_b32 s6, s7, s6
	s_sub_i32 s7, s6, s86
	s_cmp_ge_u32 s6, s86
	s_cselect_b32 s88, s7, s6
	s_mov_b64 s[6:7], s[88:89]
.LBB53_191:                             ;   in Loop: Header=BB53_16 Depth=1
	s_sub_u32 s46, s72, s6
	s_subb_u32 s47, s71, s7
	v_cmp_gt_i64_e32 vcc, s[46:47], v[0:1]
	s_mov_b64 s[8:9], 0
	s_mov_b64 s[6:7], 0
                                        ; implicit-def: $vgpr37
	s_and_saveexec_b64 s[24:25], vcc
	v_readlane_b32 s4, v64, 53
	v_readlane_b32 s5, v64, 54
	s_cbranch_execz .LBB53_203
; %bb.192:                              ;   in Loop: Header=BB53_16 Depth=1
	v_mov_b64_e32 v[6:7], v[12:13]
	v_mov_b64_e32 v[8:9], v[0:1]
                                        ; implicit-def: $sgpr48_sgpr49
	s_branch .LBB53_196
.LBB53_193:                             ;   in Loop: Header=BB53_196 Depth=2
	s_or_b64 exec, exec, s[50:51]
	s_waitcnt lgkmcnt(0)
	s_barrier
	ds_read_b64 v[36:37], v3 offset:3072
	s_waitcnt lgkmcnt(0)
	s_barrier
	v_cmp_neq_f32_e32 vcc, 0, v36
	s_cbranch_vccnz .LBB53_199
; %bb.194:                              ;   in Loop: Header=BB53_196 Depth=2
	v_lshl_add_u64 v[8:9], v[8:9], 0, s[86:87]
	v_readlane_b32 s50, v64, 55
	v_readlane_b32 s51, v64, 56
	v_cmp_le_i64_e32 vcc, s[46:47], v[8:9]
	s_orn2_b64 s[52:53], vcc, exec
	v_lshl_add_u64 v[6:7], v[6:7], 0, s[50:51]
	s_mov_b64 s[50:51], 0
.LBB53_195:                             ;   in Loop: Header=BB53_196 Depth=2
	s_and_b64 s[52:53], exec, s[52:53]
	s_or_b64 s[6:7], s[52:53], s[6:7]
	s_andn2_b64 s[48:49], s[48:49], exec
	s_and_b64 s[50:51], s[50:51], exec
	s_or_b64 s[48:49], s[48:49], s[50:51]
	s_andn2_b64 exec, exec, s[6:7]
	s_cbranch_execz .LBB53_202
.LBB53_196:                             ;   Parent Loop BB53_16 Depth=1
                                        ; =>  This Inner Loop Header: Depth=2
	v_cmp_gt_i64_e32 vcc, s[60:61], v[8:9]
	s_and_saveexec_b64 s[50:51], vcc
	s_cbranch_execz .LBB53_193
; %bb.197:                              ;   in Loop: Header=BB53_196 Depth=2
	global_load_dword v35, v[6:7], off
	s_waitcnt vmcnt(0)
	v_cmp_lt_i32_e32 vcc, -1, v35
	s_nop 1
	v_cndmask_b32_e32 v10, -1, v51, vcc
	v_xor_b32_e32 v10, v10, v35
	v_cmp_o_f32_e32 vcc, v35, v35
	s_nop 1
	v_cndmask_b32_e32 v10, -1, v10, vcc
	v_and_b32_e32 v10, v10, v52
	v_cmp_eq_u32_e32 vcc, v10, v50
	s_and_b64 exec, exec, vcc
	s_cbranch_execz .LBB53_193
; %bb.198:                              ;   in Loop: Header=BB53_196 Depth=2
	ds_write_b64 v3, v[34:35] offset:3072
	s_branch .LBB53_193
.LBB53_199:                             ;   in Loop: Header=BB53_196 Depth=2
	s_mov_b64 s[52:53], -1
                                        ; implicit-def: $vgpr8_vgpr9
                                        ; implicit-def: $vgpr6_vgpr7
	s_mov_b64 s[50:51], -1
	s_branch .LBB53_195
.LBB53_200:                             ;   in Loop: Header=BB53_16 Depth=1
                                        ; implicit-def: $sgpr6_sgpr7
	s_andn2_b64 vcc, exec, s[8:9]
	s_cbranch_vccz .LBB53_142
	s_branch .LBB53_143
.LBB53_201:                             ;   in Loop: Header=BB53_16 Depth=1
                                        ; implicit-def: $sgpr8_sgpr9
	s_branch .LBB53_159
.LBB53_202:                             ;   in Loop: Header=BB53_16 Depth=1
	s_or_b64 exec, exec, s[6:7]
	s_and_b64 s[6:7], s[48:49], exec
.LBB53_203:                             ;   in Loop: Header=BB53_16 Depth=1
	s_or_b64 exec, exec, s[24:25]
	v_readlane_b32 s52, v64, 55
	v_readlane_b32 s53, v64, 56
.LBB53_204:                             ;   in Loop: Header=BB53_16 Depth=1
	s_and_b64 vcc, exec, s[8:9]
	s_cbranch_vccz .LBB53_219
; %bb.205:                              ;   in Loop: Header=BB53_16 Depth=1
	v_readlane_b32 s8, v64, 34
	s_add_u32 s38, s44, s8
	v_readlane_b32 s8, v64, 35
	s_addc_u32 s9, s45, s8
	s_mov_b32 s8, s89
	s_cmp_lg_u64 s[8:9], 0
	s_cbranch_scc0 .LBB53_248
; %bb.206:                              ;   in Loop: Header=BB53_16 Depth=1
	s_add_u32 s24, s86, 0
	s_addc_u32 s25, 0, 0
	s_xor_b64 s[24:25], s[24:25], 0
	v_cvt_f32_u32_e32 v6, s24
	v_cvt_f32_u32_e32 v7, s25
	s_sub_u32 s8, 0, s24
	s_subb_u32 s39, 0, s25
	v_readlane_b32 s4, v64, 53
	v_fmac_f32_e32 v6, 0x4f800000, v7
	v_rcp_f32_e32 v6, v6
	v_readlane_b32 s5, v64, 54
	v_mul_f32_e32 v6, 0x5f7ffffc, v6
	v_mul_f32_e32 v7, 0x2f800000, v6
	v_trunc_f32_e32 v7, v7
	v_fmac_f32_e32 v6, 0xcf800000, v7
	v_cvt_u32_f32_e32 v7, v7
	v_cvt_u32_f32_e32 v6, v6
	v_readfirstlane_b32 s46, v7
	v_readfirstlane_b32 s36, v6
	s_mul_i32 s37, s8, s46
	s_mul_hi_u32 s48, s8, s36
	s_mul_i32 s47, s39, s36
	s_add_i32 s37, s48, s37
	s_mul_i32 s49, s8, s36
	s_add_i32 s37, s37, s47
	s_mul_i32 s48, s36, s37
	s_mul_hi_u32 s50, s36, s49
	s_mul_hi_u32 s47, s36, s37
	s_add_u32 s48, s50, s48
	s_addc_u32 s47, 0, s47
	s_mul_hi_u32 s51, s46, s49
	s_mul_i32 s49, s46, s49
	s_add_u32 s48, s48, s49
	s_mul_hi_u32 s50, s46, s37
	s_addc_u32 s47, s47, s51
	s_addc_u32 s48, s50, 0
	s_mul_i32 s37, s46, s37
	s_add_u32 s37, s47, s37
	s_addc_u32 s47, 0, s48
	s_add_u32 s48, s36, s37
	s_cselect_b64 s[36:37], -1, 0
	s_cmp_lg_u64 s[36:37], 0
	s_addc_u32 s46, s46, s47
	s_mul_i32 s36, s8, s46
	s_mul_hi_u32 s37, s8, s48
	s_add_i32 s36, s37, s36
	s_mul_i32 s39, s39, s48
	s_add_i32 s36, s36, s39
	s_mul_i32 s8, s8, s48
	s_mul_hi_u32 s39, s46, s8
	s_mul_i32 s47, s46, s8
	s_mul_i32 s50, s48, s36
	s_mul_hi_u32 s8, s48, s8
	s_mul_hi_u32 s49, s48, s36
	s_add_u32 s8, s8, s50
	s_addc_u32 s49, 0, s49
	s_add_u32 s8, s8, s47
	s_mul_hi_u32 s37, s46, s36
	s_addc_u32 s8, s49, s39
	s_addc_u32 s37, s37, 0
	s_mul_i32 s36, s46, s36
	s_add_u32 s8, s8, s36
	s_addc_u32 s39, 0, s37
	s_add_u32 s8, s48, s8
	s_cselect_b64 s[36:37], -1, 0
	s_cmp_lg_u64 s[36:37], 0
	s_addc_u32 s39, s46, s39
	s_ashr_i32 s36, s9, 31
	s_add_u32 s46, s38, s36
	s_mov_b32 s37, s36
	s_addc_u32 s47, s9, s36
	s_xor_b64 s[46:47], s[46:47], s[36:37]
	s_mul_i32 s49, s46, s39
	s_mul_hi_u32 s50, s46, s8
	s_mul_hi_u32 s48, s46, s39
	s_add_u32 s49, s50, s49
	s_addc_u32 s48, 0, s48
	s_mul_hi_u32 s51, s47, s8
	s_mul_i32 s8, s47, s8
	s_add_u32 s8, s49, s8
	s_mul_hi_u32 s50, s47, s39
	s_addc_u32 s8, s48, s51
	s_addc_u32 s48, s50, 0
	s_mul_i32 s39, s47, s39
	s_add_u32 s8, s8, s39
	s_addc_u32 s39, 0, s48
	s_mul_i32 s39, s24, s39
	s_mul_hi_u32 s48, s24, s8
	s_add_i32 s39, s48, s39
	s_mul_i32 s48, s25, s8
	s_add_i32 s39, s39, s48
	s_sub_i32 s50, s47, s39
	s_mul_i32 s8, s24, s8
	s_sub_u32 s8, s46, s8
	s_cselect_b64 s[48:49], -1, 0
	s_cmp_lg_u64 s[48:49], 0
	s_subb_u32 s46, s50, s25
	s_sub_u32 s52, s8, s24
	s_cselect_b64 s[50:51], -1, 0
	s_cmp_lg_u64 s[50:51], 0
	s_subb_u32 s53, s46, 0
	s_cmp_ge_u32 s53, s25
	s_cselect_b32 s55, -1, 0
	s_cmp_ge_u32 s52, s24
	s_cselect_b32 s56, -1, 0
	s_cmp_eq_u32 s53, s25
	s_cselect_b32 s55, s56, s55
	s_cmp_lg_u64 s[50:51], 0
	s_subb_u32 s46, s46, s25
	s_sub_u32 s56, s52, s24
	s_cselect_b64 s[50:51], -1, 0
	s_cmp_lg_u64 s[50:51], 0
	s_subb_u32 s46, s46, 0
	s_cmp_lg_u32 s55, 0
	s_cselect_b32 s50, s56, s52
	s_cselect_b32 s46, s46, s53
	s_cmp_lg_u64 s[48:49], 0
	s_subb_u32 s39, s47, s39
	s_cmp_ge_u32 s39, s25
	s_cselect_b32 s47, -1, 0
	s_cmp_ge_u32 s8, s24
	s_cselect_b32 s24, -1, 0
	s_cmp_eq_u32 s39, s25
	s_cselect_b32 s24, s24, s47
	s_cmp_lg_u32 s24, 0
	s_cselect_b32 s25, s46, s39
	s_cselect_b32 s24, s50, s8
	s_xor_b64 s[24:25], s[24:25], s[36:37]
	v_readlane_b32 s52, v64, 55
	s_sub_u32 s24, s24, s36
	v_readlane_b32 s53, v64, 56
	s_subb_u32 s25, s25, s36
	s_cbranch_execnz .LBB53_208
.LBB53_207:                             ;   in Loop: Header=BB53_16 Depth=1
	v_cvt_f32_u32_e32 v6, s86
	s_sub_i32 s8, 0, s86
	v_rcp_iflag_f32_e32 v6, v6
	s_nop 0
	v_mul_f32_e32 v6, 0x4f7ffffe, v6
	v_cvt_u32_f32_e32 v6, v6
	s_nop 0
	v_readfirstlane_b32 s24, v6
	s_mul_i32 s8, s8, s24
	s_mul_hi_u32 s8, s24, s8
	s_add_i32 s24, s24, s8
	s_mul_hi_u32 s8, s38, s24
	s_mul_i32 s8, s8, s86
	s_sub_i32 s8, s38, s8
	s_sub_i32 s24, s8, s86
	s_cmp_ge_u32 s8, s86
	s_cselect_b32 s8, s24, s8
	s_sub_i32 s24, s8, s86
	s_cmp_ge_u32 s8, s86
	s_cselect_b32 s88, s24, s8
	s_mov_b64 s[24:25], s[88:89]
.LBB53_208:                             ;   in Loop: Header=BB53_16 Depth=1
	s_sub_u32 s24, s38, s24
	s_subb_u32 s25, s9, s25
	v_cmp_gt_i64_e32 vcc, s[24:25], v[0:1]
                                        ; implicit-def: $vgpr37
	s_and_saveexec_b64 s[8:9], vcc
	s_cbranch_execz .LBB53_218
; %bb.209:                              ;   in Loop: Header=BB53_16 Depth=1
	s_mov_b64 s[36:37], 0
	v_mov_b32_e32 v8, v14
	v_mov_b64_e32 v[6:7], v[0:1]
                                        ; implicit-def: $sgpr38_sgpr39
	s_branch .LBB53_213
.LBB53_210:                             ;   in Loop: Header=BB53_213 Depth=2
	s_or_b64 exec, exec, s[46:47]
	s_waitcnt lgkmcnt(0)
	s_barrier
	ds_read_b64 v[36:37], v3 offset:3072
	s_waitcnt lgkmcnt(0)
	s_barrier
	v_cmp_eq_f32_e32 vcc, 0, v36
	s_cbranch_vccz .LBB53_216
; %bb.211:                              ;   in Loop: Header=BB53_213 Depth=2
	v_lshl_add_u64 v[6:7], v[6:7], 0, s[86:87]
	v_cmp_le_i64_e32 vcc, s[24:25], v[6:7]
	v_add_u32_e32 v8, s83, v8
	s_mov_b64 s[46:47], 0
	s_orn2_b64 s[48:49], vcc, exec
.LBB53_212:                             ;   in Loop: Header=BB53_213 Depth=2
	s_and_b64 s[48:49], exec, s[48:49]
	s_or_b64 s[36:37], s[48:49], s[36:37]
	s_andn2_b64 s[38:39], s[38:39], exec
	s_and_b64 s[46:47], s[46:47], exec
	s_or_b64 s[38:39], s[38:39], s[46:47]
	s_andn2_b64 exec, exec, s[36:37]
	s_cbranch_execz .LBB53_217
.LBB53_213:                             ;   Parent Loop BB53_16 Depth=1
                                        ; =>  This Inner Loop Header: Depth=2
	v_cmp_gt_u64_e32 vcc, s[44:45], v[6:7]
	s_and_saveexec_b64 s[46:47], vcc
	s_cbranch_execz .LBB53_210
; %bb.214:                              ;   in Loop: Header=BB53_213 Depth=2
	ds_read_b32 v35, v8
	s_waitcnt lgkmcnt(0)
	v_cmp_lt_i32_e32 vcc, -1, v35
	s_nop 1
	v_cndmask_b32_e32 v9, -1, v51, vcc
	v_xor_b32_e32 v9, v9, v35
	v_cmp_o_f32_e32 vcc, v35, v35
	s_nop 1
	v_cndmask_b32_e32 v9, -1, v9, vcc
	v_and_b32_e32 v9, v9, v52
	v_cmp_eq_u32_e32 vcc, v9, v50
	s_and_b64 exec, exec, vcc
	s_cbranch_execz .LBB53_210
; %bb.215:                              ;   in Loop: Header=BB53_213 Depth=2
	ds_write_b64 v3, v[34:35] offset:3072
	s_branch .LBB53_210
.LBB53_216:                             ;   in Loop: Header=BB53_213 Depth=2
	s_mov_b64 s[48:49], -1
                                        ; implicit-def: $vgpr6_vgpr7
                                        ; implicit-def: $vgpr8
	s_mov_b64 s[46:47], -1
	s_branch .LBB53_212
.LBB53_217:                             ;   in Loop: Header=BB53_16 Depth=1
	s_or_b64 exec, exec, s[36:37]
	s_andn2_b64 s[6:7], s[6:7], exec
	s_and_b64 s[24:25], s[38:39], exec
	s_or_b64 s[6:7], s[6:7], s[24:25]
.LBB53_218:                             ;   in Loop: Header=BB53_16 Depth=1
	s_or_b64 exec, exec, s[8:9]
	s_mov_b64 s[36:37], 0
	s_mov_b64 s[38:39], -1
.LBB53_219:                             ;   in Loop: Header=BB53_16 Depth=1
	s_orn2_b64 s[6:7], s[6:7], exec
.LBB53_220:                             ;   in Loop: Header=BB53_16 Depth=1
	s_or_b64 exec, exec, s[40:41]
	s_mov_b64 s[8:9], 0
	s_and_saveexec_b64 s[40:41], s[6:7]
	s_cbranch_execz .LBB53_280
; %bb.221:                              ;   in Loop: Header=BB53_16 Depth=1
	s_xor_b64 s[8:9], s[42:43], -1
	v_mov_b32_e32 v2, 1
	s_mov_b64 s[42:43], 0
	v_mov_b64_e32 v[6:7], 1
	s_and_saveexec_b64 s[6:7], s[8:9]
	s_cbranch_execz .LBB53_230
; %bb.222:                              ;   in Loop: Header=BB53_16 Depth=1
	v_cmp_ge_i64_e32 vcc, s[26:27], v[4:5]
	s_and_saveexec_b64 s[8:9], vcc
	s_xor_b64 s[8:9], exec, s[8:9]
	s_cbranch_execz .LBB53_227
; %bb.223:                              ;   in Loop: Header=BB53_16 Depth=1
	ds_read_b64 v[6:7], v3 offset:5120
	v_and_b32_e32 v2, s54, v50
	v_lshl_or_b32 v50, 2, s98, v2
	v_or_b32_e32 v52, s68, v52
	s_waitcnt lgkmcnt(0)
	v_cmp_ne_u64_e32 vcc, 0, v[6:7]
	s_cbranch_vccnz .LBB53_227
; %bb.224:                              ;   in Loop: Header=BB53_16 Depth=1
	s_mov_b64 s[24:25], exec
	v_readlane_b32 s42, v64, 12
	v_readlane_b32 s43, v64, 13
	s_and_b64 s[42:43], s[24:25], s[42:43]
	s_mov_b64 exec, s[42:43]
; %bb.225:                              ;   in Loop: Header=BB53_16 Depth=1
	v_mov_b64_e32 v[6:7], s[26:27]
	ds_write_b64 v3, v[6:7] offset:5128
; %bb.226:                              ;   in Loop: Header=BB53_16 Depth=1
	s_or_b64 exec, exec, s[24:25]
	s_waitcnt lgkmcnt(0)
	s_barrier
.LBB53_227:                             ;   in Loop: Header=BB53_16 Depth=1
	s_or_saveexec_b64 s[8:9], s[8:9]
	s_mov_b64 s[24:25], 0
	v_mov_b32_e32 v2, 8
	s_xor_b64 exec, exec, s[8:9]
; %bb.228:                              ;   in Loop: Header=BB53_16 Depth=1
	v_mov_b32_e32 v2, s27
	v_subrev_co_u32_e32 v4, vcc, s26, v4
	s_mov_b64 s[24:25], exec
	s_nop 0
	v_subb_co_u32_e32 v5, vcc, v5, v2, vcc
	v_mov_b32_e32 v2, 0
; %bb.229:                              ;   in Loop: Header=BB53_16 Depth=1
	s_or_b64 exec, exec, s[8:9]
	s_and_b64 s[42:43], s[24:25], exec
	v_mov_b64_e32 v[6:7], v[4:5]
.LBB53_230:                             ;   in Loop: Header=BB53_16 Depth=1
	s_or_b64 exec, exec, s[6:7]
	s_mov_b64 s[24:25], -1
                                        ; implicit-def: $sgpr8_sgpr9
                                        ; implicit-def: $sgpr6_sgpr7
	s_and_saveexec_b64 s[26:27], s[42:43]
	s_cbranch_execz .LBB53_279
; %bb.231:                              ;   in Loop: Header=BB53_16 Depth=1
	s_cmp_eq_u64 s[2:3], 1
	s_cselect_b64 s[6:7], -1, 0
	v_cmp_eq_u64_e32 vcc, 1, v[6:7]
	s_and_b64 s[42:43], s[6:7], vcc
	s_mov_b64 s[46:47], -1
                                        ; implicit-def: $sgpr8_sgpr9
                                        ; implicit-def: $sgpr6_sgpr7
	s_and_saveexec_b64 s[44:45], s[42:43]
	s_cbranch_execz .LBB53_267
; %bb.232:                              ;   in Loop: Header=BB53_16 Depth=1
	ds_read_b64 v[4:5], v3 offset:5120
	s_waitcnt lgkmcnt(0)
	s_barrier
	v_readfirstlane_b32 s46, v4
	v_readfirstlane_b32 s47, v5
	s_mov_b64 s[6:7], exec
	v_readlane_b32 s8, v64, 24
	v_readlane_b32 s9, v64, 25
	s_and_b64 s[8:9], s[6:7], s[8:9]
	s_mov_b64 exec, s[8:9]
; %bb.233:                              ;   in Loop: Header=BB53_16 Depth=1
	ds_write_b32 v45, v3
; %bb.234:                              ;   in Loop: Header=BB53_16 Depth=1
	s_or_b64 exec, exec, s[6:7]
	v_cmp_gt_i64_e64 s[24:25], s[46:47], 0
	v_or_b32_e32 v50, s68, v50
	v_or_b32_e32 v52, s68, v52
	s_mov_b64 s[6:7], -1
	s_mov_b64 s[8:9], 0
	s_and_b64 vcc, exec, s[24:25]
	s_mov_b64 s[24:25], 0
	s_mov_b64 s[48:49], -1
	s_waitcnt lgkmcnt(0)
	s_barrier
                                        ; implicit-def: $vgpr37
	s_cbranch_vccnz .LBB53_251
; %bb.235:                              ;   in Loop: Header=BB53_16 Depth=1
	s_mov_b32 s70, s89
	s_cmp_lg_u64 s[70:71], 0
	s_cbranch_scc0 .LBB53_286
; %bb.236:                              ;   in Loop: Header=BB53_16 Depth=1
	s_add_u32 s24, s86, 0
	s_addc_u32 s25, 0, 0
	s_xor_b64 s[24:25], s[24:25], 0
	v_cvt_f32_u32_e32 v4, s24
	v_cvt_f32_u32_e32 v5, s25
	s_sub_u32 s50, 0, s24
	s_subb_u32 s51, 0, s25
	v_fmac_f32_e32 v4, 0x4f800000, v5
	v_rcp_f32_e32 v4, v4
	s_nop 0
	v_mul_f32_e32 v4, 0x5f7ffffc, v4
	v_mul_f32_e32 v5, 0x2f800000, v4
	v_trunc_f32_e32 v5, v5
	v_fmac_f32_e32 v4, 0xcf800000, v5
	v_cvt_u32_f32_e32 v5, v5
	v_cvt_u32_f32_e32 v4, v4
	v_readfirstlane_b32 s52, v5
	v_readfirstlane_b32 s48, v4
	s_mul_i32 s49, s50, s52
	s_mul_hi_u32 s54, s50, s48
	s_mul_i32 s53, s51, s48
	s_add_i32 s49, s54, s49
	s_mul_i32 s55, s50, s48
	s_add_i32 s49, s49, s53
	s_mul_i32 s54, s48, s49
	s_mul_hi_u32 s56, s48, s55
	s_mul_hi_u32 s53, s48, s49
	s_add_u32 s54, s56, s54
	s_addc_u32 s53, 0, s53
	s_mul_hi_u32 s57, s52, s55
	s_mul_i32 s55, s52, s55
	s_add_u32 s54, s54, s55
	s_mul_hi_u32 s56, s52, s49
	s_addc_u32 s53, s53, s57
	s_addc_u32 s54, s56, 0
	s_mul_i32 s49, s52, s49
	s_add_u32 s49, s53, s49
	s_addc_u32 s53, 0, s54
	s_add_u32 s54, s48, s49
	s_cselect_b64 s[48:49], -1, 0
	s_cmp_lg_u64 s[48:49], 0
	s_addc_u32 s52, s52, s53
	s_mul_i32 s48, s50, s52
	s_mul_hi_u32 s49, s50, s54
	s_add_i32 s48, s49, s48
	s_mul_i32 s51, s51, s54
	s_add_i32 s48, s48, s51
	s_mul_i32 s50, s50, s54
	s_mul_hi_u32 s51, s52, s50
	s_mul_i32 s53, s52, s50
	s_mul_i32 s56, s54, s48
	s_mul_hi_u32 s50, s54, s50
	s_mul_hi_u32 s55, s54, s48
	s_add_u32 s50, s50, s56
	s_addc_u32 s55, 0, s55
	s_add_u32 s50, s50, s53
	s_mul_hi_u32 s49, s52, s48
	s_addc_u32 s50, s55, s51
	s_addc_u32 s49, s49, 0
	s_mul_i32 s48, s52, s48
	s_add_u32 s48, s50, s48
	s_addc_u32 s50, 0, s49
	s_add_u32 s53, s54, s48
	s_cselect_b64 s[48:49], -1, 0
	s_cmp_lg_u64 s[48:49], 0
	s_addc_u32 s52, s52, s50
	s_ashr_i32 s48, s71, 31
	s_add_u32 s50, s72, s48
	s_mov_b32 s49, s48
	s_addc_u32 s51, s71, s48
	s_xor_b64 s[50:51], s[50:51], s[48:49]
	s_mul_i32 s55, s50, s52
	s_mul_hi_u32 s56, s50, s53
	s_mul_hi_u32 s54, s50, s52
	s_add_u32 s55, s56, s55
	s_addc_u32 s54, 0, s54
	s_mul_hi_u32 s57, s51, s53
	s_mul_i32 s53, s51, s53
	s_add_u32 s53, s55, s53
	s_mul_hi_u32 s56, s51, s52
	s_addc_u32 s53, s54, s57
	s_addc_u32 s54, s56, 0
	s_mul_i32 s52, s51, s52
	s_add_u32 s52, s53, s52
	s_addc_u32 s53, 0, s54
	s_mul_i32 s53, s24, s53
	s_mul_hi_u32 s54, s24, s52
	s_add_i32 s53, s54, s53
	s_mul_i32 s54, s25, s52
	s_add_i32 s56, s53, s54
	s_sub_i32 s54, s51, s56
	s_mul_i32 s52, s24, s52
	s_sub_u32 s50, s50, s52
	s_cselect_b64 s[52:53], -1, 0
	s_cmp_lg_u64 s[52:53], 0
	s_subb_u32 s57, s54, s25
	s_sub_u32 s58, s50, s24
	s_cselect_b64 s[54:55], -1, 0
	s_cmp_lg_u64 s[54:55], 0
	s_subb_u32 s59, s57, 0
	s_cmp_ge_u32 s59, s25
	s_cselect_b32 s69, -1, 0
	s_cmp_ge_u32 s58, s24
	s_cselect_b32 s70, -1, 0
	s_cmp_eq_u32 s59, s25
	s_cselect_b32 s69, s70, s69
	s_cmp_lg_u64 s[54:55], 0
	s_subb_u32 s57, s57, s25
	s_sub_u32 s70, s58, s24
	s_cselect_b64 s[54:55], -1, 0
	s_cmp_lg_u64 s[54:55], 0
	s_subb_u32 s54, s57, 0
	s_cmp_lg_u32 s69, 0
	s_cselect_b32 s55, s70, s58
	s_cselect_b32 s54, s54, s59
	s_cmp_lg_u64 s[52:53], 0
	s_subb_u32 s51, s51, s56
	s_cmp_ge_u32 s51, s25
	s_cselect_b32 s52, -1, 0
	s_cmp_ge_u32 s50, s24
	s_cselect_b32 s24, -1, 0
	s_cmp_eq_u32 s51, s25
	s_cselect_b32 s24, s24, s52
	s_cmp_lg_u32 s24, 0
	s_cselect_b32 s25, s54, s51
	s_cselect_b32 s24, s55, s50
	s_xor_b64 s[24:25], s[24:25], s[48:49]
	s_sub_u32 s24, s24, s48
	s_subb_u32 s25, s25, s48
	s_cbranch_execnz .LBB53_238
.LBB53_237:                             ;   in Loop: Header=BB53_16 Depth=1
	v_cvt_f32_u32_e32 v4, s86
	s_sub_i32 s24, 0, s86
	v_rcp_iflag_f32_e32 v4, v4
	s_nop 0
	v_mul_f32_e32 v4, 0x4f7ffffe, v4
	v_cvt_u32_f32_e32 v4, v4
	s_nop 0
	v_readfirstlane_b32 s25, v4
	s_mul_i32 s24, s24, s25
	s_mul_hi_u32 s24, s25, s24
	s_add_i32 s25, s25, s24
	s_mul_hi_u32 s24, s72, s25
	s_mul_i32 s24, s24, s86
	s_sub_i32 s24, s72, s24
	s_sub_i32 s25, s24, s86
	s_cmp_ge_u32 s24, s86
	s_cselect_b32 s24, s25, s24
	s_sub_i32 s25, s24, s86
	s_cmp_ge_u32 s24, s86
	s_cselect_b32 s88, s25, s24
	s_mov_b64 s[24:25], s[88:89]
.LBB53_238:                             ;   in Loop: Header=BB53_16 Depth=1
	s_sub_u32 s52, s72, s24
	s_subb_u32 s53, s71, s25
	v_cmp_gt_i64_e32 vcc, s[52:53], v[0:1]
	s_mov_b64 s[48:49], 0
	s_mov_b64 s[24:25], 0
                                        ; implicit-def: $vgpr37
	s_and_saveexec_b64 s[50:51], vcc
	s_cbranch_execz .LBB53_250
; %bb.239:                              ;   in Loop: Header=BB53_16 Depth=1
	v_mov_b64_e32 v[4:5], v[12:13]
	v_mov_b64_e32 v[8:9], v[0:1]
                                        ; implicit-def: $sgpr54_sgpr55
	s_branch .LBB53_243
.LBB53_240:                             ;   in Loop: Header=BB53_243 Depth=2
	s_or_b64 exec, exec, s[56:57]
	s_waitcnt lgkmcnt(0)
	s_barrier
	ds_read_b64 v[36:37], v3 offset:3072
	s_waitcnt lgkmcnt(0)
	s_barrier
	v_cmp_neq_f32_e32 vcc, 0, v36
	s_cbranch_vccnz .LBB53_246
; %bb.241:                              ;   in Loop: Header=BB53_243 Depth=2
	v_lshl_add_u64 v[8:9], v[8:9], 0, s[86:87]
	v_readlane_b32 s4, v64, 55
	v_readlane_b32 s5, v64, 56
	v_cmp_le_i64_e32 vcc, s[52:53], v[8:9]
	s_mov_b64 s[56:57], 0
	v_lshl_add_u64 v[4:5], v[4:5], 0, s[4:5]
	s_orn2_b64 s[58:59], vcc, exec
.LBB53_242:                             ;   in Loop: Header=BB53_243 Depth=2
	s_and_b64 s[58:59], exec, s[58:59]
	s_or_b64 s[24:25], s[58:59], s[24:25]
	s_andn2_b64 s[54:55], s[54:55], exec
	s_and_b64 s[56:57], s[56:57], exec
	s_or_b64 s[54:55], s[54:55], s[56:57]
	s_andn2_b64 exec, exec, s[24:25]
	s_cbranch_execz .LBB53_249
.LBB53_243:                             ;   Parent Loop BB53_16 Depth=1
                                        ; =>  This Inner Loop Header: Depth=2
	v_cmp_gt_i64_e32 vcc, s[60:61], v[8:9]
	s_and_saveexec_b64 s[56:57], vcc
	s_cbranch_execz .LBB53_240
; %bb.244:                              ;   in Loop: Header=BB53_243 Depth=2
	global_load_dword v35, v[4:5], off
	s_waitcnt vmcnt(0)
	v_cmp_lt_i32_e32 vcc, -1, v35
	s_nop 1
	v_cndmask_b32_e32 v10, -1, v51, vcc
	v_xor_b32_e32 v10, v10, v35
	v_cmp_o_f32_e32 vcc, v35, v35
	s_nop 1
	v_cndmask_b32_e32 v10, -1, v10, vcc
	v_and_b32_e32 v10, v10, v52
	v_cmp_eq_u32_e32 vcc, v10, v50
	s_and_b64 exec, exec, vcc
	s_cbranch_execz .LBB53_240
; %bb.245:                              ;   in Loop: Header=BB53_243 Depth=2
	ds_write_b64 v3, v[34:35] offset:3072
	s_branch .LBB53_240
.LBB53_246:                             ;   in Loop: Header=BB53_243 Depth=2
	s_mov_b64 s[58:59], -1
                                        ; implicit-def: $vgpr8_vgpr9
                                        ; implicit-def: $vgpr4_vgpr5
	s_mov_b64 s[56:57], -1
	s_branch .LBB53_242
.LBB53_247:                             ;   in Loop: Header=BB53_16 Depth=1
                                        ; implicit-def: $sgpr6_sgpr7
	s_andn2_b64 vcc, exec, s[8:9]
	s_cbranch_vccz .LBB53_190
	s_branch .LBB53_191
.LBB53_248:                             ;   in Loop: Header=BB53_16 Depth=1
                                        ; implicit-def: $sgpr24_sgpr25
	s_branch .LBB53_207
.LBB53_249:                             ;   in Loop: Header=BB53_16 Depth=1
	s_or_b64 exec, exec, s[24:25]
	s_and_b64 s[24:25], s[54:55], exec
.LBB53_250:                             ;   in Loop: Header=BB53_16 Depth=1
	s_or_b64 exec, exec, s[50:51]
	v_readlane_b32 s4, v64, 53
	v_readlane_b32 s52, v64, 55
	;; [unrolled: 1-line block ×4, first 2 shown]
.LBB53_251:                             ;   in Loop: Header=BB53_16 Depth=1
	s_and_b64 vcc, exec, s[48:49]
	s_cbranch_vccz .LBB53_266
; %bb.252:                              ;   in Loop: Header=BB53_16 Depth=1
	v_readlane_b32 s6, v64, 34
	s_add_u32 s50, s46, s6
	v_readlane_b32 s6, v64, 35
	s_addc_u32 s7, s47, s6
	s_mov_b32 s6, s89
	s_cmp_lg_u64 s[6:7], 0
	s_cbranch_scc0 .LBB53_287
; %bb.253:                              ;   in Loop: Header=BB53_16 Depth=1
	s_add_u32 s8, s86, 0
	s_addc_u32 s9, 0, 0
	s_xor_b64 s[8:9], s[8:9], 0
	v_cvt_f32_u32_e32 v4, s8
	v_cvt_f32_u32_e32 v5, s9
	s_sub_u32 s6, 0, s8
	s_subb_u32 s51, 0, s9
	v_readlane_b32 s4, v64, 53
	v_fmac_f32_e32 v4, 0x4f800000, v5
	v_rcp_f32_e32 v4, v4
	v_readlane_b32 s5, v64, 54
	v_mul_f32_e32 v4, 0x5f7ffffc, v4
	v_mul_f32_e32 v5, 0x2f800000, v4
	v_trunc_f32_e32 v5, v5
	v_fmac_f32_e32 v4, 0xcf800000, v5
	v_cvt_u32_f32_e32 v5, v5
	v_cvt_u32_f32_e32 v4, v4
	v_readfirstlane_b32 s52, v5
	v_readfirstlane_b32 s48, v4
	s_mul_i32 s49, s6, s52
	s_mul_hi_u32 s54, s6, s48
	s_mul_i32 s53, s51, s48
	s_add_i32 s49, s54, s49
	s_mul_i32 s55, s6, s48
	s_add_i32 s49, s49, s53
	s_mul_i32 s54, s48, s49
	s_mul_hi_u32 s56, s48, s55
	s_mul_hi_u32 s53, s48, s49
	s_add_u32 s54, s56, s54
	s_addc_u32 s53, 0, s53
	s_mul_hi_u32 s57, s52, s55
	s_mul_i32 s55, s52, s55
	s_add_u32 s54, s54, s55
	s_mul_hi_u32 s56, s52, s49
	s_addc_u32 s53, s53, s57
	s_addc_u32 s54, s56, 0
	s_mul_i32 s49, s52, s49
	s_add_u32 s49, s53, s49
	s_addc_u32 s53, 0, s54
	s_add_u32 s54, s48, s49
	s_cselect_b64 s[48:49], -1, 0
	s_cmp_lg_u64 s[48:49], 0
	s_addc_u32 s52, s52, s53
	s_mul_i32 s48, s6, s52
	s_mul_hi_u32 s49, s6, s54
	s_add_i32 s48, s49, s48
	s_mul_i32 s51, s51, s54
	s_add_i32 s48, s48, s51
	s_mul_i32 s6, s6, s54
	s_mul_hi_u32 s51, s52, s6
	s_mul_i32 s53, s52, s6
	s_mul_i32 s56, s54, s48
	s_mul_hi_u32 s6, s54, s6
	s_mul_hi_u32 s55, s54, s48
	s_add_u32 s6, s6, s56
	s_addc_u32 s55, 0, s55
	s_add_u32 s6, s6, s53
	s_mul_hi_u32 s49, s52, s48
	s_addc_u32 s6, s55, s51
	s_addc_u32 s49, s49, 0
	s_mul_i32 s48, s52, s48
	s_add_u32 s6, s6, s48
	s_addc_u32 s51, 0, s49
	s_add_u32 s6, s54, s6
	s_cselect_b64 s[48:49], -1, 0
	s_cmp_lg_u64 s[48:49], 0
	s_addc_u32 s51, s52, s51
	s_ashr_i32 s48, s7, 31
	s_add_u32 s52, s50, s48
	s_mov_b32 s49, s48
	s_addc_u32 s53, s7, s48
	s_xor_b64 s[52:53], s[52:53], s[48:49]
	s_mul_i32 s55, s52, s51
	s_mul_hi_u32 s56, s52, s6
	s_mul_hi_u32 s54, s52, s51
	s_add_u32 s55, s56, s55
	s_addc_u32 s54, 0, s54
	s_mul_hi_u32 s57, s53, s6
	s_mul_i32 s6, s53, s6
	s_add_u32 s6, s55, s6
	s_mul_hi_u32 s56, s53, s51
	s_addc_u32 s6, s54, s57
	s_addc_u32 s54, s56, 0
	s_mul_i32 s51, s53, s51
	s_add_u32 s6, s6, s51
	s_addc_u32 s51, 0, s54
	s_mul_i32 s51, s8, s51
	s_mul_hi_u32 s54, s8, s6
	s_add_i32 s51, s54, s51
	s_mul_i32 s54, s9, s6
	s_add_i32 s51, s51, s54
	s_sub_i32 s56, s53, s51
	s_mul_i32 s6, s8, s6
	s_sub_u32 s6, s52, s6
	s_cselect_b64 s[54:55], -1, 0
	s_cmp_lg_u64 s[54:55], 0
	s_subb_u32 s52, s56, s9
	s_sub_u32 s58, s6, s8
	s_cselect_b64 s[56:57], -1, 0
	s_cmp_lg_u64 s[56:57], 0
	s_subb_u32 s59, s52, 0
	s_cmp_ge_u32 s59, s9
	s_cselect_b32 s69, -1, 0
	s_cmp_ge_u32 s58, s8
	s_cselect_b32 s70, -1, 0
	s_cmp_eq_u32 s59, s9
	s_cselect_b32 s69, s70, s69
	s_cmp_lg_u64 s[56:57], 0
	s_subb_u32 s52, s52, s9
	s_sub_u32 s70, s58, s8
	s_cselect_b64 s[56:57], -1, 0
	s_cmp_lg_u64 s[56:57], 0
	s_subb_u32 s52, s52, 0
	s_cmp_lg_u32 s69, 0
	s_cselect_b32 s56, s70, s58
	s_cselect_b32 s52, s52, s59
	s_cmp_lg_u64 s[54:55], 0
	s_subb_u32 s51, s53, s51
	s_cmp_ge_u32 s51, s9
	s_cselect_b32 s53, -1, 0
	s_cmp_ge_u32 s6, s8
	s_cselect_b32 s8, -1, 0
	s_cmp_eq_u32 s51, s9
	s_cselect_b32 s8, s8, s53
	s_cmp_lg_u32 s8, 0
	s_cselect_b32 s9, s52, s51
	s_cselect_b32 s8, s56, s6
	s_xor_b64 s[8:9], s[8:9], s[48:49]
	v_readlane_b32 s52, v64, 55
	s_sub_u32 s8, s8, s48
	v_readlane_b32 s53, v64, 56
	s_subb_u32 s9, s9, s48
	s_cbranch_execnz .LBB53_255
.LBB53_254:                             ;   in Loop: Header=BB53_16 Depth=1
	v_cvt_f32_u32_e32 v4, s86
	s_sub_i32 s6, 0, s86
	v_rcp_iflag_f32_e32 v4, v4
	s_nop 0
	v_mul_f32_e32 v4, 0x4f7ffffe, v4
	v_cvt_u32_f32_e32 v4, v4
	s_nop 0
	v_readfirstlane_b32 s8, v4
	s_mul_i32 s6, s6, s8
	s_mul_hi_u32 s6, s8, s6
	s_add_i32 s8, s8, s6
	s_mul_hi_u32 s6, s50, s8
	s_mul_i32 s6, s6, s86
	s_sub_i32 s6, s50, s6
	s_sub_i32 s8, s6, s86
	s_cmp_ge_u32 s6, s86
	s_cselect_b32 s6, s8, s6
	s_sub_i32 s8, s6, s86
	s_cmp_ge_u32 s6, s86
	s_cselect_b32 s88, s8, s6
	s_mov_b64 s[8:9], s[88:89]
.LBB53_255:                             ;   in Loop: Header=BB53_16 Depth=1
	s_sub_u32 s8, s50, s8
	s_subb_u32 s9, s7, s9
	v_cmp_gt_i64_e32 vcc, s[8:9], v[0:1]
                                        ; implicit-def: $vgpr37
	s_and_saveexec_b64 s[6:7], vcc
	s_cbranch_execz .LBB53_265
; %bb.256:                              ;   in Loop: Header=BB53_16 Depth=1
	s_mov_b64 s[48:49], 0
	v_mov_b32_e32 v8, v14
	v_mov_b64_e32 v[4:5], v[0:1]
                                        ; implicit-def: $sgpr50_sgpr51
	s_branch .LBB53_260
.LBB53_257:                             ;   in Loop: Header=BB53_260 Depth=2
	s_or_b64 exec, exec, s[52:53]
	s_waitcnt lgkmcnt(0)
	s_barrier
	ds_read_b64 v[36:37], v3 offset:3072
	s_waitcnt lgkmcnt(0)
	s_barrier
	v_cmp_eq_f32_e32 vcc, 0, v36
	s_cbranch_vccz .LBB53_263
; %bb.258:                              ;   in Loop: Header=BB53_260 Depth=2
	v_lshl_add_u64 v[4:5], v[4:5], 0, s[86:87]
	v_cmp_le_i64_e32 vcc, s[8:9], v[4:5]
	v_add_u32_e32 v8, s83, v8
	s_mov_b64 s[52:53], 0
	s_orn2_b64 s[54:55], vcc, exec
.LBB53_259:                             ;   in Loop: Header=BB53_260 Depth=2
	s_and_b64 s[54:55], exec, s[54:55]
	s_or_b64 s[48:49], s[54:55], s[48:49]
	s_andn2_b64 s[50:51], s[50:51], exec
	s_and_b64 s[52:53], s[52:53], exec
	s_or_b64 s[50:51], s[50:51], s[52:53]
	s_andn2_b64 exec, exec, s[48:49]
	s_cbranch_execz .LBB53_264
.LBB53_260:                             ;   Parent Loop BB53_16 Depth=1
                                        ; =>  This Inner Loop Header: Depth=2
	v_cmp_gt_u64_e32 vcc, s[46:47], v[4:5]
	s_and_saveexec_b64 s[52:53], vcc
	s_cbranch_execz .LBB53_257
; %bb.261:                              ;   in Loop: Header=BB53_260 Depth=2
	ds_read_b32 v35, v8
	s_waitcnt lgkmcnt(0)
	v_cmp_lt_i32_e32 vcc, -1, v35
	s_nop 1
	v_cndmask_b32_e32 v9, -1, v51, vcc
	v_xor_b32_e32 v9, v9, v35
	v_cmp_o_f32_e32 vcc, v35, v35
	s_nop 1
	v_cndmask_b32_e32 v9, -1, v9, vcc
	v_and_b32_e32 v9, v9, v52
	v_cmp_eq_u32_e32 vcc, v9, v50
	s_and_b64 exec, exec, vcc
	s_cbranch_execz .LBB53_257
; %bb.262:                              ;   in Loop: Header=BB53_260 Depth=2
	ds_write_b64 v3, v[34:35] offset:3072
	s_branch .LBB53_257
.LBB53_263:                             ;   in Loop: Header=BB53_260 Depth=2
	s_mov_b64 s[54:55], -1
                                        ; implicit-def: $vgpr4_vgpr5
                                        ; implicit-def: $vgpr8
	s_mov_b64 s[52:53], -1
	s_branch .LBB53_259
.LBB53_264:                             ;   in Loop: Header=BB53_16 Depth=1
	s_or_b64 exec, exec, s[48:49]
	s_andn2_b64 s[8:9], s[24:25], exec
	s_and_b64 s[24:25], s[50:51], exec
	v_readlane_b32 s52, v64, 55
	s_or_b64 s[24:25], s[8:9], s[24:25]
	v_readlane_b32 s53, v64, 56
.LBB53_265:                             ;   in Loop: Header=BB53_16 Depth=1
	s_or_b64 exec, exec, s[6:7]
	s_mov_b64 s[6:7], 0
	s_mov_b64 s[8:9], -1
.LBB53_266:                             ;   in Loop: Header=BB53_16 Depth=1
	s_orn2_b64 s[46:47], s[24:25], exec
.LBB53_267:                             ;   in Loop: Header=BB53_16 Depth=1
	s_or_b64 exec, exec, s[44:45]
	s_mov_b64 s[44:45], 0
	s_and_saveexec_b64 s[24:25], s[46:47]
	s_cbranch_execz .LBB53_278
; %bb.268:                              ;   in Loop: Header=BB53_16 Depth=1
	s_xor_b64 s[44:45], s[42:43], -1
	v_mov_b64_e32 v[4:5], 1
	v_mov_b32_e32 v2, 1
	s_and_saveexec_b64 s[42:43], s[44:45]
	s_cbranch_execz .LBB53_277
; %bb.269:                              ;   in Loop: Header=BB53_16 Depth=1
	v_cmp_ge_i64_e32 vcc, s[2:3], v[6:7]
	s_and_saveexec_b64 s[44:45], vcc
	s_xor_b64 s[44:45], exec, s[44:45]
	s_cbranch_execz .LBB53_274
; %bb.270:                              ;   in Loop: Header=BB53_16 Depth=1
	ds_read_b64 v[4:5], v3 offset:5120
	v_or_b32_e32 v50, s68, v50
	v_or_b32_e32 v52, s68, v52
	s_waitcnt lgkmcnt(0)
	v_cmp_ne_u64_e32 vcc, 0, v[4:5]
	s_cbranch_vccnz .LBB53_274
; %bb.271:                              ;   in Loop: Header=BB53_16 Depth=1
	s_mov_b64 s[46:47], exec
	v_readlane_b32 s48, v64, 12
	v_readlane_b32 s49, v64, 13
	s_and_b64 s[48:49], s[46:47], s[48:49]
	s_mov_b64 exec, s[48:49]
; %bb.272:                              ;   in Loop: Header=BB53_16 Depth=1
	v_mov_b64_e32 v[4:5], s[2:3]
	ds_write_b64 v3, v[4:5] offset:5128
; %bb.273:                              ;   in Loop: Header=BB53_16 Depth=1
	s_or_b64 exec, exec, s[46:47]
	s_waitcnt lgkmcnt(0)
	s_barrier
.LBB53_274:                             ;   in Loop: Header=BB53_16 Depth=1
	s_andn2_saveexec_b64 s[44:45], s[44:45]
; %bb.275:                              ;   in Loop: Header=BB53_16 Depth=1
	v_mov_b32_e32 v2, s3
	v_subrev_co_u32_e32 v6, vcc, s2, v6
	s_nop 1
	v_subb_co_u32_e32 v7, vcc, v7, v2, vcc
; %bb.276:                              ;   in Loop: Header=BB53_16 Depth=1
	s_or_b64 exec, exec, s[44:45]
	v_mov_b32_e32 v2, 8
	v_mov_b64_e32 v[4:5], v[6:7]
.LBB53_277:                             ;   in Loop: Header=BB53_16 Depth=1
	s_or_b64 exec, exec, s[42:43]
	s_mov_b64 s[44:45], exec
	v_mov_b64_e32 v[6:7], v[4:5]
.LBB53_278:                             ;   in Loop: Header=BB53_16 Depth=1
	s_or_b64 exec, exec, s[24:25]
	s_orn2_b64 s[24:25], s[44:45], exec
.LBB53_279:                             ;   in Loop: Header=BB53_16 Depth=1
	s_or_b64 exec, exec, s[26:27]
	s_andn2_b64 s[2:3], s[38:39], exec
	s_and_b64 s[8:9], s[8:9], exec
	s_or_b64 s[38:39], s[2:3], s[8:9]
	s_andn2_b64 s[2:3], s[36:37], exec
	s_and_b64 s[6:7], s[6:7], exec
	s_or_b64 s[36:37], s[2:3], s[6:7]
	s_and_b64 s[8:9], s[24:25], exec
	v_mov_b64_e32 v[4:5], v[6:7]
.LBB53_280:                             ;   in Loop: Header=BB53_16 Depth=1
	s_or_b64 exec, exec, s[40:41]
	s_orn2_b64 s[6:7], s[8:9], exec
.LBB53_281:                             ;   in Loop: Header=BB53_16 Depth=1
	s_or_b64 exec, exec, s[34:35]
	s_andn2_b64 s[2:3], s[28:29], exec
	s_and_b64 s[8:9], s[38:39], exec
	s_or_b64 s[28:29], s[2:3], s[8:9]
	s_andn2_b64 s[0:1], s[0:1], exec
	s_and_b64 s[2:3], s[36:37], exec
	s_or_b64 s[0:1], s[0:1], s[2:3]
	s_and_b64 s[8:9], s[6:7], exec
	v_mov_b64_e32 v[8:9], v[4:5]
.LBB53_282:                             ;   in Loop: Header=BB53_16 Depth=1
	s_or_b64 exec, exec, s[30:31]
	s_orn2_b64 s[6:7], s[8:9], exec
.LBB53_283:                             ;   in Loop: Header=BB53_16 Depth=1
	s_or_b64 exec, exec, s[22:23]
	s_mov_b64 s[8:9], 0
	s_and_saveexec_b64 s[2:3], s[6:7]
	s_xor_b64 s[2:3], exec, s[2:3]
	s_cbranch_execz .LBB53_14
; %bb.284:                              ;   in Loop: Header=BB53_16 Depth=1
	v_and_b32_e32 v2, 7, v2
	v_cmp_eq_u32_e32 vcc, 0, v2
	s_mov_b64 s[6:7], -1
	s_mov_b64 s[8:9], -1
	s_and_saveexec_b64 s[20:21], vcc
	s_cbranch_execz .LBB53_13
; %bb.285:                              ;   in Loop: Header=BB53_16 Depth=1
	s_xor_b32 s90, s90, 1
	s_add_i32 s22, s98, -2
	s_cmp_eq_u32 s98, 0
	s_cselect_b64 s[6:7], -1, 0
	s_xor_b64 s[8:9], exec, -1
	s_orn2_b64 s[6:7], s[6:7], exec
	s_mov_b32 s98, s22
	s_branch .LBB53_13
.LBB53_286:                             ;   in Loop: Header=BB53_16 Depth=1
                                        ; implicit-def: $sgpr24_sgpr25
	s_andn2_b64 vcc, exec, s[48:49]
	s_cbranch_vccz .LBB53_237
	s_branch .LBB53_238
.LBB53_287:                             ;   in Loop: Header=BB53_16 Depth=1
                                        ; implicit-def: $sgpr8_sgpr9
	s_branch .LBB53_254
.LBB53_288:
	s_or_b64 exec, exec, s[14:15]
	s_xor_b64 s[4:5], s[12:13], -1
	s_xor_b64 s[2:3], s[62:63], -1
	;; [unrolled: 1-line block ×3, first 2 shown]
	s_mov_b64 s[0:1], 0
	s_and_saveexec_b64 s[8:9], s[2:3]
	s_xor_b64 s[2:3], exec, s[8:9]
	s_cbranch_execnz .LBB53_293
; %bb.289:
	s_andn2_saveexec_b64 s[2:3], s[2:3]
	s_cbranch_execnz .LBB53_318
.LBB53_290:
	s_or_b64 exec, exec, s[2:3]
	s_and_saveexec_b64 s[2:3], s[0:1]
.LBB53_291:
	; divergent unreachable
.LBB53_292:
	s_endpgm
.LBB53_293:
	s_and_saveexec_b64 s[0:1], s[4:5]
	s_xor_b64 s[4:5], exec, s[0:1]
	s_cbranch_execz .LBB53_316
; %bb.294:
	s_and_saveexec_b64 s[0:1], s[6:7]
	s_xor_b64 s[0:1], exec, s[0:1]
; %bb.295:
	v_bfrev_b32_e32 v2, 1
	v_cmp_lt_i32_e32 vcc, -1, v50
	s_nop 1
	v_cndmask_b32_e64 v2, v2, -1, vcc
	v_xor_b32_e32 v37, v2, v50
; %bb.296:
	s_or_b64 exec, exec, s[0:1]
	s_mov_b64 s[0:1], exec
	v_readlane_b32 s6, v64, 12
	v_readlane_b32 s7, v64, 13
	v_readlane_b32 s28, v64, 6
	s_and_b64 s[6:7], s[0:1], s[6:7]
	v_readlane_b32 s26, v64, 22
	v_readlane_b32 s29, v64, 7
	;; [unrolled: 1-line block ×3, first 2 shown]
	s_mov_b64 exec, s[6:7]
; %bb.297:
	v_mov_b32_e32 v2, 0
	v_mov_b32_e32 v3, s60
	ds_write_b32 v2, v3 offset:5140
; %bb.298:
	s_or_b64 exec, exec, s[0:1]
	s_waitcnt lgkmcnt(0)
	s_barrier
	s_mov_b64 s[6:7], exec
	v_readlane_b32 s0, v64, 30
	v_readlane_b32 s1, v64, 31
	s_and_b64 s[0:1], s[6:7], s[0:1]
	s_mov_b64 exec, s[0:1]
	s_cbranch_execz .LBB53_313
; %bb.299:
	v_mov_b32_e32 v2, 0
	ds_read_b32 v4, v2 offset:5140
	v_cmp_u_f32_e32 vcc, v37, v37
	s_mov_b64 s[8:9], 0
	s_xor_b64 s[10:11], vcc, -1
                                        ; implicit-def: $sgpr12_sgpr13
                                        ; implicit-def: $sgpr14_sgpr15
                                        ; implicit-def: $sgpr16_sgpr17
	s_waitcnt lgkmcnt(0)
	v_ashrrev_i32_e32 v5, 31, v4
	s_branch .LBB53_302
.LBB53_300:                             ;   in Loop: Header=BB53_302 Depth=1
	s_or_b64 exec, exec, s[22:23]
	s_andn2_b64 s[16:17], s[16:17], exec
	s_and_b64 s[0:1], s[0:1], exec
	s_or_b64 s[16:17], s[16:17], s[0:1]
	s_andn2_b64 s[0:1], s[14:15], exec
	s_and_b64 s[14:15], s[20:21], exec
	s_or_b64 s[14:15], s[0:1], s[14:15]
.LBB53_301:                             ;   in Loop: Header=BB53_302 Depth=1
	s_or_b64 exec, exec, s[18:19]
	s_and_b64 s[0:1], exec, s[14:15]
	s_or_b64 s[8:9], s[0:1], s[8:9]
	s_andn2_b64 s[0:1], s[12:13], exec
	s_and_b64 s[12:13], s[16:17], exec
	s_or_b64 s[12:13], s[0:1], s[12:13]
	s_andn2_b64 exec, exec, s[8:9]
	s_cbranch_execz .LBB53_308
.LBB53_302:                             ; =>This Inner Loop Header: Depth=1
	v_mov_b64_e32 v[2:3], v[0:1]
	v_cmp_lt_i64_e32 vcc, v[2:3], v[4:5]
	s_or_b64 s[16:17], s[16:17], exec
	s_or_b64 s[14:15], s[14:15], exec
                                        ; implicit-def: $vgpr0_vgpr1
	s_and_saveexec_b64 s[18:19], vcc
	s_cbranch_execz .LBB53_301
; %bb.303:                              ;   in Loop: Header=BB53_302 Depth=1
	global_load_dword v0, v[12:13], off
	s_mov_b64 s[20:21], -1
	s_waitcnt vmcnt(0)
	v_cmp_o_f32_e64 s[0:1], v0, v0
	v_cmp_neq_f32_e32 vcc, v0, v37
	s_or_b64 s[0:1], s[0:1], s[10:11]
	s_and_b64 s[24:25], vcc, s[0:1]
	s_mov_b64 s[0:1], 0
                                        ; implicit-def: $vgpr0_vgpr1
	s_and_saveexec_b64 s[22:23], s[24:25]
	s_cbranch_execz .LBB53_300
; %bb.304:                              ;   in Loop: Header=BB53_302 Depth=1
	v_lshl_add_u64 v[0:1], v[2:3], 0, s[86:87]
	v_cmp_le_i64_e32 vcc, s[60:61], v[0:1]
	s_mov_b64 s[0:1], exec
	v_lshl_add_u64 v[12:13], v[12:13], 0, s[52:53]
	s_orn2_b64 s[20:21], vcc, exec
	s_branch .LBB53_300
.LBB53_305:
                                        ; implicit-def: $sgpr14_sgpr15
	s_branch .LBB53_3
.LBB53_306:
                                        ; implicit-def: $sgpr4_sgpr5
                                        ; kill: killed $sgpr4_sgpr5
	s_branch .LBB53_6
.LBB53_307:
                                        ; implicit-def: $sgpr6_sgpr7
                                        ; kill: killed $sgpr6_sgpr7
	s_load_dwordx2 s[18:19], s[0:1], 0x0
	s_branch .LBB53_9
.LBB53_308:
	s_or_b64 exec, exec, s[8:9]
	s_xor_b64 s[0:1], s[12:13], -1
	s_and_saveexec_b64 s[8:9], s[0:1]
	s_xor_b64 s[8:9], exec, s[8:9]
	s_cbranch_execz .LBB53_313
; %bb.309:
	s_mov_b64 s[0:1], exec
	s_brev_b32 s8, -2
.LBB53_310:                             ; =>This Inner Loop Header: Depth=1
	s_ff1_i32_b64 s9, s[0:1]
	v_readlane_b32 s12, v2, s9
	s_lshl_b64 s[10:11], 1, s9
	s_min_i32 s8, s8, s12
	s_andn2_b64 s[0:1], s[0:1], s[10:11]
	s_cmp_lg_u64 s[0:1], 0
	s_cbranch_scc1 .LBB53_310
; %bb.311:
	v_mbcnt_lo_u32_b32 v0, exec_lo, 0
	v_mbcnt_hi_u32_b32 v0, exec_hi, v0
	v_cmp_eq_u32_e32 vcc, 0, v0
	s_and_saveexec_b64 s[0:1], vcc
	s_xor_b64 s[0:1], exec, s[0:1]
; %bb.312:
	v_mov_b32_e32 v0, 0
	v_mov_b32_e32 v1, s8
	ds_min_i32 v0, v1 offset:5140
.LBB53_313:
	s_or_b64 exec, exec, s[6:7]
	s_waitcnt lgkmcnt(0)
	s_barrier
	s_mov_b64 s[0:1], exec
	v_readlane_b32 s6, v64, 12
	v_readlane_b32 s7, v64, 13
	s_and_b64 s[6:7], s[0:1], s[6:7]
	s_mov_b64 exec, s[6:7]
	s_cbranch_execz .LBB53_315
; %bb.314:
	v_readlane_b32 s8, v64, 0
	v_readlane_b32 s9, v64, 1
	;; [unrolled: 1-line block ×4, first 2 shown]
	s_mul_i32 s6, s10, s9
	s_mul_hi_u32 s7, s10, s8
	s_add_i32 s6, s7, s6
	s_mul_i32 s7, s11, s8
	s_add_i32 s6, s6, s7
	s_mul_i32 s7, s10, s8
	v_readlane_b32 s12, v64, 18
	s_sub_u32 s8, s26, s7
	v_readlane_b32 s14, v64, 20
	v_readlane_b32 s15, v64, 21
	s_subb_u32 s6, 0, s6
	s_mul_i32 s7, s8, s15
	s_mul_hi_u32 s9, s8, s14
	v_readlane_b32 s13, v64, 19
	s_add_i32 s7, s9, s7
	s_mul_i32 s6, s6, s14
	s_add_i32 s7, s7, s6
	s_mul_i32 s6, s8, s14
	s_mul_i32 s8, s10, s13
	s_mul_hi_u32 s9, s10, s12
	s_add_i32 s8, s9, s8
	s_mul_i32 s9, s11, s12
	v_readlane_b32 s14, v64, 4
	s_add_i32 s9, s8, s9
	s_mul_i32 s8, s10, s12
	v_readlane_b32 s15, v64, 5
	s_mul_i32 s10, s14, s29
	s_mul_hi_u32 s11, s14, s28
	s_add_i32 s10, s11, s10
	s_mul_i32 s11, s15, s28
	s_add_i32 s10, s10, s11
	s_mul_i32 s11, s14, s28
	v_readlane_b32 s16, v64, 14
	s_sub_u32 s12, s26, s11
	v_readlane_b32 s18, v64, 16
	v_readlane_b32 s19, v64, 17
	s_subb_u32 s10, 0, s10
	s_mul_i32 s11, s12, s19
	s_mul_hi_u32 s13, s12, s18
	v_readlane_b32 s17, v64, 15
	s_add_i32 s11, s13, s11
	s_mul_i32 s10, s10, s18
	s_add_i32 s11, s11, s10
	s_mul_i32 s10, s12, s18
	s_mul_i32 s12, s14, s17
	s_mul_hi_u32 s13, s14, s16
	s_add_i32 s12, s13, s12
	s_mul_i32 s13, s15, s16
	s_add_i32 s13, s12, s13
	s_mul_i32 s12, s14, s16
	s_lshl_b64 s[8:9], s[8:9], 2
	v_readlane_b32 s14, v64, 10
	v_readlane_b32 s15, v64, 11
	s_add_u32 s8, s14, s8
	s_addc_u32 s9, s15, s9
	s_lshl_b64 s[6:7], s[6:7], 2
	v_mov_b32_e32 v2, 0
	s_add_u32 s6, s8, s6
	ds_read_b32 v0, v2 offset:5140
	s_addc_u32 s7, s9, s7
	s_lshl_b64 s[8:9], s[12:13], 3
	v_readlane_b32 s12, v64, 8
	v_readlane_b32 s13, v64, 9
	s_add_u32 s12, s12, s8
	s_addc_u32 s13, s13, s9
	s_lshl_b64 s[8:9], s[10:11], 3
	s_add_u32 s8, s12, s8
	s_addc_u32 s9, s13, s9
	s_waitcnt lgkmcnt(0)
	v_ashrrev_i32_e32 v1, 31, v0
	global_store_dwordx2 v2, v[0:1], s[8:9]
	global_store_dword v2, v37, s[6:7]
.LBB53_315:
	s_or_b64 exec, exec, s[0:1]
.LBB53_316:
	s_or_saveexec_b64 s[0:1], s[4:5]
	s_mov_b64 s[4:5], 0
	s_xor_b64 exec, exec, s[0:1]
	s_cbranch_execnz .LBB53_319
.LBB53_317:
	s_or_b64 exec, exec, s[0:1]
	s_and_b64 s[0:1], s[4:5], exec
	s_andn2_saveexec_b64 s[2:3], s[2:3]
	s_cbranch_execz .LBB53_290
.LBB53_318:
	s_or_b64 s[0:1], s[0:1], exec
	s_trap 2
	s_or_b64 exec, exec, s[2:3]
	s_and_saveexec_b64 s[2:3], s[0:1]
	s_cbranch_execnz .LBB53_291
	s_branch .LBB53_292
.LBB53_319:
	s_mov_b64 s[4:5], exec
	s_trap 2
	s_branch .LBB53_317
	.section	.rodata,"a",@progbits
	.p2align	6, 0x0
	.amdhsa_kernel _ZN2at6native12_GLOBAL__N_114gatherKthValueIflLi2EEEvNS_4cuda6detail10TensorInfoIKT_T0_EES8_S8_S8_S8_NS5_IS6_S8_EENS5_IlS8_EE
		.amdhsa_group_segment_fixed_size 5144
		.amdhsa_private_segment_fixed_size 0
		.amdhsa_kernarg_size 1536
		.amdhsa_user_sgpr_count 2
		.amdhsa_user_sgpr_dispatch_ptr 0
		.amdhsa_user_sgpr_queue_ptr 0
		.amdhsa_user_sgpr_kernarg_segment_ptr 1
		.amdhsa_user_sgpr_dispatch_id 0
		.amdhsa_user_sgpr_kernarg_preload_length 0
		.amdhsa_user_sgpr_kernarg_preload_offset 0
		.amdhsa_user_sgpr_private_segment_size 0
		.amdhsa_uses_dynamic_stack 0
		.amdhsa_enable_private_segment 0
		.amdhsa_system_sgpr_workgroup_id_x 1
		.amdhsa_system_sgpr_workgroup_id_y 1
		.amdhsa_system_sgpr_workgroup_id_z 1
		.amdhsa_system_sgpr_workgroup_info 0
		.amdhsa_system_vgpr_workitem_id 0
		.amdhsa_next_free_vgpr 65
		.amdhsa_next_free_sgpr 100
		.amdhsa_accum_offset 68
		.amdhsa_reserve_vcc 1
		.amdhsa_float_round_mode_32 0
		.amdhsa_float_round_mode_16_64 0
		.amdhsa_float_denorm_mode_32 3
		.amdhsa_float_denorm_mode_16_64 3
		.amdhsa_dx10_clamp 1
		.amdhsa_ieee_mode 1
		.amdhsa_fp16_overflow 0
		.amdhsa_tg_split 0
		.amdhsa_exception_fp_ieee_invalid_op 0
		.amdhsa_exception_fp_denorm_src 0
		.amdhsa_exception_fp_ieee_div_zero 0
		.amdhsa_exception_fp_ieee_overflow 0
		.amdhsa_exception_fp_ieee_underflow 0
		.amdhsa_exception_fp_ieee_inexact 0
		.amdhsa_exception_int_div_zero 0
	.end_amdhsa_kernel
	.section	.text._ZN2at6native12_GLOBAL__N_114gatherKthValueIflLi2EEEvNS_4cuda6detail10TensorInfoIKT_T0_EES8_S8_S8_S8_NS5_IS6_S8_EENS5_IlS8_EE,"axG",@progbits,_ZN2at6native12_GLOBAL__N_114gatherKthValueIflLi2EEEvNS_4cuda6detail10TensorInfoIKT_T0_EES8_S8_S8_S8_NS5_IS6_S8_EENS5_IlS8_EE,comdat
.Lfunc_end53:
	.size	_ZN2at6native12_GLOBAL__N_114gatherKthValueIflLi2EEEvNS_4cuda6detail10TensorInfoIKT_T0_EES8_S8_S8_S8_NS5_IS6_S8_EENS5_IlS8_EE, .Lfunc_end53-_ZN2at6native12_GLOBAL__N_114gatherKthValueIflLi2EEEvNS_4cuda6detail10TensorInfoIKT_T0_EES8_S8_S8_S8_NS5_IS6_S8_EENS5_IlS8_EE
                                        ; -- End function
	.set _ZN2at6native12_GLOBAL__N_114gatherKthValueIflLi2EEEvNS_4cuda6detail10TensorInfoIKT_T0_EES8_S8_S8_S8_NS5_IS6_S8_EENS5_IlS8_EE.num_vgpr, 65
	.set _ZN2at6native12_GLOBAL__N_114gatherKthValueIflLi2EEEvNS_4cuda6detail10TensorInfoIKT_T0_EES8_S8_S8_S8_NS5_IS6_S8_EENS5_IlS8_EE.num_agpr, 0
	.set _ZN2at6native12_GLOBAL__N_114gatherKthValueIflLi2EEEvNS_4cuda6detail10TensorInfoIKT_T0_EES8_S8_S8_S8_NS5_IS6_S8_EENS5_IlS8_EE.numbered_sgpr, 100
	.set _ZN2at6native12_GLOBAL__N_114gatherKthValueIflLi2EEEvNS_4cuda6detail10TensorInfoIKT_T0_EES8_S8_S8_S8_NS5_IS6_S8_EENS5_IlS8_EE.num_named_barrier, 0
	.set _ZN2at6native12_GLOBAL__N_114gatherKthValueIflLi2EEEvNS_4cuda6detail10TensorInfoIKT_T0_EES8_S8_S8_S8_NS5_IS6_S8_EENS5_IlS8_EE.private_seg_size, 0
	.set _ZN2at6native12_GLOBAL__N_114gatherKthValueIflLi2EEEvNS_4cuda6detail10TensorInfoIKT_T0_EES8_S8_S8_S8_NS5_IS6_S8_EENS5_IlS8_EE.uses_vcc, 1
	.set _ZN2at6native12_GLOBAL__N_114gatherKthValueIflLi2EEEvNS_4cuda6detail10TensorInfoIKT_T0_EES8_S8_S8_S8_NS5_IS6_S8_EENS5_IlS8_EE.uses_flat_scratch, 0
	.set _ZN2at6native12_GLOBAL__N_114gatherKthValueIflLi2EEEvNS_4cuda6detail10TensorInfoIKT_T0_EES8_S8_S8_S8_NS5_IS6_S8_EENS5_IlS8_EE.has_dyn_sized_stack, 0
	.set _ZN2at6native12_GLOBAL__N_114gatherKthValueIflLi2EEEvNS_4cuda6detail10TensorInfoIKT_T0_EES8_S8_S8_S8_NS5_IS6_S8_EENS5_IlS8_EE.has_recursion, 0
	.set _ZN2at6native12_GLOBAL__N_114gatherKthValueIflLi2EEEvNS_4cuda6detail10TensorInfoIKT_T0_EES8_S8_S8_S8_NS5_IS6_S8_EENS5_IlS8_EE.has_indirect_call, 0
	.section	.AMDGPU.csdata,"",@progbits
; Kernel info:
; codeLenInByte = 19272
; TotalNumSgprs: 106
; NumVgprs: 65
; NumAgprs: 0
; TotalNumVgprs: 65
; ScratchSize: 0
; MemoryBound: 0
; FloatMode: 240
; IeeeMode: 1
; LDSByteSize: 5144 bytes/workgroup (compile time only)
; SGPRBlocks: 13
; VGPRBlocks: 8
; NumSGPRsForWavesPerEU: 106
; NumVGPRsForWavesPerEU: 65
; AccumOffset: 68
; Occupancy: 7
; WaveLimiterHint : 1
; COMPUTE_PGM_RSRC2:SCRATCH_EN: 0
; COMPUTE_PGM_RSRC2:USER_SGPR: 2
; COMPUTE_PGM_RSRC2:TRAP_HANDLER: 0
; COMPUTE_PGM_RSRC2:TGID_X_EN: 1
; COMPUTE_PGM_RSRC2:TGID_Y_EN: 1
; COMPUTE_PGM_RSRC2:TGID_Z_EN: 1
; COMPUTE_PGM_RSRC2:TIDIG_COMP_CNT: 0
; COMPUTE_PGM_RSRC3_GFX90A:ACCUM_OFFSET: 16
; COMPUTE_PGM_RSRC3_GFX90A:TG_SPLIT: 0
	.section	.text._ZN2at6native12_GLOBAL__N_114gatherKthValueIflLi3EEEvNS_4cuda6detail10TensorInfoIKT_T0_EES8_S8_S8_S8_NS5_IS6_S8_EENS5_IlS8_EE,"axG",@progbits,_ZN2at6native12_GLOBAL__N_114gatherKthValueIflLi3EEEvNS_4cuda6detail10TensorInfoIKT_T0_EES8_S8_S8_S8_NS5_IS6_S8_EENS5_IlS8_EE,comdat
	.globl	_ZN2at6native12_GLOBAL__N_114gatherKthValueIflLi3EEEvNS_4cuda6detail10TensorInfoIKT_T0_EES8_S8_S8_S8_NS5_IS6_S8_EENS5_IlS8_EE ; -- Begin function _ZN2at6native12_GLOBAL__N_114gatherKthValueIflLi3EEEvNS_4cuda6detail10TensorInfoIKT_T0_EES8_S8_S8_S8_NS5_IS6_S8_EENS5_IlS8_EE
	.p2align	8
	.type	_ZN2at6native12_GLOBAL__N_114gatherKthValueIflLi3EEEvNS_4cuda6detail10TensorInfoIKT_T0_EES8_S8_S8_S8_NS5_IS6_S8_EENS5_IlS8_EE,@function
_ZN2at6native12_GLOBAL__N_114gatherKthValueIflLi3EEEvNS_4cuda6detail10TensorInfoIKT_T0_EES8_S8_S8_S8_NS5_IS6_S8_EENS5_IlS8_EE: ; @_ZN2at6native12_GLOBAL__N_114gatherKthValueIflLi3EEEvNS_4cuda6detail10TensorInfoIKT_T0_EES8_S8_S8_S8_NS5_IS6_S8_EENS5_IlS8_EE
; %bb.0:
	s_load_dwordx2 s[14:15], s[0:1], 0x500
	s_load_dwordx8 s[60:67], s[0:1], 0x1a0
	s_add_u32 s12, s0, 0x500
	s_addc_u32 s13, s1, 0
	s_mov_b32 s43, 0
	s_waitcnt lgkmcnt(0)
	s_mul_i32 s4, s15, s4
	s_add_i32 s3, s4, s3
	s_mul_i32 s3, s3, s14
	s_add_i32 s42, s3, s2
	v_mov_b64_e32 v[2:3], s[42:43]
	v_cmp_le_i64_e32 vcc, s[64:65], v[2:3]
	s_cbranch_vccnz .LBB54_308
; %bb.1:
	s_load_dwordx4 s[4:7], s[0:1], 0x10
	s_mov_b32 s8, s43
	s_waitcnt lgkmcnt(0)
	s_mov_b32 s9, s7
	s_cmp_lg_u64 s[8:9], 0
	s_cbranch_scc0 .LBB54_18
; %bb.2:
	s_ashr_i32 s8, s7, 31
	s_add_u32 s10, s6, s8
	s_mov_b32 s9, s8
	s_addc_u32 s11, s7, s8
	s_xor_b64 s[16:17], s[10:11], s[8:9]
	v_cvt_f32_u32_e32 v1, s16
	v_cvt_f32_u32_e32 v2, s17
	s_sub_u32 s3, 0, s16
	s_subb_u32 s15, 0, s17
	v_fmamk_f32 v1, v2, 0x4f800000, v1
	v_rcp_f32_e32 v1, v1
	s_nop 0
	v_mul_f32_e32 v1, 0x5f7ffffc, v1
	v_mul_f32_e32 v2, 0x2f800000, v1
	v_trunc_f32_e32 v2, v2
	v_fmamk_f32 v1, v2, 0xcf800000, v1
	v_cvt_u32_f32_e32 v2, v2
	v_cvt_u32_f32_e32 v1, v1
	v_readfirstlane_b32 s20, v2
	v_readfirstlane_b32 s18, v1
	s_mul_i32 s19, s3, s20
	s_mul_hi_u32 s22, s3, s18
	s_mul_i32 s21, s15, s18
	s_add_i32 s19, s22, s19
	s_add_i32 s19, s19, s21
	s_mul_i32 s23, s3, s18
	s_mul_i32 s22, s18, s19
	s_mul_hi_u32 s24, s18, s23
	s_mul_hi_u32 s21, s18, s19
	s_add_u32 s22, s24, s22
	s_addc_u32 s21, 0, s21
	s_mul_hi_u32 s25, s20, s23
	s_mul_i32 s23, s20, s23
	s_add_u32 s22, s22, s23
	s_mul_hi_u32 s24, s20, s19
	s_addc_u32 s21, s21, s25
	s_addc_u32 s22, s24, 0
	s_mul_i32 s19, s20, s19
	s_add_u32 s19, s21, s19
	s_addc_u32 s21, 0, s22
	s_add_u32 s22, s18, s19
	s_cselect_b64 s[18:19], -1, 0
	s_cmp_lg_u64 s[18:19], 0
	s_addc_u32 s20, s20, s21
	s_mul_i32 s18, s3, s20
	s_mul_hi_u32 s19, s3, s22
	s_add_i32 s18, s19, s18
	s_mul_i32 s15, s15, s22
	s_add_i32 s18, s18, s15
	s_mul_i32 s3, s3, s22
	s_mul_hi_u32 s19, s20, s3
	s_mul_i32 s21, s20, s3
	s_mul_i32 s24, s22, s18
	s_mul_hi_u32 s3, s22, s3
	s_mul_hi_u32 s23, s22, s18
	s_add_u32 s3, s3, s24
	s_addc_u32 s23, 0, s23
	s_add_u32 s3, s3, s21
	s_mul_hi_u32 s15, s20, s18
	s_addc_u32 s3, s23, s19
	s_addc_u32 s15, s15, 0
	s_mul_i32 s18, s20, s18
	s_add_u32 s3, s3, s18
	s_addc_u32 s15, 0, s15
	s_add_u32 s3, s22, s3
	s_cselect_b64 s[18:19], -1, 0
	s_cmp_lg_u64 s[18:19], 0
	s_addc_u32 s15, s20, s15
	s_add_u32 s18, s42, 0
	s_addc_u32 s19, 0, 0
	s_xor_b64 s[18:19], s[18:19], 0
	s_mul_i32 s21, s18, s15
	s_mul_hi_u32 s22, s18, s3
	s_mul_hi_u32 s20, s18, s15
	s_add_u32 s21, s22, s21
	s_addc_u32 s20, 0, s20
	s_mul_hi_u32 s23, s19, s3
	s_mul_i32 s3, s19, s3
	s_add_u32 s3, s21, s3
	s_mul_hi_u32 s22, s19, s15
	s_addc_u32 s3, s20, s23
	s_addc_u32 s20, s22, 0
	s_mul_i32 s15, s19, s15
	s_add_u32 s3, s3, s15
	s_addc_u32 s15, 0, s20
	s_mul_i32 s20, s16, s15
	s_mul_hi_u32 s21, s16, s3
	s_add_i32 s20, s21, s20
	s_mul_i32 s21, s17, s3
	s_add_i32 s24, s20, s21
	s_sub_i32 s22, s19, s24
	s_mul_i32 s20, s16, s3
	s_sub_u32 s18, s18, s20
	s_cselect_b64 s[20:21], -1, 0
	s_cmp_lg_u64 s[20:21], 0
	s_subb_u32 s25, s22, s17
	s_sub_u32 s26, s18, s16
	s_cselect_b64 s[22:23], -1, 0
	s_cmp_lg_u64 s[22:23], 0
	s_subb_u32 s22, s25, 0
	s_cmp_ge_u32 s22, s17
	s_cselect_b32 s23, -1, 0
	s_cmp_ge_u32 s26, s16
	s_cselect_b32 s25, -1, 0
	s_cmp_eq_u32 s22, s17
	s_cselect_b32 s22, s25, s23
	s_add_u32 s23, s3, 1
	s_addc_u32 s25, s15, 0
	s_add_u32 s26, s3, 2
	s_addc_u32 s27, s15, 0
	s_cmp_lg_u32 s22, 0
	s_cselect_b32 s22, s26, s23
	s_cselect_b32 s23, s27, s25
	s_cmp_lg_u64 s[20:21], 0
	s_subb_u32 s19, s19, s24
	s_cmp_ge_u32 s19, s17
	s_cselect_b32 s20, -1, 0
	s_cmp_ge_u32 s18, s16
	s_cselect_b32 s16, -1, 0
	s_cmp_eq_u32 s19, s17
	s_cselect_b32 s16, s16, s20
	s_cmp_lg_u32 s16, 0
	s_cselect_b32 s17, s23, s15
	s_cselect_b32 s16, s22, s3
	s_xor_b64 s[8:9], 0, s[8:9]
	s_xor_b64 s[16:17], s[16:17], s[8:9]
	s_sub_u32 s16, s16, s8
	s_subb_u32 s17, s17, s9
	s_cbranch_execnz .LBB54_4
.LBB54_3:
	v_cvt_f32_u32_e32 v1, s6
	s_sub_i32 s3, 0, s6
	s_mov_b32 s17, 0
	v_rcp_iflag_f32_e32 v1, v1
	s_nop 0
	v_mul_f32_e32 v1, 0x4f7ffffe, v1
	v_cvt_u32_f32_e32 v1, v1
	s_nop 0
	v_readfirstlane_b32 s8, v1
	s_mul_i32 s3, s3, s8
	s_mul_hi_u32 s3, s8, s3
	s_add_i32 s8, s8, s3
	s_mul_hi_u32 s3, s42, s8
	s_mul_i32 s9, s3, s6
	s_sub_i32 s9, s42, s9
	s_add_i32 s8, s3, 1
	s_sub_i32 s10, s9, s6
	s_cmp_ge_u32 s9, s6
	s_cselect_b32 s3, s8, s3
	s_cselect_b32 s9, s10, s9
	s_add_i32 s8, s3, 1
	s_cmp_ge_u32 s9, s6
	s_cselect_b32 s16, s8, s3
.LBB54_4:
	s_or_b64 s[8:9], s[16:17], s[4:5]
	s_mov_b32 s8, 0
	s_cmp_lg_u64 s[8:9], 0
	s_cbranch_scc0 .LBB54_19
; %bb.5:
	s_ashr_i32 s10, s5, 31
	s_add_u32 s8, s4, s10
	s_mov_b32 s11, s10
	s_addc_u32 s9, s5, s10
	s_xor_b64 s[18:19], s[8:9], s[10:11]
	v_cvt_f32_u32_e32 v1, s18
	v_cvt_f32_u32_e32 v2, s19
	s_sub_u32 s3, 0, s18
	s_subb_u32 s15, 0, s19
	v_fmamk_f32 v1, v2, 0x4f800000, v1
	v_rcp_f32_e32 v1, v1
	s_nop 0
	v_mul_f32_e32 v1, 0x5f7ffffc, v1
	v_mul_f32_e32 v2, 0x2f800000, v1
	v_trunc_f32_e32 v2, v2
	v_fmamk_f32 v1, v2, 0xcf800000, v1
	v_cvt_u32_f32_e32 v2, v2
	v_cvt_u32_f32_e32 v1, v1
	v_readfirstlane_b32 s22, v2
	v_readfirstlane_b32 s20, v1
	s_mul_i32 s21, s3, s22
	s_mul_hi_u32 s24, s3, s20
	s_mul_i32 s23, s15, s20
	s_add_i32 s21, s24, s21
	s_add_i32 s21, s21, s23
	s_mul_i32 s25, s3, s20
	s_mul_i32 s24, s20, s21
	s_mul_hi_u32 s26, s20, s25
	s_mul_hi_u32 s23, s20, s21
	s_add_u32 s24, s26, s24
	s_addc_u32 s23, 0, s23
	s_mul_hi_u32 s27, s22, s25
	s_mul_i32 s25, s22, s25
	s_add_u32 s24, s24, s25
	s_mul_hi_u32 s26, s22, s21
	s_addc_u32 s23, s23, s27
	s_addc_u32 s24, s26, 0
	s_mul_i32 s21, s22, s21
	s_add_u32 s21, s23, s21
	s_addc_u32 s23, 0, s24
	s_add_u32 s24, s20, s21
	s_cselect_b64 s[20:21], -1, 0
	s_cmp_lg_u64 s[20:21], 0
	s_addc_u32 s22, s22, s23
	s_mul_i32 s20, s3, s22
	s_mul_hi_u32 s21, s3, s24
	s_add_i32 s20, s21, s20
	s_mul_i32 s15, s15, s24
	s_add_i32 s20, s20, s15
	s_mul_i32 s3, s3, s24
	s_mul_hi_u32 s21, s22, s3
	s_mul_i32 s23, s22, s3
	s_mul_i32 s26, s24, s20
	s_mul_hi_u32 s3, s24, s3
	s_mul_hi_u32 s25, s24, s20
	s_add_u32 s3, s3, s26
	s_addc_u32 s25, 0, s25
	s_add_u32 s3, s3, s23
	s_mul_hi_u32 s15, s22, s20
	s_addc_u32 s3, s25, s21
	s_addc_u32 s15, s15, 0
	s_mul_i32 s20, s22, s20
	s_add_u32 s3, s3, s20
	s_addc_u32 s15, 0, s15
	s_add_u32 s3, s24, s3
	s_cselect_b64 s[20:21], -1, 0
	s_cmp_lg_u64 s[20:21], 0
	s_addc_u32 s15, s22, s15
	s_ashr_i32 s20, s17, 31
	s_add_u32 s22, s16, s20
	s_mov_b32 s21, s20
	s_addc_u32 s23, s17, s20
	s_xor_b64 s[22:23], s[22:23], s[20:21]
	s_mul_i32 s25, s22, s15
	s_mul_hi_u32 s26, s22, s3
	s_mul_hi_u32 s24, s22, s15
	s_add_u32 s25, s26, s25
	s_addc_u32 s24, 0, s24
	s_mul_hi_u32 s27, s23, s3
	s_mul_i32 s3, s23, s3
	s_add_u32 s3, s25, s3
	s_mul_hi_u32 s26, s23, s15
	s_addc_u32 s3, s24, s27
	s_addc_u32 s24, s26, 0
	s_mul_i32 s15, s23, s15
	s_add_u32 s3, s3, s15
	s_addc_u32 s15, 0, s24
	s_mul_i32 s24, s18, s15
	s_mul_hi_u32 s25, s18, s3
	s_add_i32 s24, s25, s24
	s_mul_i32 s25, s19, s3
	s_add_i32 s28, s24, s25
	s_sub_i32 s26, s23, s28
	s_mul_i32 s24, s18, s3
	s_sub_u32 s22, s22, s24
	s_cselect_b64 s[24:25], -1, 0
	s_cmp_lg_u64 s[24:25], 0
	s_subb_u32 s29, s26, s19
	s_sub_u32 s30, s22, s18
	s_cselect_b64 s[26:27], -1, 0
	s_cmp_lg_u64 s[26:27], 0
	s_subb_u32 s26, s29, 0
	s_cmp_ge_u32 s26, s19
	s_cselect_b32 s27, -1, 0
	s_cmp_ge_u32 s30, s18
	s_cselect_b32 s29, -1, 0
	s_cmp_eq_u32 s26, s19
	s_cselect_b32 s26, s29, s27
	s_add_u32 s27, s3, 1
	s_addc_u32 s29, s15, 0
	s_add_u32 s30, s3, 2
	s_addc_u32 s31, s15, 0
	s_cmp_lg_u32 s26, 0
	s_cselect_b32 s26, s30, s27
	s_cselect_b32 s27, s31, s29
	s_cmp_lg_u64 s[24:25], 0
	s_subb_u32 s23, s23, s28
	s_cmp_ge_u32 s23, s19
	s_cselect_b32 s24, -1, 0
	s_cmp_ge_u32 s22, s18
	s_cselect_b32 s18, -1, 0
	s_cmp_eq_u32 s23, s19
	s_cselect_b32 s18, s18, s24
	s_cmp_lg_u32 s18, 0
	s_cselect_b32 s19, s27, s15
	s_cselect_b32 s18, s26, s3
	s_xor_b64 s[10:11], s[20:21], s[10:11]
	s_xor_b64 s[18:19], s[18:19], s[10:11]
	s_sub_u32 s18, s18, s10
	s_subb_u32 s19, s19, s11
	s_load_dwordx4 s[24:27], s[0:1], 0x1d0
	s_cbranch_execnz .LBB54_7
.LBB54_6:
	v_cvt_f32_u32_e32 v1, s4
	s_sub_i32 s3, 0, s4
	s_mov_b32 s19, 0
	v_rcp_iflag_f32_e32 v1, v1
	s_nop 0
	v_mul_f32_e32 v1, 0x4f7ffffe, v1
	v_cvt_u32_f32_e32 v1, v1
	s_nop 0
	v_readfirstlane_b32 s8, v1
	s_mul_i32 s3, s3, s8
	s_mul_hi_u32 s3, s8, s3
	s_add_i32 s8, s8, s3
	s_mul_hi_u32 s3, s16, s8
	s_mul_i32 s9, s3, s4
	s_sub_i32 s9, s16, s9
	s_add_i32 s8, s3, 1
	s_sub_i32 s10, s9, s4
	s_cmp_ge_u32 s9, s4
	s_cselect_b32 s3, s8, s3
	s_cselect_b32 s9, s10, s9
	s_add_i32 s8, s3, 1
	s_cmp_ge_u32 s9, s4
	s_cselect_b32 s18, s8, s3
.LBB54_7:
                                        ; implicit-def: $vgpr65 : SGPR spill to VGPR lane
	s_waitcnt lgkmcnt(0)
	s_mov_b32 s9, s27
	v_writelane_b32 v65, s24, 0
	s_mov_b32 s8, 0
	s_cmp_lg_u64 s[8:9], 0
	v_writelane_b32 v65, s25, 1
	v_writelane_b32 v65, s26, 2
	;; [unrolled: 1-line block ×3, first 2 shown]
	s_cbranch_scc0 .LBB54_20
; %bb.8:
	s_ashr_i32 s8, s27, 31
	s_add_u32 s10, s26, s8
	s_mov_b32 s9, s8
	s_addc_u32 s11, s27, s8
	s_xor_b64 s[20:21], s[10:11], s[8:9]
	v_cvt_f32_u32_e32 v1, s20
	v_cvt_f32_u32_e32 v2, s21
	s_sub_u32 s3, 0, s20
	s_subb_u32 s15, 0, s21
	v_fmamk_f32 v1, v2, 0x4f800000, v1
	v_rcp_f32_e32 v1, v1
	s_nop 0
	v_mul_f32_e32 v1, 0x5f7ffffc, v1
	v_mul_f32_e32 v2, 0x2f800000, v1
	v_trunc_f32_e32 v2, v2
	v_fmamk_f32 v1, v2, 0xcf800000, v1
	v_cvt_u32_f32_e32 v2, v2
	v_cvt_u32_f32_e32 v1, v1
	v_readfirstlane_b32 s24, v2
	v_readfirstlane_b32 s22, v1
	s_mul_i32 s23, s3, s24
	s_mul_hi_u32 s26, s3, s22
	s_mul_i32 s25, s15, s22
	s_add_i32 s23, s26, s23
	s_add_i32 s23, s23, s25
	s_mul_i32 s27, s3, s22
	s_mul_i32 s26, s22, s23
	s_mul_hi_u32 s28, s22, s27
	s_mul_hi_u32 s25, s22, s23
	s_add_u32 s26, s28, s26
	s_addc_u32 s25, 0, s25
	s_mul_hi_u32 s29, s24, s27
	s_mul_i32 s27, s24, s27
	s_add_u32 s26, s26, s27
	s_mul_hi_u32 s28, s24, s23
	s_addc_u32 s25, s25, s29
	s_addc_u32 s26, s28, 0
	s_mul_i32 s23, s24, s23
	s_add_u32 s23, s25, s23
	s_addc_u32 s25, 0, s26
	s_add_u32 s26, s22, s23
	s_cselect_b64 s[22:23], -1, 0
	s_cmp_lg_u64 s[22:23], 0
	s_addc_u32 s24, s24, s25
	s_mul_i32 s22, s3, s24
	s_mul_hi_u32 s23, s3, s26
	s_add_i32 s22, s23, s22
	s_mul_i32 s15, s15, s26
	s_add_i32 s22, s22, s15
	s_mul_i32 s3, s3, s26
	s_mul_hi_u32 s23, s24, s3
	s_mul_i32 s25, s24, s3
	s_mul_i32 s28, s26, s22
	s_mul_hi_u32 s3, s26, s3
	s_mul_hi_u32 s27, s26, s22
	s_add_u32 s3, s3, s28
	s_addc_u32 s27, 0, s27
	s_add_u32 s3, s3, s25
	s_mul_hi_u32 s15, s24, s22
	s_addc_u32 s3, s27, s23
	s_addc_u32 s15, s15, 0
	s_mul_i32 s22, s24, s22
	s_add_u32 s3, s3, s22
	s_addc_u32 s15, 0, s15
	s_add_u32 s3, s26, s3
	s_cselect_b64 s[22:23], -1, 0
	s_cmp_lg_u64 s[22:23], 0
	s_addc_u32 s15, s24, s15
	s_add_u32 s22, s42, 0
	s_addc_u32 s23, 0, 0
	s_xor_b64 s[22:23], s[22:23], 0
	s_mul_i32 s25, s22, s15
	s_mul_hi_u32 s26, s22, s3
	s_mul_hi_u32 s24, s22, s15
	s_add_u32 s25, s26, s25
	s_addc_u32 s24, 0, s24
	s_mul_hi_u32 s27, s23, s3
	s_mul_i32 s3, s23, s3
	s_add_u32 s3, s25, s3
	s_mul_hi_u32 s26, s23, s15
	s_addc_u32 s3, s24, s27
	s_addc_u32 s24, s26, 0
	s_mul_i32 s15, s23, s15
	s_add_u32 s3, s3, s15
	s_addc_u32 s15, 0, s24
	s_mul_i32 s24, s20, s15
	s_mul_hi_u32 s25, s20, s3
	s_add_i32 s24, s25, s24
	s_mul_i32 s25, s21, s3
	s_add_i32 s28, s24, s25
	s_sub_i32 s26, s23, s28
	s_mul_i32 s24, s20, s3
	s_sub_u32 s22, s22, s24
	s_cselect_b64 s[24:25], -1, 0
	s_cmp_lg_u64 s[24:25], 0
	s_subb_u32 s29, s26, s21
	s_sub_u32 s30, s22, s20
	s_cselect_b64 s[26:27], -1, 0
	s_cmp_lg_u64 s[26:27], 0
	s_subb_u32 s26, s29, 0
	s_cmp_ge_u32 s26, s21
	s_cselect_b32 s27, -1, 0
	s_cmp_ge_u32 s30, s20
	s_cselect_b32 s29, -1, 0
	s_cmp_eq_u32 s26, s21
	s_cselect_b32 s26, s29, s27
	s_add_u32 s27, s3, 1
	s_addc_u32 s29, s15, 0
	s_add_u32 s30, s3, 2
	s_addc_u32 s31, s15, 0
	s_cmp_lg_u32 s26, 0
	s_cselect_b32 s26, s30, s27
	s_cselect_b32 s27, s31, s29
	s_cmp_lg_u64 s[24:25], 0
	s_subb_u32 s23, s23, s28
	s_cmp_ge_u32 s23, s21
	s_cselect_b32 s24, -1, 0
	s_cmp_ge_u32 s22, s20
	s_cselect_b32 s20, -1, 0
	s_cmp_eq_u32 s23, s21
	s_cselect_b32 s20, s20, s24
	s_cmp_lg_u32 s20, 0
	s_cselect_b32 s21, s27, s15
	s_cselect_b32 s20, s26, s3
	s_load_dwordx4 s[24:27], s[0:1], 0x1d0
	s_xor_b64 s[8:9], 0, s[8:9]
	s_xor_b64 s[20:21], s[20:21], s[8:9]
	s_sub_u32 s30, s20, s8
	s_subb_u32 s31, s21, s9
	s_cbranch_execnz .LBB54_10
.LBB54_9:
	s_waitcnt lgkmcnt(0)
	v_cvt_f32_u32_e32 v1, s26
	s_sub_i32 s3, 0, s26
	s_mov_b32 s31, 0
	v_rcp_iflag_f32_e32 v1, v1
	s_nop 0
	v_mul_f32_e32 v1, 0x4f7ffffe, v1
	v_cvt_u32_f32_e32 v1, v1
	s_nop 0
	v_readfirstlane_b32 s8, v1
	s_mul_i32 s3, s3, s8
	s_mul_hi_u32 s3, s8, s3
	s_add_i32 s8, s8, s3
	s_mul_hi_u32 s3, s42, s8
	s_mul_i32 s9, s3, s26
	s_sub_i32 s9, s42, s9
	s_add_i32 s8, s3, 1
	s_sub_i32 s10, s9, s26
	s_cmp_ge_u32 s9, s26
	s_cselect_b32 s3, s8, s3
	s_cselect_b32 s9, s10, s9
	s_add_i32 s8, s3, 1
	s_cmp_ge_u32 s9, s26
	s_cselect_b32 s30, s8, s3
.LBB54_10:
	s_waitcnt lgkmcnt(0)
	s_or_b64 s[8:9], s[30:31], s[24:25]
	s_mov_b32 s8, 0
	s_cmp_lg_u64 s[8:9], 0
	v_writelane_b32 v65, s30, 4
	s_nop 1
	v_writelane_b32 v65, s31, 5
	s_cbranch_scc0 .LBB54_21
; %bb.11:
	s_ashr_i32 s10, s25, 31
	s_add_u32 s8, s24, s10
	s_mov_b32 s11, s10
	s_addc_u32 s9, s25, s10
	s_xor_b64 s[20:21], s[8:9], s[10:11]
	v_cvt_f32_u32_e32 v1, s20
	v_cvt_f32_u32_e32 v2, s21
	s_sub_u32 s3, 0, s20
	s_subb_u32 s15, 0, s21
	v_fmamk_f32 v1, v2, 0x4f800000, v1
	v_rcp_f32_e32 v1, v1
	s_nop 0
	v_mul_f32_e32 v1, 0x5f7ffffc, v1
	v_mul_f32_e32 v2, 0x2f800000, v1
	v_trunc_f32_e32 v2, v2
	v_fmamk_f32 v1, v2, 0xcf800000, v1
	v_cvt_u32_f32_e32 v2, v2
	v_cvt_u32_f32_e32 v1, v1
	v_readfirstlane_b32 s24, v2
	v_readfirstlane_b32 s22, v1
	s_mul_i32 s23, s3, s24
	s_mul_hi_u32 s26, s3, s22
	s_mul_i32 s25, s15, s22
	s_add_i32 s23, s26, s23
	s_add_i32 s23, s23, s25
	s_mul_i32 s27, s3, s22
	s_mul_i32 s26, s22, s23
	s_mul_hi_u32 s28, s22, s27
	s_mul_hi_u32 s25, s22, s23
	s_add_u32 s26, s28, s26
	s_addc_u32 s25, 0, s25
	s_mul_hi_u32 s29, s24, s27
	s_mul_i32 s27, s24, s27
	s_add_u32 s26, s26, s27
	s_mul_hi_u32 s28, s24, s23
	s_addc_u32 s25, s25, s29
	s_addc_u32 s26, s28, 0
	s_mul_i32 s23, s24, s23
	s_add_u32 s23, s25, s23
	s_addc_u32 s25, 0, s26
	s_add_u32 s26, s22, s23
	s_cselect_b64 s[22:23], -1, 0
	s_cmp_lg_u64 s[22:23], 0
	s_addc_u32 s24, s24, s25
	s_mul_i32 s22, s3, s24
	s_mul_hi_u32 s23, s3, s26
	s_add_i32 s22, s23, s22
	s_mul_i32 s15, s15, s26
	s_add_i32 s22, s22, s15
	s_mul_i32 s3, s3, s26
	s_mul_hi_u32 s23, s24, s3
	s_mul_i32 s25, s24, s3
	s_mul_i32 s28, s26, s22
	s_mul_hi_u32 s3, s26, s3
	s_mul_hi_u32 s27, s26, s22
	s_add_u32 s3, s3, s28
	s_addc_u32 s27, 0, s27
	s_add_u32 s3, s3, s25
	s_mul_hi_u32 s15, s24, s22
	s_addc_u32 s3, s27, s23
	s_addc_u32 s15, s15, 0
	s_mul_i32 s22, s24, s22
	s_add_u32 s3, s3, s22
	s_addc_u32 s15, 0, s15
	s_add_u32 s3, s26, s3
	s_cselect_b64 s[22:23], -1, 0
	s_cmp_lg_u64 s[22:23], 0
	s_addc_u32 s15, s24, s15
	s_ashr_i32 s22, s31, 31
	s_add_u32 s24, s30, s22
	s_mov_b32 s23, s22
	s_addc_u32 s25, s31, s22
	s_xor_b64 s[24:25], s[24:25], s[22:23]
	s_mul_i32 s27, s24, s15
	s_mul_hi_u32 s28, s24, s3
	s_mul_hi_u32 s26, s24, s15
	s_add_u32 s27, s28, s27
	s_addc_u32 s26, 0, s26
	s_mul_hi_u32 s29, s25, s3
	s_mul_i32 s3, s25, s3
	s_add_u32 s3, s27, s3
	s_mul_hi_u32 s28, s25, s15
	s_addc_u32 s3, s26, s29
	s_addc_u32 s26, s28, 0
	s_mul_i32 s15, s25, s15
	s_add_u32 s3, s3, s15
	s_addc_u32 s15, 0, s26
	s_mul_i32 s26, s20, s15
	s_mul_hi_u32 s27, s20, s3
	s_add_i32 s26, s27, s26
	s_mul_i32 s27, s21, s3
	s_add_i32 s30, s26, s27
	s_sub_i32 s28, s25, s30
	s_mul_i32 s26, s20, s3
	s_sub_u32 s24, s24, s26
	s_cselect_b64 s[26:27], -1, 0
	s_cmp_lg_u64 s[26:27], 0
	s_subb_u32 s31, s28, s21
	s_sub_u32 s33, s24, s20
	s_cselect_b64 s[28:29], -1, 0
	s_cmp_lg_u64 s[28:29], 0
	s_subb_u32 s28, s31, 0
	s_cmp_ge_u32 s28, s21
	s_cselect_b32 s29, -1, 0
	s_cmp_ge_u32 s33, s20
	s_cselect_b32 s31, -1, 0
	s_cmp_eq_u32 s28, s21
	s_cselect_b32 s28, s31, s29
	s_add_u32 s29, s3, 1
	s_addc_u32 s31, s15, 0
	s_add_u32 s33, s3, 2
	s_addc_u32 s34, s15, 0
	s_cmp_lg_u32 s28, 0
	s_cselect_b32 s28, s33, s29
	s_cselect_b32 s29, s34, s31
	s_cmp_lg_u64 s[26:27], 0
	s_subb_u32 s25, s25, s30
	s_cmp_ge_u32 s25, s21
	s_cselect_b32 s26, -1, 0
	s_cmp_ge_u32 s24, s20
	s_cselect_b32 s20, -1, 0
	s_cmp_eq_u32 s25, s21
	s_cselect_b32 s20, s20, s26
	s_load_dwordx4 s[24:27], s[0:1], 0x1d0
	s_cmp_lg_u32 s20, 0
	s_cselect_b32 s21, s29, s15
	s_cselect_b32 s20, s28, s3
	s_xor_b64 s[10:11], s[22:23], s[10:11]
	s_xor_b64 s[20:21], s[20:21], s[10:11]
	s_sub_u32 s20, s20, s10
	s_subb_u32 s21, s21, s11
	s_load_dwordx4 s[44:47], s[0:1], 0x370
	s_cbranch_execnz .LBB54_13
.LBB54_12:
	s_waitcnt lgkmcnt(0)
	v_cvt_f32_u32_e32 v1, s24
	s_sub_i32 s3, 0, s24
	v_readlane_b32 s10, v65, 4
	s_mov_b32 s21, 0
	v_rcp_iflag_f32_e32 v1, v1
	v_readlane_b32 s11, v65, 5
	v_mul_f32_e32 v1, 0x4f7ffffe, v1
	v_cvt_u32_f32_e32 v1, v1
	s_nop 0
	v_readfirstlane_b32 s8, v1
	s_mul_i32 s3, s3, s8
	s_mul_hi_u32 s3, s8, s3
	s_add_i32 s8, s8, s3
	s_mul_hi_u32 s3, s10, s8
	s_mul_i32 s9, s3, s24
	s_sub_i32 s9, s10, s9
	s_add_i32 s8, s3, 1
	s_sub_i32 s10, s9, s24
	s_cmp_ge_u32 s9, s24
	s_cselect_b32 s3, s8, s3
	s_cselect_b32 s9, s10, s9
	s_add_i32 s8, s3, 1
	s_cmp_ge_u32 s9, s24
	s_cselect_b32 s20, s8, s3
.LBB54_13:
	s_mov_b32 s8, 0
	s_waitcnt lgkmcnt(0)
	s_mov_b32 s9, s47
	v_writelane_b32 v65, s20, 6
	s_cmp_lg_u64 s[8:9], 0
	s_nop 0
	v_writelane_b32 v65, s21, 7
	s_cbranch_scc0 .LBB54_22
; %bb.14:
	s_ashr_i32 s8, s47, 31
	s_add_u32 s10, s46, s8
	s_mov_b32 s9, s8
	s_addc_u32 s11, s47, s8
	s_xor_b64 s[20:21], s[10:11], s[8:9]
	v_cvt_f32_u32_e32 v1, s20
	v_cvt_f32_u32_e32 v2, s21
	s_sub_u32 s3, 0, s20
	s_subb_u32 s15, 0, s21
	v_fmamk_f32 v1, v2, 0x4f800000, v1
	v_rcp_f32_e32 v1, v1
	s_nop 0
	v_mul_f32_e32 v1, 0x5f7ffffc, v1
	v_mul_f32_e32 v2, 0x2f800000, v1
	v_trunc_f32_e32 v2, v2
	v_fmamk_f32 v1, v2, 0xcf800000, v1
	v_cvt_u32_f32_e32 v2, v2
	v_cvt_u32_f32_e32 v1, v1
	v_readfirstlane_b32 s24, v2
	v_readfirstlane_b32 s22, v1
	s_mul_i32 s23, s3, s24
	s_mul_hi_u32 s26, s3, s22
	s_mul_i32 s25, s15, s22
	s_add_i32 s23, s26, s23
	s_add_i32 s23, s23, s25
	s_mul_i32 s27, s3, s22
	s_mul_i32 s26, s22, s23
	s_mul_hi_u32 s28, s22, s27
	s_mul_hi_u32 s25, s22, s23
	s_add_u32 s26, s28, s26
	s_addc_u32 s25, 0, s25
	s_mul_hi_u32 s29, s24, s27
	s_mul_i32 s27, s24, s27
	s_add_u32 s26, s26, s27
	s_mul_hi_u32 s28, s24, s23
	s_addc_u32 s25, s25, s29
	s_addc_u32 s26, s28, 0
	s_mul_i32 s23, s24, s23
	s_add_u32 s23, s25, s23
	s_addc_u32 s25, 0, s26
	s_add_u32 s26, s22, s23
	s_cselect_b64 s[22:23], -1, 0
	s_cmp_lg_u64 s[22:23], 0
	s_addc_u32 s24, s24, s25
	s_mul_i32 s22, s3, s24
	s_mul_hi_u32 s23, s3, s26
	s_add_i32 s22, s23, s22
	s_mul_i32 s15, s15, s26
	s_add_i32 s22, s22, s15
	s_mul_i32 s3, s3, s26
	s_mul_hi_u32 s23, s24, s3
	s_mul_i32 s25, s24, s3
	s_mul_i32 s28, s26, s22
	s_mul_hi_u32 s3, s26, s3
	s_mul_hi_u32 s27, s26, s22
	s_add_u32 s3, s3, s28
	s_addc_u32 s27, 0, s27
	s_add_u32 s3, s3, s25
	s_mul_hi_u32 s15, s24, s22
	s_addc_u32 s3, s27, s23
	s_addc_u32 s15, s15, 0
	s_mul_i32 s22, s24, s22
	s_add_u32 s3, s3, s22
	s_addc_u32 s15, 0, s15
	s_add_u32 s3, s26, s3
	s_cselect_b64 s[22:23], -1, 0
	s_cmp_lg_u64 s[22:23], 0
	s_addc_u32 s15, s24, s15
	s_add_u32 s22, s42, 0
	s_addc_u32 s23, 0, 0
	s_xor_b64 s[22:23], s[22:23], 0
	s_mul_i32 s25, s22, s15
	s_mul_hi_u32 s26, s22, s3
	s_mul_hi_u32 s24, s22, s15
	s_add_u32 s25, s26, s25
	s_addc_u32 s24, 0, s24
	s_mul_hi_u32 s27, s23, s3
	s_mul_i32 s3, s23, s3
	s_add_u32 s3, s25, s3
	s_mul_hi_u32 s26, s23, s15
	s_addc_u32 s3, s24, s27
	s_addc_u32 s24, s26, 0
	s_mul_i32 s15, s23, s15
	s_add_u32 s3, s3, s15
	s_addc_u32 s15, 0, s24
	s_mul_i32 s24, s20, s15
	s_mul_hi_u32 s25, s20, s3
	s_add_i32 s24, s25, s24
	s_mul_i32 s25, s21, s3
	s_add_i32 s28, s24, s25
	s_sub_i32 s26, s23, s28
	s_mul_i32 s24, s20, s3
	s_sub_u32 s22, s22, s24
	s_cselect_b64 s[24:25], -1, 0
	s_cmp_lg_u64 s[24:25], 0
	s_subb_u32 s29, s26, s21
	s_sub_u32 s30, s22, s20
	s_cselect_b64 s[26:27], -1, 0
	s_cmp_lg_u64 s[26:27], 0
	s_subb_u32 s26, s29, 0
	s_cmp_ge_u32 s26, s21
	s_cselect_b32 s27, -1, 0
	s_cmp_ge_u32 s30, s20
	s_cselect_b32 s29, -1, 0
	s_cmp_eq_u32 s26, s21
	s_cselect_b32 s26, s29, s27
	s_add_u32 s27, s3, 1
	s_addc_u32 s29, s15, 0
	s_add_u32 s30, s3, 2
	s_addc_u32 s31, s15, 0
	s_cmp_lg_u32 s26, 0
	s_cselect_b32 s26, s30, s27
	s_cselect_b32 s27, s31, s29
	s_cmp_lg_u64 s[24:25], 0
	s_subb_u32 s23, s23, s28
	s_cmp_ge_u32 s23, s21
	s_cselect_b32 s24, -1, 0
	s_cmp_ge_u32 s22, s20
	s_cselect_b32 s20, -1, 0
	s_cmp_eq_u32 s23, s21
	s_cselect_b32 s20, s20, s24
	s_cmp_lg_u32 s20, 0
	s_cselect_b32 s21, s27, s15
	s_cselect_b32 s20, s26, s3
	s_xor_b64 s[8:9], 0, s[8:9]
	s_xor_b64 s[20:21], s[20:21], s[8:9]
	s_sub_u32 s48, s20, s8
	s_subb_u32 s49, s21, s9
	s_cbranch_execnz .LBB54_16
.LBB54_15:
	v_cvt_f32_u32_e32 v1, s46
	s_sub_i32 s3, 0, s46
	s_mov_b32 s49, 0
	v_rcp_iflag_f32_e32 v1, v1
	s_nop 0
	v_mul_f32_e32 v1, 0x4f7ffffe, v1
	v_cvt_u32_f32_e32 v1, v1
	s_nop 0
	v_readfirstlane_b32 s8, v1
	s_mul_i32 s3, s3, s8
	s_mul_hi_u32 s3, s8, s3
	s_add_i32 s8, s8, s3
	s_mul_hi_u32 s3, s42, s8
	s_mul_i32 s9, s3, s46
	s_sub_i32 s9, s42, s9
	s_add_i32 s8, s3, 1
	s_sub_i32 s10, s9, s46
	s_cmp_ge_u32 s9, s46
	s_cselect_b32 s3, s8, s3
	s_cselect_b32 s9, s10, s9
	s_add_i32 s8, s3, 1
	s_cmp_ge_u32 s9, s46
	s_cselect_b32 s48, s8, s3
.LBB54_16:
	s_load_dwordx2 s[20:21], s[0:1], 0xe0
	s_load_dwordx4 s[8:11], s[0:1], 0xd0
	s_or_b64 s[22:23], s[48:49], s[44:45]
	s_mov_b32 s22, 0
	s_cmp_lg_u64 s[22:23], 0
	s_cbranch_scc0 .LBB54_23
; %bb.17:
	s_ashr_i32 s22, s45, 31
	s_add_u32 s24, s44, s22
	s_mov_b32 s23, s22
	s_addc_u32 s25, s45, s22
	s_xor_b64 s[26:27], s[24:25], s[22:23]
	v_cvt_f32_u32_e32 v1, s26
	v_cvt_f32_u32_e32 v2, s27
	s_sub_u32 s3, 0, s26
	s_subb_u32 s15, 0, s27
	s_mov_b64 s[24:25], 0
	v_fmamk_f32 v1, v2, 0x4f800000, v1
	v_rcp_f32_e32 v1, v1
	s_nop 0
	v_mul_f32_e32 v1, 0x5f7ffffc, v1
	v_mul_f32_e32 v2, 0x2f800000, v1
	v_trunc_f32_e32 v2, v2
	v_fmamk_f32 v1, v2, 0xcf800000, v1
	v_cvt_u32_f32_e32 v2, v2
	v_cvt_u32_f32_e32 v1, v1
	v_readfirstlane_b32 s30, v2
	v_readfirstlane_b32 s28, v1
	s_mul_i32 s29, s3, s30
	s_mul_hi_u32 s33, s3, s28
	s_mul_i32 s31, s15, s28
	s_add_i32 s29, s33, s29
	s_add_i32 s29, s29, s31
	s_mul_i32 s34, s3, s28
	s_mul_i32 s33, s28, s29
	s_mul_hi_u32 s35, s28, s34
	s_mul_hi_u32 s31, s28, s29
	s_add_u32 s33, s35, s33
	s_addc_u32 s31, 0, s31
	s_mul_hi_u32 s36, s30, s34
	s_mul_i32 s34, s30, s34
	s_add_u32 s33, s33, s34
	s_mul_hi_u32 s35, s30, s29
	s_addc_u32 s31, s31, s36
	s_addc_u32 s33, s35, 0
	s_mul_i32 s29, s30, s29
	s_add_u32 s29, s31, s29
	s_addc_u32 s31, 0, s33
	s_add_u32 s33, s28, s29
	s_cselect_b64 s[28:29], -1, 0
	s_cmp_lg_u64 s[28:29], 0
	s_addc_u32 s30, s30, s31
	s_mul_i32 s28, s3, s30
	s_mul_hi_u32 s29, s3, s33
	s_add_i32 s28, s29, s28
	s_mul_i32 s15, s15, s33
	s_add_i32 s28, s28, s15
	s_mul_i32 s3, s3, s33
	s_mul_hi_u32 s29, s30, s3
	s_mul_i32 s31, s30, s3
	s_mul_i32 s35, s33, s28
	s_mul_hi_u32 s3, s33, s3
	s_mul_hi_u32 s34, s33, s28
	s_add_u32 s3, s3, s35
	s_addc_u32 s34, 0, s34
	s_add_u32 s3, s3, s31
	s_mul_hi_u32 s15, s30, s28
	s_addc_u32 s3, s34, s29
	s_addc_u32 s15, s15, 0
	s_mul_i32 s28, s30, s28
	s_add_u32 s3, s3, s28
	s_addc_u32 s15, 0, s15
	s_add_u32 s3, s33, s3
	s_cselect_b64 s[28:29], -1, 0
	s_cmp_lg_u64 s[28:29], 0
	s_addc_u32 s15, s30, s15
	s_ashr_i32 s28, s49, 31
	s_add_u32 s30, s48, s28
	s_mov_b32 s29, s28
	s_addc_u32 s31, s49, s28
	s_xor_b64 s[30:31], s[30:31], s[28:29]
	s_mul_i32 s34, s30, s15
	s_mul_hi_u32 s35, s30, s3
	s_mul_hi_u32 s33, s30, s15
	s_add_u32 s34, s35, s34
	s_addc_u32 s33, 0, s33
	s_mul_hi_u32 s36, s31, s3
	s_mul_i32 s3, s31, s3
	s_add_u32 s3, s34, s3
	s_mul_hi_u32 s35, s31, s15
	s_addc_u32 s3, s33, s36
	s_addc_u32 s33, s35, 0
	s_mul_i32 s15, s31, s15
	s_add_u32 s3, s3, s15
	s_addc_u32 s15, 0, s33
	s_mul_i32 s33, s26, s15
	s_mul_hi_u32 s34, s26, s3
	s_add_i32 s33, s34, s33
	s_mul_i32 s34, s27, s3
	s_add_i32 s33, s33, s34
	s_sub_i32 s36, s31, s33
	s_mul_i32 s34, s26, s3
	s_sub_u32 s30, s30, s34
	s_cselect_b64 s[34:35], -1, 0
	s_cmp_lg_u64 s[34:35], 0
	s_subb_u32 s38, s36, s27
	s_sub_u32 s39, s30, s26
	s_cselect_b64 s[36:37], -1, 0
	s_cmp_lg_u64 s[36:37], 0
	s_subb_u32 s36, s38, 0
	s_cmp_ge_u32 s36, s27
	s_cselect_b32 s37, -1, 0
	s_cmp_ge_u32 s39, s26
	s_cselect_b32 s38, -1, 0
	s_cmp_eq_u32 s36, s27
	s_cselect_b32 s36, s38, s37
	s_add_u32 s37, s3, 1
	s_addc_u32 s38, s15, 0
	s_add_u32 s39, s3, 2
	s_addc_u32 s40, s15, 0
	s_cmp_lg_u32 s36, 0
	s_cselect_b32 s36, s39, s37
	s_cselect_b32 s37, s40, s38
	s_cmp_lg_u64 s[34:35], 0
	s_subb_u32 s31, s31, s33
	s_cmp_ge_u32 s31, s27
	s_cselect_b32 s33, -1, 0
	s_cmp_ge_u32 s30, s26
	s_cselect_b32 s26, -1, 0
	s_cmp_eq_u32 s31, s27
	s_cselect_b32 s26, s26, s33
	s_cmp_lg_u32 s26, 0
	s_cselect_b32 s27, s37, s15
	s_cselect_b32 s26, s36, s3
	s_xor_b64 s[22:23], s[28:29], s[22:23]
	s_xor_b64 s[26:27], s[26:27], s[22:23]
	s_sub_u32 s22, s26, s22
	s_subb_u32 s23, s27, s23
	v_writelane_b32 v65, s22, 20
	s_nop 1
	v_writelane_b32 v65, s23, 21
	s_branch .LBB54_24
.LBB54_18:
                                        ; implicit-def: $sgpr16_sgpr17
	s_branch .LBB54_3
.LBB54_19:
                                        ; implicit-def: $sgpr18_sgpr19
	s_load_dwordx4 s[24:27], s[0:1], 0x1d0
	s_branch .LBB54_6
.LBB54_20:
                                        ; implicit-def: $sgpr30_sgpr31
	s_branch .LBB54_9
.LBB54_21:
                                        ; implicit-def: $sgpr20_sgpr21
	s_load_dwordx4 s[44:47], s[0:1], 0x370
	s_branch .LBB54_12
.LBB54_22:
                                        ; implicit-def: $sgpr48_sgpr49
	s_branch .LBB54_15
.LBB54_23:
	s_mov_b64 s[24:25], -1
                                        ; implicit-def: $sgpr22_sgpr23
                                        ; kill: killed $sgpr22_sgpr23
.LBB54_24:
	s_load_dwordx2 s[22:23], s[0:1], 0x440
	s_load_dwordx4 s[28:31], s[0:1], 0x430
	s_andn2_b64 vcc, exec, s[24:25]
	s_waitcnt lgkmcnt(0)
	v_writelane_b32 v65, s22, 8
	s_nop 1
	v_writelane_b32 v65, s23, 9
	s_load_dwordx2 s[22:23], s[0:1], 0x2a0
	v_writelane_b32 v65, s28, 10
	s_nop 1
	v_writelane_b32 v65, s29, 11
	v_writelane_b32 v65, s30, 12
	;; [unrolled: 1-line block ×3, first 2 shown]
	s_load_dwordx4 s[28:31], s[0:1], 0x290
	s_waitcnt lgkmcnt(0)
	v_writelane_b32 v65, s22, 14
	s_nop 1
	v_writelane_b32 v65, s23, 15
	s_load_dwordx2 s[22:23], s[0:1], 0x0
	v_writelane_b32 v65, s28, 16
	s_nop 1
	v_writelane_b32 v65, s29, 17
	v_writelane_b32 v65, s30, 18
	;; [unrolled: 1-line block ×3, first 2 shown]
	s_cbranch_vccnz .LBB54_26
; %bb.25:
	v_cvt_f32_u32_e32 v1, s44
	s_sub_i32 s3, 0, s44
	s_mov_b32 s27, 0
	v_rcp_iflag_f32_e32 v1, v1
	s_nop 0
	v_mul_f32_e32 v1, 0x4f7ffffe, v1
	v_cvt_u32_f32_e32 v1, v1
	s_nop 0
	v_readfirstlane_b32 s15, v1
	s_mul_i32 s3, s3, s15
	s_mul_hi_u32 s3, s15, s3
	s_add_i32 s15, s15, s3
	s_mul_hi_u32 s3, s48, s15
	s_mul_i32 s24, s3, s44
	s_sub_i32 s24, s48, s24
	s_add_i32 s15, s3, 1
	s_sub_i32 s25, s24, s44
	s_cmp_ge_u32 s24, s44
	s_cselect_b32 s3, s15, s3
	s_cselect_b32 s24, s25, s24
	s_add_i32 s15, s3, 1
	s_cmp_ge_u32 s24, s44
	s_cselect_b32 s26, s15, s3
	v_writelane_b32 v65, s26, 20
	s_nop 1
	v_writelane_b32 v65, s27, 21
.LBB54_26:
	v_writelane_b32 v65, s48, 22
	s_load_dwordx2 s[24:25], s[0:1], 0x360
	s_mov_b32 s99, 0
	v_writelane_b32 v65, s49, 23
	v_writelane_b32 v65, s44, 24
	s_load_dwordx2 s[0:1], s[0:1], 0x1c0
	s_nop 0
	v_writelane_b32 v65, s45, 25
	v_writelane_b32 v65, s46, 26
	;; [unrolled: 1-line block ×3, first 2 shown]
	s_waitcnt lgkmcnt(0)
	v_writelane_b32 v65, s24, 28
	s_nop 1
	v_writelane_b32 v65, s25, 29
	v_writelane_b32 v65, s0, 30
	v_cmp_eq_u32_e64 s[24:25], 0, v0
	s_nop 0
	v_writelane_b32 v65, s1, 31
	s_mov_b64 s[0:1], exec
	v_writelane_b32 v65, s24, 32
	s_nop 1
	v_writelane_b32 v65, s25, 33
	s_and_b64 s[24:25], s[0:1], s[24:25]
	s_mov_b64 exec, s[24:25]
	s_cbranch_execz .LBB54_28
; %bb.27:
	v_mov_b32_e32 v2, 0
	v_mov_b32_e32 v4, s60
	;; [unrolled: 1-line block ×4, first 2 shown]
	ds_write_b32 v2, v2 offset:5136
	ds_write_b128 v2, v[2:5] offset:5120
.LBB54_28:
	s_or_b64 exec, exec, s[0:1]
	s_mul_i32 s0, s18, s5
	s_mul_hi_u32 s1, s18, s4
	s_add_i32 s0, s1, s0
	s_mul_i32 s1, s19, s4
	s_add_i32 s0, s0, s1
	s_mul_i32 s1, s18, s4
	s_sub_u32 s3, s16, s1
	s_subb_u32 s0, s17, s0
	s_mul_i32 s1, s3, s11
	s_mul_hi_u32 s4, s3, s10
	s_add_i32 s1, s4, s1
	s_mul_i32 s0, s0, s10
	s_add_i32 s1, s1, s0
	s_mul_i32 s0, s3, s10
	s_mul_i32 s3, s18, s9
	s_mul_hi_u32 s4, s18, s8
	s_add_i32 s3, s4, s3
	s_mul_i32 s4, s19, s8
	s_add_i32 s5, s3, s4
	s_mul_i32 s3, s16, s7
	s_mul_hi_u32 s7, s16, s6
	s_add_i32 s3, s7, s3
	s_mul_i32 s7, s17, s6
	s_mul_i32 s4, s18, s8
	s_add_i32 s3, s3, s7
	s_mul_i32 s6, s16, s6
	s_mov_b32 s8, s42
	v_writelane_b32 v65, s8, 34
	s_sub_u32 s6, s42, s6
	s_subb_u32 s3, 0, s3
	v_writelane_b32 v65, s9, 35
	s_mul_i32 s7, s6, s21
	s_mul_hi_u32 s8, s6, s20
	s_add_i32 s7, s8, s7
	s_mul_i32 s3, s3, s20
	s_add_i32 s7, s7, s3
	s_lshl_b64 s[8:9], s[4:5], 2
	s_add_u32 s3, s22, s8
	s_addc_u32 s4, s23, s9
	s_lshl_b64 s[10:11], s[0:1], 2
	s_mul_i32 s6, s6, s20
	s_add_u32 s0, s3, s10
	v_mbcnt_lo_u32_b32 v1, -1, 0
	s_addc_u32 s1, s4, s11
	s_lshl_b64 s[16:17], s[6:7], 2
	v_mbcnt_hi_u32_b32 v44, -1, v1
	s_add_u32 s90, s0, s16
	v_cmp_gt_u32_e32 vcc, 64, v0
	v_cmp_gt_i32_e64 s[6:7], 4, v44
	s_addc_u32 s91, s1, s17
	s_and_b64 s[96:97], vcc, s[6:7]
	v_cmp_gt_u32_e64 s[6:7], 2, v0
	v_mov_b64_e32 v[4:5], 0x300
	v_mov_b32_e32 v3, 0
	v_writelane_b32 v65, s6, 36
	v_mov_b32_e32 v1, v3
	s_waitcnt lgkmcnt(0)
	v_writelane_b32 v65, s7, 37
	v_cmp_gt_i64_e64 s[6:7], s[60:61], v[4:5]
	s_barrier
	s_nop 0
	v_writelane_b32 v65, s6, 38
	s_load_dword s3, s[12:13], 0xc
	v_lshlrev_b64 v[8:9], v44, -1
	v_writelane_b32 v65, s7, 39
	v_cmp_gt_u64_e64 s[6:7], s[60:61], v[0:1]
	v_not_b32_e32 v18, v8
	s_waitcnt lgkmcnt(0)
	s_and_b32 s92, s3, 0xffff
	v_writelane_b32 v65, s6, 40
	s_bfe_u32 s3, s3, 0xa0006
	s_cmp_gt_u32 s92, 63
	v_writelane_b32 v65, s7, 41
	v_mad_u64_u32 v[4:5], s[6:7], s66, v0, 0
	v_mov_b32_e32 v2, v5
	v_mad_u64_u32 v[6:7], s[6:7], s67, v0, v[2:3]
	v_cmp_gt_i64_e64 s[6:7], s[60:61], v[0:1]
	v_lshlrev_b32_e32 v2, 2, v44
	v_and_b32_e32 v46, 0x100, v2
	v_writelane_b32 v65, s6, 42
	v_lshrrev_b32_e32 v2, 1, v0
	v_and_b32_e32 v2, 0x1e0, v2
	v_writelane_b32 v65, s7, 43
	s_cselect_b64 s[6:7], -1, 0
	v_writelane_b32 v65, s6, 44
	v_or_b32_e32 v47, 0xc00, v2
	v_add_u32_e32 v2, 2, v0
	v_writelane_b32 v65, s7, 45
	s_add_u32 s6, s92, -1
	v_mov_b32_e32 v8, s61
	v_cmp_gt_i64_e32 vcc, s[60:61], v[2:3]
	v_not_b32_e32 v19, v9
	s_addc_u32 s7, 0, -1
	v_cndmask_b32_e32 v9, 0, v8, vcc
	v_mov_b32_e32 v8, s60
	s_add_u32 s79, s6, s60
	v_cndmask_b32_e32 v8, v2, v8, vcc
	v_mov_b32_e32 v11, -1
	v_not_b32_e32 v10, v0
	v_writelane_b32 v65, s6, 46
	s_addc_u32 s77, s7, s61
	v_lshl_add_u64 v[8:9], v[8:9], 0, v[10:11]
	v_writelane_b32 v65, s7, 47
	s_cmp_lt_u32 s2, s14
	v_cmp_lt_u64_e64 s[6:7], 1, v[8:9]
	s_cselect_b32 s2, 12, 18
	v_and_b32_e32 v20, -2, v8
	v_writelane_b32 v65, s6, 48
	v_mov_b32_e32 v21, v9
	s_add_u32 s84, s12, s2
	v_writelane_b32 v65, s7, 49
	v_cmp_ne_u64_e64 s[6:7], v[8:9], v[20:21]
	s_addc_u32 s85, s13, 0
	s_add_i32 s2, s3, -1
	v_writelane_b32 v65, s6, 50
	s_and_b32 s2, s2, 0xffff
	v_lshlrev_b32_e32 v48, 4, v0
	v_writelane_b32 v65, s7, 51
	s_bfe_u32 s6, s92, 0x30006
	s_cmp_gt_u32 s2, 6
	s_cselect_b64 s[12:13], -1, 0
	v_writelane_b32 v65, s12, 52
	s_and_b32 s80, s3, 0x3f8
	s_cmp_lg_u32 s6, 0
	v_writelane_b32 v65, s13, 53
	v_writelane_b32 v65, s6, 54
	s_cselect_b64 s[2:3], -1, 0
	v_writelane_b32 v65, s2, 55
	v_or_b32_e32 v8, 12, v48
	v_mov_b32_e32 v5, v6
	v_writelane_b32 v65, s3, 56
	s_add_u32 s2, s8, s16
	s_addc_u32 s3, s9, s17
	s_add_u32 s2, s2, s10
	s_addc_u32 s3, s3, s11
	;; [unrolled: 2-line block ×3, first 2 shown]
	s_lshl_b64 s[2:3], s[66:67], 2
	v_writelane_b32 v65, s2, 57
	v_lshlrev_b64 v[6:7], 2, v[4:5]
	v_lshl_add_u64 v[16:17], s[90:91], 0, v[6:7]
	v_writelane_b32 v65, s3, 58
	v_mad_u64_u32 v[24:25], s[2:3], s66, v8, 0
	v_mov_b32_e32 v2, v25
	v_mad_u64_u32 v[8:9], s[2:3], s67, v8, v[2:3]
	v_mov_b32_e32 v25, v8
	v_or_b32_e32 v8, 8, v48
	v_mad_u64_u32 v[26:27], s[2:3], s66, v8, 0
	v_mov_b32_e32 v2, v27
	v_mad_u64_u32 v[8:9], s[2:3], s67, v8, v[2:3]
	v_mov_b32_e32 v27, v8
	v_or_b32_e32 v8, 4, v48
	v_mad_u64_u32 v[28:29], s[2:3], s66, v8, 0
	v_writelane_b32 v65, s6, 59
	v_mov_b32_e32 v2, v29
	v_mad_u64_u32 v[8:9], s[2:3], s67, v8, v[2:3]
	v_writelane_b32 v65, s7, 60
	v_writelane_b32 v65, s90, 61
	s_mul_i32 s2, s67, s92
	s_mul_hi_u32 s3, s66, s92
	v_writelane_b32 v65, s91, 62
                                        ; implicit-def: $vgpr64 : SGPR spill to VGPR lane
	v_lshlrev_b32_e32 v14, 2, v0
	s_mov_b32 s33, s66
	v_mov_b32_e32 v2, 0xc00
	s_add_i32 s3, s3, s2
	s_mul_i32 s2, s66, s92
	v_writelane_b32 v65, s84, 63
	v_cmp_eq_u32_e64 s[4:5], 0, v44
	v_add_u32_e32 v45, 0xc00, v14
	v_writelane_b32 v64, s85, 0
	v_mov_b32_e32 v15, v3
	s_mov_b32 s93, s99
	v_lshl_add_u64 v[22:23], v[20:21], 0, v[0:1]
	s_mov_b32 s57, s67
	s_lshl_b64 s[88:89], s[66:67], 4
	v_mov_b32_e32 v29, v8
	v_lshlrev_b64 v[30:31], 4, v[4:5]
	v_lshl_add_u64 v[32:33], s[60:61], 0, v[0:1]
	v_lshl_or_b32 v49, v44, 3, v2
	v_lshl_add_u64 v[12:13], s[6:7], 0, v[6:7]
	s_lshl_b64 s[94:95], s[2:3], 2
	s_lshl_b32 s81, s92, 2
	s_mov_b32 s78, 30
	s_mov_b64 s[10:11], 0
	v_mov_b64_e32 v[38:39], s[62:63]
	v_mov_b64_e32 v[54:55], s[60:61]
	v_mov_b32_e32 v34, 1.0
	v_bfrev_b32_e32 v51, 1
	v_mov_b32_e32 v37, 0
	v_mov_b32_e32 v50, 0
	;; [unrolled: 1-line block ×3, first 2 shown]
	s_mov_b32 s0, 0
	v_writelane_b32 v64, s33, 1
                                        ; implicit-def: $sgpr62_sgpr63
                                        ; implicit-def: $sgpr86_sgpr87
                                        ; implicit-def: $sgpr64_sgpr65
                                        ; implicit-def: $sgpr14_sgpr15
                                        ; implicit-def: $sgpr24_sgpr25
                                        ; implicit-def: $sgpr82_sgpr83
	v_writelane_b32 v64, s57, 2
	s_branch .LBB54_32
.LBB54_29:                              ;   in Loop: Header=BB54_32 Depth=1
	s_or_b64 exec, exec, s[16:17]
	s_and_b64 s[8:9], s[8:9], exec
	s_andn2_b64 s[28:29], s[28:29], exec
	s_andn2_b64 s[2:3], s[2:3], exec
	s_orn2_b64 s[20:21], s[12:13], exec
.LBB54_30:                              ;   in Loop: Header=BB54_32 Depth=1
	s_or_b64 exec, exec, s[6:7]
	s_andn2_b64 s[6:7], s[82:83], exec
	s_and_b64 s[8:9], s[8:9], exec
	s_or_b64 s[82:83], s[6:7], s[8:9]
	s_andn2_b64 s[6:7], s[24:25], exec
	s_and_b64 s[8:9], s[28:29], exec
	s_or_b64 s[24:25], s[6:7], s[8:9]
	;; [unrolled: 3-line block ×3, first 2 shown]
	s_orn2_b64 s[2:3], s[20:21], exec
.LBB54_31:                              ;   in Loop: Header=BB54_32 Depth=1
	s_or_b64 exec, exec, s[18:19]
	s_and_b64 s[2:3], exec, s[2:3]
	s_or_b64 s[10:11], s[2:3], s[10:11]
	s_andn2_b64 s[2:3], s[64:65], exec
	s_and_b64 s[6:7], s[82:83], exec
	s_or_b64 s[64:65], s[2:3], s[6:7]
	s_andn2_b64 s[2:3], s[86:87], exec
	s_and_b64 s[6:7], s[24:25], exec
	;; [unrolled: 3-line block ×3, first 2 shown]
	s_or_b64 s[62:63], s[2:3], s[6:7]
	v_mov_b64_e32 v[38:39], v[8:9]
	s_andn2_b64 exec, exec, s[10:11]
	s_cbranch_execz .LBB54_304
.LBB54_32:                              ; =>This Loop Header: Depth=1
                                        ;     Child Loop BB54_38 Depth 2
                                        ;     Child Loop BB54_52 Depth 2
	;; [unrolled: 1-line block ×17, first 2 shown]
	ds_read_b128 v[4:7], v3 offset:5120
	s_waitcnt lgkmcnt(0)
	v_readfirstlane_b32 s69, v5
	v_readfirstlane_b32 s68, v4
	s_nop 1
	v_cmp_gt_i64_e64 s[2:3], s[68:69], 0
	s_and_b64 vcc, exec, s[2:3]
	s_cbranch_vccnz .LBB54_65
; %bb.33:                               ;   in Loop: Header=BB54_32 Depth=1
	v_readlane_b32 s2, v65, 38
	v_readlane_b32 s3, v65, 39
	s_and_b64 vcc, exec, s[2:3]
	s_cbranch_vccz .LBB54_46
; %bb.34:                               ;   in Loop: Header=BB54_32 Depth=1
	s_mov_b64 s[2:3], 0x301
	v_cmp_gt_i64_e32 vcc, s[2:3], v[6:7]
	s_mov_b64 s[6:7], 0
	s_mov_b64 s[2:3], 0
	s_cbranch_vccz .LBB54_47
; %bb.35:                               ;   in Loop: Header=BB54_32 Depth=1
	s_mov_b64 s[8:9], exec
	v_readlane_b32 s2, v65, 40
	v_readlane_b32 s3, v65, 41
	s_and_b64 s[2:3], s[8:9], s[2:3]
	s_mov_b64 exec, s[2:3]
	s_cbranch_execz .LBB54_99
; %bb.36:                               ;   in Loop: Header=BB54_32 Depth=1
	global_load_ushort v6, v3, s[84:85]
	global_load_dword v8, v[16:17], off
	v_readlane_b32 s2, v65, 59
	v_readlane_b32 s3, v65, 60
	;; [unrolled: 1-line block ×4, first 2 shown]
	v_mov_b64_e32 v[4:5], s[2:3]
	s_mov_b64 s[12:13], 0
	s_waitcnt vmcnt(1)
	v_and_b32_e32 v2, 0xffff, v6
	v_readfirstlane_b32 s2, v6
	v_lshl_add_u64 v[6:7], v[0:1], 0, v[2:3]
	s_and_b32 s16, 0xffff, s2
	v_mad_u64_u32 v[4:5], s[2:3], s18, v6, v[4:5]
	v_mul_lo_u32 v7, s18, v7
	v_mul_lo_u32 v9, s19, v6
	s_mul_i32 s2, s19, s16
	s_mul_hi_u32 s3, s18, s16
	s_mul_i32 s18, s18, s16
	v_add3_u32 v5, v9, v5, v7
	s_add_i32 s19, s3, s2
	v_mov_b64_e32 v[6:7], v[0:1]
	s_branch .LBB54_38
.LBB54_37:                              ;   in Loop: Header=BB54_38 Depth=2
	s_or_b64 exec, exec, s[2:3]
	v_lshl_add_u64 v[4:5], v[4:5], 0, s[18:19]
	v_mov_b32_e32 v8, v9
	s_andn2_b64 exec, exec, s[12:13]
	s_cbranch_execz .LBB54_99
.LBB54_38:                              ;   Parent Loop BB54_32 Depth=1
                                        ; =>  This Inner Loop Header: Depth=2
	v_lshl_add_u64 v[6:7], v[6:7], 0, v[2:3]
	v_cmp_gt_i64_e64 s[2:3], s[60:61], v[6:7]
	v_cmp_le_i64_e32 vcc, s[60:61], v[6:7]
	s_waitcnt lgkmcnt(0)
	v_mov_b32_e32 v10, 0
	v_mov_b32_e32 v9, 0
	s_and_saveexec_b64 s[16:17], s[2:3]
	s_cbranch_execz .LBB54_40
; %bb.39:                               ;   in Loop: Header=BB54_38 Depth=2
	global_load_dword v9, v[4:5], off
.LBB54_40:                              ;   in Loop: Header=BB54_38 Depth=2
	s_or_b64 exec, exec, s[16:17]
	s_waitcnt vmcnt(0)
	v_cmp_lt_i32_e64 s[2:3], -1, v8
	s_nop 1
	v_cndmask_b32_e64 v11, -1, v51, s[2:3]
	v_xor_b32_e32 v11, v11, v8
	v_cmp_o_f32_e64 s[2:3], v8, v8
	s_nop 1
	v_cndmask_b32_e64 v11, -1, v11, s[2:3]
	v_and_b32_e32 v11, v11, v52
	v_cmp_eq_u32_e64 s[16:17], v11, v50
	s_cmp_lg_u64 s[16:17], 0
	s_cselect_b64 s[2:3], -1, 0
	s_and_b64 s[2:3], s[4:5], s[2:3]
	s_and_saveexec_b64 s[20:21], s[2:3]
	s_cbranch_execz .LBB54_44
; %bb.41:                               ;   in Loop: Header=BB54_38 Depth=2
	s_mov_b64 s[26:27], exec
	v_mbcnt_lo_u32_b32 v10, s26, 0
	v_mbcnt_hi_u32_b32 v10, s27, v10
	s_bcnt1_i32_b64 s28, s[16:17]
	v_cmp_eq_u32_e64 s[2:3], 0, v10
                                        ; implicit-def: $vgpr11
	s_and_saveexec_b64 s[22:23], s[2:3]
; %bb.42:                               ;   in Loop: Header=BB54_38 Depth=2
	s_bcnt1_i32_b64 s2, s[26:27]
	s_mul_i32 s2, s28, s2
	v_mov_b32_e32 v11, s2
	ds_add_rtn_u32 v11, v3, v11 offset:5136
; %bb.43:                               ;   in Loop: Header=BB54_38 Depth=2
	s_or_b64 exec, exec, s[22:23]
	s_waitcnt lgkmcnt(0)
	v_readfirstlane_b32 s2, v11
	s_nop 1
	v_mov_b32_e32 v11, s2
	v_mad_u32_u24 v10, s28, v10, v11
.LBB54_44:                              ;   in Loop: Header=BB54_38 Depth=2
	s_or_b64 exec, exec, s[20:21]
	ds_bpermute_b32 v10, v46, v10
	s_and_b64 s[2:3], exec, vcc
	s_or_b64 s[12:13], s[2:3], s[12:13]
	s_and_saveexec_b64 s[2:3], s[16:17]
	s_cbranch_execz .LBB54_37
; %bb.45:                               ;   in Loop: Header=BB54_38 Depth=2
	v_and_b32_e32 v35, s16, v18
	v_and_b32_e32 v11, s17, v19
	v_bcnt_u32_b32 v35, v35, 0
	v_bcnt_u32_b32 v11, v11, v35
	v_lshlrev_b32_e32 v11, 2, v11
	s_waitcnt lgkmcnt(0)
	v_lshl_add_u32 v10, v10, 2, v11
	ds_write_b32 v10, v8
	s_branch .LBB54_37
.LBB54_46:                              ;   in Loop: Header=BB54_32 Depth=1
	s_mov_b64 s[6:7], -1
	s_mov_b64 s[2:3], 0
.LBB54_47:                              ;   in Loop: Header=BB54_32 Depth=1
	s_and_b64 vcc, exec, s[6:7]
	s_cbranch_vccz .LBB54_63
.LBB54_48:                              ;   in Loop: Header=BB54_32 Depth=1
	s_mov_b64 s[2:3], exec
	v_readlane_b32 s6, v65, 42
	v_readlane_b32 s7, v65, 43
	s_and_b64 s[6:7], s[2:3], s[6:7]
	s_mov_b64 exec, s[6:7]
	s_cbranch_execz .LBB54_60
; %bb.49:                               ;   in Loop: Header=BB54_32 Depth=1
	global_load_ushort v2, v3, s[84:85]
	global_load_dword v10, v[16:17], off
	v_mov_b32_e32 v8, v0
	s_waitcnt vmcnt(1)
	v_readfirstlane_b32 s8, v2
	v_add_u32_sdwa v2, v2, v0 dst_sel:DWORD dst_unused:UNUSED_PAD src0_sel:WORD_0 src1_sel:DWORD
	v_cmp_gt_i64_e32 vcc, s[60:61], v[2:3]
	s_and_saveexec_b64 s[6:7], vcc
	s_cbranch_execz .LBB54_59
; %bb.50:                               ;   in Loop: Header=BB54_32 Depth=1
	s_and_b32 s98, s8, 0xffff
	s_cmp_eq_u32 s98, 1
	v_readlane_b32 s12, v65, 48
	s_cselect_b64 s[8:9], -1, 0
	v_readlane_b32 s13, v65, 49
	s_and_b64 s[16:17], s[12:13], s[8:9]
	s_mov_b64 s[12:13], -1
	v_mov_b64_e32 v[6:7], v[0:1]
	v_mov_b64_e32 v[4:5], v[2:3]
                                        ; implicit-def: $vgpr11
                                        ; implicit-def: $vgpr8_vgpr9
	s_and_saveexec_b64 s[8:9], s[16:17]
	s_cbranch_execz .LBB54_54
; %bb.51:                               ;   in Loop: Header=BB54_32 Depth=1
	v_lshl_add_u64 v[4:5], v[2:3], 0, 1
	v_mov_b64_e32 v[6:7], v[4:5]
	s_mov_b64 s[12:13], 0
	v_mov_b64_e32 v[8:9], v[20:21]
	v_mov_b32_e32 v35, v14
	v_mov_b64_e32 v[4:5], v[2:3]
.LBB54_52:                              ;   Parent Loop BB54_32 Depth=1
                                        ; =>  This Inner Loop Header: Depth=2
	v_mul_lo_u32 v53, v5, s33
	v_mul_lo_u32 v56, v4, s57
	v_mad_u64_u32 v[42:43], s[16:17], v4, s33, 0
	v_mul_lo_u32 v11, v7, s66
	v_mul_lo_u32 v36, v6, s67
	v_mad_u64_u32 v[40:41], s[16:17], v6, s66, 0
	v_add3_u32 v43, v43, v56, v53
	v_add3_u32 v41, v41, v36, v11
	v_lshl_add_u64 v[42:43], v[42:43], 2, s[90:91]
	v_lshl_add_u64 v[40:41], v[40:41], 2, s[90:91]
	global_load_dword v36, v[42:43], off
	global_load_dword v11, v[40:41], off
	v_lshl_add_u64 v[8:9], v[8:9], 0, -2
	v_cmp_eq_u64_e32 vcc, 0, v[8:9]
	v_lshl_add_u64 v[6:7], v[6:7], 0, 2
	v_lshl_add_u64 v[4:5], v[4:5], 0, 2
	s_or_b64 s[12:13], vcc, s[12:13]
	s_waitcnt vmcnt(1)
	ds_write2_b32 v35, v10, v36 offset1:1
	v_add_u32_e32 v35, 8, v35
	s_waitcnt vmcnt(0)
	v_mov_b32_e32 v10, v11
	s_andn2_b64 exec, exec, s[12:13]
	s_cbranch_execnz .LBB54_52
; %bb.53:                               ;   in Loop: Header=BB54_32 Depth=1
	s_or_b64 exec, exec, s[12:13]
	v_readlane_b32 s12, v65, 50
	v_lshl_add_u64 v[4:5], v[2:3], 0, v[20:21]
	v_readlane_b32 s13, v65, 51
	v_lshl_add_u64 v[8:9], v[4:5], 0, -1
	s_orn2_b64 s[12:13], s[12:13], exec
	v_mov_b32_e32 v10, v11
	v_mov_b64_e32 v[6:7], v[22:23]
.LBB54_54:                              ;   in Loop: Header=BB54_32 Depth=1
	s_or_b64 exec, exec, s[8:9]
	s_and_saveexec_b64 s[8:9], s[12:13]
	s_cbranch_execz .LBB54_58
; %bb.55:                               ;   in Loop: Header=BB54_32 Depth=1
	v_readlane_b32 s18, v65, 59
	v_readlane_b32 s19, v65, 60
	;; [unrolled: 1-line block ×4, first 2 shown]
	v_mov_b64_e32 v[8:9], s[18:19]
	v_mad_u64_u32 v[8:9], s[18:19], s20, v4, v[8:9]
	s_sub_u32 s12, 0, s98
	v_mul_lo_u32 v2, s20, v5
	v_mul_lo_u32 v7, s21, v4
	s_mul_i32 s18, s21, s98
	s_mul_hi_u32 s19, s20, s98
	s_mov_b64 s[16:17], 0
	s_subb_u32 s13, 0, 0
	v_add3_u32 v9, v7, v9, v2
	s_add_i32 s19, s19, s18
	s_mul_i32 s18, s20, s98
.LBB54_56:                              ;   Parent Loop BB54_32 Depth=1
                                        ; =>  This Inner Loop Header: Depth=2
	global_load_dword v11, v[8:9], off
	v_mov_b64_e32 v[40:41], v[4:5]
	v_lshl_add_u64 v[4:5], v[40:41], 0, s[98:99]
	v_lshlrev_b32_e32 v2, 2, v6
	v_cmp_le_i64_e32 vcc, s[60:61], v[4:5]
	v_lshl_add_u64 v[8:9], v[8:9], 0, s[18:19]
	s_waitcnt vmcnt(1)
	ds_write_b32 v2, v10
	v_mov_b64_e32 v[6:7], v[40:41]
	s_or_b64 s[16:17], vcc, s[16:17]
	s_waitcnt vmcnt(0)
	v_mov_b32_e32 v10, v11
	s_andn2_b64 exec, exec, s[16:17]
	s_cbranch_execnz .LBB54_56
; %bb.57:                               ;   in Loop: Header=BB54_32 Depth=1
	s_or_b64 exec, exec, s[16:17]
	v_lshl_add_u64 v[8:9], s[12:13], 0, v[4:5]
.LBB54_58:                              ;   in Loop: Header=BB54_32 Depth=1
	s_or_b64 exec, exec, s[8:9]
	s_waitcnt vmcnt(0)
	v_mov_b32_e32 v10, v11
.LBB54_59:                              ;   in Loop: Header=BB54_32 Depth=1
	s_or_b64 exec, exec, s[6:7]
	v_lshlrev_b32_e32 v2, 2, v8
	s_waitcnt vmcnt(0)
	ds_write_b32 v2, v10
.LBB54_60:                              ;   in Loop: Header=BB54_32 Depth=1
	s_or_b64 exec, exec, s[2:3]
	s_waitcnt lgkmcnt(0)
	s_barrier
	s_mov_b64 s[2:3], exec
	v_readlane_b32 s6, v65, 32
	v_readlane_b32 s7, v65, 33
	s_and_b64 s[6:7], s[2:3], s[6:7]
	s_mov_b64 exec, s[6:7]
; %bb.61:                               ;   in Loop: Header=BB54_32 Depth=1
	ds_write_b64 v3, v[54:55] offset:5120
; %bb.62:                               ;   in Loop: Header=BB54_32 Depth=1
	s_or_b64 exec, exec, s[2:3]
	s_mov_b64 s[2:3], -1
	s_waitcnt lgkmcnt(0)
	s_barrier
.LBB54_63:                              ;   in Loop: Header=BB54_32 Depth=1
	s_and_b64 vcc, exec, s[2:3]
	s_cbranch_vccz .LBB54_65
; %bb.64:                               ;   in Loop: Header=BB54_32 Depth=1
	ds_read_b64 v[4:5], v3 offset:5120
	s_waitcnt lgkmcnt(0)
	v_readfirstlane_b32 s68, v4
.LBB54_65:                              ;   in Loop: Header=BB54_32 Depth=1
	s_cmp_lt_i32 s68, 1
	s_mov_b64 s[2:3], -1
                                        ; implicit-def: $vgpr4_vgpr5
                                        ; implicit-def: $vgpr8_vgpr9
	s_cbranch_scc1 .LBB54_75
; %bb.66:                               ;   in Loop: Header=BB54_32 Depth=1
	s_and_b64 vcc, exec, s[2:3]
	s_cbranch_vccnz .LBB54_89
.LBB54_67:                              ;   in Loop: Header=BB54_32 Depth=1
	s_lshl_b32 s6, s0, 6
	s_and_saveexec_b64 s[2:3], s[4:5]
	s_cbranch_execz .LBB54_69
.LBB54_68:                              ;   in Loop: Header=BB54_32 Depth=1
	v_lshl_add_u32 v2, s6, 3, v47
	ds_write_b128 v2, v[4:7]
	ds_write_b128 v2, v[8:11] offset:16
.LBB54_69:                              ;   in Loop: Header=BB54_32 Depth=1
	s_or_b64 exec, exec, s[2:3]
	s_waitcnt lgkmcnt(0)
	s_barrier
	s_and_saveexec_b64 s[2:3], s[96:97]
	s_cbranch_execz .LBB54_107
; %bb.70:                               ;   in Loop: Header=BB54_32 Depth=1
	v_readlane_b32 s8, v65, 44
	v_readlane_b32 s9, v65, 45
	s_andn2_b64 vcc, exec, s[8:9]
	v_mov_b64_e32 v[4:5], 0
	s_cbranch_vccnz .LBB54_106
; %bb.71:                               ;   in Loop: Header=BB54_32 Depth=1
	v_readlane_b32 s8, v65, 52
	v_readlane_b32 s9, v65, 53
	s_andn2_b64 vcc, exec, s[8:9]
	s_cbranch_vccnz .LBB54_102
; %bb.72:                               ;   in Loop: Header=BB54_32 Depth=1
	v_lshl_add_u32 v2, s0, 9, v49
	v_mov_b64_e32 v[4:5], 0
	s_mov_b32 s7, 0
.LBB54_73:                              ;   Parent Loop BB54_32 Depth=1
                                        ; =>  This Inner Loop Header: Depth=2
	ds_read2_b64 v[6:9], v2 offset1:4
	ds_read2_b64 v[40:43], v2 offset0:8 offset1:12
	ds_read2_b64 v[56:59], v2 offset0:16 offset1:20
	;; [unrolled: 1-line block ×3, first 2 shown]
	s_add_i32 s7, s7, 8
	s_waitcnt lgkmcnt(3)
	v_lshl_add_u64 v[4:5], v[6:7], 0, v[4:5]
	v_lshl_add_u64 v[4:5], v[8:9], 0, v[4:5]
	s_waitcnt lgkmcnt(2)
	v_lshl_add_u64 v[4:5], v[40:41], 0, v[4:5]
	v_lshl_add_u64 v[4:5], v[42:43], 0, v[4:5]
	;; [unrolled: 3-line block ×3, first 2 shown]
	s_waitcnt lgkmcnt(0)
	v_lshl_add_u64 v[4:5], v[60:61], 0, v[4:5]
	v_add_u32_e32 v2, 0x100, v2
	s_cmp_eq_u32 s80, s7
	v_lshl_add_u64 v[4:5], v[62:63], 0, v[4:5]
	s_cbranch_scc0 .LBB54_73
; %bb.74:                               ;   in Loop: Header=BB54_32 Depth=1
	s_mov_b32 s7, s80
	s_branch .LBB54_103
.LBB54_75:                              ;   in Loop: Header=BB54_32 Depth=1
	global_load_ushort v2, v3, s[84:85]
	s_mov_b32 s2, s99
	s_waitcnt vmcnt(0)
	v_readfirstlane_b32 s3, v2
	s_and_b32 s70, s3, 0xffff
	s_lshl_b32 s98, s70, 2
	s_mov_b32 s3, s61
	s_cmp_lg_u64 s[2:3], 0
	s_cbranch_scc0 .LBB54_98
; %bb.76:                               ;   in Loop: Header=BB54_32 Depth=1
	s_add_u32 s2, s98, 0
	s_addc_u32 s3, 0, 0
	s_xor_b64 s[2:3], s[2:3], 0
	v_cvt_f32_u32_e32 v2, s2
	v_cvt_f32_u32_e32 v4, s3
	s_sub_u32 s8, 0, s2
	s_subb_u32 s9, 0, s3
	v_fmac_f32_e32 v2, 0x4f800000, v4
	v_rcp_f32_e32 v2, v2
	s_nop 0
	v_mul_f32_e32 v2, 0x5f7ffffc, v2
	v_mul_f32_e32 v4, 0x2f800000, v2
	v_trunc_f32_e32 v4, v4
	v_fmac_f32_e32 v2, 0xcf800000, v4
	v_cvt_u32_f32_e32 v4, v4
	v_cvt_u32_f32_e32 v2, v2
	v_readfirstlane_b32 s12, v4
	v_readfirstlane_b32 s6, v2
	s_mul_i32 s7, s8, s12
	s_mul_hi_u32 s16, s8, s6
	s_mul_i32 s13, s9, s6
	s_add_i32 s7, s16, s7
	s_mul_i32 s17, s8, s6
	s_add_i32 s7, s7, s13
	s_mul_i32 s16, s6, s7
	s_mul_hi_u32 s18, s6, s17
	s_mul_hi_u32 s13, s6, s7
	s_add_u32 s16, s18, s16
	s_addc_u32 s13, 0, s13
	s_mul_hi_u32 s19, s12, s17
	s_mul_i32 s17, s12, s17
	s_add_u32 s16, s16, s17
	s_mul_hi_u32 s18, s12, s7
	s_addc_u32 s13, s13, s19
	s_addc_u32 s16, s18, 0
	s_mul_i32 s7, s12, s7
	s_add_u32 s7, s13, s7
	s_addc_u32 s13, 0, s16
	s_add_u32 s16, s6, s7
	s_cselect_b64 s[6:7], -1, 0
	s_cmp_lg_u64 s[6:7], 0
	s_addc_u32 s12, s12, s13
	s_mul_i32 s6, s8, s12
	s_mul_hi_u32 s7, s8, s16
	s_add_i32 s6, s7, s6
	s_mul_i32 s9, s9, s16
	s_add_i32 s6, s6, s9
	s_mul_i32 s8, s8, s16
	s_mul_hi_u32 s9, s12, s8
	s_mul_i32 s13, s12, s8
	s_mul_i32 s18, s16, s6
	s_mul_hi_u32 s8, s16, s8
	s_mul_hi_u32 s17, s16, s6
	s_add_u32 s8, s8, s18
	s_addc_u32 s17, 0, s17
	s_add_u32 s8, s8, s13
	s_mul_hi_u32 s7, s12, s6
	s_addc_u32 s8, s17, s9
	s_addc_u32 s7, s7, 0
	s_mul_i32 s6, s12, s6
	s_add_u32 s6, s8, s6
	s_addc_u32 s8, 0, s7
	s_add_u32 s13, s16, s6
	s_cselect_b64 s[6:7], -1, 0
	s_cmp_lg_u64 s[6:7], 0
	s_addc_u32 s12, s12, s8
	s_ashr_i32 s6, s61, 31
	s_add_u32 s8, s60, s6
	s_mov_b32 s7, s6
	s_addc_u32 s9, s61, s6
	s_xor_b64 s[8:9], s[8:9], s[6:7]
	s_mul_i32 s17, s8, s12
	s_mul_hi_u32 s18, s8, s13
	s_mul_hi_u32 s16, s8, s12
	s_add_u32 s17, s18, s17
	s_addc_u32 s16, 0, s16
	s_mul_hi_u32 s19, s9, s13
	s_mul_i32 s13, s9, s13
	s_add_u32 s13, s17, s13
	s_mul_hi_u32 s18, s9, s12
	s_addc_u32 s13, s16, s19
	s_addc_u32 s16, s18, 0
	s_mul_i32 s12, s9, s12
	s_add_u32 s12, s13, s12
	s_addc_u32 s13, 0, s16
	s_mul_i32 s13, s2, s13
	s_mul_hi_u32 s16, s2, s12
	s_add_i32 s13, s16, s13
	s_mul_i32 s16, s3, s12
	s_add_i32 s18, s13, s16
	s_sub_i32 s16, s9, s18
	s_mul_i32 s12, s2, s12
	s_sub_u32 s8, s8, s12
	s_cselect_b64 s[12:13], -1, 0
	s_cmp_lg_u64 s[12:13], 0
	s_subb_u32 s19, s16, s3
	s_sub_u32 s20, s8, s2
	s_cselect_b64 s[16:17], -1, 0
	s_cmp_lg_u64 s[16:17], 0
	s_subb_u32 s21, s19, 0
	s_cmp_ge_u32 s21, s3
	s_cselect_b32 s22, -1, 0
	s_cmp_ge_u32 s20, s2
	s_cselect_b32 s23, -1, 0
	s_cmp_eq_u32 s21, s3
	s_cselect_b32 s22, s23, s22
	s_cmp_lg_u64 s[16:17], 0
	s_subb_u32 s19, s19, s3
	s_sub_u32 s23, s20, s2
	s_cselect_b64 s[16:17], -1, 0
	s_cmp_lg_u64 s[16:17], 0
	s_subb_u32 s16, s19, 0
	s_cmp_lg_u32 s22, 0
	s_cselect_b32 s17, s23, s20
	s_cselect_b32 s16, s16, s21
	s_cmp_lg_u64 s[12:13], 0
	s_subb_u32 s9, s9, s18
	s_cmp_ge_u32 s9, s3
	s_cselect_b32 s12, -1, 0
	s_cmp_ge_u32 s8, s2
	s_cselect_b32 s2, -1, 0
	s_cmp_eq_u32 s9, s3
	s_cselect_b32 s2, s2, s12
	s_cmp_lg_u32 s2, 0
	s_cselect_b32 s3, s16, s9
	s_cselect_b32 s2, s17, s8
	s_xor_b64 s[2:3], s[2:3], s[6:7]
	s_sub_u32 s72, s2, s6
	s_subb_u32 s73, s3, s6
	s_cbranch_execnz .LBB54_78
.LBB54_77:                              ;   in Loop: Header=BB54_32 Depth=1
	v_cvt_f32_u32_e32 v2, s98
	s_sub_i32 s2, 0, s98
	s_mov_b32 s73, s99
	v_rcp_iflag_f32_e32 v2, v2
	s_nop 0
	v_mul_f32_e32 v2, 0x4f7ffffe, v2
	v_cvt_u32_f32_e32 v2, v2
	s_nop 0
	v_readfirstlane_b32 s3, v2
	s_mul_i32 s2, s2, s3
	s_mul_hi_u32 s2, s3, s2
	s_add_i32 s3, s3, s2
	s_mul_hi_u32 s2, s60, s3
	s_mul_i32 s2, s2, s98
	s_sub_i32 s2, s60, s2
	s_sub_i32 s3, s2, s98
	s_cmp_ge_u32 s2, s98
	s_cselect_b32 s2, s3, s2
	s_sub_i32 s3, s2, s98
	s_cmp_ge_u32 s2, s98
	s_cselect_b32 s72, s3, s2
.LBB54_78:                              ;   in Loop: Header=BB54_32 Depth=1
	s_sub_u32 s74, s60, s72
	s_subb_u32 s75, s61, s73
	s_mov_b32 s71, s99
	v_cmp_gt_i64_e32 vcc, s[74:75], v[14:15]
	v_mov_b64_e32 v[4:5], 0
	v_mov_b64_e32 v[6:7], 0
	;; [unrolled: 1-line block ×4, first 2 shown]
	s_and_saveexec_b64 s[58:59], vcc
	s_cbranch_execz .LBB54_82
; %bb.79:                               ;   in Loop: Header=BB54_32 Depth=1
	s_mul_i32 s2, s89, s70
	s_mul_hi_u32 s3, s88, s70
	s_mov_b32 s1, s77
	s_mov_b32 s33, s79
	s_mov_b64 s[84:85], s[96:97]
	s_add_i32 s69, s3, s2
	s_mov_b64 s[12:13], 0
	s_mov_b64 s[8:9], 0
	s_mov_b64 s[76:77], 0
	s_mov_b64 s[6:7], 0
	s_mov_b64 s[96:97], 0
	v_mov_b64_e32 v[40:41], v[14:15]
.LBB54_80:                              ;   Parent Loop BB54_32 Depth=1
                                        ; =>  This Inner Loop Header: Depth=2
	v_lshl_add_u64 v[4:5], s[90:91], 0, v[30:31]
	v_lshl_add_u64 v[6:7], s[90:91], 0, v[28:29]
	;; [unrolled: 1-line block ×4, first 2 shown]
	global_load_dword v2, v[4:5], off
	s_nop 0
	global_load_dword v4, v[6:7], off
	global_load_dword v5, v[8:9], off
	s_nop 0
	global_load_dword v6, v[10:11], off
	s_mul_i32 s79, s88, s70
	v_lshl_add_u64 v[40:41], v[40:41], 0, s[98:99]
	v_cmp_le_i64_e32 vcc, s[74:75], v[40:41]
	s_waitcnt vmcnt(3)
	v_cmp_lt_i32_e64 s[2:3], -1, v2
	s_nop 1
	v_cndmask_b32_e64 v7, -1, v51, s[2:3]
	s_waitcnt vmcnt(2)
	v_cmp_lt_i32_e64 s[2:3], -1, v4
	s_waitcnt vmcnt(1)
	v_cmp_o_f32_e64 s[16:17], v5, v5
	s_waitcnt vmcnt(0)
	v_cmp_o_f32_e64 s[18:19], v6, v6
	v_cndmask_b32_e64 v8, -1, v51, s[2:3]
	v_cmp_lt_i32_e64 s[2:3], -1, v5
	v_xor_b32_e32 v8, v8, v4
	v_cmp_o_f32_e64 s[20:21], v2, v2
	v_cndmask_b32_e64 v9, -1, v51, s[2:3]
	v_cmp_lt_i32_e64 s[2:3], -1, v6
	s_nop 1
	v_cndmask_b32_e64 v10, -1, v51, s[2:3]
	v_cmp_o_f32_e64 s[2:3], v4, v4
	v_xor_b32_e32 v4, v9, v5
	v_xor_b32_e32 v5, v10, v6
	;; [unrolled: 1-line block ×3, first 2 shown]
	v_cndmask_b32_e64 v2, -1, v6, s[20:21]
	v_cndmask_b32_e64 v6, -1, v8, s[2:3]
	v_and_b32_e32 v7, v2, v52
	v_bfe_u32 v2, v2, s78, 2
	v_cndmask_b32_e64 v4, -1, v4, s[16:17]
	v_and_b32_e32 v8, v6, v52
	v_bfe_u32 v6, v6, s78, 2
	v_cmp_eq_u32_e64 s[2:3], v7, v50
	v_cmp_eq_u32_e64 s[22:23], 0, v2
	v_cndmask_b32_e64 v5, -1, v5, s[18:19]
	v_and_b32_e32 v9, v4, v52
	v_bfe_u32 v4, v4, s78, 2
	v_cmp_eq_u32_e64 s[16:17], v8, v50
	v_cmp_eq_u32_e64 s[26:27], 0, v6
	s_and_b64 s[22:23], s[2:3], s[22:23]
	v_and_b32_e32 v10, v5, v52
	v_bfe_u32 v5, v5, s78, 2
	v_cmp_eq_u32_e64 s[18:19], v9, v50
	v_cmp_eq_u32_e64 s[28:29], 0, v4
	;; [unrolled: 1-line block ×5, first 2 shown]
	v_cndmask_b32_e64 v2, 0, 1, s[22:23]
	s_and_b64 s[22:23], s[16:17], s[26:27]
	v_cmp_eq_u32_e64 s[20:21], v10, v50
	v_cmp_eq_u32_e64 s[30:31], 0, v5
	;; [unrolled: 1-line block ×5, first 2 shown]
	v_cndmask_b32_e64 v4, 0, 1, s[22:23]
	s_and_b64 s[22:23], s[18:19], s[28:29]
	v_cmp_eq_u32_e64 s[40:41], 1, v5
	v_cmp_eq_u32_e64 s[48:49], 2, v5
	;; [unrolled: 1-line block ×3, first 2 shown]
	v_cndmask_b32_e64 v5, 0, 1, s[22:23]
	s_and_b64 s[22:23], s[20:21], s[30:31]
	v_cmp_eq_u32_e64 s[36:37], 1, v6
	v_cmp_eq_u32_e64 s[44:45], 2, v6
	;; [unrolled: 1-line block ×3, first 2 shown]
	v_cndmask_b32_e64 v6, 0, 1, s[22:23]
	v_cmp_ne_u32_e64 s[22:23], 0, v2
	v_cmp_ne_u32_e64 s[26:27], 0, v4
	v_cmp_ne_u32_e64 s[28:29], 0, v5
	v_cmp_ne_u32_e64 s[30:31], 0, v6
	s_bcnt1_i32_b64 s22, s[22:23]
	s_bcnt1_i32_b64 s23, s[26:27]
	s_bcnt1_i32_b64 s26, s[28:29]
	s_bcnt1_i32_b64 s27, s[30:31]
	s_add_u32 s22, s22, s96
	s_addc_u32 s28, 0, s97
	s_add_u32 s22, s22, s23
	s_addc_u32 s23, s28, 0
	s_add_u32 s22, s22, s26
	s_addc_u32 s23, s23, 0
	s_add_u32 s96, s22, s27
	s_addc_u32 s97, s23, 0
	s_and_b64 s[22:23], s[2:3], s[34:35]
	v_cndmask_b32_e64 v2, 0, 1, s[22:23]
	s_and_b64 s[22:23], s[16:17], s[36:37]
	v_cndmask_b32_e64 v6, 0, 1, s[22:23]
	s_and_b64 s[22:23], s[18:19], s[38:39]
	v_cndmask_b32_e64 v7, 0, 1, s[22:23]
	s_and_b64 s[22:23], s[20:21], s[40:41]
	v_cndmask_b32_e64 v8, 0, 1, s[22:23]
	v_cmp_ne_u32_e64 s[22:23], 0, v2
	v_cmp_ne_u32_e64 s[26:27], 0, v6
	v_cmp_ne_u32_e64 s[28:29], 0, v7
	v_cmp_ne_u32_e64 s[30:31], 0, v8
	s_bcnt1_i32_b64 s22, s[22:23]
	s_bcnt1_i32_b64 s23, s[26:27]
	s_bcnt1_i32_b64 s26, s[28:29]
	s_bcnt1_i32_b64 s27, s[30:31]
	s_add_u32 s6, s22, s6
	s_addc_u32 s7, 0, s7
	s_add_u32 s6, s6, s23
	s_addc_u32 s7, s7, 0
	s_add_u32 s6, s6, s26
	s_addc_u32 s7, s7, 0
	s_add_u32 s6, s6, s27
	s_addc_u32 s7, s7, 0
	s_and_b64 s[22:23], s[2:3], s[42:43]
	v_cndmask_b32_e64 v2, 0, 1, s[22:23]
	s_and_b64 s[22:23], s[16:17], s[44:45]
	v_cndmask_b32_e64 v8, 0, 1, s[22:23]
	s_and_b64 s[22:23], s[18:19], s[46:47]
	v_cndmask_b32_e64 v9, 0, 1, s[22:23]
	s_and_b64 s[22:23], s[20:21], s[48:49]
	;; [unrolled: 24-line block ×3, first 2 shown]
	v_cndmask_b32_e64 v35, 0, 1, s[2:3]
	v_cmp_ne_u32_e64 s[2:3], 0, v2
	v_cmp_ne_u32_e64 s[16:17], 0, v10
	;; [unrolled: 1-line block ×4, first 2 shown]
	s_bcnt1_i32_b64 s2, s[2:3]
	s_bcnt1_i32_b64 s3, s[16:17]
	;; [unrolled: 1-line block ×4, first 2 shown]
	s_add_u32 s2, s2, s8
	s_addc_u32 s8, 0, s9
	s_add_u32 s2, s2, s3
	s_addc_u32 s3, s8, 0
	;; [unrolled: 2-line block ×5, first 2 shown]
	v_mov_b64_e32 v[4:5], s[96:97]
	v_mov_b64_e32 v[6:7], s[6:7]
	;; [unrolled: 1-line block ×3, first 2 shown]
	s_or_b64 s[12:13], vcc, s[12:13]
	v_mov_b64_e32 v[10:11], s[8:9]
	s_andn2_b64 exec, exec, s[12:13]
	s_cbranch_execnz .LBB54_80
; %bb.81:                               ;   in Loop: Header=BB54_32 Depth=1
	s_or_b64 exec, exec, s[12:13]
	s_mov_b64 s[96:97], s[84:85]
	v_readlane_b32 s90, v65, 61
	v_readlane_b32 s84, v65, 63
	s_mov_b32 s79, s33
	s_mov_b32 s77, s1
	v_readlane_b32 s91, v65, 62
	v_readlane_b32 s85, v64, 0
	;; [unrolled: 1-line block ×4, first 2 shown]
.LBB54_82:                              ;   in Loop: Header=BB54_32 Depth=1
	s_or_b64 exec, exec, s[58:59]
	v_lshl_add_u64 v[40:41], s[74:75], 0, v[0:1]
	v_cmp_gt_i64_e32 vcc, s[60:61], v[40:41]
	s_and_saveexec_b64 s[6:7], vcc
	s_cbranch_execz .LBB54_88
; %bb.83:                               ;   in Loop: Header=BB54_32 Depth=1
	v_mul_lo_u32 v2, v41, s66
	v_mul_lo_u32 v35, v40, s67
	v_mad_u64_u32 v[42:43], s[2:3], v40, s66, 0
	v_add3_u32 v43, v43, v35, v2
	v_lshl_add_u64 v[42:43], v[42:43], 2, s[90:91]
	global_load_dword v2, v[42:43], off
	v_lshl_add_u64 v[42:43], v[32:33], 0, s[70:71]
	v_readlane_b32 s2, v65, 59
	v_mov_b32_e32 v35, s73
	v_subrev_co_u32_e32 v36, vcc, s72, v42
	v_readlane_b32 s3, v65, 60
	s_nop 0
	v_subb_co_u32_e32 v35, vcc, v43, v35, vcc
	v_readlane_b32 s8, v65, 57
	v_mov_b64_e32 v[42:43], s[2:3]
	v_readlane_b32 s9, v65, 58
	v_mad_u64_u32 v[42:43], s[2:3], s8, v36, v[42:43]
	v_mul_lo_u32 v35, s8, v35
	v_mul_lo_u32 v53, s9, v36
	s_mul_i32 s2, s9, s70
	s_mul_hi_u32 s3, s8, s70
	v_add3_u32 v43, v53, v43, v35
	s_add_i32 s9, s3, s2
	s_mul_i32 s8, s8, s70
	s_mov_b64 s[12:13], 0
	s_branch .LBB54_85
.LBB54_84:                              ;   in Loop: Header=BB54_85 Depth=2
	s_or_b64 exec, exec, s[16:17]
	s_and_b64 s[2:3], exec, vcc
	s_waitcnt vmcnt(0)
	v_cmp_lt_i32_e32 vcc, -1, v2
	s_or_b64 s[12:13], s[2:3], s[12:13]
	v_lshl_add_u64 v[42:43], v[42:43], 0, s[8:9]
	v_cndmask_b32_e32 v36, -1, v51, vcc
	v_xor_b32_e32 v36, v36, v2
	v_cmp_o_f32_e32 vcc, v2, v2
	s_nop 1
	v_cndmask_b32_e32 v2, -1, v36, vcc
	v_and_b32_e32 v36, v2, v52
	v_bfe_u32 v2, v2, s78, 2
	v_cmp_eq_u32_e32 vcc, v36, v50
	v_cmp_eq_u32_e64 s[2:3], 0, v2
	s_and_b64 s[2:3], vcc, s[2:3]
	s_nop 0
	v_cndmask_b32_e64 v36, 0, 1, s[2:3]
	v_cmp_ne_u32_e64 s[2:3], 0, v36
	s_bcnt1_i32_b64 s98, s[2:3]
	v_cmp_eq_u32_e64 s[2:3], 1, v2
	s_and_b64 s[2:3], vcc, s[2:3]
	v_lshl_add_u64 v[4:5], s[98:99], 0, v[4:5]
	v_cndmask_b32_e64 v36, 0, 1, s[2:3]
	v_cmp_ne_u32_e64 s[2:3], 0, v36
	s_bcnt1_i32_b64 s98, s[2:3]
	v_cmp_eq_u32_e64 s[2:3], 2, v2
	s_and_b64 s[2:3], vcc, s[2:3]
	v_lshl_add_u64 v[6:7], s[98:99], 0, v[6:7]
	;; [unrolled: 6-line block ×3, first 2 shown]
	v_cndmask_b32_e64 v2, 0, 1, s[2:3]
	v_cmp_ne_u32_e32 vcc, 0, v2
	s_bcnt1_i32_b64 s98, vcc
	v_lshl_add_u64 v[10:11], s[98:99], 0, v[10:11]
	v_mov_b32_e32 v2, v35
	s_andn2_b64 exec, exec, s[12:13]
	s_cbranch_execz .LBB54_87
.LBB54_85:                              ;   Parent Loop BB54_32 Depth=1
                                        ; =>  This Inner Loop Header: Depth=2
	v_lshl_add_u64 v[40:41], v[40:41], 0, s[70:71]
	v_cmp_gt_i64_e64 s[2:3], s[60:61], v[40:41]
	v_cmp_le_i64_e32 vcc, s[60:61], v[40:41]
	v_mov_b32_e32 v35, 0
	s_and_saveexec_b64 s[16:17], s[2:3]
	s_cbranch_execz .LBB54_84
; %bb.86:                               ;   in Loop: Header=BB54_85 Depth=2
	global_load_dword v35, v[42:43], off
	s_branch .LBB54_84
.LBB54_87:                              ;   in Loop: Header=BB54_32 Depth=1
	s_or_b64 exec, exec, s[12:13]
.LBB54_88:                              ;   in Loop: Header=BB54_32 Depth=1
	s_or_b64 exec, exec, s[6:7]
	s_branch .LBB54_67
.LBB54_89:                              ;   in Loop: Header=BB54_32 Depth=1
	global_load_ushort v2, v3, s[84:85]
	v_mov_b64_e32 v[8:9], 0
	s_waitcnt vmcnt(0)
	v_readfirstlane_b32 s2, v2
	s_and_b32 s2, 0xffff, s2
	s_lshl_b32 s70, s2, 2
	v_cvt_f32_u32_e32 v4, s70
	s_sub_i32 s3, 0, s70
	v_rcp_iflag_f32_e32 v6, v4
	v_mov_b64_e32 v[4:5], 0
	v_mul_f32_e32 v6, 0x4f7ffffe, v6
	v_cvt_u32_f32_e32 v10, v6
	v_mov_b64_e32 v[6:7], 0
	v_readfirstlane_b32 s6, v10
	s_mul_i32 s3, s3, s6
	s_mul_hi_u32 s3, s6, s3
	s_add_i32 s6, s6, s3
	s_mul_hi_u32 s3, s68, s6
	s_mul_i32 s6, s3, s70
	s_sub_i32 s6, s68, s6
	s_add_i32 s7, s3, 1
	s_sub_i32 s8, s6, s70
	s_cmp_ge_u32 s6, s70
	s_cselect_b32 s3, s7, s3
	s_cselect_b32 s6, s8, s6
	s_add_i32 s7, s3, 1
	s_cmp_ge_u32 s6, s70
	s_cselect_b32 s3, s7, s3
	s_mul_hi_u32 s7, s2, s3
	s_mul_i32 s6, s2, s3
	s_lshl_b64 s[8:9], s[6:7], 2
	v_cmp_gt_u64_e32 vcc, s[8:9], v[14:15]
	v_mov_b64_e32 v[10:11], 0
	s_and_saveexec_b64 s[12:13], vcc
	s_cbranch_execz .LBB54_93
; %bb.90:                               ;   in Loop: Header=BB54_32 Depth=1
	s_mov_b32 s71, s99
	s_mov_b32 s1, s77
	s_mov_b32 s7, s78
	s_lshl_b32 s69, s2, 4
	s_mov_b64 s[58:59], 0
	v_mov_b32_e32 v35, v48
	s_mov_b64 s[72:73], 0
	s_mov_b64 s[90:91], 0
	;; [unrolled: 1-line block ×4, first 2 shown]
	v_mov_b64_e32 v[40:41], v[14:15]
.LBB54_91:                              ;   Parent Loop BB54_32 Depth=1
                                        ; =>  This Inner Loop Header: Depth=2
	ds_read_b128 v[4:7], v35
	v_lshl_add_u64 v[40:41], v[40:41], 0, s[70:71]
	v_cmp_le_u64_e32 vcc, s[8:9], v[40:41]
	v_add_u32_e32 v35, s69, v35
	s_waitcnt lgkmcnt(0)
	v_cmp_lt_i32_e64 s[2:3], -1, v5
	v_cmp_o_f32_e64 s[16:17], v6, v6
	s_nop 0
	v_cndmask_b32_e64 v8, -1, v51, s[2:3]
	v_cmp_lt_i32_e64 s[2:3], -1, v4
	v_cmp_o_f32_e64 s[18:19], v7, v7
	v_cmp_o_f32_e64 s[20:21], v5, v5
	v_cndmask_b32_e64 v9, -1, v51, s[2:3]
	v_cmp_lt_i32_e64 s[2:3], -1, v7
	v_xor_b32_e32 v9, v9, v4
	s_nop 0
	v_cndmask_b32_e64 v10, -1, v51, s[2:3]
	v_cmp_lt_i32_e64 s[2:3], -1, v6
	s_nop 1
	v_cndmask_b32_e64 v11, -1, v51, s[2:3]
	v_cmp_o_f32_e64 s[2:3], v4, v4
	v_xor_b32_e32 v4, v11, v6
	v_xor_b32_e32 v6, v10, v7
	;; [unrolled: 1-line block ×3, first 2 shown]
	v_cndmask_b32_e64 v5, -1, v7, s[20:21]
	v_cndmask_b32_e64 v7, -1, v9, s[2:3]
	v_and_b32_e32 v8, v7, v52
	v_lshrrev_b32_e32 v7, s78, v7
	v_cndmask_b32_e64 v4, -1, v4, s[16:17]
	v_and_b32_e32 v9, v5, v52
	v_lshrrev_b32_e32 v5, s7, v5
	v_and_b32_e32 v7, 3, v7
	v_and_b32_e32 v10, v4, v52
	v_lshrrev_b32_e32 v4, s78, v4
	v_cmp_eq_u32_e64 s[2:3], v8, v50
	v_and_b32_e32 v5, 3, v5
	v_cmp_eq_u32_e64 s[28:29], 0, v7
	v_cmp_eq_u32_e64 s[26:27], v9, v50
	v_and_b32_e32 v4, 3, v4
	v_cmp_eq_u32_e64 s[30:31], 0, v5
	s_and_b64 s[28:29], s[2:3], s[28:29]
	v_cmp_eq_u32_e64 s[46:47], 0, v4
	v_cmp_eq_u32_e64 s[50:51], 1, v4
	v_cmp_eq_u32_e64 s[54:55], 2, v4
	v_cmp_eq_u32_e64 s[22:23], 3, v4
	v_cndmask_b32_e64 v4, 0, 1, s[28:29]
	s_and_b64 s[28:29], s[26:27], s[30:31]
	v_cmp_eq_u32_e64 s[36:37], 1, v5
	v_cmp_eq_u32_e64 s[40:41], 2, v5
	;; [unrolled: 1-line block ×3, first 2 shown]
	v_cndmask_b32_e64 v5, 0, 1, s[28:29]
	v_cmp_ne_u32_e64 s[28:29], 0, v4
	v_cmp_ne_u32_e64 s[30:31], 0, v5
	s_bcnt1_i32_b64 s28, s[28:29]
	s_bcnt1_i32_b64 s29, s[30:31]
	s_add_u32 s28, s28, s74
	s_addc_u32 s30, 0, s75
	v_cmp_eq_u32_e64 s[34:35], 1, v7
	s_add_u32 s74, s28, s29
	s_addc_u32 s75, s30, 0
	s_and_b64 s[28:29], s[2:3], s[34:35]
	v_cndmask_b32_e64 v4, 0, 1, s[28:29]
	s_and_b64 s[28:29], s[26:27], s[36:37]
	v_cndmask_b32_e64 v5, 0, 1, s[28:29]
	v_cmp_ne_u32_e64 s[28:29], 0, v4
	v_cmp_ne_u32_e64 s[30:31], 0, v5
	s_bcnt1_i32_b64 s28, s[28:29]
	s_bcnt1_i32_b64 s29, s[30:31]
	s_add_u32 s28, s28, s76
	s_addc_u32 s30, 0, s77
	v_cmp_eq_u32_e64 s[38:39], 2, v7
	s_add_u32 s34, s28, s29
	s_addc_u32 s35, s30, 0
	s_and_b64 s[28:29], s[2:3], s[38:39]
	v_cndmask_b32_e64 v4, 0, 1, s[28:29]
	s_and_b64 s[28:29], s[26:27], s[40:41]
	v_cndmask_b32_e64 v5, 0, 1, s[28:29]
	v_cmp_ne_u32_e64 s[28:29], 0, v4
	v_cmp_ne_u32_e64 s[30:31], 0, v5
	s_bcnt1_i32_b64 s28, s[28:29]
	s_bcnt1_i32_b64 s29, s[30:31]
	v_cndmask_b32_e64 v6, -1, v6, s[18:19]
	s_add_u32 s28, s28, s90
	v_and_b32_e32 v11, v6, v52
	v_lshrrev_b32_e32 v6, s7, v6
	s_addc_u32 s30, 0, s91
	v_cmp_eq_u32_e64 s[18:19], v10, v50
	v_and_b32_e32 v6, 3, v6
	s_add_u32 s36, s28, s29
	v_cmp_eq_u32_e64 s[16:17], v11, v50
	v_cmp_eq_u32_e64 s[44:45], 3, v7
	;; [unrolled: 1-line block ×3, first 2 shown]
	s_addc_u32 s37, s30, 0
	s_and_b64 s[28:29], s[18:19], s[46:47]
	v_cndmask_b32_e64 v4, 0, 1, s[28:29]
	s_and_b64 s[28:29], s[16:17], s[48:49]
	s_and_b64 s[2:3], s[2:3], s[44:45]
	v_cmp_eq_u32_e64 s[52:53], 1, v6
	v_cmp_eq_u32_e64 s[56:57], 2, v6
	;; [unrolled: 1-line block ×3, first 2 shown]
	v_cndmask_b32_e64 v5, 0, 1, s[28:29]
	v_cndmask_b32_e64 v6, 0, 1, s[2:3]
	s_and_b64 s[2:3], s[26:27], s[42:43]
	v_cndmask_b32_e64 v7, 0, 1, s[2:3]
	v_cmp_ne_u32_e64 s[2:3], 0, v4
	v_cmp_ne_u32_e64 s[26:27], 0, v5
	s_bcnt1_i32_b64 s2, s[2:3]
	s_bcnt1_i32_b64 s3, s[26:27]
	s_add_u32 s2, s74, s2
	s_addc_u32 s26, s75, 0
	s_add_u32 s74, s2, s3
	s_addc_u32 s75, s26, 0
	s_and_b64 s[2:3], s[18:19], s[50:51]
	v_cmp_ne_u32_e64 s[28:29], 0, v6
	v_cndmask_b32_e64 v6, 0, 1, s[2:3]
	s_and_b64 s[2:3], s[16:17], s[52:53]
	v_cmp_ne_u32_e64 s[30:31], 0, v7
	v_cndmask_b32_e64 v7, 0, 1, s[2:3]
	v_cmp_ne_u32_e64 s[2:3], 0, v6
	v_cmp_ne_u32_e64 s[26:27], 0, v7
	s_bcnt1_i32_b64 s2, s[2:3]
	s_bcnt1_i32_b64 s3, s[26:27]
	s_add_u32 s2, s34, s2
	s_addc_u32 s26, s35, 0
	s_add_u32 s76, s2, s3
	s_addc_u32 s77, s26, 0
	s_and_b64 s[2:3], s[18:19], s[54:55]
	v_cndmask_b32_e64 v8, 0, 1, s[2:3]
	s_and_b64 s[2:3], s[16:17], s[56:57]
	v_cndmask_b32_e64 v9, 0, 1, s[2:3]
	v_cmp_ne_u32_e64 s[2:3], 0, v8
	v_cmp_ne_u32_e64 s[26:27], 0, v9
	s_bcnt1_i32_b64 s2, s[2:3]
	s_bcnt1_i32_b64 s3, s[26:27]
	s_add_u32 s2, s36, s2
	s_addc_u32 s26, s37, 0
	s_add_u32 s90, s2, s3
	s_addc_u32 s91, s26, 0
	s_and_b64 s[2:3], s[18:19], s[22:23]
	v_cndmask_b32_e64 v10, 0, 1, s[2:3]
	s_and_b64 s[2:3], s[16:17], s[20:21]
	v_cndmask_b32_e64 v11, 0, 1, s[2:3]
	v_cmp_ne_u32_e64 s[2:3], 0, v10
	v_cmp_ne_u32_e64 s[16:17], 0, v11
	s_bcnt1_i32_b64 s26, s[28:29]
	s_bcnt1_i32_b64 s27, s[30:31]
	;; [unrolled: 1-line block ×4, first 2 shown]
	s_add_u32 s16, s26, s72
	s_addc_u32 s17, 0, s73
	s_add_u32 s16, s16, s27
	s_addc_u32 s17, s17, 0
	;; [unrolled: 2-line block ×4, first 2 shown]
	v_mov_b64_e32 v[4:5], s[74:75]
	v_mov_b64_e32 v[6:7], s[76:77]
	;; [unrolled: 1-line block ×3, first 2 shown]
	s_or_b64 s[58:59], vcc, s[58:59]
	v_mov_b64_e32 v[10:11], s[72:73]
	s_andn2_b64 exec, exec, s[58:59]
	s_cbranch_execnz .LBB54_91
; %bb.92:                               ;   in Loop: Header=BB54_32 Depth=1
	s_or_b64 exec, exec, s[58:59]
	v_readlane_b32 s90, v65, 61
	v_readlane_b32 s84, v65, 63
	s_mov_b32 s77, s1
	v_readlane_b32 s91, v65, 62
	v_readlane_b32 s85, v64, 0
	;; [unrolled: 1-line block ×4, first 2 shown]
.LBB54_93:                              ;   in Loop: Header=BB54_32 Depth=1
	s_or_b64 exec, exec, s[12:13]
	s_and_b32 s12, s68, 0x7fffffff
	s_mov_b32 s13, s99
	v_lshl_add_u64 v[40:41], s[8:9], 0, v[0:1]
	v_and_b32_e32 v2, 0xffff, v2
	v_cmp_gt_u64_e32 vcc, s[12:13], v[40:41]
	s_and_saveexec_b64 s[8:9], vcc
	s_cbranch_execz .LBB54_97
; %bb.94:                               ;   in Loop: Header=BB54_32 Depth=1
	v_lshl_add_u32 v35, s6, 4, v14
	s_mov_b64 s[6:7], 0
.LBB54_95:                              ;   Parent Loop BB54_32 Depth=1
                                        ; =>  This Inner Loop Header: Depth=2
	ds_read_b32 v36, v35
	v_lshl_add_u64 v[40:41], v[40:41], 0, v[2:3]
	v_cmp_le_u64_e32 vcc, s[12:13], v[40:41]
	v_add_u32_e32 v35, s70, v35
	s_waitcnt lgkmcnt(0)
	v_cmp_lt_i32_e64 s[2:3], -1, v36
	s_nop 1
	v_cndmask_b32_e64 v42, -1, v51, s[2:3]
	v_xor_b32_e32 v42, v42, v36
	v_cmp_o_f32_e64 s[2:3], v36, v36
	s_nop 1
	v_cndmask_b32_e64 v36, -1, v42, s[2:3]
	v_and_b32_e32 v42, v36, v52
	v_bfe_u32 v36, v36, s78, 2
	v_cmp_eq_u32_e64 s[2:3], v42, v50
	v_cmp_eq_u32_e64 s[16:17], 0, v36
	;; [unrolled: 1-line block ×3, first 2 shown]
	s_and_b64 s[16:17], s[2:3], s[16:17]
	v_cmp_eq_u32_e64 s[20:21], 2, v36
	v_cmp_eq_u32_e64 s[22:23], 3, v36
	v_cndmask_b32_e64 v36, 0, 1, s[16:17]
	s_and_b64 s[16:17], s[2:3], s[18:19]
	v_cndmask_b32_e64 v42, 0, 1, s[16:17]
	s_and_b64 s[16:17], s[2:3], s[20:21]
	s_and_b64 s[2:3], s[2:3], s[22:23]
	v_cndmask_b32_e64 v53, 0, 1, s[2:3]
	v_cmp_ne_u32_e64 s[2:3], 0, v36
	v_cndmask_b32_e64 v43, 0, 1, s[16:17]
	v_cmp_ne_u32_e64 s[16:17], 0, v42
	s_bcnt1_i32_b64 s98, s[2:3]
	v_cmp_ne_u32_e64 s[18:19], 0, v43
	v_lshl_add_u64 v[4:5], s[98:99], 0, v[4:5]
	s_bcnt1_i32_b64 s98, s[16:17]
	v_cmp_ne_u32_e64 s[20:21], 0, v53
	v_lshl_add_u64 v[6:7], s[98:99], 0, v[6:7]
	s_bcnt1_i32_b64 s98, s[18:19]
	v_lshl_add_u64 v[8:9], s[98:99], 0, v[8:9]
	s_bcnt1_i32_b64 s98, s[20:21]
	s_or_b64 s[6:7], vcc, s[6:7]
	v_lshl_add_u64 v[10:11], s[98:99], 0, v[10:11]
	s_andn2_b64 exec, exec, s[6:7]
	s_cbranch_execnz .LBB54_95
; %bb.96:                               ;   in Loop: Header=BB54_32 Depth=1
	s_or_b64 exec, exec, s[6:7]
.LBB54_97:                              ;   in Loop: Header=BB54_32 Depth=1
	s_or_b64 exec, exec, s[8:9]
	s_lshl_b32 s6, s0, 6
	s_and_saveexec_b64 s[2:3], s[4:5]
	s_cbranch_execnz .LBB54_68
	s_branch .LBB54_69
.LBB54_98:                              ;   in Loop: Header=BB54_32 Depth=1
                                        ; implicit-def: $sgpr72_sgpr73
	s_branch .LBB54_77
.LBB54_99:                              ;   in Loop: Header=BB54_32 Depth=1
	s_or_b64 exec, exec, s[8:9]
	s_waitcnt lgkmcnt(0)
	s_barrier
	s_mov_b64 s[2:3], exec
	v_readlane_b32 s8, v65, 32
	v_readlane_b32 s9, v65, 33
	s_and_b64 s[8:9], s[2:3], s[8:9]
	s_mov_b64 exec, s[8:9]
	s_cbranch_execz .LBB54_101
; %bb.100:                              ;   in Loop: Header=BB54_32 Depth=1
	ds_read_b32 v4, v3 offset:5136
	s_waitcnt lgkmcnt(0)
	v_ashrrev_i32_e32 v5, 31, v4
	ds_write_b64 v3, v[4:5] offset:5120
.LBB54_101:                             ;   in Loop: Header=BB54_32 Depth=1
	s_or_b64 exec, exec, s[2:3]
	s_waitcnt lgkmcnt(0)
	s_barrier
	s_mov_b64 s[2:3], -1
	s_and_b64 vcc, exec, s[6:7]
	s_cbranch_vccnz .LBB54_48
	s_branch .LBB54_63
.LBB54_102:                             ;   in Loop: Header=BB54_32 Depth=1
	s_mov_b32 s7, 0
	v_mov_b64_e32 v[4:5], 0
.LBB54_103:                             ;   in Loop: Header=BB54_32 Depth=1
	v_readlane_b32 s8, v65, 55
	v_readlane_b32 s9, v65, 56
	s_andn2_b64 vcc, exec, s[8:9]
	s_cbranch_vccnz .LBB54_106
; %bb.104:                              ;   in Loop: Header=BB54_32 Depth=1
	s_lshl_b32 s8, s0, 9
	s_lshl_b32 s7, s7, 5
	s_add_i32 s8, s8, s7
	v_add_u32_e32 v2, s8, v49
	v_readlane_b32 s7, v65, 54
.LBB54_105:                             ;   Parent Loop BB54_32 Depth=1
                                        ; =>  This Inner Loop Header: Depth=2
	ds_read_b64 v[6:7], v2
	s_add_i32 s7, s7, -1
	v_add_u32_e32 v2, 32, v2
	s_cmp_lg_u32 s7, 0
	s_waitcnt lgkmcnt(0)
	v_lshl_add_u64 v[4:5], v[6:7], 0, v[4:5]
	s_cbranch_scc1 .LBB54_105
.LBB54_106:                             ;   in Loop: Header=BB54_32 Depth=1
	v_add_lshl_u32 v2, s6, v44, 3
	ds_write_b64 v2, v[4:5] offset:3072
.LBB54_107:                             ;   in Loop: Header=BB54_32 Depth=1
	s_or_b64 exec, exec, s[2:3]
	s_lshl_b32 s2, s6, 3
	v_mov_b32_e32 v2, s2
	s_waitcnt lgkmcnt(0)
	s_barrier
	ds_read_b128 v[8:11], v2 offset:3088
	ds_read_b128 v[4:7], v2 offset:3072
	s_lshl_b32 s68, 3, s78
	v_cmp_eq_u64_e64 s[2:3], 1, v[38:39]
	s_not_b32 s54, s68
	s_waitcnt lgkmcnt(1)
	v_readfirstlane_b32 s26, v8
	s_waitcnt lgkmcnt(0)
	v_cmp_eq_u64_e32 vcc, 1, v[4:5]
	v_readfirstlane_b32 s27, v9
	v_readfirstlane_b32 s16, v10
	;; [unrolled: 1-line block ×3, first 2 shown]
	s_and_b64 s[20:21], vcc, s[2:3]
	s_mov_b64 s[2:3], -1
	s_mov_b64 s[12:13], -1
                                        ; implicit-def: $sgpr8_sgpr9
                                        ; implicit-def: $sgpr6_sgpr7
	s_and_saveexec_b64 s[18:19], s[20:21]
	s_cbranch_execz .LBB54_141
; %bb.108:                              ;   in Loop: Header=BB54_32 Depth=1
	ds_read_b64 v[8:9], v3 offset:5120
	s_waitcnt lgkmcnt(0)
	s_barrier
	v_readfirstlane_b32 s22, v8
	v_readfirstlane_b32 s23, v9
	s_mov_b64 s[6:7], exec
	v_readlane_b32 s8, v65, 36
	v_readlane_b32 s9, v65, 37
	s_and_b64 s[8:9], s[6:7], s[8:9]
	s_mov_b64 exec, s[8:9]
; %bb.109:                              ;   in Loop: Header=BB54_32 Depth=1
	ds_write_b32 v45, v3
; %bb.110:                              ;   in Loop: Header=BB54_32 Depth=1
	s_or_b64 exec, exec, s[6:7]
	v_cmp_lt_i64_e64 s[12:13], s[22:23], 1
	v_and_b32_e32 v50, s54, v50
	v_or_b32_e32 v52, s68, v52
	s_mov_b64 s[6:7], -1
	s_mov_b64 s[8:9], 0
	s_and_b64 vcc, exec, s[12:13]
	s_mov_b64 s[12:13], 0
	s_mov_b64 s[28:29], -1
	s_waitcnt lgkmcnt(0)
	s_barrier
                                        ; implicit-def: $vgpr37
	s_cbranch_vccz .LBB54_125
; %bb.111:                              ;   in Loop: Header=BB54_32 Depth=1
	s_mov_b32 s76, s99
	s_cmp_lg_u64 s[76:77], 0
	s_cbranch_scc0 .LBB54_168
; %bb.112:                              ;   in Loop: Header=BB54_32 Depth=1
	s_add_u32 s12, s92, 0
	s_addc_u32 s13, 0, 0
	s_xor_b64 s[12:13], s[12:13], 0
	v_cvt_f32_u32_e32 v2, s12
	v_cvt_f32_u32_e32 v8, s13
	s_sub_u32 s30, 0, s12
	s_subb_u32 s31, 0, s13
	v_fmac_f32_e32 v2, 0x4f800000, v8
	v_rcp_f32_e32 v2, v2
	s_nop 0
	v_mul_f32_e32 v2, 0x5f7ffffc, v2
	v_mul_f32_e32 v8, 0x2f800000, v2
	v_trunc_f32_e32 v8, v8
	v_fmac_f32_e32 v2, 0xcf800000, v8
	v_cvt_u32_f32_e32 v8, v8
	v_cvt_u32_f32_e32 v2, v2
	v_readfirstlane_b32 s34, v8
	v_readfirstlane_b32 s28, v2
	s_mul_i32 s29, s30, s34
	s_mul_hi_u32 s36, s30, s28
	s_mul_i32 s35, s31, s28
	s_add_i32 s29, s36, s29
	s_mul_i32 s37, s30, s28
	s_add_i32 s29, s29, s35
	s_mul_i32 s36, s28, s29
	s_mul_hi_u32 s38, s28, s37
	s_mul_hi_u32 s35, s28, s29
	s_add_u32 s36, s38, s36
	s_addc_u32 s35, 0, s35
	s_mul_hi_u32 s39, s34, s37
	s_mul_i32 s37, s34, s37
	s_add_u32 s36, s36, s37
	s_mul_hi_u32 s38, s34, s29
	s_addc_u32 s35, s35, s39
	s_addc_u32 s36, s38, 0
	s_mul_i32 s29, s34, s29
	s_add_u32 s29, s35, s29
	s_addc_u32 s35, 0, s36
	s_add_u32 s36, s28, s29
	s_cselect_b64 s[28:29], -1, 0
	s_cmp_lg_u64 s[28:29], 0
	s_addc_u32 s34, s34, s35
	s_mul_i32 s28, s30, s34
	s_mul_hi_u32 s29, s30, s36
	s_add_i32 s28, s29, s28
	s_mul_i32 s31, s31, s36
	s_add_i32 s28, s28, s31
	s_mul_i32 s30, s30, s36
	s_mul_hi_u32 s31, s34, s30
	s_mul_i32 s35, s34, s30
	s_mul_i32 s38, s36, s28
	s_mul_hi_u32 s30, s36, s30
	s_mul_hi_u32 s37, s36, s28
	s_add_u32 s30, s30, s38
	s_addc_u32 s37, 0, s37
	s_add_u32 s30, s30, s35
	s_mul_hi_u32 s29, s34, s28
	s_addc_u32 s30, s37, s31
	s_addc_u32 s29, s29, 0
	s_mul_i32 s28, s34, s28
	s_add_u32 s28, s30, s28
	s_addc_u32 s30, 0, s29
	s_add_u32 s35, s36, s28
	s_cselect_b64 s[28:29], -1, 0
	s_cmp_lg_u64 s[28:29], 0
	s_addc_u32 s34, s34, s30
	s_ashr_i32 s28, s77, 31
	s_add_u32 s30, s79, s28
	s_mov_b32 s29, s28
	s_addc_u32 s31, s77, s28
	s_xor_b64 s[30:31], s[30:31], s[28:29]
	s_mul_i32 s37, s30, s34
	s_mul_hi_u32 s38, s30, s35
	s_mul_hi_u32 s36, s30, s34
	s_add_u32 s37, s38, s37
	s_addc_u32 s36, 0, s36
	s_mul_hi_u32 s39, s31, s35
	s_mul_i32 s35, s31, s35
	s_add_u32 s35, s37, s35
	s_mul_hi_u32 s38, s31, s34
	s_addc_u32 s35, s36, s39
	s_addc_u32 s36, s38, 0
	s_mul_i32 s34, s31, s34
	s_add_u32 s34, s35, s34
	s_addc_u32 s35, 0, s36
	s_mul_i32 s35, s12, s35
	s_mul_hi_u32 s36, s12, s34
	s_add_i32 s35, s36, s35
	s_mul_i32 s36, s13, s34
	s_add_i32 s38, s35, s36
	s_sub_i32 s36, s31, s38
	s_mul_i32 s34, s12, s34
	s_sub_u32 s30, s30, s34
	s_cselect_b64 s[34:35], -1, 0
	s_cmp_lg_u64 s[34:35], 0
	s_subb_u32 s39, s36, s13
	s_sub_u32 s40, s30, s12
	s_cselect_b64 s[36:37], -1, 0
	s_cmp_lg_u64 s[36:37], 0
	s_subb_u32 s41, s39, 0
	s_cmp_ge_u32 s41, s13
	s_cselect_b32 s42, -1, 0
	s_cmp_ge_u32 s40, s12
	s_cselect_b32 s43, -1, 0
	s_cmp_eq_u32 s41, s13
	s_cselect_b32 s42, s43, s42
	s_cmp_lg_u64 s[36:37], 0
	s_subb_u32 s39, s39, s13
	s_sub_u32 s43, s40, s12
	s_cselect_b64 s[36:37], -1, 0
	s_cmp_lg_u64 s[36:37], 0
	s_subb_u32 s36, s39, 0
	s_cmp_lg_u32 s42, 0
	s_cselect_b32 s37, s43, s40
	s_cselect_b32 s36, s36, s41
	s_cmp_lg_u64 s[34:35], 0
	s_subb_u32 s31, s31, s38
	s_cmp_ge_u32 s31, s13
	s_cselect_b32 s34, -1, 0
	s_cmp_ge_u32 s30, s12
	s_cselect_b32 s12, -1, 0
	s_cmp_eq_u32 s31, s13
	s_cselect_b32 s12, s12, s34
	s_cmp_lg_u32 s12, 0
	s_cselect_b32 s13, s36, s31
	s_cselect_b32 s12, s37, s30
	s_xor_b64 s[12:13], s[12:13], s[28:29]
	s_sub_u32 s12, s12, s28
	s_subb_u32 s13, s13, s28
	s_cbranch_execnz .LBB54_114
.LBB54_113:                             ;   in Loop: Header=BB54_32 Depth=1
	v_cvt_f32_u32_e32 v2, s92
	s_sub_i32 s12, 0, s92
	v_rcp_iflag_f32_e32 v2, v2
	s_nop 0
	v_mul_f32_e32 v2, 0x4f7ffffe, v2
	v_cvt_u32_f32_e32 v2, v2
	s_nop 0
	v_readfirstlane_b32 s13, v2
	s_mul_i32 s12, s12, s13
	s_mul_hi_u32 s12, s13, s12
	s_add_i32 s13, s13, s12
	s_mul_hi_u32 s12, s79, s13
	s_mul_i32 s12, s12, s92
	s_sub_i32 s12, s79, s12
	s_sub_i32 s13, s12, s92
	s_cmp_ge_u32 s12, s92
	s_cselect_b32 s12, s13, s12
	s_sub_i32 s13, s12, s92
	s_cmp_ge_u32 s12, s92
	s_cselect_b32 s98, s13, s12
	s_mov_b64 s[12:13], s[98:99]
.LBB54_114:                             ;   in Loop: Header=BB54_32 Depth=1
	s_sub_u32 s34, s79, s12
	s_subb_u32 s35, s77, s13
	v_cmp_gt_i64_e32 vcc, s[34:35], v[0:1]
	s_mov_b64 s[28:29], 0
	s_mov_b64 s[12:13], 0
                                        ; implicit-def: $vgpr37
	s_and_saveexec_b64 s[30:31], vcc
	s_cbranch_execz .LBB54_124
; %bb.115:                              ;   in Loop: Header=BB54_32 Depth=1
	v_mov_b64_e32 v[8:9], v[12:13]
	v_mov_b64_e32 v[10:11], v[0:1]
                                        ; implicit-def: $sgpr36_sgpr37
	s_branch .LBB54_119
.LBB54_116:                             ;   in Loop: Header=BB54_119 Depth=2
	s_or_b64 exec, exec, s[38:39]
	s_waitcnt lgkmcnt(0)
	s_barrier
	ds_read_b64 v[36:37], v3 offset:3072
	s_waitcnt lgkmcnt(0)
	s_barrier
	v_cmp_neq_f32_e32 vcc, 0, v36
	s_cbranch_vccnz .LBB54_122
; %bb.117:                              ;   in Loop: Header=BB54_119 Depth=2
	v_lshl_add_u64 v[10:11], v[10:11], 0, s[92:93]
	v_cmp_le_i64_e32 vcc, s[34:35], v[10:11]
	v_lshl_add_u64 v[8:9], v[8:9], 0, s[94:95]
	s_mov_b64 s[38:39], 0
	s_orn2_b64 s[40:41], vcc, exec
.LBB54_118:                             ;   in Loop: Header=BB54_119 Depth=2
	s_and_b64 s[40:41], exec, s[40:41]
	s_or_b64 s[12:13], s[40:41], s[12:13]
	s_andn2_b64 s[36:37], s[36:37], exec
	s_and_b64 s[38:39], s[38:39], exec
	s_or_b64 s[36:37], s[36:37], s[38:39]
	s_andn2_b64 exec, exec, s[12:13]
	s_cbranch_execz .LBB54_123
.LBB54_119:                             ;   Parent Loop BB54_32 Depth=1
                                        ; =>  This Inner Loop Header: Depth=2
	v_cmp_gt_i64_e32 vcc, s[60:61], v[10:11]
	s_and_saveexec_b64 s[38:39], vcc
	s_cbranch_execz .LBB54_116
; %bb.120:                              ;   in Loop: Header=BB54_119 Depth=2
	global_load_dword v35, v[8:9], off
	s_waitcnt vmcnt(0)
	v_cmp_lt_i32_e32 vcc, -1, v35
	s_nop 1
	v_cndmask_b32_e32 v2, -1, v51, vcc
	v_xor_b32_e32 v2, v2, v35
	v_cmp_o_f32_e32 vcc, v35, v35
	s_nop 1
	v_cndmask_b32_e32 v2, -1, v2, vcc
	v_and_b32_e32 v2, v2, v52
	v_cmp_eq_u32_e32 vcc, v2, v50
	s_and_b64 exec, exec, vcc
	s_cbranch_execz .LBB54_116
; %bb.121:                              ;   in Loop: Header=BB54_119 Depth=2
	ds_write_b64 v3, v[34:35] offset:3072
	s_branch .LBB54_116
.LBB54_122:                             ;   in Loop: Header=BB54_119 Depth=2
	s_mov_b64 s[40:41], -1
                                        ; implicit-def: $vgpr10_vgpr11
                                        ; implicit-def: $vgpr8_vgpr9
	s_mov_b64 s[38:39], -1
	s_branch .LBB54_118
.LBB54_123:                             ;   in Loop: Header=BB54_32 Depth=1
	s_or_b64 exec, exec, s[12:13]
	s_and_b64 s[12:13], s[36:37], exec
.LBB54_124:                             ;   in Loop: Header=BB54_32 Depth=1
	s_or_b64 exec, exec, s[30:31]
.LBB54_125:                             ;   in Loop: Header=BB54_32 Depth=1
	s_and_b64 vcc, exec, s[28:29]
	s_cbranch_vccz .LBB54_140
; %bb.126:                              ;   in Loop: Header=BB54_32 Depth=1
	v_readlane_b32 s6, v65, 46
	s_add_u32 s30, s22, s6
	v_readlane_b32 s6, v65, 47
	s_addc_u32 s7, s23, s6
	s_mov_b32 s6, s99
	s_cmp_lg_u64 s[6:7], 0
	s_cbranch_scc0 .LBB54_169
; %bb.127:                              ;   in Loop: Header=BB54_32 Depth=1
	s_add_u32 s8, s92, 0
	s_addc_u32 s9, 0, 0
	s_xor_b64 s[8:9], s[8:9], 0
	v_cvt_f32_u32_e32 v2, s8
	v_cvt_f32_u32_e32 v8, s9
	s_sub_u32 s6, 0, s8
	s_subb_u32 s31, 0, s9
	v_fmac_f32_e32 v2, 0x4f800000, v8
	v_rcp_f32_e32 v2, v2
	s_nop 0
	v_mul_f32_e32 v2, 0x5f7ffffc, v2
	v_mul_f32_e32 v8, 0x2f800000, v2
	v_trunc_f32_e32 v8, v8
	v_fmac_f32_e32 v2, 0xcf800000, v8
	v_cvt_u32_f32_e32 v8, v8
	v_cvt_u32_f32_e32 v2, v2
	v_readfirstlane_b32 s34, v8
	v_readfirstlane_b32 s28, v2
	s_mul_i32 s29, s6, s34
	s_mul_hi_u32 s36, s6, s28
	s_mul_i32 s35, s31, s28
	s_add_i32 s29, s36, s29
	s_mul_i32 s37, s6, s28
	s_add_i32 s29, s29, s35
	s_mul_i32 s36, s28, s29
	s_mul_hi_u32 s38, s28, s37
	s_mul_hi_u32 s35, s28, s29
	s_add_u32 s36, s38, s36
	s_addc_u32 s35, 0, s35
	s_mul_hi_u32 s39, s34, s37
	s_mul_i32 s37, s34, s37
	s_add_u32 s36, s36, s37
	s_mul_hi_u32 s38, s34, s29
	s_addc_u32 s35, s35, s39
	s_addc_u32 s36, s38, 0
	s_mul_i32 s29, s34, s29
	s_add_u32 s29, s35, s29
	s_addc_u32 s35, 0, s36
	s_add_u32 s36, s28, s29
	s_cselect_b64 s[28:29], -1, 0
	s_cmp_lg_u64 s[28:29], 0
	s_addc_u32 s34, s34, s35
	s_mul_i32 s28, s6, s34
	s_mul_hi_u32 s29, s6, s36
	s_add_i32 s28, s29, s28
	s_mul_i32 s31, s31, s36
	s_add_i32 s28, s28, s31
	s_mul_i32 s6, s6, s36
	s_mul_hi_u32 s31, s34, s6
	s_mul_i32 s35, s34, s6
	s_mul_i32 s38, s36, s28
	s_mul_hi_u32 s6, s36, s6
	s_mul_hi_u32 s37, s36, s28
	s_add_u32 s6, s6, s38
	s_addc_u32 s37, 0, s37
	s_add_u32 s6, s6, s35
	s_mul_hi_u32 s29, s34, s28
	s_addc_u32 s6, s37, s31
	s_addc_u32 s29, s29, 0
	s_mul_i32 s28, s34, s28
	s_add_u32 s6, s6, s28
	s_addc_u32 s31, 0, s29
	s_add_u32 s6, s36, s6
	s_cselect_b64 s[28:29], -1, 0
	s_cmp_lg_u64 s[28:29], 0
	s_addc_u32 s31, s34, s31
	s_ashr_i32 s28, s7, 31
	s_add_u32 s34, s30, s28
	s_mov_b32 s29, s28
	s_addc_u32 s35, s7, s28
	s_xor_b64 s[34:35], s[34:35], s[28:29]
	s_mul_i32 s37, s34, s31
	s_mul_hi_u32 s38, s34, s6
	s_mul_hi_u32 s36, s34, s31
	s_add_u32 s37, s38, s37
	s_addc_u32 s36, 0, s36
	s_mul_hi_u32 s39, s35, s6
	s_mul_i32 s6, s35, s6
	s_add_u32 s6, s37, s6
	s_mul_hi_u32 s38, s35, s31
	s_addc_u32 s6, s36, s39
	s_addc_u32 s36, s38, 0
	s_mul_i32 s31, s35, s31
	s_add_u32 s6, s6, s31
	s_addc_u32 s31, 0, s36
	s_mul_i32 s31, s8, s31
	s_mul_hi_u32 s36, s8, s6
	s_add_i32 s31, s36, s31
	s_mul_i32 s36, s9, s6
	s_add_i32 s31, s31, s36
	s_sub_i32 s38, s35, s31
	s_mul_i32 s6, s8, s6
	s_sub_u32 s6, s34, s6
	s_cselect_b64 s[36:37], -1, 0
	s_cmp_lg_u64 s[36:37], 0
	s_subb_u32 s34, s38, s9
	s_sub_u32 s40, s6, s8
	s_cselect_b64 s[38:39], -1, 0
	s_cmp_lg_u64 s[38:39], 0
	s_subb_u32 s41, s34, 0
	s_cmp_ge_u32 s41, s9
	s_cselect_b32 s42, -1, 0
	s_cmp_ge_u32 s40, s8
	s_cselect_b32 s43, -1, 0
	s_cmp_eq_u32 s41, s9
	s_cselect_b32 s42, s43, s42
	s_cmp_lg_u64 s[38:39], 0
	s_subb_u32 s34, s34, s9
	s_sub_u32 s43, s40, s8
	s_cselect_b64 s[38:39], -1, 0
	s_cmp_lg_u64 s[38:39], 0
	s_subb_u32 s34, s34, 0
	s_cmp_lg_u32 s42, 0
	s_cselect_b32 s38, s43, s40
	s_cselect_b32 s34, s34, s41
	s_cmp_lg_u64 s[36:37], 0
	s_subb_u32 s31, s35, s31
	s_cmp_ge_u32 s31, s9
	s_cselect_b32 s35, -1, 0
	s_cmp_ge_u32 s6, s8
	s_cselect_b32 s8, -1, 0
	s_cmp_eq_u32 s31, s9
	s_cselect_b32 s8, s8, s35
	s_cmp_lg_u32 s8, 0
	s_cselect_b32 s9, s34, s31
	s_cselect_b32 s8, s38, s6
	s_xor_b64 s[8:9], s[8:9], s[28:29]
	s_sub_u32 s8, s8, s28
	s_subb_u32 s9, s9, s28
	s_cbranch_execnz .LBB54_129
.LBB54_128:                             ;   in Loop: Header=BB54_32 Depth=1
	v_cvt_f32_u32_e32 v2, s92
	s_sub_i32 s6, 0, s92
	v_rcp_iflag_f32_e32 v2, v2
	s_nop 0
	v_mul_f32_e32 v2, 0x4f7ffffe, v2
	v_cvt_u32_f32_e32 v2, v2
	s_nop 0
	v_readfirstlane_b32 s8, v2
	s_mul_i32 s6, s6, s8
	s_mul_hi_u32 s6, s8, s6
	s_add_i32 s8, s8, s6
	s_mul_hi_u32 s6, s30, s8
	s_mul_i32 s6, s6, s92
	s_sub_i32 s6, s30, s6
	s_sub_i32 s8, s6, s92
	s_cmp_ge_u32 s6, s92
	s_cselect_b32 s6, s8, s6
	s_sub_i32 s8, s6, s92
	s_cmp_ge_u32 s6, s92
	s_cselect_b32 s98, s8, s6
	s_mov_b64 s[8:9], s[98:99]
.LBB54_129:                             ;   in Loop: Header=BB54_32 Depth=1
	s_sub_u32 s8, s30, s8
	s_subb_u32 s9, s7, s9
	v_cmp_gt_i64_e32 vcc, s[8:9], v[0:1]
                                        ; implicit-def: $vgpr37
	s_and_saveexec_b64 s[6:7], vcc
	s_cbranch_execz .LBB54_139
; %bb.130:                              ;   in Loop: Header=BB54_32 Depth=1
	s_mov_b64 s[28:29], 0
	v_mov_b32_e32 v2, v14
	v_mov_b64_e32 v[8:9], v[0:1]
                                        ; implicit-def: $sgpr30_sgpr31
	s_branch .LBB54_134
.LBB54_131:                             ;   in Loop: Header=BB54_134 Depth=2
	s_or_b64 exec, exec, s[34:35]
	s_waitcnt lgkmcnt(0)
	s_barrier
	ds_read_b64 v[36:37], v3 offset:3072
	s_waitcnt lgkmcnt(0)
	s_barrier
	v_cmp_neq_f32_e32 vcc, 0, v36
	s_cbranch_vccnz .LBB54_137
; %bb.132:                              ;   in Loop: Header=BB54_134 Depth=2
	v_lshl_add_u64 v[8:9], v[8:9], 0, s[92:93]
	v_cmp_le_i64_e32 vcc, s[8:9], v[8:9]
	v_add_u32_e32 v2, s81, v2
	s_mov_b64 s[34:35], 0
	s_orn2_b64 s[36:37], vcc, exec
.LBB54_133:                             ;   in Loop: Header=BB54_134 Depth=2
	s_and_b64 s[36:37], exec, s[36:37]
	s_or_b64 s[28:29], s[36:37], s[28:29]
	s_andn2_b64 s[30:31], s[30:31], exec
	s_and_b64 s[34:35], s[34:35], exec
	s_or_b64 s[30:31], s[30:31], s[34:35]
	s_andn2_b64 exec, exec, s[28:29]
	s_cbranch_execz .LBB54_138
.LBB54_134:                             ;   Parent Loop BB54_32 Depth=1
                                        ; =>  This Inner Loop Header: Depth=2
	v_cmp_gt_u64_e32 vcc, s[22:23], v[8:9]
	s_and_saveexec_b64 s[34:35], vcc
	s_cbranch_execz .LBB54_131
; %bb.135:                              ;   in Loop: Header=BB54_134 Depth=2
	ds_read_b32 v35, v2
	s_waitcnt lgkmcnt(0)
	v_cmp_lt_i32_e32 vcc, -1, v35
	s_nop 1
	v_cndmask_b32_e32 v10, -1, v51, vcc
	v_xor_b32_e32 v10, v10, v35
	v_cmp_o_f32_e32 vcc, v35, v35
	s_nop 1
	v_cndmask_b32_e32 v10, -1, v10, vcc
	v_and_b32_e32 v10, v10, v52
	v_cmp_eq_u32_e32 vcc, v10, v50
	s_and_b64 exec, exec, vcc
	s_cbranch_execz .LBB54_131
; %bb.136:                              ;   in Loop: Header=BB54_134 Depth=2
	ds_write_b64 v3, v[34:35] offset:3072
	s_branch .LBB54_131
.LBB54_137:                             ;   in Loop: Header=BB54_134 Depth=2
	s_mov_b64 s[36:37], -1
                                        ; implicit-def: $vgpr8_vgpr9
                                        ; implicit-def: $vgpr2
	s_mov_b64 s[34:35], -1
	s_branch .LBB54_133
.LBB54_138:                             ;   in Loop: Header=BB54_32 Depth=1
	s_or_b64 exec, exec, s[28:29]
	s_andn2_b64 s[8:9], s[12:13], exec
	s_and_b64 s[12:13], s[30:31], exec
	s_or_b64 s[12:13], s[8:9], s[12:13]
.LBB54_139:                             ;   in Loop: Header=BB54_32 Depth=1
	s_or_b64 exec, exec, s[6:7]
	s_mov_b64 s[6:7], 0
	s_mov_b64 s[8:9], -1
.LBB54_140:                             ;   in Loop: Header=BB54_32 Depth=1
	s_orn2_b64 s[12:13], s[12:13], exec
.LBB54_141:                             ;   in Loop: Header=BB54_32 Depth=1
	s_or_b64 exec, exec, s[18:19]
	s_andn2_b64 s[18:19], s[24:25], exec
	s_and_b64 s[8:9], s[8:9], exec
	s_or_b64 s[24:25], s[18:19], s[8:9]
	s_andn2_b64 s[8:9], s[14:15], exec
	s_and_b64 s[6:7], s[6:7], exec
	s_andn2_b64 s[82:83], s[82:83], exec
	s_or_b64 s[14:15], s[8:9], s[6:7]
                                        ; implicit-def: $vgpr8_vgpr9
	s_and_saveexec_b64 s[18:19], s[12:13]
	s_cbranch_execz .LBB54_31
; %bb.142:                              ;   in Loop: Header=BB54_32 Depth=1
	s_xor_b64 s[6:7], s[20:21], -1
	v_mov_b32_e32 v2, 1
	s_mov_b64 s[8:9], 0
	v_mov_b64_e32 v[8:9], 1
	s_and_saveexec_b64 s[2:3], s[6:7]
	s_cbranch_execz .LBB54_151
; %bb.143:                              ;   in Loop: Header=BB54_32 Depth=1
	v_cmp_le_i64_e32 vcc, v[38:39], v[4:5]
	s_and_saveexec_b64 s[6:7], vcc
	s_xor_b64 s[6:7], exec, s[6:7]
	s_cbranch_execz .LBB54_148
; %bb.144:                              ;   in Loop: Header=BB54_32 Depth=1
	ds_read_b64 v[8:9], v3 offset:5120
	v_and_b32_e32 v50, s54, v50
	v_or_b32_e32 v52, s68, v52
	s_waitcnt lgkmcnt(0)
	v_cmp_ne_u64_e32 vcc, 0, v[8:9]
	s_cbranch_vccnz .LBB54_148
; %bb.145:                              ;   in Loop: Header=BB54_32 Depth=1
	s_mov_b64 s[8:9], exec
	v_readlane_b32 s12, v65, 32
	v_readlane_b32 s13, v65, 33
	s_and_b64 s[12:13], s[8:9], s[12:13]
	s_mov_b64 exec, s[12:13]
; %bb.146:                              ;   in Loop: Header=BB54_32 Depth=1
	ds_write_b64 v3, v[4:5] offset:5128
; %bb.147:                              ;   in Loop: Header=BB54_32 Depth=1
	s_or_b64 exec, exec, s[8:9]
	s_waitcnt lgkmcnt(0)
	s_barrier
.LBB54_148:                             ;   in Loop: Header=BB54_32 Depth=1
	s_or_saveexec_b64 s[6:7], s[6:7]
	s_mov_b64 s[8:9], 0
	v_mov_b32_e32 v2, 8
	s_xor_b64 exec, exec, s[6:7]
; %bb.149:                              ;   in Loop: Header=BB54_32 Depth=1
	v_sub_co_u32_e32 v38, vcc, v38, v4
	s_mov_b64 s[8:9], exec
	s_nop 0
	v_subb_co_u32_e32 v39, vcc, v39, v5, vcc
	v_mov_b32_e32 v2, 0
; %bb.150:                              ;   in Loop: Header=BB54_32 Depth=1
	s_or_b64 exec, exec, s[6:7]
	s_and_b64 s[8:9], s[8:9], exec
	v_mov_b64_e32 v[8:9], v[38:39]
.LBB54_151:                             ;   in Loop: Header=BB54_32 Depth=1
	s_or_b64 exec, exec, s[2:3]
	s_mov_b64 s[20:21], -1
	s_mov_b64 s[6:7], -1
                                        ; implicit-def: $sgpr2_sgpr3
                                        ; implicit-def: $sgpr28_sgpr29
	s_and_saveexec_b64 s[12:13], s[8:9]
	s_xor_b64 s[22:23], exec, s[12:13]
	s_cbranch_execz .LBB54_299
; %bb.152:                              ;   in Loop: Header=BB54_32 Depth=1
	v_cmp_eq_u64_e32 vcc, 1, v[6:7]
	v_cmp_eq_u64_e64 s[2:3], 1, v[8:9]
	s_and_b64 s[34:35], vcc, s[2:3]
                                        ; implicit-def: $sgpr28_sgpr29
                                        ; implicit-def: $sgpr2_sgpr3
	s_and_saveexec_b64 s[30:31], s[34:35]
	s_cbranch_execz .LBB54_188
; %bb.153:                              ;   in Loop: Header=BB54_32 Depth=1
	ds_read_b64 v[4:5], v3 offset:5120
	s_waitcnt lgkmcnt(0)
	s_barrier
	v_readfirstlane_b32 s36, v4
	v_readfirstlane_b32 s37, v5
	s_mov_b64 s[2:3], exec
	v_readlane_b32 s6, v65, 36
	v_readlane_b32 s7, v65, 37
	s_and_b64 s[6:7], s[2:3], s[6:7]
	s_mov_b64 exec, s[6:7]
; %bb.154:                              ;   in Loop: Header=BB54_32 Depth=1
	ds_write_b32 v45, v3
; %bb.155:                              ;   in Loop: Header=BB54_32 Depth=1
	s_or_b64 exec, exec, s[2:3]
	v_and_b32_e32 v4, s54, v50
	v_cmp_gt_i64_e64 s[6:7], s[36:37], 0
	v_lshl_or_b32 v50, 1, s78, v4
	v_or_b32_e32 v52, s68, v52
	s_mov_b64 s[2:3], -1
	s_mov_b64 s[28:29], 0
	s_and_b64 vcc, exec, s[6:7]
	s_mov_b64 s[6:7], 0
	s_mov_b64 s[8:9], -1
	s_waitcnt lgkmcnt(0)
	s_barrier
                                        ; implicit-def: $vgpr37
	s_cbranch_vccnz .LBB54_172
; %bb.156:                              ;   in Loop: Header=BB54_32 Depth=1
	s_mov_b32 s76, s99
	s_cmp_lg_u64 s[76:77], 0
	s_cbranch_scc0 .LBB54_216
; %bb.157:                              ;   in Loop: Header=BB54_32 Depth=1
	s_add_u32 s6, s92, 0
	s_addc_u32 s7, 0, 0
	s_xor_b64 s[6:7], s[6:7], 0
	v_cvt_f32_u32_e32 v4, s6
	v_cvt_f32_u32_e32 v5, s7
	s_sub_u32 s12, 0, s6
	s_subb_u32 s13, 0, s7
	v_fmac_f32_e32 v4, 0x4f800000, v5
	v_rcp_f32_e32 v4, v4
	s_nop 0
	v_mul_f32_e32 v4, 0x5f7ffffc, v4
	v_mul_f32_e32 v5, 0x2f800000, v4
	v_trunc_f32_e32 v5, v5
	v_fmac_f32_e32 v4, 0xcf800000, v5
	v_cvt_u32_f32_e32 v5, v5
	v_cvt_u32_f32_e32 v4, v4
	v_readfirstlane_b32 s38, v5
	v_readfirstlane_b32 s8, v4
	s_mul_i32 s9, s12, s38
	s_mul_hi_u32 s40, s12, s8
	s_mul_i32 s39, s13, s8
	s_add_i32 s9, s40, s9
	s_mul_i32 s41, s12, s8
	s_add_i32 s9, s9, s39
	s_mul_i32 s40, s8, s9
	s_mul_hi_u32 s42, s8, s41
	s_mul_hi_u32 s39, s8, s9
	s_add_u32 s40, s42, s40
	s_addc_u32 s39, 0, s39
	s_mul_hi_u32 s43, s38, s41
	s_mul_i32 s41, s38, s41
	s_add_u32 s40, s40, s41
	s_mul_hi_u32 s42, s38, s9
	s_addc_u32 s39, s39, s43
	s_addc_u32 s40, s42, 0
	s_mul_i32 s9, s38, s9
	s_add_u32 s9, s39, s9
	s_addc_u32 s39, 0, s40
	s_add_u32 s40, s8, s9
	s_cselect_b64 s[8:9], -1, 0
	s_cmp_lg_u64 s[8:9], 0
	s_addc_u32 s38, s38, s39
	s_mul_i32 s8, s12, s38
	s_mul_hi_u32 s9, s12, s40
	s_add_i32 s8, s9, s8
	s_mul_i32 s13, s13, s40
	s_add_i32 s8, s8, s13
	s_mul_i32 s12, s12, s40
	s_mul_hi_u32 s13, s38, s12
	s_mul_i32 s39, s38, s12
	s_mul_i32 s42, s40, s8
	s_mul_hi_u32 s12, s40, s12
	s_mul_hi_u32 s41, s40, s8
	s_add_u32 s12, s12, s42
	s_addc_u32 s41, 0, s41
	s_add_u32 s12, s12, s39
	s_mul_hi_u32 s9, s38, s8
	s_addc_u32 s12, s41, s13
	s_addc_u32 s9, s9, 0
	s_mul_i32 s8, s38, s8
	s_add_u32 s8, s12, s8
	s_addc_u32 s12, 0, s9
	s_add_u32 s39, s40, s8
	s_cselect_b64 s[8:9], -1, 0
	s_cmp_lg_u64 s[8:9], 0
	s_addc_u32 s38, s38, s12
	s_ashr_i32 s8, s77, 31
	s_add_u32 s12, s79, s8
	s_mov_b32 s9, s8
	s_addc_u32 s13, s77, s8
	s_xor_b64 s[12:13], s[12:13], s[8:9]
	s_mul_i32 s41, s12, s38
	s_mul_hi_u32 s42, s12, s39
	s_mul_hi_u32 s40, s12, s38
	s_add_u32 s41, s42, s41
	s_addc_u32 s40, 0, s40
	s_mul_hi_u32 s43, s13, s39
	s_mul_i32 s39, s13, s39
	s_add_u32 s39, s41, s39
	s_mul_hi_u32 s42, s13, s38
	s_addc_u32 s39, s40, s43
	s_addc_u32 s40, s42, 0
	s_mul_i32 s38, s13, s38
	s_add_u32 s38, s39, s38
	s_addc_u32 s39, 0, s40
	s_mul_i32 s39, s6, s39
	s_mul_hi_u32 s40, s6, s38
	s_add_i32 s39, s40, s39
	s_mul_i32 s40, s7, s38
	s_add_i32 s42, s39, s40
	s_sub_i32 s40, s13, s42
	s_mul_i32 s38, s6, s38
	s_sub_u32 s12, s12, s38
	s_cselect_b64 s[38:39], -1, 0
	s_cmp_lg_u64 s[38:39], 0
	s_subb_u32 s43, s40, s7
	s_sub_u32 s44, s12, s6
	s_cselect_b64 s[40:41], -1, 0
	s_cmp_lg_u64 s[40:41], 0
	s_subb_u32 s45, s43, 0
	s_cmp_ge_u32 s45, s7
	s_cselect_b32 s46, -1, 0
	s_cmp_ge_u32 s44, s6
	s_cselect_b32 s47, -1, 0
	s_cmp_eq_u32 s45, s7
	s_cselect_b32 s46, s47, s46
	s_cmp_lg_u64 s[40:41], 0
	s_subb_u32 s43, s43, s7
	s_sub_u32 s47, s44, s6
	s_cselect_b64 s[40:41], -1, 0
	s_cmp_lg_u64 s[40:41], 0
	s_subb_u32 s40, s43, 0
	s_cmp_lg_u32 s46, 0
	s_cselect_b32 s41, s47, s44
	s_cselect_b32 s40, s40, s45
	s_cmp_lg_u64 s[38:39], 0
	s_subb_u32 s13, s13, s42
	s_cmp_ge_u32 s13, s7
	s_cselect_b32 s38, -1, 0
	s_cmp_ge_u32 s12, s6
	s_cselect_b32 s6, -1, 0
	s_cmp_eq_u32 s13, s7
	s_cselect_b32 s6, s6, s38
	s_cmp_lg_u32 s6, 0
	s_cselect_b32 s7, s40, s13
	s_cselect_b32 s6, s41, s12
	s_xor_b64 s[6:7], s[6:7], s[8:9]
	s_sub_u32 s6, s6, s8
	s_subb_u32 s7, s7, s8
	s_cbranch_execnz .LBB54_159
.LBB54_158:                             ;   in Loop: Header=BB54_32 Depth=1
	v_cvt_f32_u32_e32 v4, s92
	s_sub_i32 s6, 0, s92
	v_rcp_iflag_f32_e32 v4, v4
	s_nop 0
	v_mul_f32_e32 v4, 0x4f7ffffe, v4
	v_cvt_u32_f32_e32 v4, v4
	s_nop 0
	v_readfirstlane_b32 s7, v4
	s_mul_i32 s6, s6, s7
	s_mul_hi_u32 s6, s7, s6
	s_add_i32 s7, s7, s6
	s_mul_hi_u32 s6, s79, s7
	s_mul_i32 s6, s6, s92
	s_sub_i32 s6, s79, s6
	s_sub_i32 s7, s6, s92
	s_cmp_ge_u32 s6, s92
	s_cselect_b32 s6, s7, s6
	s_sub_i32 s7, s6, s92
	s_cmp_ge_u32 s6, s92
	s_cselect_b32 s98, s7, s6
	s_mov_b64 s[6:7], s[98:99]
.LBB54_159:                             ;   in Loop: Header=BB54_32 Depth=1
	s_sub_u32 s38, s79, s6
	s_subb_u32 s39, s77, s7
	v_cmp_gt_i64_e32 vcc, s[38:39], v[0:1]
	s_mov_b64 s[8:9], 0
	s_mov_b64 s[6:7], 0
                                        ; implicit-def: $vgpr37
	s_and_saveexec_b64 s[12:13], vcc
	s_cbranch_execz .LBB54_171
; %bb.160:                              ;   in Loop: Header=BB54_32 Depth=1
	v_mov_b64_e32 v[4:5], v[12:13]
	v_mov_b64_e32 v[10:11], v[0:1]
                                        ; implicit-def: $sgpr40_sgpr41
	s_branch .LBB54_164
.LBB54_161:                             ;   in Loop: Header=BB54_164 Depth=2
	s_or_b64 exec, exec, s[42:43]
	s_waitcnt lgkmcnt(0)
	s_barrier
	ds_read_b64 v[36:37], v3 offset:3072
	s_waitcnt lgkmcnt(0)
	s_barrier
	v_cmp_neq_f32_e32 vcc, 0, v36
	s_cbranch_vccnz .LBB54_167
; %bb.162:                              ;   in Loop: Header=BB54_164 Depth=2
	v_lshl_add_u64 v[10:11], v[10:11], 0, s[92:93]
	v_cmp_le_i64_e32 vcc, s[38:39], v[10:11]
	v_lshl_add_u64 v[4:5], v[4:5], 0, s[94:95]
	s_mov_b64 s[42:43], 0
	s_orn2_b64 s[44:45], vcc, exec
.LBB54_163:                             ;   in Loop: Header=BB54_164 Depth=2
	s_and_b64 s[44:45], exec, s[44:45]
	s_or_b64 s[6:7], s[44:45], s[6:7]
	s_andn2_b64 s[40:41], s[40:41], exec
	s_and_b64 s[42:43], s[42:43], exec
	s_or_b64 s[40:41], s[40:41], s[42:43]
	s_andn2_b64 exec, exec, s[6:7]
	s_cbranch_execz .LBB54_170
.LBB54_164:                             ;   Parent Loop BB54_32 Depth=1
                                        ; =>  This Inner Loop Header: Depth=2
	v_cmp_gt_i64_e32 vcc, s[60:61], v[10:11]
	s_and_saveexec_b64 s[42:43], vcc
	s_cbranch_execz .LBB54_161
; %bb.165:                              ;   in Loop: Header=BB54_164 Depth=2
	global_load_dword v35, v[4:5], off
	s_waitcnt vmcnt(0)
	v_cmp_lt_i32_e32 vcc, -1, v35
	s_nop 1
	v_cndmask_b32_e32 v36, -1, v51, vcc
	v_xor_b32_e32 v36, v36, v35
	v_cmp_o_f32_e32 vcc, v35, v35
	s_nop 1
	v_cndmask_b32_e32 v36, -1, v36, vcc
	v_and_b32_e32 v36, v36, v52
	v_cmp_eq_u32_e32 vcc, v36, v50
	s_and_b64 exec, exec, vcc
	s_cbranch_execz .LBB54_161
; %bb.166:                              ;   in Loop: Header=BB54_164 Depth=2
	ds_write_b64 v3, v[34:35] offset:3072
	s_branch .LBB54_161
.LBB54_167:                             ;   in Loop: Header=BB54_164 Depth=2
	s_mov_b64 s[44:45], -1
                                        ; implicit-def: $vgpr10_vgpr11
                                        ; implicit-def: $vgpr4_vgpr5
	s_mov_b64 s[42:43], -1
	s_branch .LBB54_163
.LBB54_168:                             ;   in Loop: Header=BB54_32 Depth=1
                                        ; implicit-def: $sgpr12_sgpr13
	s_andn2_b64 vcc, exec, s[28:29]
	s_cbranch_vccz .LBB54_113
	s_branch .LBB54_114
.LBB54_169:                             ;   in Loop: Header=BB54_32 Depth=1
                                        ; implicit-def: $sgpr8_sgpr9
	s_branch .LBB54_128
.LBB54_170:                             ;   in Loop: Header=BB54_32 Depth=1
	s_or_b64 exec, exec, s[6:7]
	s_and_b64 s[6:7], s[40:41], exec
.LBB54_171:                             ;   in Loop: Header=BB54_32 Depth=1
	s_or_b64 exec, exec, s[12:13]
.LBB54_172:                             ;   in Loop: Header=BB54_32 Depth=1
	s_and_b64 vcc, exec, s[8:9]
	s_cbranch_vccz .LBB54_187
; %bb.173:                              ;   in Loop: Header=BB54_32 Depth=1
	v_readlane_b32 s2, v65, 46
	s_add_u32 s28, s36, s2
	v_readlane_b32 s2, v65, 47
	s_addc_u32 s3, s37, s2
	s_mov_b32 s2, s99
	s_cmp_lg_u64 s[2:3], 0
	s_cbranch_scc0 .LBB54_217
; %bb.174:                              ;   in Loop: Header=BB54_32 Depth=1
	s_add_u32 s8, s92, 0
	s_addc_u32 s9, 0, 0
	s_xor_b64 s[8:9], s[8:9], 0
	v_cvt_f32_u32_e32 v4, s8
	v_cvt_f32_u32_e32 v5, s9
	s_sub_u32 s2, 0, s8
	s_subb_u32 s29, 0, s9
	v_fmac_f32_e32 v4, 0x4f800000, v5
	v_rcp_f32_e32 v4, v4
	s_nop 0
	v_mul_f32_e32 v4, 0x5f7ffffc, v4
	v_mul_f32_e32 v5, 0x2f800000, v4
	v_trunc_f32_e32 v5, v5
	v_fmac_f32_e32 v4, 0xcf800000, v5
	v_cvt_u32_f32_e32 v5, v5
	v_cvt_u32_f32_e32 v4, v4
	v_readfirstlane_b32 s38, v5
	v_readfirstlane_b32 s12, v4
	s_mul_i32 s13, s2, s38
	s_mul_hi_u32 s40, s2, s12
	s_mul_i32 s39, s29, s12
	s_add_i32 s13, s40, s13
	s_mul_i32 s41, s2, s12
	s_add_i32 s13, s13, s39
	s_mul_i32 s40, s12, s13
	s_mul_hi_u32 s42, s12, s41
	s_mul_hi_u32 s39, s12, s13
	s_add_u32 s40, s42, s40
	s_addc_u32 s39, 0, s39
	s_mul_hi_u32 s43, s38, s41
	s_mul_i32 s41, s38, s41
	s_add_u32 s40, s40, s41
	s_mul_hi_u32 s42, s38, s13
	s_addc_u32 s39, s39, s43
	s_addc_u32 s40, s42, 0
	s_mul_i32 s13, s38, s13
	s_add_u32 s13, s39, s13
	s_addc_u32 s39, 0, s40
	s_add_u32 s40, s12, s13
	s_cselect_b64 s[12:13], -1, 0
	s_cmp_lg_u64 s[12:13], 0
	s_addc_u32 s38, s38, s39
	s_mul_i32 s12, s2, s38
	s_mul_hi_u32 s13, s2, s40
	s_add_i32 s12, s13, s12
	s_mul_i32 s29, s29, s40
	s_add_i32 s12, s12, s29
	s_mul_i32 s2, s2, s40
	s_mul_hi_u32 s29, s38, s2
	s_mul_i32 s39, s38, s2
	s_mul_i32 s42, s40, s12
	s_mul_hi_u32 s2, s40, s2
	s_mul_hi_u32 s41, s40, s12
	s_add_u32 s2, s2, s42
	s_addc_u32 s41, 0, s41
	s_add_u32 s2, s2, s39
	s_mul_hi_u32 s13, s38, s12
	s_addc_u32 s2, s41, s29
	s_addc_u32 s13, s13, 0
	s_mul_i32 s12, s38, s12
	s_add_u32 s2, s2, s12
	s_addc_u32 s29, 0, s13
	s_add_u32 s2, s40, s2
	s_cselect_b64 s[12:13], -1, 0
	s_cmp_lg_u64 s[12:13], 0
	s_addc_u32 s29, s38, s29
	s_ashr_i32 s12, s3, 31
	s_add_u32 s38, s28, s12
	s_mov_b32 s13, s12
	s_addc_u32 s39, s3, s12
	s_xor_b64 s[38:39], s[38:39], s[12:13]
	s_mul_i32 s41, s38, s29
	s_mul_hi_u32 s42, s38, s2
	s_mul_hi_u32 s40, s38, s29
	s_add_u32 s41, s42, s41
	s_addc_u32 s40, 0, s40
	s_mul_hi_u32 s43, s39, s2
	s_mul_i32 s2, s39, s2
	s_add_u32 s2, s41, s2
	s_mul_hi_u32 s42, s39, s29
	s_addc_u32 s2, s40, s43
	s_addc_u32 s40, s42, 0
	s_mul_i32 s29, s39, s29
	s_add_u32 s2, s2, s29
	s_addc_u32 s29, 0, s40
	s_mul_i32 s29, s8, s29
	s_mul_hi_u32 s40, s8, s2
	s_add_i32 s29, s40, s29
	s_mul_i32 s40, s9, s2
	s_add_i32 s29, s29, s40
	s_sub_i32 s42, s39, s29
	s_mul_i32 s2, s8, s2
	s_sub_u32 s2, s38, s2
	s_cselect_b64 s[40:41], -1, 0
	s_cmp_lg_u64 s[40:41], 0
	s_subb_u32 s38, s42, s9
	s_sub_u32 s44, s2, s8
	s_cselect_b64 s[42:43], -1, 0
	s_cmp_lg_u64 s[42:43], 0
	s_subb_u32 s45, s38, 0
	s_cmp_ge_u32 s45, s9
	s_cselect_b32 s46, -1, 0
	s_cmp_ge_u32 s44, s8
	s_cselect_b32 s47, -1, 0
	s_cmp_eq_u32 s45, s9
	s_cselect_b32 s46, s47, s46
	s_cmp_lg_u64 s[42:43], 0
	s_subb_u32 s38, s38, s9
	s_sub_u32 s47, s44, s8
	s_cselect_b64 s[42:43], -1, 0
	s_cmp_lg_u64 s[42:43], 0
	s_subb_u32 s38, s38, 0
	s_cmp_lg_u32 s46, 0
	s_cselect_b32 s42, s47, s44
	s_cselect_b32 s38, s38, s45
	s_cmp_lg_u64 s[40:41], 0
	s_subb_u32 s29, s39, s29
	s_cmp_ge_u32 s29, s9
	s_cselect_b32 s39, -1, 0
	s_cmp_ge_u32 s2, s8
	s_cselect_b32 s8, -1, 0
	s_cmp_eq_u32 s29, s9
	s_cselect_b32 s8, s8, s39
	s_cmp_lg_u32 s8, 0
	s_cselect_b32 s9, s38, s29
	s_cselect_b32 s8, s42, s2
	s_xor_b64 s[8:9], s[8:9], s[12:13]
	s_sub_u32 s8, s8, s12
	s_subb_u32 s9, s9, s12
	s_cbranch_execnz .LBB54_176
.LBB54_175:                             ;   in Loop: Header=BB54_32 Depth=1
	v_cvt_f32_u32_e32 v4, s92
	s_sub_i32 s2, 0, s92
	v_rcp_iflag_f32_e32 v4, v4
	s_nop 0
	v_mul_f32_e32 v4, 0x4f7ffffe, v4
	v_cvt_u32_f32_e32 v4, v4
	s_nop 0
	v_readfirstlane_b32 s8, v4
	s_mul_i32 s2, s2, s8
	s_mul_hi_u32 s2, s8, s2
	s_add_i32 s8, s8, s2
	s_mul_hi_u32 s2, s28, s8
	s_mul_i32 s2, s2, s92
	s_sub_i32 s2, s28, s2
	s_sub_i32 s8, s2, s92
	s_cmp_ge_u32 s2, s92
	s_cselect_b32 s2, s8, s2
	s_sub_i32 s8, s2, s92
	s_cmp_ge_u32 s2, s92
	s_cselect_b32 s98, s8, s2
	s_mov_b64 s[8:9], s[98:99]
.LBB54_176:                             ;   in Loop: Header=BB54_32 Depth=1
	s_sub_u32 s8, s28, s8
	s_subb_u32 s9, s3, s9
	v_cmp_gt_i64_e32 vcc, s[8:9], v[0:1]
                                        ; implicit-def: $vgpr37
	s_and_saveexec_b64 s[2:3], vcc
	s_cbranch_execz .LBB54_186
; %bb.177:                              ;   in Loop: Header=BB54_32 Depth=1
	s_mov_b64 s[12:13], 0
	v_mov_b32_e32 v10, v14
	v_mov_b64_e32 v[4:5], v[0:1]
                                        ; implicit-def: $sgpr28_sgpr29
	s_branch .LBB54_181
.LBB54_178:                             ;   in Loop: Header=BB54_181 Depth=2
	s_or_b64 exec, exec, s[38:39]
	s_waitcnt lgkmcnt(0)
	s_barrier
	ds_read_b64 v[36:37], v3 offset:3072
	s_waitcnt lgkmcnt(0)
	s_barrier
	v_cmp_eq_f32_e32 vcc, 0, v36
	s_cbranch_vccz .LBB54_184
; %bb.179:                              ;   in Loop: Header=BB54_181 Depth=2
	v_lshl_add_u64 v[4:5], v[4:5], 0, s[92:93]
	v_cmp_le_i64_e32 vcc, s[8:9], v[4:5]
	v_add_u32_e32 v10, s81, v10
	s_mov_b64 s[38:39], 0
	s_orn2_b64 s[40:41], vcc, exec
.LBB54_180:                             ;   in Loop: Header=BB54_181 Depth=2
	s_and_b64 s[40:41], exec, s[40:41]
	s_or_b64 s[12:13], s[40:41], s[12:13]
	s_andn2_b64 s[28:29], s[28:29], exec
	s_and_b64 s[38:39], s[38:39], exec
	s_or_b64 s[28:29], s[28:29], s[38:39]
	s_andn2_b64 exec, exec, s[12:13]
	s_cbranch_execz .LBB54_185
.LBB54_181:                             ;   Parent Loop BB54_32 Depth=1
                                        ; =>  This Inner Loop Header: Depth=2
	v_cmp_gt_u64_e32 vcc, s[36:37], v[4:5]
	s_and_saveexec_b64 s[38:39], vcc
	s_cbranch_execz .LBB54_178
; %bb.182:                              ;   in Loop: Header=BB54_181 Depth=2
	ds_read_b32 v35, v10
	s_waitcnt lgkmcnt(0)
	v_cmp_lt_i32_e32 vcc, -1, v35
	s_nop 1
	v_cndmask_b32_e32 v11, -1, v51, vcc
	v_xor_b32_e32 v11, v11, v35
	v_cmp_o_f32_e32 vcc, v35, v35
	s_nop 1
	v_cndmask_b32_e32 v11, -1, v11, vcc
	v_and_b32_e32 v11, v11, v52
	v_cmp_eq_u32_e32 vcc, v11, v50
	s_and_b64 exec, exec, vcc
	s_cbranch_execz .LBB54_178
; %bb.183:                              ;   in Loop: Header=BB54_181 Depth=2
	ds_write_b64 v3, v[34:35] offset:3072
	s_branch .LBB54_178
.LBB54_184:                             ;   in Loop: Header=BB54_181 Depth=2
	s_mov_b64 s[40:41], -1
                                        ; implicit-def: $vgpr4_vgpr5
                                        ; implicit-def: $vgpr10
	s_mov_b64 s[38:39], -1
	s_branch .LBB54_180
.LBB54_185:                             ;   in Loop: Header=BB54_32 Depth=1
	s_or_b64 exec, exec, s[12:13]
	s_andn2_b64 s[6:7], s[6:7], exec
	s_and_b64 s[8:9], s[28:29], exec
	s_or_b64 s[6:7], s[6:7], s[8:9]
.LBB54_186:                             ;   in Loop: Header=BB54_32 Depth=1
	s_or_b64 exec, exec, s[2:3]
	s_mov_b64 s[2:3], 0
	s_mov_b64 s[28:29], -1
.LBB54_187:                             ;   in Loop: Header=BB54_32 Depth=1
	s_orn2_b64 s[6:7], s[6:7], exec
.LBB54_188:                             ;   in Loop: Header=BB54_32 Depth=1
	s_or_b64 exec, exec, s[30:31]
	s_mov_b64 s[8:9], 0
	s_and_saveexec_b64 s[30:31], s[6:7]
	s_cbranch_execz .LBB54_298
; %bb.189:                              ;   in Loop: Header=BB54_32 Depth=1
	s_xor_b64 s[12:13], s[34:35], -1
	v_mov_b32_e32 v2, 1
	v_mov_b64_e32 v[4:5], 1
	s_and_saveexec_b64 s[6:7], s[12:13]
	s_cbranch_execz .LBB54_199
; %bb.190:                              ;   in Loop: Header=BB54_32 Depth=1
	v_cmp_le_i64_e32 vcc, v[8:9], v[6:7]
	s_and_saveexec_b64 s[8:9], vcc
	s_xor_b64 s[8:9], exec, s[8:9]
	s_cbranch_execz .LBB54_196
; %bb.191:                              ;   in Loop: Header=BB54_32 Depth=1
	ds_read_b64 v[4:5], v3 offset:5120
	v_and_b32_e32 v2, s54, v50
	v_lshl_or_b32 v50, 1, s78, v2
	v_or_b32_e32 v52, s68, v52
	s_waitcnt lgkmcnt(0)
	v_cmp_ne_u64_e32 vcc, 0, v[4:5]
	s_cbranch_vccnz .LBB54_195
; %bb.192:                              ;   in Loop: Header=BB54_32 Depth=1
	s_mov_b64 s[12:13], exec
	v_readlane_b32 s34, v65, 32
	v_readlane_b32 s35, v65, 33
	s_and_b64 s[34:35], s[12:13], s[34:35]
	s_mov_b64 exec, s[34:35]
; %bb.193:                              ;   in Loop: Header=BB54_32 Depth=1
	ds_write_b64 v3, v[6:7] offset:5128
; %bb.194:                              ;   in Loop: Header=BB54_32 Depth=1
	s_or_b64 exec, exec, s[12:13]
	s_waitcnt lgkmcnt(0)
	s_barrier
.LBB54_195:                             ;   in Loop: Header=BB54_32 Depth=1
                                        ; implicit-def: $vgpr4_vgpr5_vgpr6_vgpr7
.LBB54_196:                             ;   in Loop: Header=BB54_32 Depth=1
	s_or_saveexec_b64 s[8:9], s[8:9]
	s_mov_b64 s[12:13], 0
	v_mov_b32_e32 v2, 8
	s_xor_b64 exec, exec, s[8:9]
; %bb.197:                              ;   in Loop: Header=BB54_32 Depth=1
	v_sub_co_u32_e32 v8, vcc, v8, v6
	s_mov_b64 s[12:13], exec
	s_nop 0
	v_subb_co_u32_e32 v9, vcc, v9, v7, vcc
	v_mov_b32_e32 v2, 0
; %bb.198:                              ;   in Loop: Header=BB54_32 Depth=1
	s_or_b64 exec, exec, s[8:9]
	s_and_b64 s[8:9], s[12:13], exec
	v_mov_b64_e32 v[4:5], v[8:9]
.LBB54_199:                             ;   in Loop: Header=BB54_32 Depth=1
	s_or_b64 exec, exec, s[6:7]
	s_mov_b64 s[6:7], -1
                                        ; implicit-def: $sgpr36_sgpr37
                                        ; implicit-def: $sgpr38_sgpr39
	s_and_saveexec_b64 s[34:35], s[8:9]
	s_cbranch_execz .LBB54_297
; %bb.200:                              ;   in Loop: Header=BB54_32 Depth=1
	s_cmp_eq_u64 s[26:27], 1
	s_cselect_b64 s[6:7], -1, 0
	v_cmp_eq_u64_e32 vcc, 1, v[4:5]
	s_and_b64 s[42:43], s[6:7], vcc
	s_mov_b64 s[6:7], -1
                                        ; implicit-def: $sgpr38_sgpr39
                                        ; implicit-def: $sgpr36_sgpr37
	s_and_saveexec_b64 s[40:41], s[42:43]
	s_cbranch_execz .LBB54_236
; %bb.201:                              ;   in Loop: Header=BB54_32 Depth=1
	ds_read_b64 v[6:7], v3 offset:5120
	s_waitcnt lgkmcnt(0)
	s_barrier
	v_readfirstlane_b32 s44, v6
	v_readfirstlane_b32 s45, v7
	s_mov_b64 s[6:7], exec
	v_readlane_b32 s8, v65, 36
	v_readlane_b32 s9, v65, 37
	s_and_b64 s[8:9], s[6:7], s[8:9]
	s_mov_b64 exec, s[8:9]
; %bb.202:                              ;   in Loop: Header=BB54_32 Depth=1
	ds_write_b32 v45, v3
; %bb.203:                              ;   in Loop: Header=BB54_32 Depth=1
	s_or_b64 exec, exec, s[6:7]
	v_and_b32_e32 v6, s54, v50
	v_cmp_gt_i64_e64 s[6:7], s[44:45], 0
	v_lshl_or_b32 v50, 2, s78, v6
	v_or_b32_e32 v52, s68, v52
	s_mov_b64 s[36:37], -1
	s_mov_b64 s[38:39], 0
	s_and_b64 vcc, exec, s[6:7]
	s_mov_b64 s[6:7], 0
	s_mov_b64 s[8:9], -1
	s_waitcnt lgkmcnt(0)
	s_barrier
                                        ; implicit-def: $vgpr37
	s_cbranch_vccnz .LBB54_220
; %bb.204:                              ;   in Loop: Header=BB54_32 Depth=1
	s_mov_b32 s76, s99
	s_cmp_lg_u64 s[76:77], 0
	s_cbranch_scc0 .LBB54_263
; %bb.205:                              ;   in Loop: Header=BB54_32 Depth=1
	s_add_u32 s6, s92, 0
	s_addc_u32 s7, 0, 0
	s_xor_b64 s[6:7], s[6:7], 0
	v_cvt_f32_u32_e32 v6, s6
	v_cvt_f32_u32_e32 v7, s7
	s_sub_u32 s12, 0, s6
	s_subb_u32 s13, 0, s7
	v_fmac_f32_e32 v6, 0x4f800000, v7
	v_rcp_f32_e32 v6, v6
	s_nop 0
	v_mul_f32_e32 v6, 0x5f7ffffc, v6
	v_mul_f32_e32 v7, 0x2f800000, v6
	v_trunc_f32_e32 v7, v7
	v_fmac_f32_e32 v6, 0xcf800000, v7
	v_cvt_u32_f32_e32 v7, v7
	v_cvt_u32_f32_e32 v6, v6
	v_readfirstlane_b32 s46, v7
	v_readfirstlane_b32 s8, v6
	s_mul_i32 s9, s12, s46
	s_mul_hi_u32 s48, s12, s8
	s_mul_i32 s47, s13, s8
	s_add_i32 s9, s48, s9
	s_mul_i32 s49, s12, s8
	s_add_i32 s9, s9, s47
	s_mul_i32 s48, s8, s9
	s_mul_hi_u32 s50, s8, s49
	s_mul_hi_u32 s47, s8, s9
	s_add_u32 s48, s50, s48
	s_addc_u32 s47, 0, s47
	s_mul_hi_u32 s51, s46, s49
	s_mul_i32 s49, s46, s49
	s_add_u32 s48, s48, s49
	s_mul_hi_u32 s50, s46, s9
	s_addc_u32 s47, s47, s51
	s_addc_u32 s48, s50, 0
	s_mul_i32 s9, s46, s9
	s_add_u32 s9, s47, s9
	s_addc_u32 s47, 0, s48
	s_add_u32 s48, s8, s9
	s_cselect_b64 s[8:9], -1, 0
	s_cmp_lg_u64 s[8:9], 0
	s_addc_u32 s46, s46, s47
	s_mul_i32 s8, s12, s46
	s_mul_hi_u32 s9, s12, s48
	s_add_i32 s8, s9, s8
	s_mul_i32 s13, s13, s48
	s_add_i32 s8, s8, s13
	s_mul_i32 s12, s12, s48
	s_mul_hi_u32 s13, s46, s12
	s_mul_i32 s47, s46, s12
	s_mul_i32 s50, s48, s8
	s_mul_hi_u32 s12, s48, s12
	s_mul_hi_u32 s49, s48, s8
	s_add_u32 s12, s12, s50
	s_addc_u32 s49, 0, s49
	s_add_u32 s12, s12, s47
	s_mul_hi_u32 s9, s46, s8
	s_addc_u32 s12, s49, s13
	s_addc_u32 s9, s9, 0
	s_mul_i32 s8, s46, s8
	s_add_u32 s8, s12, s8
	s_addc_u32 s12, 0, s9
	s_add_u32 s47, s48, s8
	s_cselect_b64 s[8:9], -1, 0
	s_cmp_lg_u64 s[8:9], 0
	s_addc_u32 s46, s46, s12
	s_ashr_i32 s8, s77, 31
	s_add_u32 s12, s79, s8
	s_mov_b32 s9, s8
	s_addc_u32 s13, s77, s8
	s_xor_b64 s[12:13], s[12:13], s[8:9]
	s_mul_i32 s49, s12, s46
	s_mul_hi_u32 s50, s12, s47
	s_mul_hi_u32 s48, s12, s46
	s_add_u32 s49, s50, s49
	s_addc_u32 s48, 0, s48
	s_mul_hi_u32 s51, s13, s47
	s_mul_i32 s47, s13, s47
	s_add_u32 s47, s49, s47
	s_mul_hi_u32 s50, s13, s46
	s_addc_u32 s47, s48, s51
	s_addc_u32 s48, s50, 0
	s_mul_i32 s46, s13, s46
	s_add_u32 s46, s47, s46
	s_addc_u32 s47, 0, s48
	s_mul_i32 s47, s6, s47
	s_mul_hi_u32 s48, s6, s46
	s_add_i32 s47, s48, s47
	s_mul_i32 s48, s7, s46
	s_add_i32 s50, s47, s48
	s_sub_i32 s48, s13, s50
	s_mul_i32 s46, s6, s46
	s_sub_u32 s12, s12, s46
	s_cselect_b64 s[46:47], -1, 0
	s_cmp_lg_u64 s[46:47], 0
	s_subb_u32 s51, s48, s7
	s_sub_u32 s52, s12, s6
	s_cselect_b64 s[48:49], -1, 0
	s_cmp_lg_u64 s[48:49], 0
	s_subb_u32 s53, s51, 0
	s_cmp_ge_u32 s53, s7
	s_cselect_b32 s55, -1, 0
	s_cmp_ge_u32 s52, s6
	s_cselect_b32 s56, -1, 0
	s_cmp_eq_u32 s53, s7
	s_cselect_b32 s55, s56, s55
	s_cmp_lg_u64 s[48:49], 0
	s_subb_u32 s51, s51, s7
	s_sub_u32 s56, s52, s6
	s_cselect_b64 s[48:49], -1, 0
	s_cmp_lg_u64 s[48:49], 0
	s_subb_u32 s48, s51, 0
	s_cmp_lg_u32 s55, 0
	s_cselect_b32 s49, s56, s52
	s_cselect_b32 s48, s48, s53
	s_cmp_lg_u64 s[46:47], 0
	s_subb_u32 s13, s13, s50
	s_cmp_ge_u32 s13, s7
	s_cselect_b32 s46, -1, 0
	s_cmp_ge_u32 s12, s6
	s_cselect_b32 s6, -1, 0
	s_cmp_eq_u32 s13, s7
	s_cselect_b32 s6, s6, s46
	s_cmp_lg_u32 s6, 0
	s_cselect_b32 s7, s48, s13
	s_cselect_b32 s6, s49, s12
	s_xor_b64 s[6:7], s[6:7], s[8:9]
	s_sub_u32 s6, s6, s8
	s_subb_u32 s7, s7, s8
	s_cbranch_execnz .LBB54_207
.LBB54_206:                             ;   in Loop: Header=BB54_32 Depth=1
	v_cvt_f32_u32_e32 v6, s92
	s_sub_i32 s6, 0, s92
	v_rcp_iflag_f32_e32 v6, v6
	s_nop 0
	v_mul_f32_e32 v6, 0x4f7ffffe, v6
	v_cvt_u32_f32_e32 v6, v6
	s_nop 0
	v_readfirstlane_b32 s7, v6
	s_mul_i32 s6, s6, s7
	s_mul_hi_u32 s6, s7, s6
	s_add_i32 s7, s7, s6
	s_mul_hi_u32 s6, s79, s7
	s_mul_i32 s6, s6, s92
	s_sub_i32 s6, s79, s6
	s_sub_i32 s7, s6, s92
	s_cmp_ge_u32 s6, s92
	s_cselect_b32 s6, s7, s6
	s_sub_i32 s7, s6, s92
	s_cmp_ge_u32 s6, s92
	s_cselect_b32 s98, s7, s6
	s_mov_b64 s[6:7], s[98:99]
.LBB54_207:                             ;   in Loop: Header=BB54_32 Depth=1
	s_sub_u32 s46, s79, s6
	s_subb_u32 s47, s77, s7
	v_cmp_gt_i64_e32 vcc, s[46:47], v[0:1]
	s_mov_b64 s[8:9], 0
	s_mov_b64 s[6:7], 0
                                        ; implicit-def: $vgpr37
	s_and_saveexec_b64 s[12:13], vcc
	v_readlane_b32 s84, v65, 63
	v_readlane_b32 s85, v64, 0
	s_cbranch_execz .LBB54_219
; %bb.208:                              ;   in Loop: Header=BB54_32 Depth=1
	v_mov_b64_e32 v[6:7], v[12:13]
	v_mov_b64_e32 v[8:9], v[0:1]
                                        ; implicit-def: $sgpr48_sgpr49
	s_branch .LBB54_212
.LBB54_209:                             ;   in Loop: Header=BB54_212 Depth=2
	s_or_b64 exec, exec, s[50:51]
	s_waitcnt lgkmcnt(0)
	s_barrier
	ds_read_b64 v[36:37], v3 offset:3072
	s_waitcnt lgkmcnt(0)
	s_barrier
	v_cmp_neq_f32_e32 vcc, 0, v36
	s_cbranch_vccnz .LBB54_215
; %bb.210:                              ;   in Loop: Header=BB54_212 Depth=2
	v_lshl_add_u64 v[8:9], v[8:9], 0, s[92:93]
	v_cmp_le_i64_e32 vcc, s[46:47], v[8:9]
	v_lshl_add_u64 v[6:7], v[6:7], 0, s[94:95]
	s_mov_b64 s[50:51], 0
	s_orn2_b64 s[52:53], vcc, exec
.LBB54_211:                             ;   in Loop: Header=BB54_212 Depth=2
	s_and_b64 s[52:53], exec, s[52:53]
	s_or_b64 s[6:7], s[52:53], s[6:7]
	s_andn2_b64 s[48:49], s[48:49], exec
	s_and_b64 s[50:51], s[50:51], exec
	s_or_b64 s[48:49], s[48:49], s[50:51]
	s_andn2_b64 exec, exec, s[6:7]
	s_cbranch_execz .LBB54_218
.LBB54_212:                             ;   Parent Loop BB54_32 Depth=1
                                        ; =>  This Inner Loop Header: Depth=2
	v_cmp_gt_i64_e32 vcc, s[60:61], v[8:9]
	s_and_saveexec_b64 s[50:51], vcc
	s_cbranch_execz .LBB54_209
; %bb.213:                              ;   in Loop: Header=BB54_212 Depth=2
	global_load_dword v35, v[6:7], off
	s_waitcnt vmcnt(0)
	v_cmp_lt_i32_e32 vcc, -1, v35
	s_nop 1
	v_cndmask_b32_e32 v10, -1, v51, vcc
	v_xor_b32_e32 v10, v10, v35
	v_cmp_o_f32_e32 vcc, v35, v35
	s_nop 1
	v_cndmask_b32_e32 v10, -1, v10, vcc
	v_and_b32_e32 v10, v10, v52
	v_cmp_eq_u32_e32 vcc, v10, v50
	s_and_b64 exec, exec, vcc
	s_cbranch_execz .LBB54_209
; %bb.214:                              ;   in Loop: Header=BB54_212 Depth=2
	ds_write_b64 v3, v[34:35] offset:3072
	s_branch .LBB54_209
.LBB54_215:                             ;   in Loop: Header=BB54_212 Depth=2
	s_mov_b64 s[52:53], -1
                                        ; implicit-def: $vgpr8_vgpr9
                                        ; implicit-def: $vgpr6_vgpr7
	s_mov_b64 s[50:51], -1
	s_branch .LBB54_211
.LBB54_216:                             ;   in Loop: Header=BB54_32 Depth=1
                                        ; implicit-def: $sgpr6_sgpr7
	s_andn2_b64 vcc, exec, s[8:9]
	s_cbranch_vccz .LBB54_158
	s_branch .LBB54_159
.LBB54_217:                             ;   in Loop: Header=BB54_32 Depth=1
                                        ; implicit-def: $sgpr8_sgpr9
	s_branch .LBB54_175
.LBB54_218:                             ;   in Loop: Header=BB54_32 Depth=1
	s_or_b64 exec, exec, s[6:7]
	s_and_b64 s[6:7], s[48:49], exec
.LBB54_219:                             ;   in Loop: Header=BB54_32 Depth=1
	s_or_b64 exec, exec, s[12:13]
.LBB54_220:                             ;   in Loop: Header=BB54_32 Depth=1
	s_and_b64 vcc, exec, s[8:9]
	s_cbranch_vccz .LBB54_235
; %bb.221:                              ;   in Loop: Header=BB54_32 Depth=1
	v_readlane_b32 s8, v65, 46
	s_add_u32 s38, s44, s8
	v_readlane_b32 s8, v65, 47
	s_addc_u32 s9, s45, s8
	s_mov_b32 s8, s99
	s_cmp_lg_u64 s[8:9], 0
	s_cbranch_scc0 .LBB54_264
; %bb.222:                              ;   in Loop: Header=BB54_32 Depth=1
	s_add_u32 s12, s92, 0
	s_addc_u32 s13, 0, 0
	s_xor_b64 s[12:13], s[12:13], 0
	v_cvt_f32_u32_e32 v6, s12
	v_cvt_f32_u32_e32 v7, s13
	s_sub_u32 s8, 0, s12
	s_subb_u32 s39, 0, s13
	v_readlane_b32 s84, v65, 63
	v_fmac_f32_e32 v6, 0x4f800000, v7
	v_rcp_f32_e32 v6, v6
	v_readlane_b32 s85, v64, 0
	v_mul_f32_e32 v6, 0x5f7ffffc, v6
	v_mul_f32_e32 v7, 0x2f800000, v6
	v_trunc_f32_e32 v7, v7
	v_fmac_f32_e32 v6, 0xcf800000, v7
	v_cvt_u32_f32_e32 v7, v7
	v_cvt_u32_f32_e32 v6, v6
	v_readfirstlane_b32 s46, v7
	v_readfirstlane_b32 s36, v6
	s_mul_i32 s37, s8, s46
	s_mul_hi_u32 s48, s8, s36
	s_mul_i32 s47, s39, s36
	s_add_i32 s37, s48, s37
	s_mul_i32 s49, s8, s36
	s_add_i32 s37, s37, s47
	s_mul_i32 s48, s36, s37
	s_mul_hi_u32 s50, s36, s49
	s_mul_hi_u32 s47, s36, s37
	s_add_u32 s48, s50, s48
	s_addc_u32 s47, 0, s47
	s_mul_hi_u32 s51, s46, s49
	s_mul_i32 s49, s46, s49
	s_add_u32 s48, s48, s49
	s_mul_hi_u32 s50, s46, s37
	s_addc_u32 s47, s47, s51
	s_addc_u32 s48, s50, 0
	s_mul_i32 s37, s46, s37
	s_add_u32 s37, s47, s37
	s_addc_u32 s47, 0, s48
	s_add_u32 s48, s36, s37
	s_cselect_b64 s[36:37], -1, 0
	s_cmp_lg_u64 s[36:37], 0
	s_addc_u32 s46, s46, s47
	s_mul_i32 s36, s8, s46
	s_mul_hi_u32 s37, s8, s48
	s_add_i32 s36, s37, s36
	s_mul_i32 s39, s39, s48
	s_add_i32 s36, s36, s39
	s_mul_i32 s8, s8, s48
	s_mul_hi_u32 s39, s46, s8
	s_mul_i32 s47, s46, s8
	s_mul_i32 s50, s48, s36
	s_mul_hi_u32 s8, s48, s8
	s_mul_hi_u32 s49, s48, s36
	s_add_u32 s8, s8, s50
	s_addc_u32 s49, 0, s49
	s_add_u32 s8, s8, s47
	s_mul_hi_u32 s37, s46, s36
	s_addc_u32 s8, s49, s39
	s_addc_u32 s37, s37, 0
	s_mul_i32 s36, s46, s36
	s_add_u32 s8, s8, s36
	s_addc_u32 s39, 0, s37
	s_add_u32 s8, s48, s8
	s_cselect_b64 s[36:37], -1, 0
	s_cmp_lg_u64 s[36:37], 0
	s_addc_u32 s39, s46, s39
	s_ashr_i32 s36, s9, 31
	s_add_u32 s46, s38, s36
	s_mov_b32 s37, s36
	s_addc_u32 s47, s9, s36
	s_xor_b64 s[46:47], s[46:47], s[36:37]
	s_mul_i32 s49, s46, s39
	s_mul_hi_u32 s50, s46, s8
	s_mul_hi_u32 s48, s46, s39
	s_add_u32 s49, s50, s49
	s_addc_u32 s48, 0, s48
	s_mul_hi_u32 s51, s47, s8
	s_mul_i32 s8, s47, s8
	s_add_u32 s8, s49, s8
	s_mul_hi_u32 s50, s47, s39
	s_addc_u32 s8, s48, s51
	s_addc_u32 s48, s50, 0
	s_mul_i32 s39, s47, s39
	s_add_u32 s8, s8, s39
	s_addc_u32 s39, 0, s48
	s_mul_i32 s39, s12, s39
	s_mul_hi_u32 s48, s12, s8
	s_add_i32 s39, s48, s39
	s_mul_i32 s48, s13, s8
	s_add_i32 s39, s39, s48
	s_sub_i32 s50, s47, s39
	s_mul_i32 s8, s12, s8
	s_sub_u32 s8, s46, s8
	s_cselect_b64 s[48:49], -1, 0
	s_cmp_lg_u64 s[48:49], 0
	s_subb_u32 s46, s50, s13
	s_sub_u32 s52, s8, s12
	s_cselect_b64 s[50:51], -1, 0
	s_cmp_lg_u64 s[50:51], 0
	s_subb_u32 s53, s46, 0
	s_cmp_ge_u32 s53, s13
	s_cselect_b32 s55, -1, 0
	s_cmp_ge_u32 s52, s12
	s_cselect_b32 s56, -1, 0
	s_cmp_eq_u32 s53, s13
	s_cselect_b32 s55, s56, s55
	s_cmp_lg_u64 s[50:51], 0
	s_subb_u32 s46, s46, s13
	s_sub_u32 s56, s52, s12
	s_cselect_b64 s[50:51], -1, 0
	s_cmp_lg_u64 s[50:51], 0
	s_subb_u32 s46, s46, 0
	s_cmp_lg_u32 s55, 0
	s_cselect_b32 s50, s56, s52
	s_cselect_b32 s46, s46, s53
	s_cmp_lg_u64 s[48:49], 0
	s_subb_u32 s39, s47, s39
	s_cmp_ge_u32 s39, s13
	s_cselect_b32 s47, -1, 0
	s_cmp_ge_u32 s8, s12
	s_cselect_b32 s12, -1, 0
	s_cmp_eq_u32 s39, s13
	s_cselect_b32 s12, s12, s47
	s_cmp_lg_u32 s12, 0
	s_cselect_b32 s13, s46, s39
	s_cselect_b32 s12, s50, s8
	s_xor_b64 s[12:13], s[12:13], s[36:37]
	s_sub_u32 s12, s12, s36
	s_subb_u32 s13, s13, s36
	s_cbranch_execnz .LBB54_224
.LBB54_223:                             ;   in Loop: Header=BB54_32 Depth=1
	v_cvt_f32_u32_e32 v6, s92
	s_sub_i32 s8, 0, s92
	v_rcp_iflag_f32_e32 v6, v6
	s_nop 0
	v_mul_f32_e32 v6, 0x4f7ffffe, v6
	v_cvt_u32_f32_e32 v6, v6
	s_nop 0
	v_readfirstlane_b32 s12, v6
	s_mul_i32 s8, s8, s12
	s_mul_hi_u32 s8, s12, s8
	s_add_i32 s12, s12, s8
	s_mul_hi_u32 s8, s38, s12
	s_mul_i32 s8, s8, s92
	s_sub_i32 s8, s38, s8
	s_sub_i32 s12, s8, s92
	s_cmp_ge_u32 s8, s92
	s_cselect_b32 s8, s12, s8
	s_sub_i32 s12, s8, s92
	s_cmp_ge_u32 s8, s92
	s_cselect_b32 s98, s12, s8
	s_mov_b64 s[12:13], s[98:99]
.LBB54_224:                             ;   in Loop: Header=BB54_32 Depth=1
	s_sub_u32 s12, s38, s12
	s_subb_u32 s13, s9, s13
	v_cmp_gt_i64_e32 vcc, s[12:13], v[0:1]
                                        ; implicit-def: $vgpr37
	s_and_saveexec_b64 s[8:9], vcc
	s_cbranch_execz .LBB54_234
; %bb.225:                              ;   in Loop: Header=BB54_32 Depth=1
	s_mov_b64 s[36:37], 0
	v_mov_b32_e32 v8, v14
	v_mov_b64_e32 v[6:7], v[0:1]
                                        ; implicit-def: $sgpr38_sgpr39
	s_branch .LBB54_229
.LBB54_226:                             ;   in Loop: Header=BB54_229 Depth=2
	s_or_b64 exec, exec, s[46:47]
	s_waitcnt lgkmcnt(0)
	s_barrier
	ds_read_b64 v[36:37], v3 offset:3072
	s_waitcnt lgkmcnt(0)
	s_barrier
	v_cmp_eq_f32_e32 vcc, 0, v36
	s_cbranch_vccz .LBB54_232
; %bb.227:                              ;   in Loop: Header=BB54_229 Depth=2
	v_lshl_add_u64 v[6:7], v[6:7], 0, s[92:93]
	v_cmp_le_i64_e32 vcc, s[12:13], v[6:7]
	v_add_u32_e32 v8, s81, v8
	s_mov_b64 s[46:47], 0
	s_orn2_b64 s[48:49], vcc, exec
.LBB54_228:                             ;   in Loop: Header=BB54_229 Depth=2
	s_and_b64 s[48:49], exec, s[48:49]
	s_or_b64 s[36:37], s[48:49], s[36:37]
	s_andn2_b64 s[38:39], s[38:39], exec
	s_and_b64 s[46:47], s[46:47], exec
	s_or_b64 s[38:39], s[38:39], s[46:47]
	s_andn2_b64 exec, exec, s[36:37]
	s_cbranch_execz .LBB54_233
.LBB54_229:                             ;   Parent Loop BB54_32 Depth=1
                                        ; =>  This Inner Loop Header: Depth=2
	v_cmp_gt_u64_e32 vcc, s[44:45], v[6:7]
	s_and_saveexec_b64 s[46:47], vcc
	s_cbranch_execz .LBB54_226
; %bb.230:                              ;   in Loop: Header=BB54_229 Depth=2
	ds_read_b32 v35, v8
	s_waitcnt lgkmcnt(0)
	v_cmp_lt_i32_e32 vcc, -1, v35
	s_nop 1
	v_cndmask_b32_e32 v9, -1, v51, vcc
	v_xor_b32_e32 v9, v9, v35
	v_cmp_o_f32_e32 vcc, v35, v35
	s_nop 1
	v_cndmask_b32_e32 v9, -1, v9, vcc
	v_and_b32_e32 v9, v9, v52
	v_cmp_eq_u32_e32 vcc, v9, v50
	s_and_b64 exec, exec, vcc
	s_cbranch_execz .LBB54_226
; %bb.231:                              ;   in Loop: Header=BB54_229 Depth=2
	ds_write_b64 v3, v[34:35] offset:3072
	s_branch .LBB54_226
.LBB54_232:                             ;   in Loop: Header=BB54_229 Depth=2
	s_mov_b64 s[48:49], -1
                                        ; implicit-def: $vgpr6_vgpr7
                                        ; implicit-def: $vgpr8
	s_mov_b64 s[46:47], -1
	s_branch .LBB54_228
.LBB54_233:                             ;   in Loop: Header=BB54_32 Depth=1
	s_or_b64 exec, exec, s[36:37]
	s_andn2_b64 s[6:7], s[6:7], exec
	s_and_b64 s[12:13], s[38:39], exec
	s_or_b64 s[6:7], s[6:7], s[12:13]
.LBB54_234:                             ;   in Loop: Header=BB54_32 Depth=1
	s_or_b64 exec, exec, s[8:9]
	s_mov_b64 s[36:37], 0
	s_mov_b64 s[38:39], -1
.LBB54_235:                             ;   in Loop: Header=BB54_32 Depth=1
	s_orn2_b64 s[6:7], s[6:7], exec
.LBB54_236:                             ;   in Loop: Header=BB54_32 Depth=1
	s_or_b64 exec, exec, s[40:41]
	s_mov_b64 s[8:9], 0
	s_and_saveexec_b64 s[40:41], s[6:7]
	s_cbranch_execz .LBB54_296
; %bb.237:                              ;   in Loop: Header=BB54_32 Depth=1
	s_xor_b64 s[8:9], s[42:43], -1
	v_mov_b32_e32 v2, 1
	s_mov_b64 s[42:43], 0
	v_mov_b64_e32 v[6:7], 1
	s_and_saveexec_b64 s[6:7], s[8:9]
	s_cbranch_execz .LBB54_246
; %bb.238:                              ;   in Loop: Header=BB54_32 Depth=1
	v_cmp_ge_i64_e32 vcc, s[26:27], v[4:5]
	s_and_saveexec_b64 s[8:9], vcc
	s_xor_b64 s[8:9], exec, s[8:9]
	s_cbranch_execz .LBB54_243
; %bb.239:                              ;   in Loop: Header=BB54_32 Depth=1
	ds_read_b64 v[6:7], v3 offset:5120
	v_and_b32_e32 v2, s54, v50
	v_lshl_or_b32 v50, 2, s78, v2
	v_or_b32_e32 v52, s68, v52
	s_waitcnt lgkmcnt(0)
	v_cmp_ne_u64_e32 vcc, 0, v[6:7]
	s_cbranch_vccnz .LBB54_243
; %bb.240:                              ;   in Loop: Header=BB54_32 Depth=1
	s_mov_b64 s[12:13], exec
	v_readlane_b32 s42, v65, 32
	v_readlane_b32 s43, v65, 33
	s_and_b64 s[42:43], s[12:13], s[42:43]
	s_mov_b64 exec, s[42:43]
; %bb.241:                              ;   in Loop: Header=BB54_32 Depth=1
	v_mov_b64_e32 v[6:7], s[26:27]
	ds_write_b64 v3, v[6:7] offset:5128
; %bb.242:                              ;   in Loop: Header=BB54_32 Depth=1
	s_or_b64 exec, exec, s[12:13]
	s_waitcnt lgkmcnt(0)
	s_barrier
.LBB54_243:                             ;   in Loop: Header=BB54_32 Depth=1
	s_or_saveexec_b64 s[8:9], s[8:9]
	s_mov_b64 s[12:13], 0
	v_mov_b32_e32 v2, 8
	s_xor_b64 exec, exec, s[8:9]
; %bb.244:                              ;   in Loop: Header=BB54_32 Depth=1
	v_mov_b32_e32 v2, s27
	v_subrev_co_u32_e32 v4, vcc, s26, v4
	s_mov_b64 s[12:13], exec
	s_nop 0
	v_subb_co_u32_e32 v5, vcc, v5, v2, vcc
	v_mov_b32_e32 v2, 0
; %bb.245:                              ;   in Loop: Header=BB54_32 Depth=1
	s_or_b64 exec, exec, s[8:9]
	s_and_b64 s[42:43], s[12:13], exec
	v_mov_b64_e32 v[6:7], v[4:5]
.LBB54_246:                             ;   in Loop: Header=BB54_32 Depth=1
	s_or_b64 exec, exec, s[6:7]
	s_mov_b64 s[12:13], -1
                                        ; implicit-def: $sgpr8_sgpr9
                                        ; implicit-def: $sgpr6_sgpr7
	s_and_saveexec_b64 s[26:27], s[42:43]
	s_cbranch_execz .LBB54_295
; %bb.247:                              ;   in Loop: Header=BB54_32 Depth=1
	s_cmp_eq_u64 s[16:17], 1
	s_cselect_b64 s[6:7], -1, 0
	v_cmp_eq_u64_e32 vcc, 1, v[6:7]
	s_and_b64 s[42:43], s[6:7], vcc
	s_mov_b64 s[46:47], -1
                                        ; implicit-def: $sgpr8_sgpr9
                                        ; implicit-def: $sgpr6_sgpr7
	s_and_saveexec_b64 s[44:45], s[42:43]
	s_cbranch_execz .LBB54_283
; %bb.248:                              ;   in Loop: Header=BB54_32 Depth=1
	ds_read_b64 v[4:5], v3 offset:5120
	s_waitcnt lgkmcnt(0)
	s_barrier
	v_readfirstlane_b32 s46, v4
	v_readfirstlane_b32 s47, v5
	s_mov_b64 s[6:7], exec
	v_readlane_b32 s8, v65, 36
	v_readlane_b32 s9, v65, 37
	s_and_b64 s[8:9], s[6:7], s[8:9]
	s_mov_b64 exec, s[8:9]
; %bb.249:                              ;   in Loop: Header=BB54_32 Depth=1
	ds_write_b32 v45, v3
; %bb.250:                              ;   in Loop: Header=BB54_32 Depth=1
	s_or_b64 exec, exec, s[6:7]
	v_cmp_gt_i64_e64 s[12:13], s[46:47], 0
	v_or_b32_e32 v50, s68, v50
	v_or_b32_e32 v52, s68, v52
	s_mov_b64 s[6:7], -1
	s_mov_b64 s[8:9], 0
	s_and_b64 vcc, exec, s[12:13]
	s_mov_b64 s[12:13], 0
	s_mov_b64 s[48:49], -1
	s_waitcnt lgkmcnt(0)
	s_barrier
                                        ; implicit-def: $vgpr37
	s_cbranch_vccnz .LBB54_267
; %bb.251:                              ;   in Loop: Header=BB54_32 Depth=1
	s_mov_b32 s76, s99
	s_cmp_lg_u64 s[76:77], 0
	s_cbranch_scc0 .LBB54_302
; %bb.252:                              ;   in Loop: Header=BB54_32 Depth=1
	s_add_u32 s12, s92, 0
	s_addc_u32 s13, 0, 0
	s_xor_b64 s[12:13], s[12:13], 0
	v_cvt_f32_u32_e32 v4, s12
	v_cvt_f32_u32_e32 v5, s13
	s_sub_u32 s50, 0, s12
	s_subb_u32 s51, 0, s13
	v_fmac_f32_e32 v4, 0x4f800000, v5
	v_rcp_f32_e32 v4, v4
	s_nop 0
	v_mul_f32_e32 v4, 0x5f7ffffc, v4
	v_mul_f32_e32 v5, 0x2f800000, v4
	v_trunc_f32_e32 v5, v5
	v_fmac_f32_e32 v4, 0xcf800000, v5
	v_cvt_u32_f32_e32 v5, v5
	v_cvt_u32_f32_e32 v4, v4
	v_readfirstlane_b32 s52, v5
	v_readfirstlane_b32 s48, v4
	s_mul_i32 s49, s50, s52
	s_mul_hi_u32 s54, s50, s48
	s_mul_i32 s53, s51, s48
	s_add_i32 s49, s54, s49
	s_mul_i32 s55, s50, s48
	s_add_i32 s49, s49, s53
	s_mul_i32 s54, s48, s49
	s_mul_hi_u32 s56, s48, s55
	s_mul_hi_u32 s53, s48, s49
	s_add_u32 s54, s56, s54
	s_addc_u32 s53, 0, s53
	s_mul_hi_u32 s57, s52, s55
	s_mul_i32 s55, s52, s55
	s_add_u32 s54, s54, s55
	s_mul_hi_u32 s56, s52, s49
	s_addc_u32 s53, s53, s57
	s_addc_u32 s54, s56, 0
	s_mul_i32 s49, s52, s49
	s_add_u32 s49, s53, s49
	s_addc_u32 s53, 0, s54
	s_add_u32 s54, s48, s49
	s_cselect_b64 s[48:49], -1, 0
	s_cmp_lg_u64 s[48:49], 0
	s_addc_u32 s52, s52, s53
	s_mul_i32 s48, s50, s52
	s_mul_hi_u32 s49, s50, s54
	s_add_i32 s48, s49, s48
	s_mul_i32 s51, s51, s54
	s_add_i32 s48, s48, s51
	s_mul_i32 s50, s50, s54
	s_mul_hi_u32 s51, s52, s50
	s_mul_i32 s53, s52, s50
	s_mul_i32 s56, s54, s48
	s_mul_hi_u32 s50, s54, s50
	s_mul_hi_u32 s55, s54, s48
	s_add_u32 s50, s50, s56
	s_addc_u32 s55, 0, s55
	s_add_u32 s50, s50, s53
	s_mul_hi_u32 s49, s52, s48
	s_addc_u32 s50, s55, s51
	s_addc_u32 s49, s49, 0
	s_mul_i32 s48, s52, s48
	s_add_u32 s48, s50, s48
	s_addc_u32 s50, 0, s49
	s_add_u32 s53, s54, s48
	s_cselect_b64 s[48:49], -1, 0
	s_cmp_lg_u64 s[48:49], 0
	s_addc_u32 s52, s52, s50
	s_ashr_i32 s48, s77, 31
	s_add_u32 s50, s79, s48
	s_mov_b32 s49, s48
	s_addc_u32 s51, s77, s48
	s_xor_b64 s[50:51], s[50:51], s[48:49]
	s_mul_i32 s55, s50, s52
	s_mul_hi_u32 s56, s50, s53
	s_mul_hi_u32 s54, s50, s52
	s_add_u32 s55, s56, s55
	s_addc_u32 s54, 0, s54
	s_mul_hi_u32 s57, s51, s53
	s_mul_i32 s53, s51, s53
	s_add_u32 s53, s55, s53
	s_mul_hi_u32 s56, s51, s52
	s_addc_u32 s53, s54, s57
	s_addc_u32 s54, s56, 0
	s_mul_i32 s52, s51, s52
	s_add_u32 s52, s53, s52
	s_addc_u32 s53, 0, s54
	s_mul_i32 s53, s12, s53
	s_mul_hi_u32 s54, s12, s52
	s_add_i32 s53, s54, s53
	s_mul_i32 s54, s13, s52
	s_add_i32 s56, s53, s54
	s_sub_i32 s54, s51, s56
	s_mul_i32 s52, s12, s52
	s_sub_u32 s50, s50, s52
	s_cselect_b64 s[52:53], -1, 0
	s_cmp_lg_u64 s[52:53], 0
	s_subb_u32 s57, s54, s13
	s_sub_u32 s58, s50, s12
	s_cselect_b64 s[54:55], -1, 0
	s_cmp_lg_u64 s[54:55], 0
	s_subb_u32 s59, s57, 0
	s_cmp_ge_u32 s59, s13
	s_cselect_b32 s69, -1, 0
	s_cmp_ge_u32 s58, s12
	s_cselect_b32 s70, -1, 0
	s_cmp_eq_u32 s59, s13
	s_cselect_b32 s69, s70, s69
	s_cmp_lg_u64 s[54:55], 0
	s_subb_u32 s57, s57, s13
	s_sub_u32 s70, s58, s12
	s_cselect_b64 s[54:55], -1, 0
	s_cmp_lg_u64 s[54:55], 0
	s_subb_u32 s54, s57, 0
	s_cmp_lg_u32 s69, 0
	s_cselect_b32 s55, s70, s58
	s_cselect_b32 s54, s54, s59
	s_cmp_lg_u64 s[52:53], 0
	s_subb_u32 s51, s51, s56
	s_cmp_ge_u32 s51, s13
	s_cselect_b32 s52, -1, 0
	s_cmp_ge_u32 s50, s12
	s_cselect_b32 s12, -1, 0
	s_cmp_eq_u32 s51, s13
	s_cselect_b32 s12, s12, s52
	s_cmp_lg_u32 s12, 0
	s_cselect_b32 s13, s54, s51
	s_cselect_b32 s12, s55, s50
	s_xor_b64 s[12:13], s[12:13], s[48:49]
	s_sub_u32 s12, s12, s48
	s_subb_u32 s13, s13, s48
	s_cbranch_execnz .LBB54_254
.LBB54_253:                             ;   in Loop: Header=BB54_32 Depth=1
	v_cvt_f32_u32_e32 v4, s92
	s_sub_i32 s12, 0, s92
	v_rcp_iflag_f32_e32 v4, v4
	s_nop 0
	v_mul_f32_e32 v4, 0x4f7ffffe, v4
	v_cvt_u32_f32_e32 v4, v4
	s_nop 0
	v_readfirstlane_b32 s13, v4
	s_mul_i32 s12, s12, s13
	s_mul_hi_u32 s12, s13, s12
	s_add_i32 s13, s13, s12
	s_mul_hi_u32 s12, s79, s13
	s_mul_i32 s12, s12, s92
	s_sub_i32 s12, s79, s12
	s_sub_i32 s13, s12, s92
	s_cmp_ge_u32 s12, s92
	s_cselect_b32 s12, s13, s12
	s_sub_i32 s13, s12, s92
	s_cmp_ge_u32 s12, s92
	s_cselect_b32 s98, s13, s12
	s_mov_b64 s[12:13], s[98:99]
.LBB54_254:                             ;   in Loop: Header=BB54_32 Depth=1
	s_sub_u32 s52, s79, s12
	s_subb_u32 s53, s77, s13
	v_cmp_gt_i64_e32 vcc, s[52:53], v[0:1]
	s_mov_b64 s[48:49], 0
	s_mov_b64 s[12:13], 0
                                        ; implicit-def: $vgpr37
	s_and_saveexec_b64 s[50:51], vcc
	s_cbranch_execz .LBB54_266
; %bb.255:                              ;   in Loop: Header=BB54_32 Depth=1
	v_mov_b64_e32 v[4:5], v[12:13]
	v_mov_b64_e32 v[8:9], v[0:1]
                                        ; implicit-def: $sgpr54_sgpr55
	s_branch .LBB54_259
.LBB54_256:                             ;   in Loop: Header=BB54_259 Depth=2
	s_or_b64 exec, exec, s[56:57]
	s_waitcnt lgkmcnt(0)
	s_barrier
	ds_read_b64 v[36:37], v3 offset:3072
	s_waitcnt lgkmcnt(0)
	s_barrier
	v_cmp_neq_f32_e32 vcc, 0, v36
	s_cbranch_vccnz .LBB54_262
; %bb.257:                              ;   in Loop: Header=BB54_259 Depth=2
	v_lshl_add_u64 v[8:9], v[8:9], 0, s[92:93]
	v_cmp_le_i64_e32 vcc, s[52:53], v[8:9]
	v_lshl_add_u64 v[4:5], v[4:5], 0, s[94:95]
	s_mov_b64 s[56:57], 0
	s_orn2_b64 s[58:59], vcc, exec
.LBB54_258:                             ;   in Loop: Header=BB54_259 Depth=2
	s_and_b64 s[58:59], exec, s[58:59]
	s_or_b64 s[12:13], s[58:59], s[12:13]
	s_andn2_b64 s[54:55], s[54:55], exec
	s_and_b64 s[56:57], s[56:57], exec
	s_or_b64 s[54:55], s[54:55], s[56:57]
	s_andn2_b64 exec, exec, s[12:13]
	s_cbranch_execz .LBB54_265
.LBB54_259:                             ;   Parent Loop BB54_32 Depth=1
                                        ; =>  This Inner Loop Header: Depth=2
	v_cmp_gt_i64_e32 vcc, s[60:61], v[8:9]
	s_and_saveexec_b64 s[56:57], vcc
	s_cbranch_execz .LBB54_256
; %bb.260:                              ;   in Loop: Header=BB54_259 Depth=2
	global_load_dword v35, v[4:5], off
	s_waitcnt vmcnt(0)
	v_cmp_lt_i32_e32 vcc, -1, v35
	s_nop 1
	v_cndmask_b32_e32 v10, -1, v51, vcc
	v_xor_b32_e32 v10, v10, v35
	v_cmp_o_f32_e32 vcc, v35, v35
	s_nop 1
	v_cndmask_b32_e32 v10, -1, v10, vcc
	v_and_b32_e32 v10, v10, v52
	v_cmp_eq_u32_e32 vcc, v10, v50
	s_and_b64 exec, exec, vcc
	s_cbranch_execz .LBB54_256
; %bb.261:                              ;   in Loop: Header=BB54_259 Depth=2
	ds_write_b64 v3, v[34:35] offset:3072
	s_branch .LBB54_256
.LBB54_262:                             ;   in Loop: Header=BB54_259 Depth=2
	s_mov_b64 s[58:59], -1
                                        ; implicit-def: $vgpr8_vgpr9
                                        ; implicit-def: $vgpr4_vgpr5
	s_mov_b64 s[56:57], -1
	s_branch .LBB54_258
.LBB54_263:                             ;   in Loop: Header=BB54_32 Depth=1
                                        ; implicit-def: $sgpr6_sgpr7
	s_andn2_b64 vcc, exec, s[8:9]
	s_cbranch_vccz .LBB54_206
	s_branch .LBB54_207
.LBB54_264:                             ;   in Loop: Header=BB54_32 Depth=1
                                        ; implicit-def: $sgpr12_sgpr13
	s_branch .LBB54_223
.LBB54_265:                             ;   in Loop: Header=BB54_32 Depth=1
	s_or_b64 exec, exec, s[12:13]
	s_and_b64 s[12:13], s[54:55], exec
.LBB54_266:                             ;   in Loop: Header=BB54_32 Depth=1
	s_or_b64 exec, exec, s[50:51]
	v_readlane_b32 s84, v65, 63
	v_readlane_b32 s85, v64, 0
	;; [unrolled: 1-line block ×4, first 2 shown]
.LBB54_267:                             ;   in Loop: Header=BB54_32 Depth=1
	s_and_b64 vcc, exec, s[48:49]
	s_cbranch_vccz .LBB54_282
; %bb.268:                              ;   in Loop: Header=BB54_32 Depth=1
	v_readlane_b32 s6, v65, 46
	s_add_u32 s50, s46, s6
	v_readlane_b32 s6, v65, 47
	s_addc_u32 s7, s47, s6
	s_mov_b32 s6, s99
	s_cmp_lg_u64 s[6:7], 0
	s_cbranch_scc0 .LBB54_303
; %bb.269:                              ;   in Loop: Header=BB54_32 Depth=1
	s_add_u32 s8, s92, 0
	s_addc_u32 s9, 0, 0
	s_xor_b64 s[8:9], s[8:9], 0
	v_cvt_f32_u32_e32 v4, s8
	v_cvt_f32_u32_e32 v5, s9
	s_sub_u32 s6, 0, s8
	s_subb_u32 s51, 0, s9
	v_readlane_b32 s84, v65, 63
	v_fmac_f32_e32 v4, 0x4f800000, v5
	v_rcp_f32_e32 v4, v4
	v_readlane_b32 s33, v64, 1
	v_readlane_b32 s85, v64, 0
	v_mul_f32_e32 v4, 0x5f7ffffc, v4
	v_mul_f32_e32 v5, 0x2f800000, v4
	v_trunc_f32_e32 v5, v5
	v_fmac_f32_e32 v4, 0xcf800000, v5
	v_cvt_u32_f32_e32 v5, v5
	v_cvt_u32_f32_e32 v4, v4
	v_readfirstlane_b32 s52, v5
	v_readfirstlane_b32 s48, v4
	s_mul_i32 s49, s6, s52
	s_mul_hi_u32 s54, s6, s48
	s_mul_i32 s53, s51, s48
	s_add_i32 s49, s54, s49
	s_mul_i32 s55, s6, s48
	s_add_i32 s49, s49, s53
	s_mul_i32 s54, s48, s49
	s_mul_hi_u32 s56, s48, s55
	s_mul_hi_u32 s53, s48, s49
	s_add_u32 s54, s56, s54
	s_addc_u32 s53, 0, s53
	s_mul_hi_u32 s57, s52, s55
	s_mul_i32 s55, s52, s55
	s_add_u32 s54, s54, s55
	s_mul_hi_u32 s56, s52, s49
	s_addc_u32 s53, s53, s57
	s_addc_u32 s54, s56, 0
	s_mul_i32 s49, s52, s49
	s_add_u32 s49, s53, s49
	s_addc_u32 s53, 0, s54
	s_add_u32 s54, s48, s49
	s_cselect_b64 s[48:49], -1, 0
	s_cmp_lg_u64 s[48:49], 0
	s_addc_u32 s52, s52, s53
	s_mul_i32 s48, s6, s52
	s_mul_hi_u32 s49, s6, s54
	s_add_i32 s48, s49, s48
	s_mul_i32 s51, s51, s54
	s_add_i32 s48, s48, s51
	s_mul_i32 s6, s6, s54
	s_mul_hi_u32 s51, s52, s6
	s_mul_i32 s53, s52, s6
	s_mul_i32 s56, s54, s48
	s_mul_hi_u32 s6, s54, s6
	s_mul_hi_u32 s55, s54, s48
	s_add_u32 s6, s6, s56
	s_addc_u32 s55, 0, s55
	s_add_u32 s6, s6, s53
	s_mul_hi_u32 s49, s52, s48
	s_addc_u32 s6, s55, s51
	s_addc_u32 s49, s49, 0
	s_mul_i32 s48, s52, s48
	s_add_u32 s6, s6, s48
	s_addc_u32 s51, 0, s49
	s_add_u32 s6, s54, s6
	s_cselect_b64 s[48:49], -1, 0
	s_cmp_lg_u64 s[48:49], 0
	s_addc_u32 s51, s52, s51
	s_ashr_i32 s48, s7, 31
	s_add_u32 s52, s50, s48
	s_mov_b32 s49, s48
	s_addc_u32 s53, s7, s48
	s_xor_b64 s[52:53], s[52:53], s[48:49]
	s_mul_i32 s55, s52, s51
	s_mul_hi_u32 s56, s52, s6
	s_mul_hi_u32 s54, s52, s51
	s_add_u32 s55, s56, s55
	s_addc_u32 s54, 0, s54
	s_mul_hi_u32 s57, s53, s6
	s_mul_i32 s6, s53, s6
	s_add_u32 s6, s55, s6
	s_mul_hi_u32 s56, s53, s51
	s_addc_u32 s6, s54, s57
	s_addc_u32 s54, s56, 0
	s_mul_i32 s51, s53, s51
	s_add_u32 s6, s6, s51
	s_addc_u32 s51, 0, s54
	s_mul_i32 s51, s8, s51
	s_mul_hi_u32 s54, s8, s6
	s_add_i32 s51, s54, s51
	s_mul_i32 s54, s9, s6
	s_add_i32 s51, s51, s54
	s_sub_i32 s56, s53, s51
	s_mul_i32 s6, s8, s6
	s_sub_u32 s6, s52, s6
	s_cselect_b64 s[54:55], -1, 0
	s_cmp_lg_u64 s[54:55], 0
	s_subb_u32 s52, s56, s9
	s_sub_u32 s58, s6, s8
	s_cselect_b64 s[56:57], -1, 0
	s_cmp_lg_u64 s[56:57], 0
	s_subb_u32 s59, s52, 0
	s_cmp_ge_u32 s59, s9
	s_cselect_b32 s69, -1, 0
	s_cmp_ge_u32 s58, s8
	s_cselect_b32 s70, -1, 0
	s_cmp_eq_u32 s59, s9
	s_cselect_b32 s69, s70, s69
	s_cmp_lg_u64 s[56:57], 0
	s_subb_u32 s52, s52, s9
	s_sub_u32 s70, s58, s8
	s_cselect_b64 s[56:57], -1, 0
	s_cmp_lg_u64 s[56:57], 0
	s_subb_u32 s52, s52, 0
	s_cmp_lg_u32 s69, 0
	s_cselect_b32 s56, s70, s58
	s_cselect_b32 s52, s52, s59
	s_cmp_lg_u64 s[54:55], 0
	s_subb_u32 s51, s53, s51
	s_cmp_ge_u32 s51, s9
	s_cselect_b32 s53, -1, 0
	s_cmp_ge_u32 s6, s8
	s_cselect_b32 s8, -1, 0
	s_cmp_eq_u32 s51, s9
	s_cselect_b32 s8, s8, s53
	s_cmp_lg_u32 s8, 0
	s_cselect_b32 s9, s52, s51
	s_cselect_b32 s8, s56, s6
	s_xor_b64 s[8:9], s[8:9], s[48:49]
	s_sub_u32 s8, s8, s48
	v_readlane_b32 s57, v64, 2
	s_subb_u32 s9, s9, s48
	s_cbranch_execnz .LBB54_271
.LBB54_270:                             ;   in Loop: Header=BB54_32 Depth=1
	v_cvt_f32_u32_e32 v4, s92
	s_sub_i32 s6, 0, s92
	v_rcp_iflag_f32_e32 v4, v4
	s_nop 0
	v_mul_f32_e32 v4, 0x4f7ffffe, v4
	v_cvt_u32_f32_e32 v4, v4
	s_nop 0
	v_readfirstlane_b32 s8, v4
	s_mul_i32 s6, s6, s8
	s_mul_hi_u32 s6, s8, s6
	s_add_i32 s8, s8, s6
	s_mul_hi_u32 s6, s50, s8
	s_mul_i32 s6, s6, s92
	s_sub_i32 s6, s50, s6
	s_sub_i32 s8, s6, s92
	s_cmp_ge_u32 s6, s92
	s_cselect_b32 s6, s8, s6
	s_sub_i32 s8, s6, s92
	s_cmp_ge_u32 s6, s92
	s_cselect_b32 s98, s8, s6
	s_mov_b64 s[8:9], s[98:99]
.LBB54_271:                             ;   in Loop: Header=BB54_32 Depth=1
	s_sub_u32 s8, s50, s8
	s_subb_u32 s9, s7, s9
	v_cmp_gt_i64_e32 vcc, s[8:9], v[0:1]
                                        ; implicit-def: $vgpr37
	s_and_saveexec_b64 s[6:7], vcc
	s_cbranch_execz .LBB54_281
; %bb.272:                              ;   in Loop: Header=BB54_32 Depth=1
	s_mov_b64 s[48:49], 0
	v_mov_b32_e32 v8, v14
	v_mov_b64_e32 v[4:5], v[0:1]
                                        ; implicit-def: $sgpr50_sgpr51
	s_branch .LBB54_276
.LBB54_273:                             ;   in Loop: Header=BB54_276 Depth=2
	s_or_b64 exec, exec, s[52:53]
	s_waitcnt lgkmcnt(0)
	s_barrier
	ds_read_b64 v[36:37], v3 offset:3072
	s_waitcnt lgkmcnt(0)
	s_barrier
	v_cmp_eq_f32_e32 vcc, 0, v36
	s_cbranch_vccz .LBB54_279
; %bb.274:                              ;   in Loop: Header=BB54_276 Depth=2
	v_lshl_add_u64 v[4:5], v[4:5], 0, s[92:93]
	v_cmp_le_i64_e32 vcc, s[8:9], v[4:5]
	v_add_u32_e32 v8, s81, v8
	s_mov_b64 s[52:53], 0
	s_orn2_b64 s[54:55], vcc, exec
.LBB54_275:                             ;   in Loop: Header=BB54_276 Depth=2
	s_and_b64 s[54:55], exec, s[54:55]
	s_or_b64 s[48:49], s[54:55], s[48:49]
	s_andn2_b64 s[50:51], s[50:51], exec
	s_and_b64 s[52:53], s[52:53], exec
	s_or_b64 s[50:51], s[50:51], s[52:53]
	s_andn2_b64 exec, exec, s[48:49]
	s_cbranch_execz .LBB54_280
.LBB54_276:                             ;   Parent Loop BB54_32 Depth=1
                                        ; =>  This Inner Loop Header: Depth=2
	v_cmp_gt_u64_e32 vcc, s[46:47], v[4:5]
	s_and_saveexec_b64 s[52:53], vcc
	s_cbranch_execz .LBB54_273
; %bb.277:                              ;   in Loop: Header=BB54_276 Depth=2
	ds_read_b32 v35, v8
	s_waitcnt lgkmcnt(0)
	v_cmp_lt_i32_e32 vcc, -1, v35
	s_nop 1
	v_cndmask_b32_e32 v9, -1, v51, vcc
	v_xor_b32_e32 v9, v9, v35
	v_cmp_o_f32_e32 vcc, v35, v35
	s_nop 1
	v_cndmask_b32_e32 v9, -1, v9, vcc
	v_and_b32_e32 v9, v9, v52
	v_cmp_eq_u32_e32 vcc, v9, v50
	s_and_b64 exec, exec, vcc
	s_cbranch_execz .LBB54_273
; %bb.278:                              ;   in Loop: Header=BB54_276 Depth=2
	ds_write_b64 v3, v[34:35] offset:3072
	s_branch .LBB54_273
.LBB54_279:                             ;   in Loop: Header=BB54_276 Depth=2
	s_mov_b64 s[54:55], -1
                                        ; implicit-def: $vgpr4_vgpr5
                                        ; implicit-def: $vgpr8
	s_mov_b64 s[52:53], -1
	s_branch .LBB54_275
.LBB54_280:                             ;   in Loop: Header=BB54_32 Depth=1
	s_or_b64 exec, exec, s[48:49]
	s_andn2_b64 s[8:9], s[12:13], exec
	s_and_b64 s[12:13], s[50:51], exec
	s_or_b64 s[12:13], s[8:9], s[12:13]
.LBB54_281:                             ;   in Loop: Header=BB54_32 Depth=1
	s_or_b64 exec, exec, s[6:7]
	s_mov_b64 s[6:7], 0
	s_mov_b64 s[8:9], -1
.LBB54_282:                             ;   in Loop: Header=BB54_32 Depth=1
	s_orn2_b64 s[46:47], s[12:13], exec
.LBB54_283:                             ;   in Loop: Header=BB54_32 Depth=1
	s_or_b64 exec, exec, s[44:45]
	s_mov_b64 s[44:45], 0
	s_and_saveexec_b64 s[12:13], s[46:47]
	s_cbranch_execz .LBB54_294
; %bb.284:                              ;   in Loop: Header=BB54_32 Depth=1
	s_xor_b64 s[44:45], s[42:43], -1
	v_mov_b64_e32 v[4:5], 1
	v_mov_b32_e32 v2, 1
	s_and_saveexec_b64 s[42:43], s[44:45]
	s_cbranch_execz .LBB54_293
; %bb.285:                              ;   in Loop: Header=BB54_32 Depth=1
	v_cmp_ge_i64_e32 vcc, s[16:17], v[6:7]
	s_and_saveexec_b64 s[44:45], vcc
	s_xor_b64 s[44:45], exec, s[44:45]
	s_cbranch_execz .LBB54_290
; %bb.286:                              ;   in Loop: Header=BB54_32 Depth=1
	ds_read_b64 v[4:5], v3 offset:5120
	v_or_b32_e32 v50, s68, v50
	v_or_b32_e32 v52, s68, v52
	s_waitcnt lgkmcnt(0)
	v_cmp_ne_u64_e32 vcc, 0, v[4:5]
	s_cbranch_vccnz .LBB54_290
; %bb.287:                              ;   in Loop: Header=BB54_32 Depth=1
	s_mov_b64 s[46:47], exec
	v_readlane_b32 s48, v65, 32
	v_readlane_b32 s49, v65, 33
	s_and_b64 s[48:49], s[46:47], s[48:49]
	s_mov_b64 exec, s[48:49]
; %bb.288:                              ;   in Loop: Header=BB54_32 Depth=1
	v_mov_b64_e32 v[4:5], s[16:17]
	ds_write_b64 v3, v[4:5] offset:5128
; %bb.289:                              ;   in Loop: Header=BB54_32 Depth=1
	s_or_b64 exec, exec, s[46:47]
	s_waitcnt lgkmcnt(0)
	s_barrier
.LBB54_290:                             ;   in Loop: Header=BB54_32 Depth=1
	s_andn2_saveexec_b64 s[44:45], s[44:45]
; %bb.291:                              ;   in Loop: Header=BB54_32 Depth=1
	v_mov_b32_e32 v2, s17
	v_subrev_co_u32_e32 v6, vcc, s16, v6
	s_nop 1
	v_subb_co_u32_e32 v7, vcc, v7, v2, vcc
; %bb.292:                              ;   in Loop: Header=BB54_32 Depth=1
	s_or_b64 exec, exec, s[44:45]
	v_mov_b32_e32 v2, 8
	v_mov_b64_e32 v[4:5], v[6:7]
.LBB54_293:                             ;   in Loop: Header=BB54_32 Depth=1
	s_or_b64 exec, exec, s[42:43]
	s_mov_b64 s[44:45], exec
	v_mov_b64_e32 v[6:7], v[4:5]
.LBB54_294:                             ;   in Loop: Header=BB54_32 Depth=1
	s_or_b64 exec, exec, s[12:13]
	s_orn2_b64 s[12:13], s[44:45], exec
.LBB54_295:                             ;   in Loop: Header=BB54_32 Depth=1
	s_or_b64 exec, exec, s[26:27]
	s_andn2_b64 s[16:17], s[38:39], exec
	s_and_b64 s[8:9], s[8:9], exec
	s_or_b64 s[38:39], s[16:17], s[8:9]
	s_andn2_b64 s[8:9], s[36:37], exec
	s_and_b64 s[6:7], s[6:7], exec
	s_or_b64 s[36:37], s[8:9], s[6:7]
	s_and_b64 s[8:9], s[12:13], exec
	v_mov_b64_e32 v[4:5], v[6:7]
.LBB54_296:                             ;   in Loop: Header=BB54_32 Depth=1
	s_or_b64 exec, exec, s[40:41]
	s_orn2_b64 s[6:7], s[8:9], exec
.LBB54_297:                             ;   in Loop: Header=BB54_32 Depth=1
	s_or_b64 exec, exec, s[34:35]
	s_andn2_b64 s[8:9], s[28:29], exec
	s_and_b64 s[12:13], s[38:39], exec
	s_or_b64 s[28:29], s[8:9], s[12:13]
	s_andn2_b64 s[2:3], s[2:3], exec
	s_and_b64 s[8:9], s[36:37], exec
	s_or_b64 s[2:3], s[2:3], s[8:9]
	s_and_b64 s[8:9], s[6:7], exec
	v_mov_b64_e32 v[8:9], v[4:5]
.LBB54_298:                             ;   in Loop: Header=BB54_32 Depth=1
	s_or_b64 exec, exec, s[30:31]
	s_orn2_b64 s[6:7], s[8:9], exec
.LBB54_299:                             ;   in Loop: Header=BB54_32 Depth=1
	s_or_b64 exec, exec, s[22:23]
	s_mov_b64 s[8:9], 0
	s_and_saveexec_b64 s[12:13], s[6:7]
	s_xor_b64 s[6:7], exec, s[12:13]
	s_cbranch_execz .LBB54_30
; %bb.300:                              ;   in Loop: Header=BB54_32 Depth=1
	v_and_b32_e32 v2, 7, v2
	v_cmp_eq_u32_e32 vcc, 0, v2
	s_mov_b64 s[12:13], -1
	s_mov_b64 s[8:9], -1
	s_and_saveexec_b64 s[16:17], vcc
	s_cbranch_execz .LBB54_29
; %bb.301:                              ;   in Loop: Header=BB54_32 Depth=1
	s_xor_b32 s0, s0, 1
	s_add_i32 s20, s78, -2
	s_cmp_eq_u32 s78, 0
	s_cselect_b64 s[12:13], -1, 0
	s_xor_b64 s[8:9], exec, -1
	s_orn2_b64 s[12:13], s[12:13], exec
	s_mov_b32 s78, s20
	s_branch .LBB54_29
.LBB54_302:                             ;   in Loop: Header=BB54_32 Depth=1
                                        ; implicit-def: $sgpr12_sgpr13
	s_andn2_b64 vcc, exec, s[48:49]
	s_cbranch_vccz .LBB54_253
	s_branch .LBB54_254
.LBB54_303:                             ;   in Loop: Header=BB54_32 Depth=1
                                        ; implicit-def: $sgpr8_sgpr9
	s_branch .LBB54_270
.LBB54_304:
	s_or_b64 exec, exec, s[10:11]
	s_xor_b64 s[4:5], s[86:87], -1
	s_xor_b64 s[0:1], s[62:63], -1
	;; [unrolled: 1-line block ×3, first 2 shown]
	s_mov_b64 s[2:3], 0
	s_and_saveexec_b64 s[8:9], s[0:1]
	s_xor_b64 s[0:1], exec, s[8:9]
	s_cbranch_execnz .LBB54_309
; %bb.305:
	s_andn2_saveexec_b64 s[0:1], s[0:1]
	s_cbranch_execnz .LBB54_331
.LBB54_306:
	s_or_b64 exec, exec, s[0:1]
	s_and_saveexec_b64 s[0:1], s[2:3]
.LBB54_307:
	; divergent unreachable
.LBB54_308:
	s_endpgm
.LBB54_309:
	s_and_saveexec_b64 s[2:3], s[4:5]
	s_xor_b64 s[4:5], exec, s[2:3]
	s_cbranch_execz .LBB54_329
; %bb.310:
	s_and_saveexec_b64 s[2:3], s[6:7]
	s_xor_b64 s[2:3], exec, s[2:3]
; %bb.311:
	v_bfrev_b32_e32 v2, 1
	v_cmp_lt_i32_e32 vcc, -1, v50
	s_nop 1
	v_cndmask_b32_e64 v2, v2, -1, vcc
	v_xor_b32_e32 v37, v2, v50
; %bb.312:
	s_or_b64 exec, exec, s[2:3]
	s_mov_b64 s[2:3], exec
	v_readlane_b32 s6, v65, 32
	v_readlane_b32 s7, v65, 33
	v_readlane_b32 s28, v65, 24
	v_readlane_b32 s34, v65, 22
	s_and_b64 s[6:7], s[2:3], s[6:7]
	v_readlane_b32 s26, v65, 34
	v_readlane_b32 s29, v65, 25
	;; [unrolled: 1-line block ×6, first 2 shown]
	s_mov_b64 exec, s[6:7]
; %bb.313:
	v_mov_b32_e32 v2, 0
	v_mov_b32_e32 v3, s60
	ds_write_b32 v2, v3 offset:5140
; %bb.314:
	s_or_b64 exec, exec, s[2:3]
	s_waitcnt lgkmcnt(0)
	s_barrier
	s_mov_b64 s[6:7], exec
	v_readlane_b32 s2, v65, 42
	v_readlane_b32 s3, v65, 43
	s_and_b64 s[2:3], s[6:7], s[2:3]
	s_mov_b64 exec, s[2:3]
	s_cbranch_execz .LBB54_326
; %bb.315:
	v_mov_b32_e32 v2, 0
	ds_read_b32 v4, v2 offset:5140
	v_cmp_u_f32_e32 vcc, v37, v37
	s_mov_b64 s[8:9], 0
	s_xor_b64 s[10:11], vcc, -1
                                        ; implicit-def: $sgpr12_sgpr13
                                        ; implicit-def: $sgpr14_sgpr15
                                        ; implicit-def: $sgpr16_sgpr17
	s_waitcnt lgkmcnt(0)
	v_ashrrev_i32_e32 v5, 31, v4
	s_branch .LBB54_318
.LBB54_316:                             ;   in Loop: Header=BB54_318 Depth=1
	s_or_b64 exec, exec, s[22:23]
	s_andn2_b64 s[16:17], s[16:17], exec
	s_and_b64 s[2:3], s[2:3], exec
	s_or_b64 s[16:17], s[16:17], s[2:3]
	s_andn2_b64 s[2:3], s[14:15], exec
	s_and_b64 s[14:15], s[20:21], exec
	s_or_b64 s[14:15], s[2:3], s[14:15]
.LBB54_317:                             ;   in Loop: Header=BB54_318 Depth=1
	s_or_b64 exec, exec, s[18:19]
	s_and_b64 s[2:3], exec, s[14:15]
	s_or_b64 s[8:9], s[2:3], s[8:9]
	s_andn2_b64 s[2:3], s[12:13], exec
	s_and_b64 s[12:13], s[16:17], exec
	s_or_b64 s[12:13], s[2:3], s[12:13]
	s_andn2_b64 exec, exec, s[8:9]
	s_cbranch_execz .LBB54_321
.LBB54_318:                             ; =>This Inner Loop Header: Depth=1
	v_mov_b64_e32 v[2:3], v[0:1]
	v_cmp_lt_i64_e32 vcc, v[2:3], v[4:5]
	s_or_b64 s[16:17], s[16:17], exec
	s_or_b64 s[14:15], s[14:15], exec
                                        ; implicit-def: $vgpr0_vgpr1
	s_and_saveexec_b64 s[18:19], vcc
	s_cbranch_execz .LBB54_317
; %bb.319:                              ;   in Loop: Header=BB54_318 Depth=1
	global_load_dword v0, v[12:13], off
	s_mov_b64 s[20:21], -1
	s_waitcnt vmcnt(0)
	v_cmp_o_f32_e64 s[2:3], v0, v0
	v_cmp_neq_f32_e32 vcc, v0, v37
	s_or_b64 s[2:3], s[2:3], s[10:11]
	s_and_b64 s[24:25], vcc, s[2:3]
	s_mov_b64 s[2:3], 0
                                        ; implicit-def: $vgpr0_vgpr1
	s_and_saveexec_b64 s[22:23], s[24:25]
	s_cbranch_execz .LBB54_316
; %bb.320:                              ;   in Loop: Header=BB54_318 Depth=1
	v_lshl_add_u64 v[0:1], v[2:3], 0, s[92:93]
	v_cmp_le_i64_e32 vcc, s[60:61], v[0:1]
	s_mov_b64 s[2:3], exec
	v_lshl_add_u64 v[12:13], v[12:13], 0, s[94:95]
	s_orn2_b64 s[20:21], vcc, exec
	s_branch .LBB54_316
.LBB54_321:
	s_or_b64 exec, exec, s[8:9]
	s_xor_b64 s[2:3], s[12:13], -1
	s_and_saveexec_b64 s[8:9], s[2:3]
	s_xor_b64 s[8:9], exec, s[8:9]
	s_cbranch_execz .LBB54_326
; %bb.322:
	s_mov_b64 s[2:3], exec
	s_brev_b32 s8, -2
.LBB54_323:                             ; =>This Inner Loop Header: Depth=1
	s_ff1_i32_b64 s9, s[2:3]
	v_readlane_b32 s12, v2, s9
	s_lshl_b64 s[10:11], 1, s9
	s_min_i32 s8, s8, s12
	s_andn2_b64 s[2:3], s[2:3], s[10:11]
	s_cmp_lg_u64 s[2:3], 0
	s_cbranch_scc1 .LBB54_323
; %bb.324:
	v_mbcnt_lo_u32_b32 v0, exec_lo, 0
	v_mbcnt_hi_u32_b32 v0, exec_hi, v0
	v_cmp_eq_u32_e32 vcc, 0, v0
	s_and_saveexec_b64 s[2:3], vcc
	s_xor_b64 s[2:3], exec, s[2:3]
; %bb.325:
	v_mov_b32_e32 v0, 0
	v_mov_b32_e32 v1, s8
	ds_min_i32 v0, v1 offset:5140
.LBB54_326:
	s_or_b64 exec, exec, s[6:7]
	s_waitcnt lgkmcnt(0)
	s_barrier
	s_mov_b64 s[2:3], exec
	v_readlane_b32 s6, v65, 32
	v_readlane_b32 s7, v65, 33
	s_and_b64 s[6:7], s[2:3], s[6:7]
	s_mov_b64 exec, s[6:7]
	s_cbranch_execz .LBB54_328
; %bb.327:
	s_mul_i32 s6, s34, s31
	s_mul_hi_u32 s7, s34, s30
	s_add_i32 s6, s7, s6
	s_mul_i32 s7, s35, s30
	s_add_i32 s6, s6, s7
	s_mul_i32 s7, s34, s30
	v_readlane_b32 s10, v65, 8
	s_sub_u32 s8, s26, s7
	v_readlane_b32 s11, v65, 9
	s_subb_u32 s6, 0, s6
	s_mul_i32 s7, s8, s11
	s_mul_hi_u32 s9, s8, s10
	v_readlane_b32 s12, v65, 0
	s_add_i32 s7, s9, s7
	s_mul_i32 s6, s6, s10
	v_readlane_b32 s13, v65, 1
	v_readlane_b32 s18, v65, 6
	s_add_i32 s7, s7, s6
	s_mul_i32 s6, s8, s10
	v_readlane_b32 s19, v65, 7
	s_mul_i32 s8, s18, s13
	s_mul_hi_u32 s9, s18, s12
	s_add_i32 s8, s9, s8
	s_mul_i32 s9, s19, s12
	s_add_i32 s8, s8, s9
	s_mul_i32 s9, s18, s12
	v_readlane_b32 s16, v65, 4
	v_readlane_b32 s20, v65, 16
	;; [unrolled: 1-line block ×3, first 2 shown]
	s_sub_u32 s10, s16, s9
	v_readlane_b32 s22, v65, 18
	v_readlane_b32 s23, v65, 19
	s_subb_u32 s8, s17, s8
	s_mul_i32 s9, s10, s23
	s_mul_hi_u32 s11, s10, s22
	v_readlane_b32 s14, v65, 2
	v_readlane_b32 s15, v65, 3
	v_readlane_b32 s21, v65, 17
	s_add_i32 s9, s11, s9
	s_mul_i32 s8, s8, s22
	s_add_i32 s9, s9, s8
	s_mul_i32 s8, s10, s22
	s_mul_i32 s10, s18, s21
	s_mul_hi_u32 s11, s18, s20
	s_mul_i32 s12, s16, s15
	s_mul_hi_u32 s13, s16, s14
	s_add_i32 s10, s11, s10
	s_mul_i32 s11, s19, s20
	s_add_i32 s12, s13, s12
	s_mul_i32 s13, s17, s14
	s_add_i32 s11, s10, s11
	s_add_i32 s12, s12, s13
	s_mul_i32 s13, s16, s14
	v_readlane_b32 s16, v65, 14
	s_sub_u32 s14, s26, s13
	v_readlane_b32 s17, v65, 15
	s_subb_u32 s12, 0, s12
	s_mul_i32 s13, s14, s17
	s_mul_hi_u32 s15, s14, s16
	s_mul_i32 s10, s18, s20
	s_add_i32 s13, s15, s13
	s_mul_i32 s12, s12, s16
	v_readlane_b32 s18, v65, 20
	s_add_i32 s13, s13, s12
	s_mul_i32 s12, s14, s16
	v_readlane_b32 s19, v65, 21
	s_mul_i32 s14, s18, s29
	s_mul_hi_u32 s15, s18, s28
	s_add_i32 s14, s15, s14
	s_mul_i32 s15, s19, s28
	s_add_i32 s14, s14, s15
	s_mul_i32 s15, s18, s28
	v_readlane_b32 s20, v65, 10
	s_sub_u32 s16, s34, s15
	v_readlane_b32 s22, v65, 12
	v_readlane_b32 s23, v65, 13
	s_subb_u32 s14, s35, s14
	s_mul_i32 s15, s16, s23
	s_mul_hi_u32 s17, s16, s22
	v_readlane_b32 s21, v65, 11
	s_add_i32 s15, s17, s15
	s_mul_i32 s14, s14, s22
	s_add_i32 s15, s15, s14
	s_mul_i32 s14, s16, s22
	s_mul_i32 s16, s18, s21
	s_mul_hi_u32 s17, s18, s20
	s_add_i32 s16, s17, s16
	s_mul_i32 s17, s19, s20
	s_add_i32 s17, s16, s17
	s_mul_i32 s16, s18, s20
	s_lshl_b64 s[10:11], s[10:11], 2
	v_readlane_b32 s18, v65, 30
	v_readlane_b32 s19, v65, 31
	s_add_u32 s10, s18, s10
	s_addc_u32 s11, s19, s11
	s_lshl_b64 s[8:9], s[8:9], 2
	s_add_u32 s10, s10, s8
	s_addc_u32 s11, s11, s9
	s_lshl_b64 s[8:9], s[12:13], 2
	;; [unrolled: 3-line block ×3, first 2 shown]
	v_readlane_b32 s12, v65, 28
	v_mov_b32_e32 v2, 0
	v_readlane_b32 s13, v65, 29
	s_add_u32 s12, s12, s10
	ds_read_b32 v0, v2 offset:5140
	s_addc_u32 s13, s13, s11
	s_lshl_b64 s[10:11], s[14:15], 3
	s_add_u32 s10, s12, s10
	s_addc_u32 s11, s13, s11
	s_lshl_b64 s[6:7], s[6:7], 3
	s_add_u32 s6, s10, s6
	s_addc_u32 s7, s11, s7
	s_waitcnt lgkmcnt(0)
	v_ashrrev_i32_e32 v1, 31, v0
	global_store_dwordx2 v2, v[0:1], s[6:7]
	global_store_dword v2, v37, s[8:9]
.LBB54_328:
	s_or_b64 exec, exec, s[2:3]
.LBB54_329:
	s_or_saveexec_b64 s[2:3], s[4:5]
	s_mov_b64 s[4:5], 0
	s_xor_b64 exec, exec, s[2:3]
	s_cbranch_execnz .LBB54_332
.LBB54_330:
	s_or_b64 exec, exec, s[2:3]
	s_and_b64 s[2:3], s[4:5], exec
	s_andn2_saveexec_b64 s[0:1], s[0:1]
	s_cbranch_execz .LBB54_306
.LBB54_331:
	s_or_b64 s[2:3], s[2:3], exec
	s_trap 2
	s_or_b64 exec, exec, s[0:1]
	s_and_saveexec_b64 s[0:1], s[2:3]
	s_cbranch_execnz .LBB54_307
	s_branch .LBB54_308
.LBB54_332:
	s_mov_b64 s[4:5], exec
	s_trap 2
	s_branch .LBB54_330
	.section	.rodata,"a",@progbits
	.p2align	6, 0x0
	.amdhsa_kernel _ZN2at6native12_GLOBAL__N_114gatherKthValueIflLi3EEEvNS_4cuda6detail10TensorInfoIKT_T0_EES8_S8_S8_S8_NS5_IS6_S8_EENS5_IlS8_EE
		.amdhsa_group_segment_fixed_size 5144
		.amdhsa_private_segment_fixed_size 0
		.amdhsa_kernarg_size 1536
		.amdhsa_user_sgpr_count 2
		.amdhsa_user_sgpr_dispatch_ptr 0
		.amdhsa_user_sgpr_queue_ptr 0
		.amdhsa_user_sgpr_kernarg_segment_ptr 1
		.amdhsa_user_sgpr_dispatch_id 0
		.amdhsa_user_sgpr_kernarg_preload_length 0
		.amdhsa_user_sgpr_kernarg_preload_offset 0
		.amdhsa_user_sgpr_private_segment_size 0
		.amdhsa_uses_dynamic_stack 0
		.amdhsa_enable_private_segment 0
		.amdhsa_system_sgpr_workgroup_id_x 1
		.amdhsa_system_sgpr_workgroup_id_y 1
		.amdhsa_system_sgpr_workgroup_id_z 1
		.amdhsa_system_sgpr_workgroup_info 0
		.amdhsa_system_vgpr_workitem_id 0
		.amdhsa_next_free_vgpr 66
		.amdhsa_next_free_sgpr 100
		.amdhsa_accum_offset 68
		.amdhsa_reserve_vcc 1
		.amdhsa_float_round_mode_32 0
		.amdhsa_float_round_mode_16_64 0
		.amdhsa_float_denorm_mode_32 3
		.amdhsa_float_denorm_mode_16_64 3
		.amdhsa_dx10_clamp 1
		.amdhsa_ieee_mode 1
		.amdhsa_fp16_overflow 0
		.amdhsa_tg_split 0
		.amdhsa_exception_fp_ieee_invalid_op 0
		.amdhsa_exception_fp_denorm_src 0
		.amdhsa_exception_fp_ieee_div_zero 0
		.amdhsa_exception_fp_ieee_overflow 0
		.amdhsa_exception_fp_ieee_underflow 0
		.amdhsa_exception_fp_ieee_inexact 0
		.amdhsa_exception_int_div_zero 0
	.end_amdhsa_kernel
	.section	.text._ZN2at6native12_GLOBAL__N_114gatherKthValueIflLi3EEEvNS_4cuda6detail10TensorInfoIKT_T0_EES8_S8_S8_S8_NS5_IS6_S8_EENS5_IlS8_EE,"axG",@progbits,_ZN2at6native12_GLOBAL__N_114gatherKthValueIflLi3EEEvNS_4cuda6detail10TensorInfoIKT_T0_EES8_S8_S8_S8_NS5_IS6_S8_EENS5_IlS8_EE,comdat
.Lfunc_end54:
	.size	_ZN2at6native12_GLOBAL__N_114gatherKthValueIflLi3EEEvNS_4cuda6detail10TensorInfoIKT_T0_EES8_S8_S8_S8_NS5_IS6_S8_EENS5_IlS8_EE, .Lfunc_end54-_ZN2at6native12_GLOBAL__N_114gatherKthValueIflLi3EEEvNS_4cuda6detail10TensorInfoIKT_T0_EES8_S8_S8_S8_NS5_IS6_S8_EENS5_IlS8_EE
                                        ; -- End function
	.set _ZN2at6native12_GLOBAL__N_114gatherKthValueIflLi3EEEvNS_4cuda6detail10TensorInfoIKT_T0_EES8_S8_S8_S8_NS5_IS6_S8_EENS5_IlS8_EE.num_vgpr, 66
	.set _ZN2at6native12_GLOBAL__N_114gatherKthValueIflLi3EEEvNS_4cuda6detail10TensorInfoIKT_T0_EES8_S8_S8_S8_NS5_IS6_S8_EENS5_IlS8_EE.num_agpr, 0
	.set _ZN2at6native12_GLOBAL__N_114gatherKthValueIflLi3EEEvNS_4cuda6detail10TensorInfoIKT_T0_EES8_S8_S8_S8_NS5_IS6_S8_EENS5_IlS8_EE.numbered_sgpr, 100
	.set _ZN2at6native12_GLOBAL__N_114gatherKthValueIflLi3EEEvNS_4cuda6detail10TensorInfoIKT_T0_EES8_S8_S8_S8_NS5_IS6_S8_EENS5_IlS8_EE.num_named_barrier, 0
	.set _ZN2at6native12_GLOBAL__N_114gatherKthValueIflLi3EEEvNS_4cuda6detail10TensorInfoIKT_T0_EES8_S8_S8_S8_NS5_IS6_S8_EENS5_IlS8_EE.private_seg_size, 0
	.set _ZN2at6native12_GLOBAL__N_114gatherKthValueIflLi3EEEvNS_4cuda6detail10TensorInfoIKT_T0_EES8_S8_S8_S8_NS5_IS6_S8_EENS5_IlS8_EE.uses_vcc, 1
	.set _ZN2at6native12_GLOBAL__N_114gatherKthValueIflLi3EEEvNS_4cuda6detail10TensorInfoIKT_T0_EES8_S8_S8_S8_NS5_IS6_S8_EENS5_IlS8_EE.uses_flat_scratch, 0
	.set _ZN2at6native12_GLOBAL__N_114gatherKthValueIflLi3EEEvNS_4cuda6detail10TensorInfoIKT_T0_EES8_S8_S8_S8_NS5_IS6_S8_EENS5_IlS8_EE.has_dyn_sized_stack, 0
	.set _ZN2at6native12_GLOBAL__N_114gatherKthValueIflLi3EEEvNS_4cuda6detail10TensorInfoIKT_T0_EES8_S8_S8_S8_NS5_IS6_S8_EENS5_IlS8_EE.has_recursion, 0
	.set _ZN2at6native12_GLOBAL__N_114gatherKthValueIflLi3EEEvNS_4cuda6detail10TensorInfoIKT_T0_EES8_S8_S8_S8_NS5_IS6_S8_EENS5_IlS8_EE.has_indirect_call, 0
	.section	.AMDGPU.csdata,"",@progbits
; Kernel info:
; codeLenInByte = 21568
; TotalNumSgprs: 106
; NumVgprs: 66
; NumAgprs: 0
; TotalNumVgprs: 66
; ScratchSize: 0
; MemoryBound: 0
; FloatMode: 240
; IeeeMode: 1
; LDSByteSize: 5144 bytes/workgroup (compile time only)
; SGPRBlocks: 13
; VGPRBlocks: 8
; NumSGPRsForWavesPerEU: 106
; NumVGPRsForWavesPerEU: 66
; AccumOffset: 68
; Occupancy: 7
; WaveLimiterHint : 1
; COMPUTE_PGM_RSRC2:SCRATCH_EN: 0
; COMPUTE_PGM_RSRC2:USER_SGPR: 2
; COMPUTE_PGM_RSRC2:TRAP_HANDLER: 0
; COMPUTE_PGM_RSRC2:TGID_X_EN: 1
; COMPUTE_PGM_RSRC2:TGID_Y_EN: 1
; COMPUTE_PGM_RSRC2:TGID_Z_EN: 1
; COMPUTE_PGM_RSRC2:TIDIG_COMP_CNT: 0
; COMPUTE_PGM_RSRC3_GFX90A:ACCUM_OFFSET: 16
; COMPUTE_PGM_RSRC3_GFX90A:TG_SPLIT: 0
	.section	.text._ZN2at6native12_GLOBAL__N_114gatherKthValueIflLin1EEEvNS_4cuda6detail10TensorInfoIKT_T0_EES8_S8_S8_S8_NS5_IS6_S8_EENS5_IlS8_EE,"axG",@progbits,_ZN2at6native12_GLOBAL__N_114gatherKthValueIflLin1EEEvNS_4cuda6detail10TensorInfoIKT_T0_EES8_S8_S8_S8_NS5_IS6_S8_EENS5_IlS8_EE,comdat
	.globl	_ZN2at6native12_GLOBAL__N_114gatherKthValueIflLin1EEEvNS_4cuda6detail10TensorInfoIKT_T0_EES8_S8_S8_S8_NS5_IS6_S8_EENS5_IlS8_EE ; -- Begin function _ZN2at6native12_GLOBAL__N_114gatherKthValueIflLin1EEEvNS_4cuda6detail10TensorInfoIKT_T0_EES8_S8_S8_S8_NS5_IS6_S8_EENS5_IlS8_EE
	.p2align	8
	.type	_ZN2at6native12_GLOBAL__N_114gatherKthValueIflLin1EEEvNS_4cuda6detail10TensorInfoIKT_T0_EES8_S8_S8_S8_NS5_IS6_S8_EENS5_IlS8_EE,@function
_ZN2at6native12_GLOBAL__N_114gatherKthValueIflLin1EEEvNS_4cuda6detail10TensorInfoIKT_T0_EES8_S8_S8_S8_NS5_IS6_S8_EENS5_IlS8_EE: ; @_ZN2at6native12_GLOBAL__N_114gatherKthValueIflLin1EEEvNS_4cuda6detail10TensorInfoIKT_T0_EES8_S8_S8_S8_NS5_IS6_S8_EENS5_IlS8_EE
; %bb.0:
	s_load_dwordx2 s[12:13], s[0:1], 0x500
	s_load_dwordx8 s[60:67], s[0:1], 0x1a0
	s_add_u32 s10, s0, 0x500
	s_addc_u32 s11, s1, 0
	s_mov_b32 s7, 0
	s_waitcnt lgkmcnt(0)
	s_mul_i32 s4, s13, s4
	s_add_i32 s3, s4, s3
	s_mul_i32 s3, s3, s12
	s_add_i32 s6, s3, s2
	v_mov_b64_e32 v[2:3], s[6:7]
	v_cmp_le_i64_e32 vcc, s[64:65], v[2:3]
	s_cbranch_vccnz .LBB55_308
; %bb.1:
	s_load_dword s13, s[0:1], 0x198
	s_mov_b64 s[4:5], 0
	s_mov_b64 s[8:9], s[6:7]
	s_waitcnt lgkmcnt(0)
	s_cmp_lt_i32 s13, 2
	s_cbranch_scc1 .LBB55_9
; %bb.2:
	s_mov_b32 s14, 0
	s_add_i32 s4, s13, -1
	s_mov_b32 s5, s14
	s_add_i32 s3, s13, 1
	s_lshl_b64 s[4:5], s[4:5], 3
	s_add_u32 s4, s0, s4
	s_addc_u32 s5, s1, s5
	s_add_u32 s16, s4, 8
	s_addc_u32 s17, s5, 0
	s_mov_b64 s[4:5], 0
	s_mov_b64 s[18:19], s[6:7]
.LBB55_3:                               ; =>This Inner Loop Header: Depth=1
	s_load_dwordx2 s[20:21], s[16:17], 0x0
	s_waitcnt lgkmcnt(0)
	s_or_b64 s[8:9], s[18:19], s[20:21]
	s_mov_b32 s15, s9
	s_cmp_lg_u64 s[14:15], 0
	s_cbranch_scc0 .LBB55_8
; %bb.4:                                ;   in Loop: Header=BB55_3 Depth=1
	s_ashr_i32 s8, s21, 31
	s_add_u32 s22, s20, s8
	s_mov_b32 s9, s8
	s_addc_u32 s23, s21, s8
	s_xor_b64 s[22:23], s[22:23], s[8:9]
	v_cvt_f32_u32_e32 v1, s22
	v_cvt_f32_u32_e32 v2, s23
	s_sub_u32 s13, 0, s22
	s_subb_u32 s15, 0, s23
	v_fmac_f32_e32 v1, 0x4f800000, v2
	v_rcp_f32_e32 v1, v1
	s_nop 0
	v_mul_f32_e32 v1, 0x5f7ffffc, v1
	v_mul_f32_e32 v2, 0x2f800000, v1
	v_trunc_f32_e32 v2, v2
	v_fmac_f32_e32 v1, 0xcf800000, v2
	v_cvt_u32_f32_e32 v2, v2
	v_cvt_u32_f32_e32 v1, v1
	v_readfirstlane_b32 s26, v2
	v_readfirstlane_b32 s24, v1
	s_mul_i32 s25, s13, s26
	s_mul_hi_u32 s28, s13, s24
	s_mul_i32 s27, s15, s24
	s_add_i32 s25, s28, s25
	s_add_i32 s25, s25, s27
	s_mul_i32 s29, s13, s24
	s_mul_i32 s28, s24, s25
	s_mul_hi_u32 s30, s24, s29
	s_mul_hi_u32 s27, s24, s25
	s_add_u32 s28, s30, s28
	s_addc_u32 s27, 0, s27
	s_mul_hi_u32 s31, s26, s29
	s_mul_i32 s29, s26, s29
	s_add_u32 s28, s28, s29
	s_mul_hi_u32 s30, s26, s25
	s_addc_u32 s27, s27, s31
	s_addc_u32 s28, s30, 0
	s_mul_i32 s25, s26, s25
	s_add_u32 s25, s27, s25
	s_addc_u32 s27, 0, s28
	s_add_u32 s28, s24, s25
	s_cselect_b64 s[24:25], -1, 0
	s_cmp_lg_u64 s[24:25], 0
	s_addc_u32 s26, s26, s27
	s_mul_i32 s24, s13, s26
	s_mul_hi_u32 s25, s13, s28
	s_add_i32 s24, s25, s24
	s_mul_i32 s15, s15, s28
	s_add_i32 s24, s24, s15
	s_mul_i32 s13, s13, s28
	s_mul_hi_u32 s25, s26, s13
	s_mul_i32 s27, s26, s13
	s_mul_i32 s30, s28, s24
	s_mul_hi_u32 s13, s28, s13
	s_mul_hi_u32 s29, s28, s24
	s_add_u32 s13, s13, s30
	s_addc_u32 s29, 0, s29
	s_add_u32 s13, s13, s27
	s_mul_hi_u32 s15, s26, s24
	s_addc_u32 s13, s29, s25
	s_addc_u32 s15, s15, 0
	s_mul_i32 s24, s26, s24
	s_add_u32 s13, s13, s24
	s_addc_u32 s15, 0, s15
	s_add_u32 s13, s28, s13
	s_cselect_b64 s[24:25], -1, 0
	s_cmp_lg_u64 s[24:25], 0
	s_addc_u32 s15, s26, s15
	s_ashr_i32 s24, s19, 31
	s_add_u32 s26, s18, s24
	s_mov_b32 s25, s24
	s_addc_u32 s27, s19, s24
	s_xor_b64 s[26:27], s[26:27], s[24:25]
	s_mul_i32 s29, s26, s15
	s_mul_hi_u32 s30, s26, s13
	s_mul_hi_u32 s28, s26, s15
	s_add_u32 s29, s30, s29
	s_addc_u32 s28, 0, s28
	s_mul_hi_u32 s31, s27, s13
	s_mul_i32 s13, s27, s13
	s_add_u32 s13, s29, s13
	s_mul_hi_u32 s30, s27, s15
	s_addc_u32 s13, s28, s31
	s_addc_u32 s28, s30, 0
	s_mul_i32 s15, s27, s15
	s_add_u32 s13, s13, s15
	s_addc_u32 s15, 0, s28
	s_mul_i32 s28, s22, s15
	s_mul_hi_u32 s29, s22, s13
	s_add_i32 s28, s29, s28
	s_mul_i32 s29, s23, s13
	s_add_i32 s33, s28, s29
	s_sub_i32 s30, s27, s33
	s_mul_i32 s28, s22, s13
	s_sub_u32 s26, s26, s28
	s_cselect_b64 s[28:29], -1, 0
	s_cmp_lg_u64 s[28:29], 0
	s_subb_u32 s34, s30, s23
	s_sub_u32 s35, s26, s22
	s_cselect_b64 s[30:31], -1, 0
	s_cmp_lg_u64 s[30:31], 0
	s_subb_u32 s30, s34, 0
	s_cmp_ge_u32 s30, s23
	s_cselect_b32 s31, -1, 0
	s_cmp_ge_u32 s35, s22
	s_cselect_b32 s34, -1, 0
	s_cmp_eq_u32 s30, s23
	s_cselect_b32 s30, s34, s31
	s_add_u32 s31, s13, 1
	s_addc_u32 s34, s15, 0
	s_add_u32 s35, s13, 2
	s_addc_u32 s36, s15, 0
	s_cmp_lg_u32 s30, 0
	s_cselect_b32 s30, s35, s31
	s_cselect_b32 s31, s36, s34
	s_cmp_lg_u64 s[28:29], 0
	s_subb_u32 s27, s27, s33
	s_cmp_ge_u32 s27, s23
	s_cselect_b32 s28, -1, 0
	s_cmp_ge_u32 s26, s22
	s_cselect_b32 s22, -1, 0
	s_cmp_eq_u32 s27, s23
	s_cselect_b32 s22, s22, s28
	s_cmp_lg_u32 s22, 0
	s_cselect_b32 s23, s31, s15
	s_cselect_b32 s22, s30, s13
	s_xor_b64 s[8:9], s[24:25], s[8:9]
	s_xor_b64 s[22:23], s[22:23], s[8:9]
	s_sub_u32 s8, s22, s8
	s_subb_u32 s9, s23, s9
	s_cbranch_execnz .LBB55_6
.LBB55_5:                               ;   in Loop: Header=BB55_3 Depth=1
	v_cvt_f32_u32_e32 v1, s20
	s_sub_i32 s8, 0, s20
	v_rcp_iflag_f32_e32 v1, v1
	s_nop 0
	v_mul_f32_e32 v1, 0x4f7ffffe, v1
	v_cvt_u32_f32_e32 v1, v1
	s_nop 0
	v_readfirstlane_b32 s9, v1
	s_mul_i32 s8, s8, s9
	s_mul_hi_u32 s8, s9, s8
	s_add_i32 s9, s9, s8
	s_mul_hi_u32 s8, s18, s9
	s_mul_i32 s13, s8, s20
	s_sub_i32 s13, s18, s13
	s_add_i32 s9, s8, 1
	s_sub_i32 s15, s13, s20
	s_cmp_ge_u32 s13, s20
	s_cselect_b32 s8, s9, s8
	s_cselect_b32 s13, s15, s13
	s_add_i32 s9, s8, 1
	s_cmp_ge_u32 s13, s20
	s_cselect_b32 s8, s9, s8
	s_mov_b32 s9, s14
.LBB55_6:                               ;   in Loop: Header=BB55_3 Depth=1
	s_mul_i32 s13, s8, s21
	s_mul_hi_u32 s15, s8, s20
	s_load_dwordx2 s[22:23], s[16:17], 0xc8
	s_add_i32 s13, s15, s13
	s_mul_i32 s15, s9, s20
	s_add_i32 s13, s13, s15
	s_mul_i32 s15, s8, s20
	s_sub_u32 s15, s18, s15
	s_subb_u32 s13, s19, s13
	s_waitcnt lgkmcnt(0)
	s_mul_i32 s13, s22, s13
	s_mul_hi_u32 s18, s22, s15
	s_add_i32 s13, s18, s13
	s_mul_i32 s18, s23, s15
	s_add_i32 s13, s13, s18
	s_mul_i32 s15, s22, s15
	s_add_u32 s4, s15, s4
	s_addc_u32 s5, s13, s5
	s_add_i32 s3, s3, -1
	s_add_u32 s16, s16, -8
	s_addc_u32 s17, s17, -1
	s_cmp_gt_u32 s3, 2
	s_cbranch_scc0 .LBB55_9
; %bb.7:                                ;   in Loop: Header=BB55_3 Depth=1
	s_mov_b64 s[18:19], s[8:9]
	s_branch .LBB55_3
.LBB55_8:                               ;   in Loop: Header=BB55_3 Depth=1
                                        ; implicit-def: $sgpr8_sgpr9
	s_branch .LBB55_5
.LBB55_9:
	s_load_dword s13, s[0:1], 0x358
	s_load_dwordx2 s[14:15], s[0:1], 0xd0
	s_add_u32 s16, s0, 0x1c0
	s_addc_u32 s17, s1, 0
	s_mov_b64 s[58:59], 0
	s_waitcnt lgkmcnt(0)
	s_cmp_lt_i32 s13, 2
	s_mov_b64 s[28:29], s[6:7]
	s_cbranch_scc1 .LBB55_17
; %bb.10:
	s_mov_b32 s18, 0
	s_add_i32 s20, s13, -1
	s_mov_b32 s21, s18
	s_add_i32 s3, s13, 1
	s_lshl_b64 s[20:21], s[20:21], 3
	s_add_u32 s13, s16, s20
	s_addc_u32 s19, s17, s21
	s_add_u32 s20, s13, 8
	s_addc_u32 s21, s19, 0
	s_mov_b64 s[22:23], s[6:7]
.LBB55_11:                              ; =>This Inner Loop Header: Depth=1
	s_load_dwordx2 s[24:25], s[20:21], 0x0
	s_waitcnt lgkmcnt(0)
	s_or_b64 s[26:27], s[22:23], s[24:25]
	s_mov_b32 s19, s27
	s_cmp_lg_u64 s[18:19], 0
	s_cbranch_scc0 .LBB55_16
; %bb.12:                               ;   in Loop: Header=BB55_11 Depth=1
	s_ashr_i32 s26, s25, 31
	s_add_u32 s28, s24, s26
	s_mov_b32 s27, s26
	s_addc_u32 s29, s25, s26
	s_xor_b64 s[28:29], s[28:29], s[26:27]
	v_cvt_f32_u32_e32 v1, s28
	v_cvt_f32_u32_e32 v2, s29
	s_sub_u32 s13, 0, s28
	s_subb_u32 s19, 0, s29
	v_fmac_f32_e32 v1, 0x4f800000, v2
	v_rcp_f32_e32 v1, v1
	s_nop 0
	v_mul_f32_e32 v1, 0x5f7ffffc, v1
	v_mul_f32_e32 v2, 0x2f800000, v1
	v_trunc_f32_e32 v2, v2
	v_fmac_f32_e32 v1, 0xcf800000, v2
	v_cvt_u32_f32_e32 v2, v2
	v_cvt_u32_f32_e32 v1, v1
	v_readfirstlane_b32 s33, v2
	v_readfirstlane_b32 s30, v1
	s_mul_i32 s31, s13, s33
	s_mul_hi_u32 s35, s13, s30
	s_mul_i32 s34, s19, s30
	s_add_i32 s31, s35, s31
	s_add_i32 s31, s31, s34
	s_mul_i32 s36, s13, s30
	s_mul_i32 s35, s30, s31
	s_mul_hi_u32 s37, s30, s36
	s_mul_hi_u32 s34, s30, s31
	s_add_u32 s35, s37, s35
	s_addc_u32 s34, 0, s34
	s_mul_hi_u32 s38, s33, s36
	s_mul_i32 s36, s33, s36
	s_add_u32 s35, s35, s36
	s_mul_hi_u32 s37, s33, s31
	s_addc_u32 s34, s34, s38
	s_addc_u32 s35, s37, 0
	s_mul_i32 s31, s33, s31
	s_add_u32 s31, s34, s31
	s_addc_u32 s34, 0, s35
	s_add_u32 s35, s30, s31
	s_cselect_b64 s[30:31], -1, 0
	s_cmp_lg_u64 s[30:31], 0
	s_addc_u32 s33, s33, s34
	s_mul_i32 s30, s13, s33
	s_mul_hi_u32 s31, s13, s35
	s_add_i32 s30, s31, s30
	s_mul_i32 s19, s19, s35
	s_add_i32 s30, s30, s19
	s_mul_i32 s13, s13, s35
	s_mul_hi_u32 s31, s33, s13
	s_mul_i32 s34, s33, s13
	s_mul_i32 s37, s35, s30
	s_mul_hi_u32 s13, s35, s13
	s_mul_hi_u32 s36, s35, s30
	s_add_u32 s13, s13, s37
	s_addc_u32 s36, 0, s36
	s_add_u32 s13, s13, s34
	s_mul_hi_u32 s19, s33, s30
	s_addc_u32 s13, s36, s31
	s_addc_u32 s19, s19, 0
	s_mul_i32 s30, s33, s30
	s_add_u32 s13, s13, s30
	s_addc_u32 s19, 0, s19
	s_add_u32 s13, s35, s13
	s_cselect_b64 s[30:31], -1, 0
	s_cmp_lg_u64 s[30:31], 0
	s_addc_u32 s19, s33, s19
	s_ashr_i32 s30, s23, 31
	s_add_u32 s34, s22, s30
	s_mov_b32 s31, s30
	s_addc_u32 s35, s23, s30
	s_xor_b64 s[34:35], s[34:35], s[30:31]
	s_mul_i32 s36, s34, s19
	s_mul_hi_u32 s37, s34, s13
	s_mul_hi_u32 s33, s34, s19
	s_add_u32 s36, s37, s36
	s_addc_u32 s33, 0, s33
	s_mul_hi_u32 s38, s35, s13
	s_mul_i32 s13, s35, s13
	s_add_u32 s13, s36, s13
	s_mul_hi_u32 s37, s35, s19
	s_addc_u32 s13, s33, s38
	s_addc_u32 s33, s37, 0
	s_mul_i32 s19, s35, s19
	s_add_u32 s13, s13, s19
	s_addc_u32 s19, 0, s33
	s_mul_i32 s33, s28, s19
	s_mul_hi_u32 s36, s28, s13
	s_add_i32 s33, s36, s33
	s_mul_i32 s36, s29, s13
	s_add_i32 s33, s33, s36
	s_sub_i32 s38, s35, s33
	s_mul_i32 s36, s28, s13
	s_sub_u32 s34, s34, s36
	s_cselect_b64 s[36:37], -1, 0
	s_cmp_lg_u64 s[36:37], 0
	s_subb_u32 s40, s38, s29
	s_sub_u32 s41, s34, s28
	s_cselect_b64 s[38:39], -1, 0
	s_cmp_lg_u64 s[38:39], 0
	s_subb_u32 s38, s40, 0
	s_cmp_ge_u32 s38, s29
	s_cselect_b32 s39, -1, 0
	s_cmp_ge_u32 s41, s28
	s_cselect_b32 s40, -1, 0
	s_cmp_eq_u32 s38, s29
	s_cselect_b32 s38, s40, s39
	s_add_u32 s39, s13, 1
	s_addc_u32 s40, s19, 0
	s_add_u32 s41, s13, 2
	s_addc_u32 s42, s19, 0
	s_cmp_lg_u32 s38, 0
	s_cselect_b32 s38, s41, s39
	s_cselect_b32 s39, s42, s40
	s_cmp_lg_u64 s[36:37], 0
	s_subb_u32 s33, s35, s33
	s_cmp_ge_u32 s33, s29
	s_cselect_b32 s35, -1, 0
	s_cmp_ge_u32 s34, s28
	s_cselect_b32 s28, -1, 0
	s_cmp_eq_u32 s33, s29
	s_cselect_b32 s28, s28, s35
	s_cmp_lg_u32 s28, 0
	s_cselect_b32 s29, s39, s19
	s_cselect_b32 s28, s38, s13
	s_xor_b64 s[26:27], s[30:31], s[26:27]
	s_xor_b64 s[28:29], s[28:29], s[26:27]
	s_sub_u32 s28, s28, s26
	s_subb_u32 s29, s29, s27
	s_cbranch_execnz .LBB55_14
.LBB55_13:                              ;   in Loop: Header=BB55_11 Depth=1
	v_cvt_f32_u32_e32 v1, s24
	s_sub_i32 s13, 0, s24
	s_mov_b32 s29, s18
	v_rcp_iflag_f32_e32 v1, v1
	s_nop 0
	v_mul_f32_e32 v1, 0x4f7ffffe, v1
	v_cvt_u32_f32_e32 v1, v1
	s_nop 0
	v_readfirstlane_b32 s19, v1
	s_mul_i32 s13, s13, s19
	s_mul_hi_u32 s13, s19, s13
	s_add_i32 s19, s19, s13
	s_mul_hi_u32 s13, s22, s19
	s_mul_i32 s26, s13, s24
	s_sub_i32 s26, s22, s26
	s_add_i32 s19, s13, 1
	s_sub_i32 s27, s26, s24
	s_cmp_ge_u32 s26, s24
	s_cselect_b32 s13, s19, s13
	s_cselect_b32 s26, s27, s26
	s_add_i32 s19, s13, 1
	s_cmp_ge_u32 s26, s24
	s_cselect_b32 s28, s19, s13
.LBB55_14:                              ;   in Loop: Header=BB55_11 Depth=1
	s_mul_i32 s13, s28, s25
	s_mul_hi_u32 s19, s28, s24
	s_load_dwordx2 s[26:27], s[20:21], 0xc8
	s_add_i32 s13, s19, s13
	s_mul_i32 s19, s29, s24
	s_add_i32 s13, s13, s19
	s_mul_i32 s19, s28, s24
	s_sub_u32 s19, s22, s19
	s_subb_u32 s13, s23, s13
	s_waitcnt lgkmcnt(0)
	s_mul_i32 s13, s26, s13
	s_mul_hi_u32 s22, s26, s19
	s_add_i32 s13, s22, s13
	s_mul_i32 s22, s27, s19
	s_add_i32 s13, s13, s22
	s_mul_i32 s19, s26, s19
	s_add_u32 s58, s19, s58
	s_addc_u32 s59, s13, s59
	s_add_i32 s3, s3, -1
	s_add_u32 s20, s20, -8
	s_addc_u32 s21, s21, -1
	s_cmp_gt_u32 s3, 2
	s_cbranch_scc0 .LBB55_17
; %bb.15:                               ;   in Loop: Header=BB55_11 Depth=1
	s_mov_b64 s[22:23], s[28:29]
	s_branch .LBB55_11
.LBB55_16:                              ;   in Loop: Header=BB55_11 Depth=1
                                        ; implicit-def: $sgpr28_sgpr29
	s_branch .LBB55_13
.LBB55_17:
	s_load_dword s18, s[0:1], 0x4f8
	s_load_dwordx2 s[20:21], s[16:17], 0xd0
                                        ; implicit-def: $vgpr59 : SGPR spill to VGPR lane
	s_add_u32 s13, s0, 0x360
	v_writelane_b32 v59, s28, 0
                                        ; kill: killed $sgpr16 killed $sgpr17
	s_addc_u32 s17, s1, 0
	s_waitcnt lgkmcnt(0)
	s_cmp_lt_i32 s18, 2
	v_writelane_b32 v59, s29, 1
	v_writelane_b32 v59, s20, 2
	s_mov_b64 s[68:69], 0
	s_nop 0
	v_writelane_b32 v59, s21, 3
	s_cbranch_scc1 .LBB55_25
; %bb.18:
	s_mov_b32 s16, 0
	s_add_i32 s3, s18, 1
	s_add_i32 s18, s18, -1
	s_mov_b32 s19, s16
	s_lshl_b64 s[18:19], s[18:19], 3
	s_add_u32 s13, s13, s18
	s_addc_u32 s17, s17, s19
	s_add_u32 s18, s13, 8
	s_addc_u32 s19, s17, 0
.LBB55_19:                              ; =>This Inner Loop Header: Depth=1
	s_load_dwordx2 s[20:21], s[18:19], 0x0
	s_waitcnt lgkmcnt(0)
	s_or_b64 s[22:23], s[6:7], s[20:21]
	s_mov_b32 s17, s23
	s_cmp_lg_u64 s[16:17], 0
	s_cbranch_scc0 .LBB55_24
; %bb.20:                               ;   in Loop: Header=BB55_19 Depth=1
	s_ashr_i32 s22, s21, 31
	s_add_u32 s24, s20, s22
	s_mov_b32 s23, s22
	s_addc_u32 s25, s21, s22
	s_xor_b64 s[24:25], s[24:25], s[22:23]
	v_cvt_f32_u32_e32 v1, s24
	v_cvt_f32_u32_e32 v2, s25
	s_sub_u32 s13, 0, s24
	s_subb_u32 s17, 0, s25
	v_fmac_f32_e32 v1, 0x4f800000, v2
	v_rcp_f32_e32 v1, v1
	s_nop 0
	v_mul_f32_e32 v1, 0x5f7ffffc, v1
	v_mul_f32_e32 v2, 0x2f800000, v1
	v_trunc_f32_e32 v2, v2
	v_fmac_f32_e32 v1, 0xcf800000, v2
	v_cvt_u32_f32_e32 v2, v2
	v_cvt_u32_f32_e32 v1, v1
	v_readfirstlane_b32 s28, v2
	v_readfirstlane_b32 s26, v1
	s_mul_i32 s27, s13, s28
	s_mul_hi_u32 s30, s13, s26
	s_mul_i32 s29, s17, s26
	s_add_i32 s27, s30, s27
	s_add_i32 s27, s27, s29
	s_mul_i32 s31, s13, s26
	s_mul_i32 s30, s26, s27
	s_mul_hi_u32 s33, s26, s31
	s_mul_hi_u32 s29, s26, s27
	s_add_u32 s30, s33, s30
	s_addc_u32 s29, 0, s29
	s_mul_hi_u32 s34, s28, s31
	s_mul_i32 s31, s28, s31
	s_add_u32 s30, s30, s31
	s_mul_hi_u32 s33, s28, s27
	s_addc_u32 s29, s29, s34
	s_addc_u32 s30, s33, 0
	s_mul_i32 s27, s28, s27
	s_add_u32 s27, s29, s27
	s_addc_u32 s29, 0, s30
	s_add_u32 s30, s26, s27
	s_cselect_b64 s[26:27], -1, 0
	s_cmp_lg_u64 s[26:27], 0
	s_addc_u32 s28, s28, s29
	s_mul_i32 s26, s13, s28
	s_mul_hi_u32 s27, s13, s30
	s_add_i32 s26, s27, s26
	s_mul_i32 s17, s17, s30
	s_add_i32 s26, s26, s17
	s_mul_i32 s13, s13, s30
	s_mul_hi_u32 s27, s28, s13
	s_mul_i32 s29, s28, s13
	s_mul_i32 s33, s30, s26
	s_mul_hi_u32 s13, s30, s13
	s_mul_hi_u32 s31, s30, s26
	s_add_u32 s13, s13, s33
	s_addc_u32 s31, 0, s31
	s_add_u32 s13, s13, s29
	s_mul_hi_u32 s17, s28, s26
	s_addc_u32 s13, s31, s27
	s_addc_u32 s17, s17, 0
	s_mul_i32 s26, s28, s26
	s_add_u32 s13, s13, s26
	s_addc_u32 s17, 0, s17
	s_add_u32 s13, s30, s13
	s_cselect_b64 s[26:27], -1, 0
	s_cmp_lg_u64 s[26:27], 0
	s_addc_u32 s17, s28, s17
	s_ashr_i32 s26, s7, 31
	s_add_u32 s28, s6, s26
	s_mov_b32 s27, s26
	s_addc_u32 s29, s7, s26
	s_xor_b64 s[28:29], s[28:29], s[26:27]
	s_mul_i32 s31, s28, s17
	s_mul_hi_u32 s33, s28, s13
	s_mul_hi_u32 s30, s28, s17
	s_add_u32 s31, s33, s31
	s_addc_u32 s30, 0, s30
	s_mul_hi_u32 s34, s29, s13
	s_mul_i32 s13, s29, s13
	s_add_u32 s13, s31, s13
	s_mul_hi_u32 s33, s29, s17
	s_addc_u32 s13, s30, s34
	s_addc_u32 s30, s33, 0
	s_mul_i32 s17, s29, s17
	s_add_u32 s13, s13, s17
	s_addc_u32 s17, 0, s30
	s_mul_i32 s30, s24, s17
	s_mul_hi_u32 s31, s24, s13
	s_add_i32 s30, s31, s30
	s_mul_i32 s31, s25, s13
	s_add_i32 s33, s30, s31
	s_sub_i32 s34, s29, s33
	s_mul_i32 s30, s24, s13
	s_sub_u32 s28, s28, s30
	s_cselect_b64 s[30:31], -1, 0
	s_cmp_lg_u64 s[30:31], 0
	s_subb_u32 s36, s34, s25
	s_sub_u32 s37, s28, s24
	s_cselect_b64 s[34:35], -1, 0
	s_cmp_lg_u64 s[34:35], 0
	s_subb_u32 s34, s36, 0
	s_cmp_ge_u32 s34, s25
	s_cselect_b32 s35, -1, 0
	s_cmp_ge_u32 s37, s24
	s_cselect_b32 s36, -1, 0
	s_cmp_eq_u32 s34, s25
	s_cselect_b32 s34, s36, s35
	s_add_u32 s35, s13, 1
	s_addc_u32 s36, s17, 0
	s_add_u32 s37, s13, 2
	s_addc_u32 s38, s17, 0
	s_cmp_lg_u32 s34, 0
	s_cselect_b32 s34, s37, s35
	s_cselect_b32 s35, s38, s36
	s_cmp_lg_u64 s[30:31], 0
	s_subb_u32 s29, s29, s33
	s_cmp_ge_u32 s29, s25
	s_cselect_b32 s30, -1, 0
	s_cmp_ge_u32 s28, s24
	s_cselect_b32 s24, -1, 0
	s_cmp_eq_u32 s29, s25
	s_cselect_b32 s24, s24, s30
	s_cmp_lg_u32 s24, 0
	s_cselect_b32 s25, s35, s17
	s_cselect_b32 s24, s34, s13
	s_xor_b64 s[22:23], s[26:27], s[22:23]
	s_xor_b64 s[24:25], s[24:25], s[22:23]
	s_sub_u32 s72, s24, s22
	s_subb_u32 s73, s25, s23
	s_cbranch_execnz .LBB55_22
.LBB55_21:                              ;   in Loop: Header=BB55_19 Depth=1
	v_cvt_f32_u32_e32 v1, s20
	s_sub_i32 s13, 0, s20
	s_mov_b32 s73, s16
	v_rcp_iflag_f32_e32 v1, v1
	s_nop 0
	v_mul_f32_e32 v1, 0x4f7ffffe, v1
	v_cvt_u32_f32_e32 v1, v1
	s_nop 0
	v_readfirstlane_b32 s17, v1
	s_mul_i32 s13, s13, s17
	s_mul_hi_u32 s13, s17, s13
	s_add_i32 s17, s17, s13
	s_mul_hi_u32 s13, s6, s17
	s_mul_i32 s22, s13, s20
	s_sub_i32 s22, s6, s22
	s_add_i32 s17, s13, 1
	s_sub_i32 s23, s22, s20
	s_cmp_ge_u32 s22, s20
	s_cselect_b32 s13, s17, s13
	s_cselect_b32 s22, s23, s22
	s_add_i32 s17, s13, 1
	s_cmp_ge_u32 s22, s20
	s_cselect_b32 s72, s17, s13
.LBB55_22:                              ;   in Loop: Header=BB55_19 Depth=1
	s_mul_i32 s13, s72, s21
	s_mul_hi_u32 s17, s72, s20
	s_load_dwordx2 s[22:23], s[18:19], 0xc8
	s_add_i32 s13, s17, s13
	s_mul_i32 s17, s73, s20
	s_add_i32 s13, s13, s17
	s_mul_i32 s17, s72, s20
	s_sub_u32 s6, s6, s17
	s_subb_u32 s7, s7, s13
	s_waitcnt lgkmcnt(0)
	s_mul_i32 s7, s22, s7
	s_mul_hi_u32 s13, s22, s6
	s_add_i32 s7, s13, s7
	s_mul_i32 s13, s23, s6
	s_add_i32 s7, s7, s13
	s_mul_i32 s6, s22, s6
	s_add_u32 s68, s6, s68
	s_addc_u32 s69, s7, s69
	s_add_i32 s3, s3, -1
	s_add_u32 s18, s18, -8
	s_addc_u32 s19, s19, -1
	s_cmp_gt_u32 s3, 2
	s_cbranch_scc0 .LBB55_26
; %bb.23:                               ;   in Loop: Header=BB55_19 Depth=1
	s_mov_b64 s[6:7], s[72:73]
	s_branch .LBB55_19
.LBB55_24:                              ;   in Loop: Header=BB55_19 Depth=1
                                        ; implicit-def: $sgpr72_sgpr73
	s_branch .LBB55_21
.LBB55_25:
	s_mov_b64 s[72:73], s[6:7]
.LBB55_26:
	s_load_dwordx2 s[6:7], s[0:1], 0x430
	s_mov_b32 s83, 0
                                        ; kill: killed $sgpr0 killed $sgpr1
	s_waitcnt lgkmcnt(0)
	v_writelane_b32 v59, s6, 4
	s_nop 1
	v_writelane_b32 v59, s7, 5
	s_load_dwordx2 s[16:17], s[0:1], 0x0
	s_load_dwordx2 s[6:7], s[0:1], 0x1c0
	s_waitcnt lgkmcnt(0)
	v_writelane_b32 v59, s6, 6
	s_nop 1
	v_writelane_b32 v59, s7, 7
	s_load_dwordx2 s[6:7], s[0:1], 0x360
	s_waitcnt lgkmcnt(0)
	v_writelane_b32 v59, s6, 8
	s_nop 1
	v_writelane_b32 v59, s7, 9
	v_cmp_eq_u32_e64 s[6:7], 0, v0
	s_mov_b64 s[0:1], exec
	s_nop 0
	v_writelane_b32 v59, s6, 10
	s_nop 1
	v_writelane_b32 v59, s7, 11
	s_and_b64 s[6:7], s[0:1], s[6:7]
	s_mov_b64 exec, s[6:7]
	s_cbranch_execz .LBB55_28
; %bb.27:
	v_mov_b32_e32 v2, 0
	v_mov_b32_e32 v4, s60
	;; [unrolled: 1-line block ×4, first 2 shown]
	ds_write_b32 v2, v2 offset:5136
	ds_write_b128 v2, v[2:5] offset:5120
.LBB55_28:
	s_or_b64 exec, exec, s[0:1]
	s_mul_i32 s0, s14, s9
	s_mul_hi_u32 s1, s14, s8
	s_add_i32 s0, s1, s0
	s_mul_i32 s1, s15, s8
	s_add_i32 s1, s0, s1
	s_mul_i32 s0, s14, s8
	s_lshl_b64 s[0:1], s[0:1], 2
	s_add_u32 s8, s16, s0
	s_addc_u32 s9, s17, s1
	s_lshl_b64 s[84:85], s[4:5], 2
	v_cmp_gt_u32_e64 s[4:5], 2, v0
	v_mov_b64_e32 v[4:5], 0x300
	v_mbcnt_lo_u32_b32 v1, -1, 0
	v_writelane_b32 v59, s4, 12
	v_mov_b32_e32 v3, 0
	v_mbcnt_hi_u32_b32 v50, -1, v1
	v_writelane_b32 v59, s5, 13
	v_cmp_gt_i64_e64 s[4:5], s[60:61], v[4:5]
	v_mov_b32_e32 v1, v3
	s_waitcnt lgkmcnt(0)
	v_writelane_b32 v59, s4, 14
	s_barrier
	s_nop 0
	v_writelane_b32 v59, s5, 15
	v_cmp_gt_u64_e64 s[4:5], s[60:61], v[0:1]
	s_load_dword s3, s[10:11], 0xc
	s_add_u32 s14, s8, s84
	v_writelane_b32 v59, s4, 16
	s_addc_u32 s15, s9, s85
	v_cmp_gt_u32_e32 vcc, 64, v0
	v_writelane_b32 v59, s5, 17
	v_mad_u64_u32 v[6:7], s[4:5], s66, v0, 0
	v_mov_b32_e32 v2, v7
	v_cmp_gt_i32_e64 s[6:7], 4, v50
	v_mad_u64_u32 v[4:5], s[4:5], s67, v0, v[2:3]
	v_writelane_b32 v59, s14, 18
	s_and_b64 s[90:91], vcc, s[6:7]
	v_cmp_gt_i64_e64 s[4:5], s[60:61], v[0:1]
	v_writelane_b32 v59, s15, 19
	s_waitcnt lgkmcnt(0)
	s_and_b32 s80, s3, 0xffff
	s_bfe_u32 s3, s3, 0xa0006
	v_writelane_b32 v59, s4, 20
	s_cmp_gt_u32 s80, 63
	v_lshlrev_b32_e32 v2, 2, v50
	v_writelane_b32 v59, s5, 21
	s_cselect_b64 s[4:5], -1, 0
	v_and_b32_e32 v52, 0x100, v2
	v_writelane_b32 v59, s4, 22
	v_lshrrev_b32_e32 v2, 1, v0
	v_and_b32_e32 v2, 0x1e0, v2
	v_writelane_b32 v59, s5, 23
	s_add_u32 s4, s80, -1
	v_lshlrev_b64 v[8:9], v50, -1
	s_addc_u32 s5, 0, -1
	v_or_b32_e32 v53, 0xc00, v2
	v_add_u32_e32 v2, 2, v0
	v_not_b32_e32 v18, v8
	v_writelane_b32 v59, s4, 24
	s_add_u32 s4, s4, s60
	v_mov_b32_e32 v8, s61
	v_cmp_gt_i64_e32 vcc, s[60:61], v[2:3]
	v_not_b32_e32 v19, v9
	s_addc_u32 s95, s5, s61
	v_cndmask_b32_e32 v9, 0, v8, vcc
	v_mov_b32_e32 v8, s60
	s_cmp_lt_u32 s2, s12
	v_cndmask_b32_e32 v8, v2, v8, vcc
	v_mov_b32_e32 v11, -1
	v_not_b32_e32 v10, v0
	v_writelane_b32 v59, s4, 25
	s_cselect_b32 s2, 12, 18
	v_lshl_add_u64 v[8:9], v[8:9], 0, v[10:11]
	v_writelane_b32 v59, s5, 26
	s_add_u32 s56, s10, s2
	v_cmp_lt_u64_e64 s[4:5], 1, v[8:9]
	s_addc_u32 s57, s11, 0
	v_and_b32_e32 v20, -2, v8
	v_writelane_b32 v59, s4, 27
	v_mov_b32_e32 v21, v9
	s_add_i32 s2, s3, -1
	v_writelane_b32 v59, s5, 28
	v_cmp_ne_u64_e64 s[6:7], v[8:9], v[20:21]
	s_bfe_u32 s5, s80, 0x30006
	s_and_b32 s2, s2, 0xffff
	v_writelane_b32 v59, s6, 29
	s_cmp_gt_u32 s2, 6
	v_lshlrev_b32_e32 v54, 4, v0
	v_writelane_b32 v59, s7, 30
	s_cselect_b64 s[6:7], -1, 0
	v_writelane_b32 v59, s6, 31
	s_and_b32 s33, s3, 0x3f8
	s_cmp_lg_u32 s5, 0
	v_writelane_b32 v59, s7, 32
	v_writelane_b32 v59, s5, 33
	s_cselect_b64 s[2:3], -1, 0
	v_writelane_b32 v59, s2, 34
	v_or_b32_e32 v10, 12, v54
	v_mov_b64_e32 v[8:9], s[8:9]
	v_writelane_b32 v59, s3, 35
	s_add_u32 s2, s0, s84
	s_addc_u32 s3, s1, s85
	s_add_u32 s2, s16, s2
	s_addc_u32 s3, s17, s3
	v_writelane_b32 v59, s2, 36
	v_mov_b32_e32 v7, v4
	v_lshlrev_b64 v[4:5], 2, v[6:7]
	v_writelane_b32 v59, s3, 37
	s_lshl_b64 s[2:3], s[66:67], 2
	v_writelane_b32 v59, s2, 38
	v_cmp_eq_u32_e64 s[88:89], 0, v50
	v_lshlrev_b32_e32 v14, 2, v0
	v_writelane_b32 v59, s3, 39
	v_mad_u64_u32 v[24:25], s[2:3], s66, v10, v[8:9]
	v_mov_b32_e32 v2, v25
	v_mad_u64_u32 v[10:11], s[2:3], s67, v10, v[2:3]
	s_lshl_b64 s[2:3], s[66:67], 4
	v_mov_b32_e32 v25, v10
	v_writelane_b32 v59, s2, 40
	v_or_b32_e32 v10, 8, v54
	s_mov_b32 s4, s67
	v_writelane_b32 v59, s3, 41
	v_mad_u64_u32 v[26:27], s[2:3], s66, v10, v[8:9]
	v_mov_b32_e32 v2, v27
	v_mad_u64_u32 v[10:11], s[2:3], s67, v10, v[2:3]
	v_mov_b32_e32 v27, v10
	v_or_b32_e32 v10, 4, v54
	v_mad_u64_u32 v[28:29], s[2:3], s66, v10, v[8:9]
	v_mov_b32_e32 v2, v29
	v_mad_u64_u32 v[8:9], s[2:3], s67, v10, v[2:3]
	s_add_u32 s2, s16, s84
	s_addc_u32 s3, s17, s85
	s_add_u32 s0, s2, s0
	s_addc_u32 s1, s3, s1
	v_lshl_add_u64 v[12:13], s[0:1], 0, v[4:5]
	s_mul_i32 s0, s67, s80
	s_mul_hi_u32 s1, s66, s80
	s_add_i32 s1, s1, s0
	s_mul_i32 s0, s66, s80
	s_lshl_b64 s[86:87], s[0:1], 2
	v_writelane_b32 v59, s86, 42
	v_mov_b32_e32 v2, 0xc00
	v_add_u32_e32 v51, 0xc00, v14
	v_writelane_b32 v59, s87, 43
	v_writelane_b32 v59, s88, 44
	v_lshl_add_u64 v[16:17], s[14:15], 0, v[4:5]
	v_mov_b32_e32 v15, v3
	v_writelane_b32 v59, s89, 45
	v_writelane_b32 v59, s90, 46
	s_mov_b32 s81, s83
	v_lshl_add_u64 v[22:23], v[20:21], 0, v[0:1]
	v_writelane_b32 v59, s91, 47
	v_writelane_b32 v59, s56, 48
	s_mov_b32 s96, s66
	v_mov_b32_e32 v29, v8
	v_writelane_b32 v59, s57, 49
	v_lshl_add_u64 v[30:31], v[6:7], 4, s[8:9]
	v_lshl_add_u64 v[32:33], s[60:61], 0, v[0:1]
	v_lshl_or_b32 v55, v50, 3, v2
	s_lshl_b32 s92, s80, 2
	s_mov_b32 s5, 30
	s_mov_b64 s[14:15], 0
	v_mov_b64_e32 v[38:39], s[62:63]
	v_mov_b64_e32 v[60:61], s[60:61]
	v_mov_b32_e32 v34, 1.0
	v_bfrev_b32_e32 v57, 1
	v_mov_b32_e32 v37, 0
	s_mov_b32 s64, 0
	v_mov_b32_e32 v56, 0
	v_mov_b32_e32 v58, 0
	v_writelane_b32 v59, s4, 50
                                        ; implicit-def: $sgpr62_sgpr63
                                        ; implicit-def: $sgpr10_sgpr11
                                        ; implicit-def: $sgpr12_sgpr13
                                        ; implicit-def: $sgpr74_sgpr75
                                        ; implicit-def: $sgpr34_sgpr35
                                        ; implicit-def: $sgpr98_sgpr99
	v_writelane_b32 v59, s92, 51
	s_branch .LBB55_32
.LBB55_29:                              ;   in Loop: Header=BB55_32 Depth=1
	s_or_b64 exec, exec, s[16:17]
	s_and_b64 s[6:7], s[6:7], exec
	s_andn2_b64 s[26:27], s[26:27], exec
	s_andn2_b64 s[2:3], s[2:3], exec
	s_orn2_b64 s[20:21], s[8:9], exec
.LBB55_30:                              ;   in Loop: Header=BB55_32 Depth=1
	s_or_b64 exec, exec, s[0:1]
	s_andn2_b64 s[0:1], s[98:99], exec
	s_and_b64 s[6:7], s[6:7], exec
	s_or_b64 s[98:99], s[0:1], s[6:7]
	s_andn2_b64 s[0:1], s[34:35], exec
	s_and_b64 s[6:7], s[26:27], exec
	s_or_b64 s[34:35], s[0:1], s[6:7]
	;; [unrolled: 3-line block ×3, first 2 shown]
	s_orn2_b64 s[0:1], s[20:21], exec
.LBB55_31:                              ;   in Loop: Header=BB55_32 Depth=1
	s_or_b64 exec, exec, s[18:19]
	s_and_b64 s[0:1], exec, s[0:1]
	s_or_b64 s[14:15], s[0:1], s[14:15]
	s_andn2_b64 s[0:1], s[12:13], exec
	s_and_b64 s[2:3], s[98:99], exec
	s_or_b64 s[12:13], s[0:1], s[2:3]
	s_andn2_b64 s[0:1], s[10:11], exec
	s_and_b64 s[2:3], s[34:35], exec
	;; [unrolled: 3-line block ×3, first 2 shown]
	s_or_b64 s[62:63], s[0:1], s[2:3]
	v_mov_b64_e32 v[38:39], v[8:9]
	s_andn2_b64 exec, exec, s[14:15]
	s_cbranch_execz .LBB55_304
.LBB55_32:                              ; =>This Loop Header: Depth=1
                                        ;     Child Loop BB55_38 Depth 2
                                        ;     Child Loop BB55_52 Depth 2
	;; [unrolled: 1-line block ×17, first 2 shown]
	ds_read_b128 v[4:7], v3 offset:5120
	s_waitcnt lgkmcnt(0)
	v_readfirstlane_b32 s77, v5
	v_readfirstlane_b32 s76, v4
	s_nop 1
	v_cmp_gt_i64_e64 s[0:1], s[76:77], 0
	s_and_b64 vcc, exec, s[0:1]
	s_cbranch_vccnz .LBB55_65
; %bb.33:                               ;   in Loop: Header=BB55_32 Depth=1
	v_readlane_b32 s0, v59, 14
	v_readlane_b32 s1, v59, 15
	s_and_b64 vcc, exec, s[0:1]
	s_cbranch_vccz .LBB55_46
; %bb.34:                               ;   in Loop: Header=BB55_32 Depth=1
	s_mov_b64 s[0:1], 0x301
	v_cmp_gt_i64_e32 vcc, s[0:1], v[6:7]
	s_mov_b64 s[0:1], 0
	s_mov_b64 s[2:3], 0
	s_cbranch_vccz .LBB55_47
; %bb.35:                               ;   in Loop: Header=BB55_32 Depth=1
	s_mov_b64 s[6:7], exec
	v_readlane_b32 s2, v59, 16
	v_readlane_b32 s3, v59, 17
	s_and_b64 s[2:3], s[6:7], s[2:3]
	s_mov_b64 exec, s[2:3]
	s_cbranch_execz .LBB55_99
; %bb.36:                               ;   in Loop: Header=BB55_32 Depth=1
	global_load_ushort v6, v3, s[56:57]
	global_load_dword v8, v[16:17], off
	v_readlane_b32 s2, v59, 36
	v_readlane_b32 s3, v59, 37
	;; [unrolled: 1-line block ×4, first 2 shown]
	v_mov_b64_e32 v[4:5], s[2:3]
	s_mov_b64 s[8:9], 0
	s_waitcnt vmcnt(1)
	v_and_b32_e32 v2, 0xffff, v6
	v_readfirstlane_b32 s2, v6
	v_lshl_add_u64 v[6:7], v[0:1], 0, v[2:3]
	s_and_b32 s16, 0xffff, s2
	v_mad_u64_u32 v[4:5], s[2:3], s18, v6, v[4:5]
	v_mul_lo_u32 v7, s18, v7
	v_mul_lo_u32 v9, s19, v6
	s_mul_i32 s2, s19, s16
	s_mul_hi_u32 s3, s18, s16
	s_mul_i32 s18, s18, s16
	v_add3_u32 v5, v9, v5, v7
	s_add_i32 s19, s3, s2
	v_mov_b64_e32 v[6:7], v[0:1]
	s_branch .LBB55_38
.LBB55_37:                              ;   in Loop: Header=BB55_38 Depth=2
	s_or_b64 exec, exec, s[2:3]
	v_lshl_add_u64 v[4:5], v[4:5], 0, s[18:19]
	v_mov_b32_e32 v8, v9
	s_andn2_b64 exec, exec, s[8:9]
	s_cbranch_execz .LBB55_99
.LBB55_38:                              ;   Parent Loop BB55_32 Depth=1
                                        ; =>  This Inner Loop Header: Depth=2
	v_lshl_add_u64 v[6:7], v[6:7], 0, v[2:3]
	v_cmp_gt_i64_e64 s[2:3], s[60:61], v[6:7]
	v_cmp_le_i64_e32 vcc, s[60:61], v[6:7]
	s_waitcnt lgkmcnt(0)
	v_mov_b32_e32 v10, 0
	v_mov_b32_e32 v9, 0
	s_and_saveexec_b64 s[16:17], s[2:3]
	s_cbranch_execz .LBB55_40
; %bb.39:                               ;   in Loop: Header=BB55_38 Depth=2
	global_load_dword v9, v[4:5], off
.LBB55_40:                              ;   in Loop: Header=BB55_38 Depth=2
	s_or_b64 exec, exec, s[16:17]
	s_waitcnt vmcnt(0)
	v_cmp_lt_i32_e64 s[2:3], -1, v8
	s_nop 1
	v_cndmask_b32_e64 v11, -1, v57, s[2:3]
	v_xor_b32_e32 v11, v11, v8
	v_cmp_o_f32_e64 s[2:3], v8, v8
	s_nop 1
	v_cndmask_b32_e64 v11, -1, v11, s[2:3]
	v_and_b32_e32 v11, v11, v58
	v_cmp_eq_u32_e64 s[16:17], v11, v56
	s_cmp_lg_u64 s[16:17], 0
	s_cselect_b64 s[2:3], -1, 0
	s_and_b64 s[2:3], s[88:89], s[2:3]
	s_and_saveexec_b64 s[20:21], s[2:3]
	s_cbranch_execz .LBB55_44
; %bb.41:                               ;   in Loop: Header=BB55_38 Depth=2
	s_mov_b64 s[24:25], exec
	v_mbcnt_lo_u32_b32 v10, s24, 0
	v_mbcnt_hi_u32_b32 v10, s25, v10
	s_bcnt1_i32_b64 s26, s[16:17]
	v_cmp_eq_u32_e64 s[2:3], 0, v10
                                        ; implicit-def: $vgpr11
	s_and_saveexec_b64 s[22:23], s[2:3]
; %bb.42:                               ;   in Loop: Header=BB55_38 Depth=2
	s_bcnt1_i32_b64 s2, s[24:25]
	s_mul_i32 s2, s26, s2
	v_mov_b32_e32 v11, s2
	ds_add_rtn_u32 v11, v3, v11 offset:5136
; %bb.43:                               ;   in Loop: Header=BB55_38 Depth=2
	s_or_b64 exec, exec, s[22:23]
	s_waitcnt lgkmcnt(0)
	v_readfirstlane_b32 s2, v11
	s_nop 1
	v_mov_b32_e32 v11, s2
	v_mad_u32_u24 v10, s26, v10, v11
.LBB55_44:                              ;   in Loop: Header=BB55_38 Depth=2
	s_or_b64 exec, exec, s[20:21]
	ds_bpermute_b32 v10, v52, v10
	s_and_b64 s[2:3], exec, vcc
	s_or_b64 s[8:9], s[2:3], s[8:9]
	s_and_saveexec_b64 s[2:3], s[16:17]
	s_cbranch_execz .LBB55_37
; %bb.45:                               ;   in Loop: Header=BB55_38 Depth=2
	v_and_b32_e32 v35, s16, v18
	v_and_b32_e32 v11, s17, v19
	v_bcnt_u32_b32 v35, v35, 0
	v_bcnt_u32_b32 v11, v11, v35
	v_lshlrev_b32_e32 v11, 2, v11
	s_waitcnt lgkmcnt(0)
	v_lshl_add_u32 v10, v10, 2, v11
	ds_write_b32 v10, v8
	s_branch .LBB55_37
.LBB55_46:                              ;   in Loop: Header=BB55_32 Depth=1
	s_mov_b64 s[0:1], -1
	s_mov_b64 s[2:3], 0
.LBB55_47:                              ;   in Loop: Header=BB55_32 Depth=1
	s_and_b64 vcc, exec, s[0:1]
	s_cbranch_vccz .LBB55_63
.LBB55_48:                              ;   in Loop: Header=BB55_32 Depth=1
	s_mov_b64 s[0:1], exec
	v_readlane_b32 s2, v59, 20
	v_readlane_b32 s3, v59, 21
	s_and_b64 s[2:3], s[0:1], s[2:3]
	s_mov_b64 exec, s[2:3]
	s_cbranch_execz .LBB55_60
; %bb.49:                               ;   in Loop: Header=BB55_32 Depth=1
	global_load_ushort v2, v3, s[56:57]
	global_load_dword v10, v[16:17], off
	v_mov_b32_e32 v8, v0
	s_waitcnt vmcnt(1)
	v_readfirstlane_b32 s6, v2
	v_add_u32_sdwa v2, v2, v0 dst_sel:DWORD dst_unused:UNUSED_PAD src0_sel:WORD_0 src1_sel:DWORD
	v_cmp_gt_i64_e32 vcc, s[60:61], v[2:3]
	s_and_saveexec_b64 s[2:3], vcc
	s_cbranch_execz .LBB55_59
; %bb.50:                               ;   in Loop: Header=BB55_32 Depth=1
	s_and_b32 s82, s6, 0xffff
	s_cmp_eq_u32 s82, 1
	v_readlane_b32 s8, v59, 27
	s_cselect_b64 s[6:7], -1, 0
	v_readlane_b32 s9, v59, 28
	s_and_b64 s[16:17], s[8:9], s[6:7]
	s_mov_b64 s[8:9], -1
	v_mov_b64_e32 v[6:7], v[0:1]
	v_mov_b64_e32 v[4:5], v[2:3]
                                        ; implicit-def: $vgpr11
                                        ; implicit-def: $vgpr8_vgpr9
	s_and_saveexec_b64 s[6:7], s[16:17]
	s_cbranch_execz .LBB55_54
; %bb.51:                               ;   in Loop: Header=BB55_32 Depth=1
	v_lshl_add_u64 v[4:5], v[2:3], 0, 1
	v_mov_b64_e32 v[6:7], v[4:5]
	v_readlane_b32 s18, v59, 18
	s_mov_b64 s[8:9], 0
	v_mov_b64_e32 v[8:9], v[20:21]
	v_mov_b32_e32 v35, v14
	v_mov_b64_e32 v[4:5], v[2:3]
	v_readlane_b32 s19, v59, 19
.LBB55_52:                              ;   Parent Loop BB55_32 Depth=1
                                        ; =>  This Inner Loop Header: Depth=2
	v_mul_lo_u32 v44, v5, s96
	v_mul_lo_u32 v45, v4, s4
	v_mad_u64_u32 v[42:43], s[16:17], v4, s96, 0
	v_mul_lo_u32 v11, v7, s66
	v_mul_lo_u32 v36, v6, s67
	v_mad_u64_u32 v[40:41], s[16:17], v6, s66, 0
	v_add3_u32 v43, v43, v45, v44
	v_add3_u32 v41, v41, v36, v11
	v_lshl_add_u64 v[42:43], v[42:43], 2, s[18:19]
	v_lshl_add_u64 v[40:41], v[40:41], 2, s[18:19]
	global_load_dword v36, v[42:43], off
	global_load_dword v11, v[40:41], off
	v_lshl_add_u64 v[8:9], v[8:9], 0, -2
	v_cmp_eq_u64_e32 vcc, 0, v[8:9]
	v_lshl_add_u64 v[6:7], v[6:7], 0, 2
	v_lshl_add_u64 v[4:5], v[4:5], 0, 2
	s_or_b64 s[8:9], vcc, s[8:9]
	s_waitcnt vmcnt(1)
	ds_write2_b32 v35, v10, v36 offset1:1
	v_add_u32_e32 v35, 8, v35
	s_waitcnt vmcnt(0)
	v_mov_b32_e32 v10, v11
	s_andn2_b64 exec, exec, s[8:9]
	s_cbranch_execnz .LBB55_52
; %bb.53:                               ;   in Loop: Header=BB55_32 Depth=1
	s_or_b64 exec, exec, s[8:9]
	v_readlane_b32 s8, v59, 29
	v_lshl_add_u64 v[4:5], v[2:3], 0, v[20:21]
	v_readlane_b32 s9, v59, 30
	v_lshl_add_u64 v[8:9], v[4:5], 0, -1
	s_orn2_b64 s[8:9], s[8:9], exec
	v_mov_b32_e32 v10, v11
	v_mov_b64_e32 v[6:7], v[22:23]
.LBB55_54:                              ;   in Loop: Header=BB55_32 Depth=1
	s_or_b64 exec, exec, s[6:7]
	s_and_saveexec_b64 s[6:7], s[8:9]
	s_cbranch_execz .LBB55_58
; %bb.55:                               ;   in Loop: Header=BB55_32 Depth=1
	v_readlane_b32 s18, v59, 36
	v_readlane_b32 s19, v59, 37
	;; [unrolled: 1-line block ×4, first 2 shown]
	v_mov_b64_e32 v[8:9], s[18:19]
	v_mad_u64_u32 v[8:9], s[18:19], s20, v4, v[8:9]
	s_sub_u32 s8, 0, s82
	v_mul_lo_u32 v2, s20, v5
	v_mul_lo_u32 v7, s21, v4
	s_mul_i32 s18, s21, s82
	s_mul_hi_u32 s19, s20, s82
	s_mov_b64 s[16:17], 0
	s_subb_u32 s9, 0, 0
	v_add3_u32 v9, v7, v9, v2
	s_add_i32 s19, s19, s18
	s_mul_i32 s18, s20, s82
.LBB55_56:                              ;   Parent Loop BB55_32 Depth=1
                                        ; =>  This Inner Loop Header: Depth=2
	global_load_dword v11, v[8:9], off
	v_mov_b64_e32 v[40:41], v[4:5]
	v_lshl_add_u64 v[4:5], v[40:41], 0, s[82:83]
	v_lshlrev_b32_e32 v2, 2, v6
	v_cmp_le_i64_e32 vcc, s[60:61], v[4:5]
	v_lshl_add_u64 v[8:9], v[8:9], 0, s[18:19]
	s_waitcnt vmcnt(1)
	ds_write_b32 v2, v10
	v_mov_b64_e32 v[6:7], v[40:41]
	s_or_b64 s[16:17], vcc, s[16:17]
	s_waitcnt vmcnt(0)
	v_mov_b32_e32 v10, v11
	s_andn2_b64 exec, exec, s[16:17]
	s_cbranch_execnz .LBB55_56
; %bb.57:                               ;   in Loop: Header=BB55_32 Depth=1
	s_or_b64 exec, exec, s[16:17]
	v_lshl_add_u64 v[8:9], s[8:9], 0, v[4:5]
.LBB55_58:                              ;   in Loop: Header=BB55_32 Depth=1
	s_or_b64 exec, exec, s[6:7]
	s_waitcnt vmcnt(0)
	v_mov_b32_e32 v10, v11
.LBB55_59:                              ;   in Loop: Header=BB55_32 Depth=1
	s_or_b64 exec, exec, s[2:3]
	v_lshlrev_b32_e32 v2, 2, v8
	s_waitcnt vmcnt(0)
	ds_write_b32 v2, v10
.LBB55_60:                              ;   in Loop: Header=BB55_32 Depth=1
	s_or_b64 exec, exec, s[0:1]
	s_waitcnt lgkmcnt(0)
	s_barrier
	s_mov_b64 s[0:1], exec
	v_readlane_b32 s2, v59, 10
	v_readlane_b32 s3, v59, 11
	s_and_b64 s[2:3], s[0:1], s[2:3]
	s_mov_b64 exec, s[2:3]
; %bb.61:                               ;   in Loop: Header=BB55_32 Depth=1
	ds_write_b64 v3, v[60:61] offset:5120
; %bb.62:                               ;   in Loop: Header=BB55_32 Depth=1
	s_or_b64 exec, exec, s[0:1]
	s_waitcnt lgkmcnt(0)
	s_barrier
	s_mov_b64 s[2:3], -1
.LBB55_63:                              ;   in Loop: Header=BB55_32 Depth=1
	s_and_b64 vcc, exec, s[2:3]
	s_cbranch_vccz .LBB55_65
; %bb.64:                               ;   in Loop: Header=BB55_32 Depth=1
	ds_read_b64 v[4:5], v3 offset:5120
	s_waitcnt lgkmcnt(0)
	v_readfirstlane_b32 s76, v4
.LBB55_65:                              ;   in Loop: Header=BB55_32 Depth=1
	s_cmp_lt_i32 s76, 1
	s_mov_b64 s[0:1], -1
                                        ; implicit-def: $vgpr4_vgpr5
                                        ; implicit-def: $vgpr8_vgpr9
	s_cbranch_scc1 .LBB55_75
; %bb.66:                               ;   in Loop: Header=BB55_32 Depth=1
	s_and_b64 vcc, exec, s[0:1]
	s_cbranch_vccnz .LBB55_89
.LBB55_67:                              ;   in Loop: Header=BB55_32 Depth=1
	s_lshl_b32 s2, s64, 6
	s_and_saveexec_b64 s[0:1], s[88:89]
	s_cbranch_execz .LBB55_69
.LBB55_68:                              ;   in Loop: Header=BB55_32 Depth=1
	v_lshl_add_u32 v2, s2, 3, v53
	ds_write_b128 v2, v[4:7]
	ds_write_b128 v2, v[8:11] offset:16
.LBB55_69:                              ;   in Loop: Header=BB55_32 Depth=1
	s_or_b64 exec, exec, s[0:1]
	s_waitcnt lgkmcnt(0)
	s_barrier
	s_and_saveexec_b64 s[0:1], s[90:91]
	s_cbranch_execz .LBB55_107
; %bb.70:                               ;   in Loop: Header=BB55_32 Depth=1
	v_readlane_b32 s6, v59, 22
	v_readlane_b32 s7, v59, 23
	s_andn2_b64 vcc, exec, s[6:7]
	v_mov_b64_e32 v[4:5], 0
	s_cbranch_vccnz .LBB55_106
; %bb.71:                               ;   in Loop: Header=BB55_32 Depth=1
	v_readlane_b32 s6, v59, 31
	v_readlane_b32 s7, v59, 32
	s_andn2_b64 vcc, exec, s[6:7]
	s_cbranch_vccnz .LBB55_102
; %bb.72:                               ;   in Loop: Header=BB55_32 Depth=1
	v_lshl_add_u32 v2, s64, 9, v55
	v_mov_b64_e32 v[4:5], 0
	s_mov_b32 s3, 0
.LBB55_73:                              ;   Parent Loop BB55_32 Depth=1
                                        ; =>  This Inner Loop Header: Depth=2
	ds_read2_b64 v[6:9], v2 offset1:4
	ds_read2_b64 v[40:43], v2 offset0:8 offset1:12
	ds_read2_b64 v[44:47], v2 offset0:16 offset1:20
	;; [unrolled: 1-line block ×3, first 2 shown]
	s_add_i32 s3, s3, 8
	s_waitcnt lgkmcnt(3)
	v_lshl_add_u64 v[4:5], v[6:7], 0, v[4:5]
	v_lshl_add_u64 v[4:5], v[8:9], 0, v[4:5]
	s_waitcnt lgkmcnt(2)
	v_lshl_add_u64 v[4:5], v[40:41], 0, v[4:5]
	v_lshl_add_u64 v[4:5], v[42:43], 0, v[4:5]
	;; [unrolled: 3-line block ×3, first 2 shown]
	s_waitcnt lgkmcnt(0)
	v_lshl_add_u64 v[4:5], v[62:63], 0, v[4:5]
	v_add_u32_e32 v2, 0x100, v2
	s_cmp_eq_u32 s33, s3
	v_lshl_add_u64 v[4:5], v[64:65], 0, v[4:5]
	s_cbranch_scc0 .LBB55_73
; %bb.74:                               ;   in Loop: Header=BB55_32 Depth=1
	s_mov_b32 s3, s33
	s_branch .LBB55_103
.LBB55_75:                              ;   in Loop: Header=BB55_32 Depth=1
	global_load_ushort v2, v3, s[56:57]
	s_mov_b32 s2, s83
	s_mov_b32 s3, s61
	s_waitcnt vmcnt(0)
	v_readfirstlane_b32 s0, v2
	s_and_b32 s0, s0, 0xffff
	s_lshl_b32 s82, s0, 2
	s_cmp_lg_u64 s[2:3], 0
	s_cbranch_scc0 .LBB55_98
; %bb.76:                               ;   in Loop: Header=BB55_32 Depth=1
	s_add_u32 s2, s82, 0
	s_addc_u32 s3, 0, 0
	s_xor_b64 s[2:3], s[2:3], 0
	v_cvt_f32_u32_e32 v2, s2
	v_cvt_f32_u32_e32 v4, s3
	s_sub_u32 s1, 0, s2
	s_subb_u32 s8, 0, s3
	v_fmac_f32_e32 v2, 0x4f800000, v4
	v_rcp_f32_e32 v2, v2
	s_nop 0
	v_mul_f32_e32 v2, 0x5f7ffffc, v2
	v_mul_f32_e32 v4, 0x2f800000, v2
	v_trunc_f32_e32 v4, v4
	v_fmac_f32_e32 v2, 0xcf800000, v4
	v_cvt_u32_f32_e32 v4, v4
	v_cvt_u32_f32_e32 v2, v2
	v_readfirstlane_b32 s9, v4
	v_readfirstlane_b32 s6, v2
	s_mul_i32 s7, s1, s9
	s_mul_hi_u32 s17, s1, s6
	s_mul_i32 s16, s8, s6
	s_add_i32 s7, s17, s7
	s_mul_i32 s18, s1, s6
	s_add_i32 s7, s7, s16
	s_mul_i32 s17, s6, s7
	s_mul_hi_u32 s19, s6, s18
	s_mul_hi_u32 s16, s6, s7
	s_add_u32 s17, s19, s17
	s_addc_u32 s16, 0, s16
	s_mul_hi_u32 s20, s9, s18
	s_mul_i32 s18, s9, s18
	s_add_u32 s17, s17, s18
	s_mul_hi_u32 s19, s9, s7
	s_addc_u32 s16, s16, s20
	s_addc_u32 s17, s19, 0
	s_mul_i32 s7, s9, s7
	s_add_u32 s7, s16, s7
	s_addc_u32 s16, 0, s17
	s_add_u32 s17, s6, s7
	s_cselect_b64 s[6:7], -1, 0
	s_cmp_lg_u64 s[6:7], 0
	s_addc_u32 s9, s9, s16
	s_mul_i32 s6, s1, s9
	s_mul_hi_u32 s7, s1, s17
	s_add_i32 s6, s7, s6
	s_mul_i32 s8, s8, s17
	s_add_i32 s6, s6, s8
	s_mul_i32 s1, s1, s17
	s_mul_hi_u32 s8, s9, s1
	s_mul_i32 s16, s9, s1
	s_mul_i32 s19, s17, s6
	s_mul_hi_u32 s1, s17, s1
	s_mul_hi_u32 s18, s17, s6
	s_add_u32 s1, s1, s19
	s_addc_u32 s18, 0, s18
	s_add_u32 s1, s1, s16
	s_mul_hi_u32 s7, s9, s6
	s_addc_u32 s1, s18, s8
	s_addc_u32 s7, s7, 0
	s_mul_i32 s6, s9, s6
	s_add_u32 s1, s1, s6
	s_addc_u32 s8, 0, s7
	s_add_u32 s1, s17, s1
	s_cselect_b64 s[6:7], -1, 0
	s_cmp_lg_u64 s[6:7], 0
	s_addc_u32 s16, s9, s8
	s_ashr_i32 s6, s61, 31
	s_add_u32 s8, s60, s6
	s_mov_b32 s7, s6
	s_addc_u32 s9, s61, s6
	s_xor_b64 s[8:9], s[8:9], s[6:7]
	s_mul_i32 s18, s8, s16
	s_mul_hi_u32 s19, s8, s1
	s_mul_hi_u32 s17, s8, s16
	s_add_u32 s18, s19, s18
	s_addc_u32 s17, 0, s17
	s_mul_hi_u32 s20, s9, s1
	s_mul_i32 s1, s9, s1
	s_add_u32 s1, s18, s1
	s_mul_hi_u32 s19, s9, s16
	s_addc_u32 s1, s17, s20
	s_addc_u32 s17, s19, 0
	s_mul_i32 s16, s9, s16
	s_add_u32 s1, s1, s16
	s_addc_u32 s16, 0, s17
	s_mul_i32 s16, s2, s16
	s_mul_hi_u32 s17, s2, s1
	s_add_i32 s16, s17, s16
	s_mul_i32 s17, s3, s1
	s_add_i32 s20, s16, s17
	s_sub_i32 s18, s9, s20
	s_mul_i32 s1, s2, s1
	s_sub_u32 s1, s8, s1
	s_cselect_b64 s[16:17], -1, 0
	s_cmp_lg_u64 s[16:17], 0
	s_subb_u32 s8, s18, s3
	s_sub_u32 s21, s1, s2
	s_cselect_b64 s[18:19], -1, 0
	s_cmp_lg_u64 s[18:19], 0
	s_subb_u32 s22, s8, 0
	s_cmp_ge_u32 s22, s3
	s_cselect_b32 s23, -1, 0
	s_cmp_ge_u32 s21, s2
	s_cselect_b32 s24, -1, 0
	s_cmp_eq_u32 s22, s3
	s_cselect_b32 s23, s24, s23
	s_cmp_lg_u64 s[18:19], 0
	s_subb_u32 s8, s8, s3
	s_sub_u32 s24, s21, s2
	s_cselect_b64 s[18:19], -1, 0
	s_cmp_lg_u64 s[18:19], 0
	s_subb_u32 s8, s8, 0
	s_cmp_lg_u32 s23, 0
	s_cselect_b32 s18, s24, s21
	s_cselect_b32 s8, s8, s22
	s_cmp_lg_u64 s[16:17], 0
	s_subb_u32 s9, s9, s20
	s_cmp_ge_u32 s9, s3
	s_cselect_b32 s16, -1, 0
	s_cmp_ge_u32 s1, s2
	s_cselect_b32 s2, -1, 0
	s_cmp_eq_u32 s9, s3
	s_cselect_b32 s2, s2, s16
	s_cmp_lg_u32 s2, 0
	s_cselect_b32 s3, s8, s9
	s_cselect_b32 s2, s18, s1
	s_xor_b64 s[2:3], s[2:3], s[6:7]
	s_sub_u32 s8, s2, s6
	s_subb_u32 s9, s3, s6
	s_cbranch_execnz .LBB55_78
.LBB55_77:                              ;   in Loop: Header=BB55_32 Depth=1
	v_cvt_f32_u32_e32 v2, s82
	s_sub_i32 s1, 0, s82
	s_mov_b32 s9, s83
	v_rcp_iflag_f32_e32 v2, v2
	s_nop 0
	v_mul_f32_e32 v2, 0x4f7ffffe, v2
	v_cvt_u32_f32_e32 v2, v2
	s_nop 0
	v_readfirstlane_b32 s2, v2
	s_mul_i32 s1, s1, s2
	s_mul_hi_u32 s1, s2, s1
	s_add_i32 s2, s2, s1
	s_mul_hi_u32 s1, s60, s2
	s_mul_i32 s1, s1, s82
	s_sub_i32 s1, s60, s1
	s_sub_i32 s2, s1, s82
	s_cmp_ge_u32 s1, s82
	s_cselect_b32 s1, s2, s1
	s_sub_i32 s2, s1, s82
	s_cmp_ge_u32 s1, s82
	s_cselect_b32 s8, s2, s1
.LBB55_78:                              ;   in Loop: Header=BB55_32 Depth=1
	s_sub_u32 s92, s60, s8
	s_subb_u32 s93, s61, s9
	s_mov_b32 s1, s83
	v_cmp_gt_i64_e32 vcc, s[92:93], v[14:15]
	v_mov_b64_e32 v[4:5], 0
	v_mov_b64_e32 v[6:7], 0
	;; [unrolled: 1-line block ×4, first 2 shown]
	s_and_saveexec_b64 s[6:7], vcc
	s_cbranch_execz .LBB55_82
; %bb.79:                               ;   in Loop: Header=BB55_32 Depth=1
	v_readlane_b32 s2, v59, 18
	v_readlane_b32 s16, v59, 40
	v_readlane_b32 s3, v59, 19
	v_readlane_b32 s17, v59, 41
	s_mul_i32 s2, s17, s0
	s_mul_hi_u32 s3, s16, s0
	s_mov_b32 s4, s96
	s_mov_b32 s77, s95
	s_add_i32 s79, s3, s2
	s_mul_i32 s78, s16, s0
	s_mov_b64 s[90:91], 0
	v_mov_b64_e32 v[40:41], v[30:31]
	v_mov_b64_e32 v[42:43], v[28:29]
	v_mov_b64_e32 v[44:45], v[26:27]
	v_mov_b64_e32 v[46:47], v[24:25]
	s_mov_b64 s[96:97], 0
	s_mov_b64 s[94:95], 0
	;; [unrolled: 1-line block ×4, first 2 shown]
	v_mov_b64_e32 v[48:49], v[14:15]
.LBB55_80:                              ;   Parent Loop BB55_32 Depth=1
                                        ; =>  This Inner Loop Header: Depth=2
	v_lshl_add_u64 v[4:5], v[40:41], 0, s[84:85]
	v_lshl_add_u64 v[6:7], v[42:43], 0, s[84:85]
	;; [unrolled: 1-line block ×4, first 2 shown]
	global_load_dword v2, v[4:5], off
	s_nop 0
	global_load_dword v4, v[6:7], off
	global_load_dword v5, v[8:9], off
	s_nop 0
	global_load_dword v6, v[10:11], off
	v_lshl_add_u64 v[48:49], v[48:49], 0, s[82:83]
	v_cmp_le_i64_e32 vcc, s[92:93], v[48:49]
	v_lshl_add_u64 v[46:47], v[46:47], 0, s[78:79]
	v_lshl_add_u64 v[44:45], v[44:45], 0, s[78:79]
	;; [unrolled: 1-line block ×4, first 2 shown]
	s_waitcnt vmcnt(3)
	v_cmp_lt_i32_e64 s[2:3], -1, v2
	s_nop 1
	v_cndmask_b32_e64 v7, -1, v57, s[2:3]
	s_waitcnt vmcnt(2)
	v_cmp_lt_i32_e64 s[2:3], -1, v4
	s_waitcnt vmcnt(1)
	v_cmp_o_f32_e64 s[16:17], v5, v5
	s_waitcnt vmcnt(0)
	v_cmp_o_f32_e64 s[18:19], v6, v6
	v_cndmask_b32_e64 v8, -1, v57, s[2:3]
	v_cmp_lt_i32_e64 s[2:3], -1, v5
	v_xor_b32_e32 v8, v8, v4
	v_cmp_o_f32_e64 s[20:21], v2, v2
	v_cndmask_b32_e64 v9, -1, v57, s[2:3]
	v_cmp_lt_i32_e64 s[2:3], -1, v6
	s_nop 1
	v_cndmask_b32_e64 v10, -1, v57, s[2:3]
	v_cmp_o_f32_e64 s[2:3], v4, v4
	v_xor_b32_e32 v4, v9, v5
	v_xor_b32_e32 v5, v10, v6
	;; [unrolled: 1-line block ×3, first 2 shown]
	v_cndmask_b32_e64 v2, -1, v6, s[20:21]
	v_cndmask_b32_e64 v6, -1, v8, s[2:3]
	v_and_b32_e32 v7, v2, v58
	v_bfe_u32 v2, v2, s5, 2
	v_cndmask_b32_e64 v4, -1, v4, s[16:17]
	v_and_b32_e32 v8, v6, v58
	v_bfe_u32 v6, v6, s5, 2
	v_cmp_eq_u32_e64 s[22:23], v7, v56
	v_cmp_eq_u32_e64 s[2:3], 0, v2
	v_cndmask_b32_e64 v5, -1, v5, s[18:19]
	v_and_b32_e32 v9, v4, v58
	v_bfe_u32 v4, v4, s5, 2
	v_cmp_eq_u32_e64 s[20:21], v8, v56
	v_cmp_eq_u32_e64 s[36:37], 0, v6
	s_and_b64 s[2:3], s[22:23], s[2:3]
	v_and_b32_e32 v10, v5, v58
	v_bfe_u32 v5, v5, s5, 2
	v_cmp_eq_u32_e64 s[18:19], v9, v56
	v_cmp_eq_u32_e64 s[38:39], 0, v4
	;; [unrolled: 1-line block ×5, first 2 shown]
	v_cndmask_b32_e64 v2, 0, 1, s[2:3]
	s_and_b64 s[2:3], s[20:21], s[36:37]
	v_cmp_eq_u32_e64 s[16:17], v10, v56
	v_cmp_eq_u32_e64 s[40:41], 0, v5
	;; [unrolled: 1-line block ×5, first 2 shown]
	v_cndmask_b32_e64 v4, 0, 1, s[2:3]
	s_and_b64 s[2:3], s[18:19], s[38:39]
	v_cmp_eq_u32_e64 s[48:49], 1, v5
	v_cmp_eq_u32_e64 s[56:57], 2, v5
	v_cmp_eq_u32_e64 s[24:25], 3, v5
	v_cndmask_b32_e64 v5, 0, 1, s[2:3]
	s_and_b64 s[2:3], s[16:17], s[40:41]
	v_cmp_eq_u32_e64 s[44:45], 1, v6
	v_cmp_eq_u32_e64 s[52:53], 2, v6
	v_cmp_eq_u32_e64 s[28:29], 3, v6
	v_cndmask_b32_e64 v6, 0, 1, s[2:3]
	v_cmp_ne_u32_e64 s[2:3], 0, v2
	v_cmp_ne_u32_e64 s[36:37], 0, v4
	v_cmp_ne_u32_e64 s[38:39], 0, v5
	v_cmp_ne_u32_e64 s[40:41], 0, v6
	s_bcnt1_i32_b64 s2, s[2:3]
	s_bcnt1_i32_b64 s3, s[36:37]
	s_bcnt1_i32_b64 s36, s[38:39]
	s_bcnt1_i32_b64 s37, s[40:41]
	s_add_u32 s2, s2, s86
	s_addc_u32 s38, 0, s87
	s_add_u32 s2, s2, s3
	s_addc_u32 s3, s38, 0
	s_add_u32 s2, s2, s36
	s_addc_u32 s3, s3, 0
	s_add_u32 s86, s2, s37
	s_addc_u32 s87, s3, 0
	s_and_b64 s[2:3], s[22:23], s[42:43]
	v_cndmask_b32_e64 v2, 0, 1, s[2:3]
	s_and_b64 s[2:3], s[20:21], s[44:45]
	v_cndmask_b32_e64 v6, 0, 1, s[2:3]
	s_and_b64 s[2:3], s[18:19], s[46:47]
	v_cndmask_b32_e64 v7, 0, 1, s[2:3]
	s_and_b64 s[2:3], s[16:17], s[48:49]
	v_cndmask_b32_e64 v8, 0, 1, s[2:3]
	v_cmp_ne_u32_e64 s[2:3], 0, v2
	v_cmp_ne_u32_e64 s[36:37], 0, v6
	v_cmp_ne_u32_e64 s[38:39], 0, v7
	v_cmp_ne_u32_e64 s[40:41], 0, v8
	s_bcnt1_i32_b64 s2, s[2:3]
	s_bcnt1_i32_b64 s3, s[36:37]
	s_bcnt1_i32_b64 s36, s[38:39]
	s_bcnt1_i32_b64 s37, s[40:41]
	s_add_u32 s2, s2, s70
	s_addc_u32 s38, 0, s71
	s_add_u32 s2, s2, s3
	s_addc_u32 s3, s38, 0
	s_add_u32 s2, s2, s36
	s_addc_u32 s3, s3, 0
	s_add_u32 s70, s2, s37
	s_addc_u32 s71, s3, 0
	s_and_b64 s[2:3], s[22:23], s[50:51]
	v_cndmask_b32_e64 v2, 0, 1, s[2:3]
	s_and_b64 s[2:3], s[20:21], s[52:53]
	v_cndmask_b32_e64 v8, 0, 1, s[2:3]
	s_and_b64 s[2:3], s[18:19], s[54:55]
	v_cndmask_b32_e64 v9, 0, 1, s[2:3]
	s_and_b64 s[2:3], s[16:17], s[56:57]
	v_cndmask_b32_e64 v10, 0, 1, s[2:3]
	v_cmp_ne_u32_e64 s[2:3], 0, v2
	v_cmp_ne_u32_e64 s[36:37], 0, v8
	v_cmp_ne_u32_e64 s[38:39], 0, v9
	v_cmp_ne_u32_e64 s[40:41], 0, v10
	s_bcnt1_i32_b64 s2, s[2:3]
	s_bcnt1_i32_b64 s3, s[36:37]
	s_bcnt1_i32_b64 s36, s[38:39]
	s_bcnt1_i32_b64 s37, s[40:41]
	s_add_u32 s2, s2, s94
	s_addc_u32 s38, 0, s95
	s_add_u32 s2, s2, s3
	s_addc_u32 s3, s38, 0
	s_add_u32 s2, s2, s36
	s_addc_u32 s3, s3, 0
	s_add_u32 s94, s2, s37
	s_addc_u32 s95, s3, 0
	s_and_b64 s[2:3], s[22:23], s[30:31]
	v_cndmask_b32_e64 v2, 0, 1, s[2:3]
	s_and_b64 s[2:3], s[20:21], s[28:29]
	v_cndmask_b32_e64 v10, 0, 1, s[2:3]
	s_and_b64 s[2:3], s[18:19], s[26:27]
	v_cndmask_b32_e64 v11, 0, 1, s[2:3]
	s_and_b64 s[2:3], s[16:17], s[24:25]
	v_cndmask_b32_e64 v35, 0, 1, s[2:3]
	v_cmp_ne_u32_e64 s[2:3], 0, v2
	v_cmp_ne_u32_e64 s[16:17], 0, v10
	v_cmp_ne_u32_e64 s[18:19], 0, v11
	v_cmp_ne_u32_e64 s[20:21], 0, v35
	s_bcnt1_i32_b64 s2, s[2:3]
	s_bcnt1_i32_b64 s3, s[16:17]
	;; [unrolled: 1-line block ×4, first 2 shown]
	s_add_u32 s2, s2, s96
	s_addc_u32 s18, 0, s97
	s_add_u32 s2, s2, s3
	s_addc_u32 s3, s18, 0
	;; [unrolled: 2-line block ×4, first 2 shown]
	v_mov_b64_e32 v[4:5], s[86:87]
	v_mov_b64_e32 v[6:7], s[70:71]
	v_mov_b64_e32 v[8:9], s[94:95]
	s_or_b64 s[90:91], vcc, s[90:91]
	v_mov_b64_e32 v[10:11], s[96:97]
	s_andn2_b64 exec, exec, s[90:91]
	s_cbranch_execnz .LBB55_80
; %bb.81:                               ;   in Loop: Header=BB55_32 Depth=1
	s_or_b64 exec, exec, s[90:91]
	v_readlane_b32 s86, v59, 42
	v_readlane_b32 s88, v59, 44
	;; [unrolled: 1-line block ×7, first 2 shown]
	s_mov_b32 s95, s77
	v_readlane_b32 s57, v59, 49
	s_mov_b32 s96, s4
.LBB55_82:                              ;   in Loop: Header=BB55_32 Depth=1
	s_or_b64 exec, exec, s[6:7]
	v_lshl_add_u64 v[40:41], s[92:93], 0, v[0:1]
	v_cmp_gt_i64_e32 vcc, s[60:61], v[40:41]
	s_and_saveexec_b64 s[6:7], vcc
	v_readlane_b32 s4, v59, 50
	v_readlane_b32 s92, v59, 51
	s_cbranch_execz .LBB55_88
; %bb.83:                               ;   in Loop: Header=BB55_32 Depth=1
	v_mad_u64_u32 v[42:43], s[2:3], v40, s66, 0
	v_mul_lo_u32 v2, v41, s66
	v_mul_lo_u32 v35, v40, s67
	v_readlane_b32 s2, v59, 18
	v_add3_u32 v43, v43, v35, v2
	v_readlane_b32 s3, v59, 19
	v_mov_b32_e32 v35, s9
	s_mov_b64 s[16:17], 0
	v_lshl_add_u64 v[42:43], v[42:43], 2, s[2:3]
	global_load_dword v2, v[42:43], off
	v_lshl_add_u64 v[42:43], v[32:33], 0, s[0:1]
	v_readlane_b32 s2, v59, 36
	v_subrev_co_u32_e32 v36, vcc, s8, v42
	v_readlane_b32 s3, v59, 37
	s_nop 0
	v_subb_co_u32_e32 v35, vcc, v43, v35, vcc
	v_readlane_b32 s8, v59, 38
	v_mov_b64_e32 v[42:43], s[2:3]
	v_readlane_b32 s9, v59, 39
	v_mad_u64_u32 v[42:43], s[2:3], s8, v36, v[42:43]
	v_mul_lo_u32 v35, s8, v35
	v_mul_lo_u32 v44, s9, v36
	s_mul_i32 s2, s9, s0
	s_mul_hi_u32 s3, s8, s0
	v_add3_u32 v43, v44, v43, v35
	s_add_i32 s9, s3, s2
	s_mul_i32 s8, s8, s0
	s_branch .LBB55_85
.LBB55_84:                              ;   in Loop: Header=BB55_85 Depth=2
	s_or_b64 exec, exec, s[18:19]
	s_and_b64 s[2:3], exec, vcc
	s_waitcnt vmcnt(0)
	v_cmp_lt_i32_e32 vcc, -1, v2
	s_or_b64 s[16:17], s[2:3], s[16:17]
	v_lshl_add_u64 v[42:43], v[42:43], 0, s[8:9]
	v_cndmask_b32_e32 v36, -1, v57, vcc
	v_xor_b32_e32 v36, v36, v2
	v_cmp_o_f32_e32 vcc, v2, v2
	s_nop 1
	v_cndmask_b32_e32 v2, -1, v36, vcc
	v_and_b32_e32 v36, v2, v58
	v_bfe_u32 v2, v2, s5, 2
	v_cmp_eq_u32_e32 vcc, v36, v56
	v_cmp_eq_u32_e64 s[2:3], 0, v2
	s_and_b64 s[2:3], vcc, s[2:3]
	s_nop 0
	v_cndmask_b32_e64 v36, 0, 1, s[2:3]
	v_cmp_ne_u32_e64 s[2:3], 0, v36
	s_bcnt1_i32_b64 s82, s[2:3]
	v_cmp_eq_u32_e64 s[2:3], 1, v2
	s_and_b64 s[2:3], vcc, s[2:3]
	v_lshl_add_u64 v[4:5], s[82:83], 0, v[4:5]
	v_cndmask_b32_e64 v36, 0, 1, s[2:3]
	v_cmp_ne_u32_e64 s[2:3], 0, v36
	s_bcnt1_i32_b64 s82, s[2:3]
	v_cmp_eq_u32_e64 s[2:3], 2, v2
	s_and_b64 s[2:3], vcc, s[2:3]
	v_lshl_add_u64 v[6:7], s[82:83], 0, v[6:7]
	;; [unrolled: 6-line block ×3, first 2 shown]
	v_cndmask_b32_e64 v2, 0, 1, s[2:3]
	v_cmp_ne_u32_e32 vcc, 0, v2
	s_bcnt1_i32_b64 s82, vcc
	v_lshl_add_u64 v[10:11], s[82:83], 0, v[10:11]
	v_mov_b32_e32 v2, v35
	s_andn2_b64 exec, exec, s[16:17]
	s_cbranch_execz .LBB55_87
.LBB55_85:                              ;   Parent Loop BB55_32 Depth=1
                                        ; =>  This Inner Loop Header: Depth=2
	v_lshl_add_u64 v[40:41], v[40:41], 0, s[0:1]
	v_cmp_gt_i64_e64 s[2:3], s[60:61], v[40:41]
	v_cmp_le_i64_e32 vcc, s[60:61], v[40:41]
	v_mov_b32_e32 v35, 0
	s_and_saveexec_b64 s[18:19], s[2:3]
	s_cbranch_execz .LBB55_84
; %bb.86:                               ;   in Loop: Header=BB55_85 Depth=2
	global_load_dword v35, v[42:43], off
	s_branch .LBB55_84
.LBB55_87:                              ;   in Loop: Header=BB55_32 Depth=1
	s_or_b64 exec, exec, s[16:17]
.LBB55_88:                              ;   in Loop: Header=BB55_32 Depth=1
	s_or_b64 exec, exec, s[6:7]
	s_branch .LBB55_67
.LBB55_89:                              ;   in Loop: Header=BB55_32 Depth=1
	global_load_ushort v2, v3, s[56:57]
	v_mov_b64_e32 v[8:9], 0
	s_waitcnt vmcnt(0)
	v_readfirstlane_b32 s0, v2
	s_and_b32 s2, 0xffff, s0
	s_lshl_b32 s0, s2, 2
	v_cvt_f32_u32_e32 v4, s0
	s_sub_i32 s3, 0, s0
	v_rcp_iflag_f32_e32 v6, v4
	v_mov_b64_e32 v[4:5], 0
	v_mul_f32_e32 v6, 0x4f7ffffe, v6
	v_cvt_u32_f32_e32 v10, v6
	v_mov_b64_e32 v[6:7], 0
	v_readfirstlane_b32 s6, v10
	s_mul_i32 s3, s3, s6
	s_mul_hi_u32 s3, s6, s3
	s_add_i32 s6, s6, s3
	s_mul_hi_u32 s3, s76, s6
	s_mul_i32 s6, s3, s0
	s_sub_i32 s6, s76, s6
	s_add_i32 s7, s3, 1
	s_sub_i32 s8, s6, s0
	s_cmp_ge_u32 s6, s0
	s_cselect_b32 s3, s7, s3
	s_cselect_b32 s6, s8, s6
	s_add_i32 s7, s3, 1
	s_cmp_ge_u32 s6, s0
	s_cselect_b32 s3, s7, s3
	s_mul_hi_u32 s7, s2, s3
	s_mul_i32 s6, s2, s3
	s_lshl_b64 s[8:9], s[6:7], 2
	v_cmp_gt_u64_e32 vcc, s[8:9], v[14:15]
	v_mov_b64_e32 v[10:11], 0
	s_and_saveexec_b64 s[78:79], vcc
	s_cbranch_execz .LBB55_93
; %bb.90:                               ;   in Loop: Header=BB55_32 Depth=1
	s_mov_b32 s1, s83
	s_mov_b32 s97, s95
	;; [unrolled: 1-line block ×3, first 2 shown]
	s_lshl_b32 s77, s2, 4
	s_mov_b64 s[70:71], 0
	v_mov_b32_e32 v35, v54
	s_mov_b64 s[86:87], 0
	s_mov_b64 s[94:95], 0
	s_mov_b64 s[92:93], 0
	s_mov_b64 s[90:91], 0
	v_mov_b64_e32 v[40:41], v[14:15]
.LBB55_91:                              ;   Parent Loop BB55_32 Depth=1
                                        ; =>  This Inner Loop Header: Depth=2
	ds_read_b128 v[4:7], v35
	v_lshl_add_u64 v[40:41], v[40:41], 0, s[0:1]
	v_cmp_le_u64_e32 vcc, s[8:9], v[40:41]
	v_add_u32_e32 v35, s77, v35
	s_waitcnt lgkmcnt(0)
	v_cmp_lt_i32_e64 s[2:3], -1, v5
	v_cmp_o_f32_e64 s[16:17], v6, v6
	s_nop 0
	v_cndmask_b32_e64 v8, -1, v57, s[2:3]
	v_cmp_lt_i32_e64 s[2:3], -1, v4
	v_cmp_o_f32_e64 s[18:19], v7, v7
	v_cmp_o_f32_e64 s[20:21], v5, v5
	v_cndmask_b32_e64 v9, -1, v57, s[2:3]
	v_cmp_lt_i32_e64 s[2:3], -1, v7
	v_xor_b32_e32 v9, v9, v4
	s_nop 0
	v_cndmask_b32_e64 v10, -1, v57, s[2:3]
	v_cmp_lt_i32_e64 s[2:3], -1, v6
	s_nop 1
	v_cndmask_b32_e64 v11, -1, v57, s[2:3]
	v_cmp_o_f32_e64 s[2:3], v4, v4
	v_xor_b32_e32 v4, v11, v6
	v_xor_b32_e32 v6, v10, v7
	;; [unrolled: 1-line block ×3, first 2 shown]
	v_cndmask_b32_e64 v5, -1, v7, s[20:21]
	v_cndmask_b32_e64 v7, -1, v9, s[2:3]
	v_and_b32_e32 v8, v7, v58
	v_lshrrev_b32_e32 v7, s5, v7
	v_cndmask_b32_e64 v4, -1, v4, s[16:17]
	v_and_b32_e32 v9, v5, v58
	v_lshrrev_b32_e32 v5, s7, v5
	v_and_b32_e32 v7, 3, v7
	v_and_b32_e32 v10, v4, v58
	v_lshrrev_b32_e32 v4, s5, v4
	v_cmp_eq_u32_e64 s[2:3], v8, v56
	v_and_b32_e32 v5, 3, v5
	v_cmp_eq_u32_e64 s[26:27], 0, v7
	v_cmp_eq_u32_e64 s[24:25], v9, v56
	v_and_b32_e32 v4, 3, v4
	v_cmp_eq_u32_e64 s[28:29], 0, v5
	s_and_b64 s[26:27], s[2:3], s[26:27]
	v_cmp_eq_u32_e64 s[46:47], 0, v4
	v_cmp_eq_u32_e64 s[50:51], 1, v4
	;; [unrolled: 1-line block ×4, first 2 shown]
	v_cndmask_b32_e64 v4, 0, 1, s[26:27]
	s_and_b64 s[26:27], s[24:25], s[28:29]
	v_cmp_eq_u32_e64 s[36:37], 1, v5
	v_cmp_eq_u32_e64 s[40:41], 2, v5
	;; [unrolled: 1-line block ×3, first 2 shown]
	v_cndmask_b32_e64 v5, 0, 1, s[26:27]
	v_cmp_ne_u32_e64 s[26:27], 0, v4
	v_cmp_ne_u32_e64 s[28:29], 0, v5
	s_bcnt1_i32_b64 s26, s[26:27]
	s_bcnt1_i32_b64 s27, s[28:29]
	s_add_u32 s26, s26, s90
	s_addc_u32 s28, 0, s91
	v_cmp_eq_u32_e64 s[30:31], 1, v7
	s_add_u32 s82, s26, s27
	s_addc_u32 s90, s28, 0
	s_and_b64 s[26:27], s[2:3], s[30:31]
	v_cndmask_b32_e64 v4, 0, 1, s[26:27]
	s_and_b64 s[26:27], s[24:25], s[36:37]
	v_cndmask_b32_e64 v5, 0, 1, s[26:27]
	v_cmp_ne_u32_e64 s[26:27], 0, v4
	v_cmp_ne_u32_e64 s[28:29], 0, v5
	s_bcnt1_i32_b64 s26, s[26:27]
	s_bcnt1_i32_b64 s27, s[28:29]
	s_add_u32 s26, s26, s92
	s_addc_u32 s28, 0, s93
	v_cmp_eq_u32_e64 s[38:39], 2, v7
	s_add_u32 s30, s26, s27
	s_addc_u32 s31, s28, 0
	s_and_b64 s[26:27], s[2:3], s[38:39]
	v_cndmask_b32_e64 v4, 0, 1, s[26:27]
	s_and_b64 s[26:27], s[24:25], s[40:41]
	v_cndmask_b32_e64 v5, 0, 1, s[26:27]
	v_cmp_ne_u32_e64 s[26:27], 0, v4
	v_cmp_ne_u32_e64 s[28:29], 0, v5
	s_bcnt1_i32_b64 s26, s[26:27]
	s_bcnt1_i32_b64 s27, s[28:29]
	v_cndmask_b32_e64 v6, -1, v6, s[18:19]
	s_add_u32 s26, s26, s94
	v_and_b32_e32 v11, v6, v58
	v_lshrrev_b32_e32 v6, s7, v6
	s_addc_u32 s28, 0, s95
	v_cmp_eq_u32_e64 s[18:19], v10, v56
	v_and_b32_e32 v6, 3, v6
	s_add_u32 s36, s26, s27
	v_cmp_eq_u32_e64 s[16:17], v11, v56
	v_cmp_eq_u32_e64 s[44:45], 3, v7
	;; [unrolled: 1-line block ×3, first 2 shown]
	s_addc_u32 s37, s28, 0
	s_and_b64 s[26:27], s[18:19], s[46:47]
	v_cndmask_b32_e64 v4, 0, 1, s[26:27]
	s_and_b64 s[26:27], s[16:17], s[48:49]
	s_and_b64 s[2:3], s[2:3], s[44:45]
	v_cmp_eq_u32_e64 s[52:53], 1, v6
	v_cmp_eq_u32_e64 s[56:57], 2, v6
	;; [unrolled: 1-line block ×3, first 2 shown]
	v_cndmask_b32_e64 v5, 0, 1, s[26:27]
	v_cndmask_b32_e64 v6, 0, 1, s[2:3]
	s_and_b64 s[2:3], s[24:25], s[42:43]
	v_cndmask_b32_e64 v7, 0, 1, s[2:3]
	v_cmp_ne_u32_e64 s[2:3], 0, v4
	v_cmp_ne_u32_e64 s[24:25], 0, v5
	s_bcnt1_i32_b64 s2, s[2:3]
	s_bcnt1_i32_b64 s3, s[24:25]
	s_add_u32 s2, s82, s2
	s_addc_u32 s24, s90, 0
	s_add_u32 s90, s2, s3
	s_addc_u32 s91, s24, 0
	s_and_b64 s[2:3], s[18:19], s[50:51]
	v_cmp_ne_u32_e64 s[26:27], 0, v6
	v_cndmask_b32_e64 v6, 0, 1, s[2:3]
	s_and_b64 s[2:3], s[16:17], s[52:53]
	v_cmp_ne_u32_e64 s[28:29], 0, v7
	v_cndmask_b32_e64 v7, 0, 1, s[2:3]
	v_cmp_ne_u32_e64 s[2:3], 0, v6
	v_cmp_ne_u32_e64 s[24:25], 0, v7
	s_bcnt1_i32_b64 s2, s[2:3]
	s_bcnt1_i32_b64 s3, s[24:25]
	s_add_u32 s2, s30, s2
	s_addc_u32 s24, s31, 0
	s_add_u32 s92, s2, s3
	s_addc_u32 s93, s24, 0
	s_and_b64 s[2:3], s[18:19], s[54:55]
	v_cndmask_b32_e64 v8, 0, 1, s[2:3]
	s_and_b64 s[2:3], s[16:17], s[56:57]
	v_cndmask_b32_e64 v9, 0, 1, s[2:3]
	v_cmp_ne_u32_e64 s[2:3], 0, v8
	v_cmp_ne_u32_e64 s[24:25], 0, v9
	s_bcnt1_i32_b64 s2, s[2:3]
	s_bcnt1_i32_b64 s3, s[24:25]
	s_add_u32 s2, s36, s2
	s_addc_u32 s24, s37, 0
	s_add_u32 s94, s2, s3
	s_addc_u32 s95, s24, 0
	s_and_b64 s[2:3], s[18:19], s[22:23]
	v_cndmask_b32_e64 v10, 0, 1, s[2:3]
	s_and_b64 s[2:3], s[16:17], s[20:21]
	v_cndmask_b32_e64 v11, 0, 1, s[2:3]
	v_cmp_ne_u32_e64 s[2:3], 0, v10
	v_cmp_ne_u32_e64 s[16:17], 0, v11
	s_bcnt1_i32_b64 s24, s[26:27]
	s_bcnt1_i32_b64 s25, s[28:29]
	;; [unrolled: 1-line block ×4, first 2 shown]
	s_add_u32 s16, s24, s86
	s_addc_u32 s17, 0, s87
	s_add_u32 s16, s16, s25
	s_addc_u32 s17, s17, 0
	;; [unrolled: 2-line block ×4, first 2 shown]
	v_mov_b64_e32 v[4:5], s[90:91]
	v_mov_b64_e32 v[6:7], s[92:93]
	;; [unrolled: 1-line block ×3, first 2 shown]
	s_or_b64 s[70:71], vcc, s[70:71]
	v_mov_b64_e32 v[10:11], s[86:87]
	s_andn2_b64 exec, exec, s[70:71]
	s_cbranch_execnz .LBB55_91
; %bb.92:                               ;   in Loop: Header=BB55_32 Depth=1
	s_or_b64 exec, exec, s[70:71]
	v_readlane_b32 s86, v59, 42
	v_readlane_b32 s88, v59, 44
	;; [unrolled: 1-line block ×7, first 2 shown]
	s_mov_b32 s95, s97
	v_readlane_b32 s57, v59, 49
	v_readlane_b32 s4, v59, 50
	;; [unrolled: 1-line block ×3, first 2 shown]
.LBB55_93:                              ;   in Loop: Header=BB55_32 Depth=1
	s_or_b64 exec, exec, s[78:79]
	s_and_b32 s24, s76, 0x7fffffff
	s_mov_b32 s25, s83
	v_lshl_add_u64 v[40:41], s[8:9], 0, v[0:1]
	v_and_b32_e32 v2, 0xffff, v2
	v_cmp_gt_u64_e32 vcc, s[24:25], v[40:41]
	s_and_saveexec_b64 s[8:9], vcc
	s_cbranch_execz .LBB55_97
; %bb.94:                               ;   in Loop: Header=BB55_32 Depth=1
	v_lshl_add_u32 v35, s6, 4, v14
	s_mov_b64 s[6:7], 0
.LBB55_95:                              ;   Parent Loop BB55_32 Depth=1
                                        ; =>  This Inner Loop Header: Depth=2
	ds_read_b32 v36, v35
	v_lshl_add_u64 v[40:41], v[40:41], 0, v[2:3]
	v_cmp_le_u64_e32 vcc, s[24:25], v[40:41]
	v_add_u32_e32 v35, s0, v35
	s_waitcnt lgkmcnt(0)
	v_cmp_lt_i32_e64 s[2:3], -1, v36
	s_nop 1
	v_cndmask_b32_e64 v42, -1, v57, s[2:3]
	v_xor_b32_e32 v42, v42, v36
	v_cmp_o_f32_e64 s[2:3], v36, v36
	s_nop 1
	v_cndmask_b32_e64 v36, -1, v42, s[2:3]
	v_and_b32_e32 v42, v36, v58
	v_bfe_u32 v36, v36, s5, 2
	v_cmp_eq_u32_e64 s[2:3], v42, v56
	v_cmp_eq_u32_e64 s[16:17], 0, v36
	;; [unrolled: 1-line block ×3, first 2 shown]
	s_and_b64 s[16:17], s[2:3], s[16:17]
	v_cmp_eq_u32_e64 s[20:21], 2, v36
	v_cmp_eq_u32_e64 s[22:23], 3, v36
	v_cndmask_b32_e64 v36, 0, 1, s[16:17]
	s_and_b64 s[16:17], s[2:3], s[18:19]
	v_cndmask_b32_e64 v42, 0, 1, s[16:17]
	s_and_b64 s[16:17], s[2:3], s[20:21]
	s_and_b64 s[2:3], s[2:3], s[22:23]
	v_cndmask_b32_e64 v44, 0, 1, s[2:3]
	v_cmp_ne_u32_e64 s[2:3], 0, v36
	v_cndmask_b32_e64 v43, 0, 1, s[16:17]
	v_cmp_ne_u32_e64 s[16:17], 0, v42
	s_bcnt1_i32_b64 s82, s[2:3]
	v_cmp_ne_u32_e64 s[18:19], 0, v43
	v_lshl_add_u64 v[4:5], s[82:83], 0, v[4:5]
	s_bcnt1_i32_b64 s82, s[16:17]
	v_cmp_ne_u32_e64 s[20:21], 0, v44
	v_lshl_add_u64 v[6:7], s[82:83], 0, v[6:7]
	s_bcnt1_i32_b64 s82, s[18:19]
	v_lshl_add_u64 v[8:9], s[82:83], 0, v[8:9]
	s_bcnt1_i32_b64 s82, s[20:21]
	s_or_b64 s[6:7], vcc, s[6:7]
	v_lshl_add_u64 v[10:11], s[82:83], 0, v[10:11]
	s_andn2_b64 exec, exec, s[6:7]
	s_cbranch_execnz .LBB55_95
; %bb.96:                               ;   in Loop: Header=BB55_32 Depth=1
	s_or_b64 exec, exec, s[6:7]
.LBB55_97:                              ;   in Loop: Header=BB55_32 Depth=1
	s_or_b64 exec, exec, s[8:9]
	s_lshl_b32 s2, s64, 6
	s_and_saveexec_b64 s[0:1], s[88:89]
	s_cbranch_execnz .LBB55_68
	s_branch .LBB55_69
.LBB55_98:                              ;   in Loop: Header=BB55_32 Depth=1
                                        ; implicit-def: $sgpr8_sgpr9
	s_branch .LBB55_77
.LBB55_99:                              ;   in Loop: Header=BB55_32 Depth=1
	s_or_b64 exec, exec, s[6:7]
	s_waitcnt lgkmcnt(0)
	s_barrier
	s_mov_b64 s[2:3], exec
	v_readlane_b32 s6, v59, 10
	v_readlane_b32 s7, v59, 11
	s_and_b64 s[6:7], s[2:3], s[6:7]
	s_mov_b64 exec, s[6:7]
	s_cbranch_execz .LBB55_101
; %bb.100:                              ;   in Loop: Header=BB55_32 Depth=1
	ds_read_b32 v4, v3 offset:5136
	s_waitcnt lgkmcnt(0)
	v_ashrrev_i32_e32 v5, 31, v4
	ds_write_b64 v3, v[4:5] offset:5120
.LBB55_101:                             ;   in Loop: Header=BB55_32 Depth=1
	s_or_b64 exec, exec, s[2:3]
	s_waitcnt lgkmcnt(0)
	s_barrier
	s_mov_b64 s[2:3], -1
	s_and_b64 vcc, exec, s[0:1]
	s_cbranch_vccnz .LBB55_48
	s_branch .LBB55_63
.LBB55_102:                             ;   in Loop: Header=BB55_32 Depth=1
	s_mov_b32 s3, 0
	v_mov_b64_e32 v[4:5], 0
.LBB55_103:                             ;   in Loop: Header=BB55_32 Depth=1
	v_readlane_b32 s6, v59, 34
	v_readlane_b32 s7, v59, 35
	s_andn2_b64 vcc, exec, s[6:7]
	s_cbranch_vccnz .LBB55_106
; %bb.104:                              ;   in Loop: Header=BB55_32 Depth=1
	s_lshl_b32 s6, s64, 9
	s_lshl_b32 s3, s3, 5
	s_add_i32 s6, s6, s3
	v_add_u32_e32 v2, s6, v55
	v_readlane_b32 s3, v59, 33
.LBB55_105:                             ;   Parent Loop BB55_32 Depth=1
                                        ; =>  This Inner Loop Header: Depth=2
	ds_read_b64 v[6:7], v2
	s_add_i32 s3, s3, -1
	v_add_u32_e32 v2, 32, v2
	s_cmp_lg_u32 s3, 0
	s_waitcnt lgkmcnt(0)
	v_lshl_add_u64 v[4:5], v[6:7], 0, v[4:5]
	s_cbranch_scc1 .LBB55_105
.LBB55_106:                             ;   in Loop: Header=BB55_32 Depth=1
	v_add_lshl_u32 v2, s2, v50, 3
	ds_write_b64 v2, v[4:5] offset:3072
.LBB55_107:                             ;   in Loop: Header=BB55_32 Depth=1
	s_or_b64 exec, exec, s[0:1]
	s_lshl_b32 s0, s2, 3
	v_mov_b32_e32 v2, s0
	s_waitcnt lgkmcnt(0)
	s_barrier
	ds_read_b128 v[8:11], v2 offset:3088
	ds_read_b128 v[4:7], v2 offset:3072
	s_lshl_b32 s76, 3, s5
	v_cmp_eq_u64_e64 s[2:3], 1, v[38:39]
	s_not_b32 s54, s76
	s_waitcnt lgkmcnt(1)
	v_readfirstlane_b32 s24, v8
	s_waitcnt lgkmcnt(0)
	v_cmp_eq_u64_e32 vcc, 1, v[4:5]
	v_readfirstlane_b32 s25, v9
	v_readfirstlane_b32 s16, v10
	;; [unrolled: 1-line block ×3, first 2 shown]
	s_and_b64 s[2:3], vcc, s[2:3]
	s_mov_b64 s[0:1], -1
	s_mov_b64 s[20:21], -1
                                        ; implicit-def: $sgpr8_sgpr9
                                        ; implicit-def: $sgpr6_sgpr7
	s_and_saveexec_b64 s[18:19], s[2:3]
	s_cbranch_execz .LBB55_141
; %bb.108:                              ;   in Loop: Header=BB55_32 Depth=1
	ds_read_b64 v[8:9], v3 offset:5120
	s_waitcnt lgkmcnt(0)
	s_barrier
	v_readfirstlane_b32 s20, v8
	v_readfirstlane_b32 s21, v9
	s_mov_b64 s[6:7], exec
	v_readlane_b32 s8, v59, 12
	v_readlane_b32 s9, v59, 13
	s_and_b64 s[8:9], s[6:7], s[8:9]
	s_mov_b64 exec, s[8:9]
; %bb.109:                              ;   in Loop: Header=BB55_32 Depth=1
	ds_write_b32 v51, v3
; %bb.110:                              ;   in Loop: Header=BB55_32 Depth=1
	s_or_b64 exec, exec, s[6:7]
	v_cmp_lt_i64_e64 s[22:23], s[20:21], 1
	v_and_b32_e32 v56, s54, v56
	v_or_b32_e32 v58, s76, v58
	s_mov_b64 s[6:7], -1
	s_mov_b64 s[8:9], 0
	s_and_b64 vcc, exec, s[22:23]
	s_mov_b64 s[22:23], 0
	s_mov_b64 s[26:27], -1
	s_waitcnt lgkmcnt(0)
	s_barrier
                                        ; implicit-def: $vgpr37
	s_cbranch_vccz .LBB55_125
; %bb.111:                              ;   in Loop: Header=BB55_32 Depth=1
	s_mov_b32 s94, s83
	s_cmp_lg_u64 s[94:95], 0
	s_cbranch_scc0 .LBB55_168
; %bb.112:                              ;   in Loop: Header=BB55_32 Depth=1
	s_add_u32 s22, s80, 0
	s_addc_u32 s23, 0, 0
	s_xor_b64 s[22:23], s[22:23], 0
	v_cvt_f32_u32_e32 v2, s22
	v_cvt_f32_u32_e32 v8, s23
	s_sub_u32 s28, 0, s22
	s_subb_u32 s29, 0, s23
	v_fmac_f32_e32 v2, 0x4f800000, v8
	v_rcp_f32_e32 v2, v2
	s_nop 0
	v_mul_f32_e32 v2, 0x5f7ffffc, v2
	v_mul_f32_e32 v8, 0x2f800000, v2
	v_trunc_f32_e32 v8, v8
	v_fmac_f32_e32 v2, 0xcf800000, v8
	v_cvt_u32_f32_e32 v8, v8
	v_cvt_u32_f32_e32 v2, v2
	v_readfirstlane_b32 s30, v8
	v_readfirstlane_b32 s26, v2
	s_mul_i32 s27, s28, s30
	s_mul_hi_u32 s36, s28, s26
	s_mul_i32 s31, s29, s26
	s_add_i32 s27, s36, s27
	s_mul_i32 s37, s28, s26
	s_add_i32 s27, s27, s31
	s_mul_i32 s36, s26, s27
	s_mul_hi_u32 s38, s26, s37
	s_mul_hi_u32 s31, s26, s27
	s_add_u32 s36, s38, s36
	s_addc_u32 s31, 0, s31
	s_mul_hi_u32 s39, s30, s37
	s_mul_i32 s37, s30, s37
	s_add_u32 s36, s36, s37
	s_mul_hi_u32 s38, s30, s27
	s_addc_u32 s31, s31, s39
	s_addc_u32 s36, s38, 0
	s_mul_i32 s27, s30, s27
	s_add_u32 s27, s31, s27
	s_addc_u32 s31, 0, s36
	s_add_u32 s36, s26, s27
	s_cselect_b64 s[26:27], -1, 0
	s_cmp_lg_u64 s[26:27], 0
	s_addc_u32 s30, s30, s31
	s_mul_i32 s26, s28, s30
	s_mul_hi_u32 s27, s28, s36
	s_add_i32 s26, s27, s26
	s_mul_i32 s29, s29, s36
	s_add_i32 s26, s26, s29
	s_mul_i32 s28, s28, s36
	s_mul_hi_u32 s29, s30, s28
	s_mul_i32 s31, s30, s28
	s_mul_i32 s38, s36, s26
	s_mul_hi_u32 s28, s36, s28
	s_mul_hi_u32 s37, s36, s26
	s_add_u32 s28, s28, s38
	s_addc_u32 s37, 0, s37
	s_add_u32 s28, s28, s31
	s_mul_hi_u32 s27, s30, s26
	s_addc_u32 s28, s37, s29
	s_addc_u32 s27, s27, 0
	s_mul_i32 s26, s30, s26
	s_add_u32 s26, s28, s26
	s_addc_u32 s28, 0, s27
	s_add_u32 s31, s36, s26
	s_cselect_b64 s[26:27], -1, 0
	s_cmp_lg_u64 s[26:27], 0
	s_addc_u32 s30, s30, s28
	s_ashr_i32 s26, s95, 31
	v_readlane_b32 s28, v59, 25
	s_add_u32 s28, s28, s26
	s_mov_b32 s27, s26
	s_addc_u32 s29, s95, s26
	s_xor_b64 s[28:29], s[28:29], s[26:27]
	s_mul_i32 s37, s28, s30
	s_mul_hi_u32 s38, s28, s31
	s_mul_hi_u32 s36, s28, s30
	s_add_u32 s37, s38, s37
	s_addc_u32 s36, 0, s36
	s_mul_hi_u32 s39, s29, s31
	s_mul_i32 s31, s29, s31
	s_add_u32 s31, s37, s31
	s_mul_hi_u32 s38, s29, s30
	s_addc_u32 s31, s36, s39
	s_addc_u32 s36, s38, 0
	s_mul_i32 s30, s29, s30
	s_add_u32 s30, s31, s30
	s_addc_u32 s31, 0, s36
	s_mul_i32 s31, s22, s31
	s_mul_hi_u32 s36, s22, s30
	s_add_i32 s31, s36, s31
	s_mul_i32 s36, s23, s30
	s_add_i32 s38, s31, s36
	s_sub_i32 s36, s29, s38
	s_mul_i32 s30, s22, s30
	s_sub_u32 s28, s28, s30
	s_cselect_b64 s[30:31], -1, 0
	s_cmp_lg_u64 s[30:31], 0
	s_subb_u32 s39, s36, s23
	s_sub_u32 s40, s28, s22
	s_cselect_b64 s[36:37], -1, 0
	s_cmp_lg_u64 s[36:37], 0
	s_subb_u32 s41, s39, 0
	s_cmp_ge_u32 s41, s23
	s_cselect_b32 s42, -1, 0
	s_cmp_ge_u32 s40, s22
	s_cselect_b32 s43, -1, 0
	s_cmp_eq_u32 s41, s23
	s_cselect_b32 s42, s43, s42
	s_cmp_lg_u64 s[36:37], 0
	s_subb_u32 s39, s39, s23
	s_sub_u32 s43, s40, s22
	s_cselect_b64 s[36:37], -1, 0
	s_cmp_lg_u64 s[36:37], 0
	s_subb_u32 s36, s39, 0
	s_cmp_lg_u32 s42, 0
	s_cselect_b32 s37, s43, s40
	s_cselect_b32 s36, s36, s41
	s_cmp_lg_u64 s[30:31], 0
	s_subb_u32 s29, s29, s38
	s_cmp_ge_u32 s29, s23
	s_cselect_b32 s30, -1, 0
	s_cmp_ge_u32 s28, s22
	s_cselect_b32 s22, -1, 0
	s_cmp_eq_u32 s29, s23
	s_cselect_b32 s22, s22, s30
	s_cmp_lg_u32 s22, 0
	s_cselect_b32 s23, s36, s29
	s_cselect_b32 s22, s37, s28
	s_xor_b64 s[22:23], s[22:23], s[26:27]
	s_sub_u32 s22, s22, s26
	s_subb_u32 s23, s23, s26
	s_cbranch_execnz .LBB55_114
.LBB55_113:                             ;   in Loop: Header=BB55_32 Depth=1
	v_cvt_f32_u32_e32 v2, s80
	s_sub_i32 s22, 0, s80
	v_readlane_b32 s26, v59, 25
	v_rcp_iflag_f32_e32 v2, v2
	s_nop 0
	v_mul_f32_e32 v2, 0x4f7ffffe, v2
	v_cvt_u32_f32_e32 v2, v2
	s_nop 0
	v_readfirstlane_b32 s23, v2
	s_mul_i32 s22, s22, s23
	s_mul_hi_u32 s22, s23, s22
	s_add_i32 s23, s23, s22
	s_mul_hi_u32 s22, s26, s23
	s_mul_i32 s22, s22, s80
	s_sub_i32 s22, s26, s22
	s_sub_i32 s23, s22, s80
	s_cmp_ge_u32 s22, s80
	s_cselect_b32 s22, s23, s22
	s_sub_i32 s23, s22, s80
	s_cmp_ge_u32 s22, s80
	s_cselect_b32 s82, s23, s22
	s_mov_b64 s[22:23], s[82:83]
.LBB55_114:                             ;   in Loop: Header=BB55_32 Depth=1
	v_readlane_b32 s26, v59, 25
	s_sub_u32 s30, s26, s22
	s_subb_u32 s31, s95, s23
	v_cmp_gt_i64_e32 vcc, s[30:31], v[0:1]
	s_mov_b64 s[26:27], 0
	s_mov_b64 s[22:23], 0
                                        ; implicit-def: $vgpr37
	s_and_saveexec_b64 s[28:29], vcc
	s_cbranch_execz .LBB55_124
; %bb.115:                              ;   in Loop: Header=BB55_32 Depth=1
	v_mov_b64_e32 v[8:9], v[12:13]
	v_mov_b64_e32 v[10:11], v[0:1]
                                        ; implicit-def: $sgpr36_sgpr37
	s_branch .LBB55_119
.LBB55_116:                             ;   in Loop: Header=BB55_119 Depth=2
	s_or_b64 exec, exec, s[38:39]
	s_waitcnt lgkmcnt(0)
	s_barrier
	ds_read_b64 v[36:37], v3 offset:3072
	s_waitcnt lgkmcnt(0)
	s_barrier
	v_cmp_neq_f32_e32 vcc, 0, v36
	s_cbranch_vccnz .LBB55_122
; %bb.117:                              ;   in Loop: Header=BB55_119 Depth=2
	v_lshl_add_u64 v[10:11], v[10:11], 0, s[80:81]
	v_cmp_le_i64_e32 vcc, s[30:31], v[10:11]
	v_lshl_add_u64 v[8:9], v[8:9], 0, s[86:87]
	s_mov_b64 s[38:39], 0
	s_orn2_b64 s[40:41], vcc, exec
.LBB55_118:                             ;   in Loop: Header=BB55_119 Depth=2
	s_and_b64 s[40:41], exec, s[40:41]
	s_or_b64 s[22:23], s[40:41], s[22:23]
	s_andn2_b64 s[36:37], s[36:37], exec
	s_and_b64 s[38:39], s[38:39], exec
	s_or_b64 s[36:37], s[36:37], s[38:39]
	s_andn2_b64 exec, exec, s[22:23]
	s_cbranch_execz .LBB55_123
.LBB55_119:                             ;   Parent Loop BB55_32 Depth=1
                                        ; =>  This Inner Loop Header: Depth=2
	v_cmp_gt_i64_e32 vcc, s[60:61], v[10:11]
	s_and_saveexec_b64 s[38:39], vcc
	s_cbranch_execz .LBB55_116
; %bb.120:                              ;   in Loop: Header=BB55_119 Depth=2
	global_load_dword v35, v[8:9], off
	s_waitcnt vmcnt(0)
	v_cmp_lt_i32_e32 vcc, -1, v35
	s_nop 1
	v_cndmask_b32_e32 v2, -1, v57, vcc
	v_xor_b32_e32 v2, v2, v35
	v_cmp_o_f32_e32 vcc, v35, v35
	s_nop 1
	v_cndmask_b32_e32 v2, -1, v2, vcc
	v_and_b32_e32 v2, v2, v58
	v_cmp_eq_u32_e32 vcc, v2, v56
	s_and_b64 exec, exec, vcc
	s_cbranch_execz .LBB55_116
; %bb.121:                              ;   in Loop: Header=BB55_119 Depth=2
	ds_write_b64 v3, v[34:35] offset:3072
	s_branch .LBB55_116
.LBB55_122:                             ;   in Loop: Header=BB55_119 Depth=2
	s_mov_b64 s[40:41], -1
                                        ; implicit-def: $vgpr10_vgpr11
                                        ; implicit-def: $vgpr8_vgpr9
	s_mov_b64 s[38:39], -1
	s_branch .LBB55_118
.LBB55_123:                             ;   in Loop: Header=BB55_32 Depth=1
	s_or_b64 exec, exec, s[22:23]
	s_and_b64 s[22:23], s[36:37], exec
.LBB55_124:                             ;   in Loop: Header=BB55_32 Depth=1
	s_or_b64 exec, exec, s[28:29]
.LBB55_125:                             ;   in Loop: Header=BB55_32 Depth=1
	s_and_b64 vcc, exec, s[26:27]
	s_cbranch_vccz .LBB55_140
; %bb.126:                              ;   in Loop: Header=BB55_32 Depth=1
	v_readlane_b32 s6, v59, 24
	s_add_u32 s28, s20, s6
	v_readlane_b32 s6, v59, 26
	s_addc_u32 s7, s21, s6
	s_mov_b32 s6, s83
	s_cmp_lg_u64 s[6:7], 0
	s_cbranch_scc0 .LBB55_169
; %bb.127:                              ;   in Loop: Header=BB55_32 Depth=1
	s_add_u32 s8, s80, 0
	s_addc_u32 s9, 0, 0
	s_xor_b64 s[8:9], s[8:9], 0
	v_cvt_f32_u32_e32 v2, s8
	v_cvt_f32_u32_e32 v8, s9
	s_sub_u32 s6, 0, s8
	s_subb_u32 s29, 0, s9
	v_fmac_f32_e32 v2, 0x4f800000, v8
	v_rcp_f32_e32 v2, v2
	s_nop 0
	v_mul_f32_e32 v2, 0x5f7ffffc, v2
	v_mul_f32_e32 v8, 0x2f800000, v2
	v_trunc_f32_e32 v8, v8
	v_fmac_f32_e32 v2, 0xcf800000, v8
	v_cvt_u32_f32_e32 v8, v8
	v_cvt_u32_f32_e32 v2, v2
	v_readfirstlane_b32 s30, v8
	v_readfirstlane_b32 s26, v2
	s_mul_i32 s27, s6, s30
	s_mul_hi_u32 s36, s6, s26
	s_mul_i32 s31, s29, s26
	s_add_i32 s27, s36, s27
	s_mul_i32 s37, s6, s26
	s_add_i32 s27, s27, s31
	s_mul_i32 s36, s26, s27
	s_mul_hi_u32 s38, s26, s37
	s_mul_hi_u32 s31, s26, s27
	s_add_u32 s36, s38, s36
	s_addc_u32 s31, 0, s31
	s_mul_hi_u32 s39, s30, s37
	s_mul_i32 s37, s30, s37
	s_add_u32 s36, s36, s37
	s_mul_hi_u32 s38, s30, s27
	s_addc_u32 s31, s31, s39
	s_addc_u32 s36, s38, 0
	s_mul_i32 s27, s30, s27
	s_add_u32 s27, s31, s27
	s_addc_u32 s31, 0, s36
	s_add_u32 s36, s26, s27
	s_cselect_b64 s[26:27], -1, 0
	s_cmp_lg_u64 s[26:27], 0
	s_addc_u32 s30, s30, s31
	s_mul_i32 s26, s6, s30
	s_mul_hi_u32 s27, s6, s36
	s_add_i32 s26, s27, s26
	s_mul_i32 s29, s29, s36
	s_add_i32 s26, s26, s29
	s_mul_i32 s6, s6, s36
	s_mul_hi_u32 s29, s30, s6
	s_mul_i32 s31, s30, s6
	s_mul_i32 s38, s36, s26
	s_mul_hi_u32 s6, s36, s6
	s_mul_hi_u32 s37, s36, s26
	s_add_u32 s6, s6, s38
	s_addc_u32 s37, 0, s37
	s_add_u32 s6, s6, s31
	s_mul_hi_u32 s27, s30, s26
	s_addc_u32 s6, s37, s29
	s_addc_u32 s27, s27, 0
	s_mul_i32 s26, s30, s26
	s_add_u32 s6, s6, s26
	s_addc_u32 s29, 0, s27
	s_add_u32 s6, s36, s6
	s_cselect_b64 s[26:27], -1, 0
	s_cmp_lg_u64 s[26:27], 0
	s_addc_u32 s29, s30, s29
	s_ashr_i32 s26, s7, 31
	s_add_u32 s30, s28, s26
	s_mov_b32 s27, s26
	s_addc_u32 s31, s7, s26
	s_xor_b64 s[30:31], s[30:31], s[26:27]
	s_mul_i32 s37, s30, s29
	s_mul_hi_u32 s38, s30, s6
	s_mul_hi_u32 s36, s30, s29
	s_add_u32 s37, s38, s37
	s_addc_u32 s36, 0, s36
	s_mul_hi_u32 s39, s31, s6
	s_mul_i32 s6, s31, s6
	s_add_u32 s6, s37, s6
	s_mul_hi_u32 s38, s31, s29
	s_addc_u32 s6, s36, s39
	s_addc_u32 s36, s38, 0
	s_mul_i32 s29, s31, s29
	s_add_u32 s6, s6, s29
	s_addc_u32 s29, 0, s36
	s_mul_i32 s29, s8, s29
	s_mul_hi_u32 s36, s8, s6
	s_add_i32 s29, s36, s29
	s_mul_i32 s36, s9, s6
	s_add_i32 s29, s29, s36
	s_sub_i32 s38, s31, s29
	s_mul_i32 s6, s8, s6
	s_sub_u32 s6, s30, s6
	s_cselect_b64 s[36:37], -1, 0
	s_cmp_lg_u64 s[36:37], 0
	s_subb_u32 s30, s38, s9
	s_sub_u32 s40, s6, s8
	s_cselect_b64 s[38:39], -1, 0
	s_cmp_lg_u64 s[38:39], 0
	s_subb_u32 s41, s30, 0
	s_cmp_ge_u32 s41, s9
	s_cselect_b32 s42, -1, 0
	s_cmp_ge_u32 s40, s8
	s_cselect_b32 s43, -1, 0
	s_cmp_eq_u32 s41, s9
	s_cselect_b32 s42, s43, s42
	s_cmp_lg_u64 s[38:39], 0
	s_subb_u32 s30, s30, s9
	s_sub_u32 s43, s40, s8
	s_cselect_b64 s[38:39], -1, 0
	s_cmp_lg_u64 s[38:39], 0
	s_subb_u32 s30, s30, 0
	s_cmp_lg_u32 s42, 0
	s_cselect_b32 s38, s43, s40
	s_cselect_b32 s30, s30, s41
	s_cmp_lg_u64 s[36:37], 0
	s_subb_u32 s29, s31, s29
	s_cmp_ge_u32 s29, s9
	s_cselect_b32 s31, -1, 0
	s_cmp_ge_u32 s6, s8
	s_cselect_b32 s8, -1, 0
	s_cmp_eq_u32 s29, s9
	s_cselect_b32 s8, s8, s31
	s_cmp_lg_u32 s8, 0
	s_cselect_b32 s9, s30, s29
	s_cselect_b32 s8, s38, s6
	s_xor_b64 s[8:9], s[8:9], s[26:27]
	s_sub_u32 s8, s8, s26
	s_subb_u32 s9, s9, s26
	s_cbranch_execnz .LBB55_129
.LBB55_128:                             ;   in Loop: Header=BB55_32 Depth=1
	v_cvt_f32_u32_e32 v2, s80
	s_sub_i32 s6, 0, s80
	v_rcp_iflag_f32_e32 v2, v2
	s_nop 0
	v_mul_f32_e32 v2, 0x4f7ffffe, v2
	v_cvt_u32_f32_e32 v2, v2
	s_nop 0
	v_readfirstlane_b32 s8, v2
	s_mul_i32 s6, s6, s8
	s_mul_hi_u32 s6, s8, s6
	s_add_i32 s8, s8, s6
	s_mul_hi_u32 s6, s28, s8
	s_mul_i32 s6, s6, s80
	s_sub_i32 s6, s28, s6
	s_sub_i32 s8, s6, s80
	s_cmp_ge_u32 s6, s80
	s_cselect_b32 s6, s8, s6
	s_sub_i32 s8, s6, s80
	s_cmp_ge_u32 s6, s80
	s_cselect_b32 s82, s8, s6
	s_mov_b64 s[8:9], s[82:83]
.LBB55_129:                             ;   in Loop: Header=BB55_32 Depth=1
	s_sub_u32 s8, s28, s8
	s_subb_u32 s9, s7, s9
	v_cmp_gt_i64_e32 vcc, s[8:9], v[0:1]
                                        ; implicit-def: $vgpr37
	s_and_saveexec_b64 s[6:7], vcc
	s_cbranch_execz .LBB55_139
; %bb.130:                              ;   in Loop: Header=BB55_32 Depth=1
	s_mov_b64 s[26:27], 0
	v_mov_b32_e32 v2, v14
	v_mov_b64_e32 v[8:9], v[0:1]
                                        ; implicit-def: $sgpr28_sgpr29
	s_branch .LBB55_134
.LBB55_131:                             ;   in Loop: Header=BB55_134 Depth=2
	s_or_b64 exec, exec, s[30:31]
	s_waitcnt lgkmcnt(0)
	s_barrier
	ds_read_b64 v[36:37], v3 offset:3072
	s_waitcnt lgkmcnt(0)
	s_barrier
	v_cmp_neq_f32_e32 vcc, 0, v36
	s_cbranch_vccnz .LBB55_137
; %bb.132:                              ;   in Loop: Header=BB55_134 Depth=2
	v_lshl_add_u64 v[8:9], v[8:9], 0, s[80:81]
	v_cmp_le_i64_e32 vcc, s[8:9], v[8:9]
	v_add_u32_e32 v2, s92, v2
	s_mov_b64 s[30:31], 0
	s_orn2_b64 s[36:37], vcc, exec
.LBB55_133:                             ;   in Loop: Header=BB55_134 Depth=2
	s_and_b64 s[36:37], exec, s[36:37]
	s_or_b64 s[26:27], s[36:37], s[26:27]
	s_andn2_b64 s[28:29], s[28:29], exec
	s_and_b64 s[30:31], s[30:31], exec
	s_or_b64 s[28:29], s[28:29], s[30:31]
	s_andn2_b64 exec, exec, s[26:27]
	s_cbranch_execz .LBB55_138
.LBB55_134:                             ;   Parent Loop BB55_32 Depth=1
                                        ; =>  This Inner Loop Header: Depth=2
	v_cmp_gt_u64_e32 vcc, s[20:21], v[8:9]
	s_and_saveexec_b64 s[30:31], vcc
	s_cbranch_execz .LBB55_131
; %bb.135:                              ;   in Loop: Header=BB55_134 Depth=2
	ds_read_b32 v35, v2
	s_waitcnt lgkmcnt(0)
	v_cmp_lt_i32_e32 vcc, -1, v35
	s_nop 1
	v_cndmask_b32_e32 v10, -1, v57, vcc
	v_xor_b32_e32 v10, v10, v35
	v_cmp_o_f32_e32 vcc, v35, v35
	s_nop 1
	v_cndmask_b32_e32 v10, -1, v10, vcc
	v_and_b32_e32 v10, v10, v58
	v_cmp_eq_u32_e32 vcc, v10, v56
	s_and_b64 exec, exec, vcc
	s_cbranch_execz .LBB55_131
; %bb.136:                              ;   in Loop: Header=BB55_134 Depth=2
	ds_write_b64 v3, v[34:35] offset:3072
	s_branch .LBB55_131
.LBB55_137:                             ;   in Loop: Header=BB55_134 Depth=2
	s_mov_b64 s[36:37], -1
                                        ; implicit-def: $vgpr8_vgpr9
                                        ; implicit-def: $vgpr2
	s_mov_b64 s[30:31], -1
	s_branch .LBB55_133
.LBB55_138:                             ;   in Loop: Header=BB55_32 Depth=1
	s_or_b64 exec, exec, s[26:27]
	s_andn2_b64 s[8:9], s[22:23], exec
	s_and_b64 s[20:21], s[28:29], exec
	s_or_b64 s[22:23], s[8:9], s[20:21]
.LBB55_139:                             ;   in Loop: Header=BB55_32 Depth=1
	s_or_b64 exec, exec, s[6:7]
	s_mov_b64 s[6:7], 0
	s_mov_b64 s[8:9], -1
.LBB55_140:                             ;   in Loop: Header=BB55_32 Depth=1
	s_orn2_b64 s[20:21], s[22:23], exec
.LBB55_141:                             ;   in Loop: Header=BB55_32 Depth=1
	s_or_b64 exec, exec, s[18:19]
	s_andn2_b64 s[18:19], s[34:35], exec
	s_and_b64 s[8:9], s[8:9], exec
	s_or_b64 s[34:35], s[18:19], s[8:9]
	s_andn2_b64 s[8:9], s[74:75], exec
	s_and_b64 s[6:7], s[6:7], exec
	s_andn2_b64 s[98:99], s[98:99], exec
	s_or_b64 s[74:75], s[8:9], s[6:7]
                                        ; implicit-def: $vgpr8_vgpr9
	s_and_saveexec_b64 s[18:19], s[20:21]
	s_cbranch_execz .LBB55_31
; %bb.142:                              ;   in Loop: Header=BB55_32 Depth=1
	s_xor_b64 s[2:3], s[2:3], -1
	v_mov_b32_e32 v2, 1
	s_mov_b64 s[6:7], 0
	v_mov_b64_e32 v[8:9], 1
	s_and_saveexec_b64 s[0:1], s[2:3]
	s_cbranch_execz .LBB55_151
; %bb.143:                              ;   in Loop: Header=BB55_32 Depth=1
	v_cmp_le_i64_e32 vcc, v[38:39], v[4:5]
	s_and_saveexec_b64 s[2:3], vcc
	s_xor_b64 s[2:3], exec, s[2:3]
	s_cbranch_execz .LBB55_148
; %bb.144:                              ;   in Loop: Header=BB55_32 Depth=1
	ds_read_b64 v[8:9], v3 offset:5120
	v_and_b32_e32 v56, s54, v56
	v_or_b32_e32 v58, s76, v58
	s_waitcnt lgkmcnt(0)
	v_cmp_ne_u64_e32 vcc, 0, v[8:9]
	s_cbranch_vccnz .LBB55_148
; %bb.145:                              ;   in Loop: Header=BB55_32 Depth=1
	s_mov_b64 s[6:7], exec
	v_readlane_b32 s8, v59, 10
	v_readlane_b32 s9, v59, 11
	s_and_b64 s[8:9], s[6:7], s[8:9]
	s_mov_b64 exec, s[8:9]
; %bb.146:                              ;   in Loop: Header=BB55_32 Depth=1
	ds_write_b64 v3, v[4:5] offset:5128
; %bb.147:                              ;   in Loop: Header=BB55_32 Depth=1
	s_or_b64 exec, exec, s[6:7]
	s_waitcnt lgkmcnt(0)
	s_barrier
.LBB55_148:                             ;   in Loop: Header=BB55_32 Depth=1
	s_or_saveexec_b64 s[2:3], s[2:3]
	s_mov_b64 s[6:7], 0
	v_mov_b32_e32 v2, 8
	s_xor_b64 exec, exec, s[2:3]
; %bb.149:                              ;   in Loop: Header=BB55_32 Depth=1
	v_sub_co_u32_e32 v38, vcc, v38, v4
	s_mov_b64 s[6:7], exec
	s_nop 0
	v_subb_co_u32_e32 v39, vcc, v39, v5, vcc
	v_mov_b32_e32 v2, 0
; %bb.150:                              ;   in Loop: Header=BB55_32 Depth=1
	s_or_b64 exec, exec, s[2:3]
	s_and_b64 s[6:7], s[6:7], exec
	v_mov_b64_e32 v[8:9], v[38:39]
.LBB55_151:                             ;   in Loop: Header=BB55_32 Depth=1
	s_or_b64 exec, exec, s[0:1]
	s_mov_b64 s[20:21], -1
	s_mov_b64 s[0:1], -1
                                        ; implicit-def: $sgpr2_sgpr3
                                        ; implicit-def: $sgpr26_sgpr27
	s_and_saveexec_b64 s[8:9], s[6:7]
	s_xor_b64 s[22:23], exec, s[8:9]
	s_cbranch_execz .LBB55_299
; %bb.152:                              ;   in Loop: Header=BB55_32 Depth=1
	v_cmp_eq_u64_e32 vcc, 1, v[6:7]
	v_cmp_eq_u64_e64 s[2:3], 1, v[8:9]
	s_and_b64 s[0:1], vcc, s[2:3]
	s_mov_b64 s[6:7], -1
                                        ; implicit-def: $sgpr26_sgpr27
                                        ; implicit-def: $sgpr2_sgpr3
	s_and_saveexec_b64 s[28:29], s[0:1]
	s_cbranch_execz .LBB55_188
; %bb.153:                              ;   in Loop: Header=BB55_32 Depth=1
	ds_read_b64 v[4:5], v3 offset:5120
	s_waitcnt lgkmcnt(0)
	s_barrier
	v_readfirstlane_b32 s30, v4
	v_readfirstlane_b32 s31, v5
	s_mov_b64 s[2:3], exec
	v_readlane_b32 s6, v59, 12
	v_readlane_b32 s7, v59, 13
	s_and_b64 s[6:7], s[2:3], s[6:7]
	s_mov_b64 exec, s[6:7]
; %bb.154:                              ;   in Loop: Header=BB55_32 Depth=1
	ds_write_b32 v51, v3
; %bb.155:                              ;   in Loop: Header=BB55_32 Depth=1
	s_or_b64 exec, exec, s[2:3]
	v_and_b32_e32 v4, s54, v56
	v_cmp_gt_i64_e64 s[6:7], s[30:31], 0
	v_lshl_or_b32 v56, 1, s5, v4
	v_or_b32_e32 v58, s76, v58
	s_mov_b64 s[2:3], -1
	s_mov_b64 s[26:27], 0
	s_and_b64 vcc, exec, s[6:7]
	s_mov_b64 s[6:7], 0
	s_mov_b64 s[8:9], -1
	s_waitcnt lgkmcnt(0)
	s_barrier
                                        ; implicit-def: $vgpr37
	s_cbranch_vccnz .LBB55_172
; %bb.156:                              ;   in Loop: Header=BB55_32 Depth=1
	s_mov_b32 s94, s83
	s_cmp_lg_u64 s[94:95], 0
	s_cbranch_scc0 .LBB55_216
; %bb.157:                              ;   in Loop: Header=BB55_32 Depth=1
	s_add_u32 s6, s80, 0
	s_addc_u32 s7, 0, 0
	s_xor_b64 s[6:7], s[6:7], 0
	v_cvt_f32_u32_e32 v4, s6
	v_cvt_f32_u32_e32 v5, s7
	s_sub_u32 s36, 0, s6
	s_subb_u32 s37, 0, s7
	v_fmac_f32_e32 v4, 0x4f800000, v5
	v_rcp_f32_e32 v4, v4
	s_nop 0
	v_mul_f32_e32 v4, 0x5f7ffffc, v4
	v_mul_f32_e32 v5, 0x2f800000, v4
	v_trunc_f32_e32 v5, v5
	v_fmac_f32_e32 v4, 0xcf800000, v5
	v_cvt_u32_f32_e32 v5, v5
	v_cvt_u32_f32_e32 v4, v4
	v_readfirstlane_b32 s38, v5
	v_readfirstlane_b32 s8, v4
	s_mul_i32 s9, s36, s38
	s_mul_hi_u32 s40, s36, s8
	s_mul_i32 s39, s37, s8
	s_add_i32 s9, s40, s9
	s_mul_i32 s41, s36, s8
	s_add_i32 s9, s9, s39
	s_mul_i32 s40, s8, s9
	s_mul_hi_u32 s42, s8, s41
	s_mul_hi_u32 s39, s8, s9
	s_add_u32 s40, s42, s40
	s_addc_u32 s39, 0, s39
	s_mul_hi_u32 s43, s38, s41
	s_mul_i32 s41, s38, s41
	s_add_u32 s40, s40, s41
	s_mul_hi_u32 s42, s38, s9
	s_addc_u32 s39, s39, s43
	s_addc_u32 s40, s42, 0
	s_mul_i32 s9, s38, s9
	s_add_u32 s9, s39, s9
	s_addc_u32 s39, 0, s40
	s_add_u32 s40, s8, s9
	s_cselect_b64 s[8:9], -1, 0
	s_cmp_lg_u64 s[8:9], 0
	s_addc_u32 s38, s38, s39
	s_mul_i32 s8, s36, s38
	s_mul_hi_u32 s9, s36, s40
	s_add_i32 s8, s9, s8
	s_mul_i32 s37, s37, s40
	s_add_i32 s8, s8, s37
	s_mul_i32 s36, s36, s40
	s_mul_hi_u32 s37, s38, s36
	s_mul_i32 s39, s38, s36
	s_mul_i32 s42, s40, s8
	s_mul_hi_u32 s36, s40, s36
	s_mul_hi_u32 s41, s40, s8
	s_add_u32 s36, s36, s42
	s_addc_u32 s41, 0, s41
	s_add_u32 s36, s36, s39
	s_mul_hi_u32 s9, s38, s8
	s_addc_u32 s36, s41, s37
	s_addc_u32 s9, s9, 0
	s_mul_i32 s8, s38, s8
	s_add_u32 s8, s36, s8
	s_addc_u32 s36, 0, s9
	s_add_u32 s39, s40, s8
	s_cselect_b64 s[8:9], -1, 0
	s_cmp_lg_u64 s[8:9], 0
	s_addc_u32 s38, s38, s36
	s_ashr_i32 s8, s95, 31
	v_readlane_b32 s36, v59, 25
	s_add_u32 s36, s36, s8
	s_mov_b32 s9, s8
	s_addc_u32 s37, s95, s8
	s_xor_b64 s[36:37], s[36:37], s[8:9]
	s_mul_i32 s41, s36, s38
	s_mul_hi_u32 s42, s36, s39
	s_mul_hi_u32 s40, s36, s38
	s_add_u32 s41, s42, s41
	s_addc_u32 s40, 0, s40
	s_mul_hi_u32 s43, s37, s39
	s_mul_i32 s39, s37, s39
	s_add_u32 s39, s41, s39
	s_mul_hi_u32 s42, s37, s38
	s_addc_u32 s39, s40, s43
	s_addc_u32 s40, s42, 0
	s_mul_i32 s38, s37, s38
	s_add_u32 s38, s39, s38
	s_addc_u32 s39, 0, s40
	s_mul_i32 s39, s6, s39
	s_mul_hi_u32 s40, s6, s38
	s_add_i32 s39, s40, s39
	s_mul_i32 s40, s7, s38
	s_add_i32 s42, s39, s40
	s_sub_i32 s40, s37, s42
	s_mul_i32 s38, s6, s38
	s_sub_u32 s36, s36, s38
	s_cselect_b64 s[38:39], -1, 0
	s_cmp_lg_u64 s[38:39], 0
	s_subb_u32 s43, s40, s7
	s_sub_u32 s44, s36, s6
	s_cselect_b64 s[40:41], -1, 0
	s_cmp_lg_u64 s[40:41], 0
	s_subb_u32 s45, s43, 0
	s_cmp_ge_u32 s45, s7
	s_cselect_b32 s46, -1, 0
	s_cmp_ge_u32 s44, s6
	s_cselect_b32 s47, -1, 0
	s_cmp_eq_u32 s45, s7
	s_cselect_b32 s46, s47, s46
	s_cmp_lg_u64 s[40:41], 0
	s_subb_u32 s43, s43, s7
	s_sub_u32 s47, s44, s6
	s_cselect_b64 s[40:41], -1, 0
	s_cmp_lg_u64 s[40:41], 0
	s_subb_u32 s40, s43, 0
	s_cmp_lg_u32 s46, 0
	s_cselect_b32 s41, s47, s44
	s_cselect_b32 s40, s40, s45
	s_cmp_lg_u64 s[38:39], 0
	s_subb_u32 s37, s37, s42
	s_cmp_ge_u32 s37, s7
	s_cselect_b32 s38, -1, 0
	s_cmp_ge_u32 s36, s6
	s_cselect_b32 s6, -1, 0
	s_cmp_eq_u32 s37, s7
	s_cselect_b32 s6, s6, s38
	s_cmp_lg_u32 s6, 0
	s_cselect_b32 s7, s40, s37
	s_cselect_b32 s6, s41, s36
	s_xor_b64 s[6:7], s[6:7], s[8:9]
	s_sub_u32 s6, s6, s8
	s_subb_u32 s7, s7, s8
	s_cbranch_execnz .LBB55_159
.LBB55_158:                             ;   in Loop: Header=BB55_32 Depth=1
	v_cvt_f32_u32_e32 v4, s80
	s_sub_i32 s6, 0, s80
	v_readlane_b32 s8, v59, 25
	v_rcp_iflag_f32_e32 v4, v4
	s_nop 0
	v_mul_f32_e32 v4, 0x4f7ffffe, v4
	v_cvt_u32_f32_e32 v4, v4
	s_nop 0
	v_readfirstlane_b32 s7, v4
	s_mul_i32 s6, s6, s7
	s_mul_hi_u32 s6, s7, s6
	s_add_i32 s7, s7, s6
	s_mul_hi_u32 s6, s8, s7
	s_mul_i32 s6, s6, s80
	s_sub_i32 s6, s8, s6
	s_sub_i32 s7, s6, s80
	s_cmp_ge_u32 s6, s80
	s_cselect_b32 s6, s7, s6
	s_sub_i32 s7, s6, s80
	s_cmp_ge_u32 s6, s80
	s_cselect_b32 s82, s7, s6
	s_mov_b64 s[6:7], s[82:83]
.LBB55_159:                             ;   in Loop: Header=BB55_32 Depth=1
	v_readlane_b32 s8, v59, 25
	s_sub_u32 s38, s8, s6
	s_subb_u32 s39, s95, s7
	v_cmp_gt_i64_e32 vcc, s[38:39], v[0:1]
	s_mov_b64 s[8:9], 0
	s_mov_b64 s[6:7], 0
                                        ; implicit-def: $vgpr37
	s_and_saveexec_b64 s[36:37], vcc
	s_cbranch_execz .LBB55_171
; %bb.160:                              ;   in Loop: Header=BB55_32 Depth=1
	v_mov_b64_e32 v[4:5], v[12:13]
	v_mov_b64_e32 v[10:11], v[0:1]
                                        ; implicit-def: $sgpr40_sgpr41
	s_branch .LBB55_164
.LBB55_161:                             ;   in Loop: Header=BB55_164 Depth=2
	s_or_b64 exec, exec, s[42:43]
	s_waitcnt lgkmcnt(0)
	s_barrier
	ds_read_b64 v[36:37], v3 offset:3072
	s_waitcnt lgkmcnt(0)
	s_barrier
	v_cmp_neq_f32_e32 vcc, 0, v36
	s_cbranch_vccnz .LBB55_167
; %bb.162:                              ;   in Loop: Header=BB55_164 Depth=2
	v_lshl_add_u64 v[10:11], v[10:11], 0, s[80:81]
	v_cmp_le_i64_e32 vcc, s[38:39], v[10:11]
	v_lshl_add_u64 v[4:5], v[4:5], 0, s[86:87]
	s_mov_b64 s[42:43], 0
	s_orn2_b64 s[44:45], vcc, exec
.LBB55_163:                             ;   in Loop: Header=BB55_164 Depth=2
	s_and_b64 s[44:45], exec, s[44:45]
	s_or_b64 s[6:7], s[44:45], s[6:7]
	s_andn2_b64 s[40:41], s[40:41], exec
	s_and_b64 s[42:43], s[42:43], exec
	s_or_b64 s[40:41], s[40:41], s[42:43]
	s_andn2_b64 exec, exec, s[6:7]
	s_cbranch_execz .LBB55_170
.LBB55_164:                             ;   Parent Loop BB55_32 Depth=1
                                        ; =>  This Inner Loop Header: Depth=2
	v_cmp_gt_i64_e32 vcc, s[60:61], v[10:11]
	s_and_saveexec_b64 s[42:43], vcc
	s_cbranch_execz .LBB55_161
; %bb.165:                              ;   in Loop: Header=BB55_164 Depth=2
	global_load_dword v35, v[4:5], off
	s_waitcnt vmcnt(0)
	v_cmp_lt_i32_e32 vcc, -1, v35
	s_nop 1
	v_cndmask_b32_e32 v36, -1, v57, vcc
	v_xor_b32_e32 v36, v36, v35
	v_cmp_o_f32_e32 vcc, v35, v35
	s_nop 1
	v_cndmask_b32_e32 v36, -1, v36, vcc
	v_and_b32_e32 v36, v36, v58
	v_cmp_eq_u32_e32 vcc, v36, v56
	s_and_b64 exec, exec, vcc
	s_cbranch_execz .LBB55_161
; %bb.166:                              ;   in Loop: Header=BB55_164 Depth=2
	ds_write_b64 v3, v[34:35] offset:3072
	s_branch .LBB55_161
.LBB55_167:                             ;   in Loop: Header=BB55_164 Depth=2
	s_mov_b64 s[44:45], -1
                                        ; implicit-def: $vgpr10_vgpr11
                                        ; implicit-def: $vgpr4_vgpr5
	s_mov_b64 s[42:43], -1
	s_branch .LBB55_163
.LBB55_168:                             ;   in Loop: Header=BB55_32 Depth=1
                                        ; implicit-def: $sgpr22_sgpr23
	s_andn2_b64 vcc, exec, s[26:27]
	s_cbranch_vccz .LBB55_113
	s_branch .LBB55_114
.LBB55_169:                             ;   in Loop: Header=BB55_32 Depth=1
                                        ; implicit-def: $sgpr8_sgpr9
	s_branch .LBB55_128
.LBB55_170:                             ;   in Loop: Header=BB55_32 Depth=1
	s_or_b64 exec, exec, s[6:7]
	s_and_b64 s[6:7], s[40:41], exec
.LBB55_171:                             ;   in Loop: Header=BB55_32 Depth=1
	s_or_b64 exec, exec, s[36:37]
.LBB55_172:                             ;   in Loop: Header=BB55_32 Depth=1
	s_and_b64 vcc, exec, s[8:9]
	s_cbranch_vccz .LBB55_187
; %bb.173:                              ;   in Loop: Header=BB55_32 Depth=1
	v_readlane_b32 s2, v59, 24
	s_add_u32 s36, s30, s2
	v_readlane_b32 s2, v59, 26
	s_addc_u32 s3, s31, s2
	s_mov_b32 s2, s83
	s_cmp_lg_u64 s[2:3], 0
	s_cbranch_scc0 .LBB55_217
; %bb.174:                              ;   in Loop: Header=BB55_32 Depth=1
	s_add_u32 s8, s80, 0
	s_addc_u32 s9, 0, 0
	s_xor_b64 s[8:9], s[8:9], 0
	v_cvt_f32_u32_e32 v4, s8
	v_cvt_f32_u32_e32 v5, s9
	s_sub_u32 s2, 0, s8
	s_subb_u32 s37, 0, s9
	v_fmac_f32_e32 v4, 0x4f800000, v5
	v_rcp_f32_e32 v4, v4
	s_nop 0
	v_mul_f32_e32 v4, 0x5f7ffffc, v4
	v_mul_f32_e32 v5, 0x2f800000, v4
	v_trunc_f32_e32 v5, v5
	v_fmac_f32_e32 v4, 0xcf800000, v5
	v_cvt_u32_f32_e32 v5, v5
	v_cvt_u32_f32_e32 v4, v4
	v_readfirstlane_b32 s38, v5
	v_readfirstlane_b32 s26, v4
	s_mul_i32 s27, s2, s38
	s_mul_hi_u32 s40, s2, s26
	s_mul_i32 s39, s37, s26
	s_add_i32 s27, s40, s27
	s_mul_i32 s41, s2, s26
	s_add_i32 s27, s27, s39
	s_mul_i32 s40, s26, s27
	s_mul_hi_u32 s42, s26, s41
	s_mul_hi_u32 s39, s26, s27
	s_add_u32 s40, s42, s40
	s_addc_u32 s39, 0, s39
	s_mul_hi_u32 s43, s38, s41
	s_mul_i32 s41, s38, s41
	s_add_u32 s40, s40, s41
	s_mul_hi_u32 s42, s38, s27
	s_addc_u32 s39, s39, s43
	s_addc_u32 s40, s42, 0
	s_mul_i32 s27, s38, s27
	s_add_u32 s27, s39, s27
	s_addc_u32 s39, 0, s40
	s_add_u32 s40, s26, s27
	s_cselect_b64 s[26:27], -1, 0
	s_cmp_lg_u64 s[26:27], 0
	s_addc_u32 s38, s38, s39
	s_mul_i32 s26, s2, s38
	s_mul_hi_u32 s27, s2, s40
	s_add_i32 s26, s27, s26
	s_mul_i32 s37, s37, s40
	s_add_i32 s26, s26, s37
	s_mul_i32 s2, s2, s40
	s_mul_hi_u32 s37, s38, s2
	s_mul_i32 s39, s38, s2
	s_mul_i32 s42, s40, s26
	s_mul_hi_u32 s2, s40, s2
	s_mul_hi_u32 s41, s40, s26
	s_add_u32 s2, s2, s42
	s_addc_u32 s41, 0, s41
	s_add_u32 s2, s2, s39
	s_mul_hi_u32 s27, s38, s26
	s_addc_u32 s2, s41, s37
	s_addc_u32 s27, s27, 0
	s_mul_i32 s26, s38, s26
	s_add_u32 s2, s2, s26
	s_addc_u32 s37, 0, s27
	s_add_u32 s2, s40, s2
	s_cselect_b64 s[26:27], -1, 0
	s_cmp_lg_u64 s[26:27], 0
	s_addc_u32 s37, s38, s37
	s_ashr_i32 s26, s3, 31
	s_add_u32 s38, s36, s26
	s_mov_b32 s27, s26
	s_addc_u32 s39, s3, s26
	s_xor_b64 s[38:39], s[38:39], s[26:27]
	s_mul_i32 s41, s38, s37
	s_mul_hi_u32 s42, s38, s2
	s_mul_hi_u32 s40, s38, s37
	s_add_u32 s41, s42, s41
	s_addc_u32 s40, 0, s40
	s_mul_hi_u32 s43, s39, s2
	s_mul_i32 s2, s39, s2
	s_add_u32 s2, s41, s2
	s_mul_hi_u32 s42, s39, s37
	s_addc_u32 s2, s40, s43
	s_addc_u32 s40, s42, 0
	s_mul_i32 s37, s39, s37
	s_add_u32 s2, s2, s37
	s_addc_u32 s37, 0, s40
	s_mul_i32 s37, s8, s37
	s_mul_hi_u32 s40, s8, s2
	s_add_i32 s37, s40, s37
	s_mul_i32 s40, s9, s2
	s_add_i32 s37, s37, s40
	s_sub_i32 s42, s39, s37
	s_mul_i32 s2, s8, s2
	s_sub_u32 s2, s38, s2
	s_cselect_b64 s[40:41], -1, 0
	s_cmp_lg_u64 s[40:41], 0
	s_subb_u32 s38, s42, s9
	s_sub_u32 s44, s2, s8
	s_cselect_b64 s[42:43], -1, 0
	s_cmp_lg_u64 s[42:43], 0
	s_subb_u32 s45, s38, 0
	s_cmp_ge_u32 s45, s9
	s_cselect_b32 s46, -1, 0
	s_cmp_ge_u32 s44, s8
	s_cselect_b32 s47, -1, 0
	s_cmp_eq_u32 s45, s9
	s_cselect_b32 s46, s47, s46
	s_cmp_lg_u64 s[42:43], 0
	s_subb_u32 s38, s38, s9
	s_sub_u32 s47, s44, s8
	s_cselect_b64 s[42:43], -1, 0
	s_cmp_lg_u64 s[42:43], 0
	s_subb_u32 s38, s38, 0
	s_cmp_lg_u32 s46, 0
	s_cselect_b32 s42, s47, s44
	s_cselect_b32 s38, s38, s45
	s_cmp_lg_u64 s[40:41], 0
	s_subb_u32 s37, s39, s37
	s_cmp_ge_u32 s37, s9
	s_cselect_b32 s39, -1, 0
	s_cmp_ge_u32 s2, s8
	s_cselect_b32 s8, -1, 0
	s_cmp_eq_u32 s37, s9
	s_cselect_b32 s8, s8, s39
	s_cmp_lg_u32 s8, 0
	s_cselect_b32 s9, s38, s37
	s_cselect_b32 s8, s42, s2
	s_xor_b64 s[8:9], s[8:9], s[26:27]
	s_sub_u32 s8, s8, s26
	s_subb_u32 s9, s9, s26
	s_cbranch_execnz .LBB55_176
.LBB55_175:                             ;   in Loop: Header=BB55_32 Depth=1
	v_cvt_f32_u32_e32 v4, s80
	s_sub_i32 s2, 0, s80
	v_rcp_iflag_f32_e32 v4, v4
	s_nop 0
	v_mul_f32_e32 v4, 0x4f7ffffe, v4
	v_cvt_u32_f32_e32 v4, v4
	s_nop 0
	v_readfirstlane_b32 s8, v4
	s_mul_i32 s2, s2, s8
	s_mul_hi_u32 s2, s8, s2
	s_add_i32 s8, s8, s2
	s_mul_hi_u32 s2, s36, s8
	s_mul_i32 s2, s2, s80
	s_sub_i32 s2, s36, s2
	s_sub_i32 s8, s2, s80
	s_cmp_ge_u32 s2, s80
	s_cselect_b32 s2, s8, s2
	s_sub_i32 s8, s2, s80
	s_cmp_ge_u32 s2, s80
	s_cselect_b32 s82, s8, s2
	s_mov_b64 s[8:9], s[82:83]
.LBB55_176:                             ;   in Loop: Header=BB55_32 Depth=1
	s_sub_u32 s8, s36, s8
	s_subb_u32 s9, s3, s9
	v_cmp_gt_i64_e32 vcc, s[8:9], v[0:1]
                                        ; implicit-def: $vgpr37
	s_and_saveexec_b64 s[2:3], vcc
	s_cbranch_execz .LBB55_186
; %bb.177:                              ;   in Loop: Header=BB55_32 Depth=1
	s_mov_b64 s[26:27], 0
	v_mov_b32_e32 v10, v14
	v_mov_b64_e32 v[4:5], v[0:1]
                                        ; implicit-def: $sgpr36_sgpr37
	s_branch .LBB55_181
.LBB55_178:                             ;   in Loop: Header=BB55_181 Depth=2
	s_or_b64 exec, exec, s[38:39]
	s_waitcnt lgkmcnt(0)
	s_barrier
	ds_read_b64 v[36:37], v3 offset:3072
	s_waitcnt lgkmcnt(0)
	s_barrier
	v_cmp_eq_f32_e32 vcc, 0, v36
	s_cbranch_vccz .LBB55_184
; %bb.179:                              ;   in Loop: Header=BB55_181 Depth=2
	v_lshl_add_u64 v[4:5], v[4:5], 0, s[80:81]
	v_cmp_le_i64_e32 vcc, s[8:9], v[4:5]
	v_add_u32_e32 v10, s92, v10
	s_mov_b64 s[38:39], 0
	s_orn2_b64 s[40:41], vcc, exec
.LBB55_180:                             ;   in Loop: Header=BB55_181 Depth=2
	s_and_b64 s[40:41], exec, s[40:41]
	s_or_b64 s[26:27], s[40:41], s[26:27]
	s_andn2_b64 s[36:37], s[36:37], exec
	s_and_b64 s[38:39], s[38:39], exec
	s_or_b64 s[36:37], s[36:37], s[38:39]
	s_andn2_b64 exec, exec, s[26:27]
	s_cbranch_execz .LBB55_185
.LBB55_181:                             ;   Parent Loop BB55_32 Depth=1
                                        ; =>  This Inner Loop Header: Depth=2
	v_cmp_gt_u64_e32 vcc, s[30:31], v[4:5]
	s_and_saveexec_b64 s[38:39], vcc
	s_cbranch_execz .LBB55_178
; %bb.182:                              ;   in Loop: Header=BB55_181 Depth=2
	ds_read_b32 v35, v10
	s_waitcnt lgkmcnt(0)
	v_cmp_lt_i32_e32 vcc, -1, v35
	s_nop 1
	v_cndmask_b32_e32 v11, -1, v57, vcc
	v_xor_b32_e32 v11, v11, v35
	v_cmp_o_f32_e32 vcc, v35, v35
	s_nop 1
	v_cndmask_b32_e32 v11, -1, v11, vcc
	v_and_b32_e32 v11, v11, v58
	v_cmp_eq_u32_e32 vcc, v11, v56
	s_and_b64 exec, exec, vcc
	s_cbranch_execz .LBB55_178
; %bb.183:                              ;   in Loop: Header=BB55_181 Depth=2
	ds_write_b64 v3, v[34:35] offset:3072
	s_branch .LBB55_178
.LBB55_184:                             ;   in Loop: Header=BB55_181 Depth=2
	s_mov_b64 s[40:41], -1
                                        ; implicit-def: $vgpr4_vgpr5
                                        ; implicit-def: $vgpr10
	s_mov_b64 s[38:39], -1
	s_branch .LBB55_180
.LBB55_185:                             ;   in Loop: Header=BB55_32 Depth=1
	s_or_b64 exec, exec, s[26:27]
	s_andn2_b64 s[6:7], s[6:7], exec
	s_and_b64 s[8:9], s[36:37], exec
	s_or_b64 s[6:7], s[6:7], s[8:9]
.LBB55_186:                             ;   in Loop: Header=BB55_32 Depth=1
	s_or_b64 exec, exec, s[2:3]
	s_mov_b64 s[2:3], 0
	s_mov_b64 s[26:27], -1
.LBB55_187:                             ;   in Loop: Header=BB55_32 Depth=1
	s_orn2_b64 s[6:7], s[6:7], exec
.LBB55_188:                             ;   in Loop: Header=BB55_32 Depth=1
	s_or_b64 exec, exec, s[28:29]
	s_mov_b64 s[8:9], 0
	s_and_saveexec_b64 s[28:29], s[6:7]
	s_cbranch_execz .LBB55_298
; %bb.189:                              ;   in Loop: Header=BB55_32 Depth=1
	s_xor_b64 s[8:9], s[0:1], -1
	v_mov_b32_e32 v2, 1
	s_mov_b64 s[6:7], 0
	v_mov_b64_e32 v[4:5], 1
	s_and_saveexec_b64 s[0:1], s[8:9]
	s_cbranch_execz .LBB55_199
; %bb.190:                              ;   in Loop: Header=BB55_32 Depth=1
	v_cmp_le_i64_e32 vcc, v[8:9], v[6:7]
	s_and_saveexec_b64 s[6:7], vcc
	s_xor_b64 s[6:7], exec, s[6:7]
	s_cbranch_execz .LBB55_196
; %bb.191:                              ;   in Loop: Header=BB55_32 Depth=1
	ds_read_b64 v[4:5], v3 offset:5120
	v_and_b32_e32 v2, s54, v56
	v_lshl_or_b32 v56, 1, s5, v2
	v_or_b32_e32 v58, s76, v58
	s_waitcnt lgkmcnt(0)
	v_cmp_ne_u64_e32 vcc, 0, v[4:5]
	s_cbranch_vccnz .LBB55_195
; %bb.192:                              ;   in Loop: Header=BB55_32 Depth=1
	s_mov_b64 s[8:9], exec
	v_readlane_b32 s30, v59, 10
	v_readlane_b32 s31, v59, 11
	s_and_b64 s[30:31], s[8:9], s[30:31]
	s_mov_b64 exec, s[30:31]
; %bb.193:                              ;   in Loop: Header=BB55_32 Depth=1
	ds_write_b64 v3, v[6:7] offset:5128
; %bb.194:                              ;   in Loop: Header=BB55_32 Depth=1
	s_or_b64 exec, exec, s[8:9]
	s_waitcnt lgkmcnt(0)
	s_barrier
.LBB55_195:                             ;   in Loop: Header=BB55_32 Depth=1
                                        ; implicit-def: $vgpr4_vgpr5_vgpr6_vgpr7
.LBB55_196:                             ;   in Loop: Header=BB55_32 Depth=1
	s_or_saveexec_b64 s[6:7], s[6:7]
	s_mov_b64 s[8:9], 0
	v_mov_b32_e32 v2, 8
	s_xor_b64 exec, exec, s[6:7]
; %bb.197:                              ;   in Loop: Header=BB55_32 Depth=1
	v_sub_co_u32_e32 v8, vcc, v8, v6
	s_mov_b64 s[8:9], exec
	s_nop 0
	v_subb_co_u32_e32 v9, vcc, v9, v7, vcc
	v_mov_b32_e32 v2, 0
; %bb.198:                              ;   in Loop: Header=BB55_32 Depth=1
	s_or_b64 exec, exec, s[6:7]
	s_and_b64 s[6:7], s[8:9], exec
	v_mov_b64_e32 v[4:5], v[8:9]
.LBB55_199:                             ;   in Loop: Header=BB55_32 Depth=1
	s_or_b64 exec, exec, s[0:1]
	s_mov_b64 s[0:1], -1
                                        ; implicit-def: $sgpr36_sgpr37
                                        ; implicit-def: $sgpr38_sgpr39
	s_and_saveexec_b64 s[30:31], s[6:7]
	s_cbranch_execz .LBB55_297
; %bb.200:                              ;   in Loop: Header=BB55_32 Depth=1
	s_cmp_eq_u64 s[24:25], 1
	s_cselect_b64 s[0:1], -1, 0
	v_cmp_eq_u64_e32 vcc, 1, v[4:5]
	s_and_b64 s[0:1], s[0:1], vcc
	s_mov_b64 s[6:7], -1
                                        ; implicit-def: $sgpr38_sgpr39
                                        ; implicit-def: $sgpr36_sgpr37
	s_and_saveexec_b64 s[40:41], s[0:1]
	s_cbranch_execz .LBB55_236
; %bb.201:                              ;   in Loop: Header=BB55_32 Depth=1
	ds_read_b64 v[6:7], v3 offset:5120
	s_waitcnt lgkmcnt(0)
	s_barrier
	v_readfirstlane_b32 s42, v6
	v_readfirstlane_b32 s43, v7
	s_mov_b64 s[6:7], exec
	v_readlane_b32 s8, v59, 12
	v_readlane_b32 s9, v59, 13
	s_and_b64 s[8:9], s[6:7], s[8:9]
	s_mov_b64 exec, s[8:9]
; %bb.202:                              ;   in Loop: Header=BB55_32 Depth=1
	ds_write_b32 v51, v3
; %bb.203:                              ;   in Loop: Header=BB55_32 Depth=1
	s_or_b64 exec, exec, s[6:7]
	v_and_b32_e32 v6, s54, v56
	v_cmp_gt_i64_e64 s[6:7], s[42:43], 0
	v_lshl_or_b32 v56, 2, s5, v6
	v_or_b32_e32 v58, s76, v58
	s_mov_b64 s[36:37], -1
	s_mov_b64 s[38:39], 0
	s_and_b64 vcc, exec, s[6:7]
	s_mov_b64 s[6:7], 0
	s_mov_b64 s[8:9], -1
	s_waitcnt lgkmcnt(0)
	s_barrier
                                        ; implicit-def: $vgpr37
	s_cbranch_vccnz .LBB55_220
; %bb.204:                              ;   in Loop: Header=BB55_32 Depth=1
	s_mov_b32 s94, s83
	s_cmp_lg_u64 s[94:95], 0
	s_cbranch_scc0 .LBB55_263
; %bb.205:                              ;   in Loop: Header=BB55_32 Depth=1
	s_add_u32 s6, s80, 0
	s_addc_u32 s7, 0, 0
	s_xor_b64 s[6:7], s[6:7], 0
	v_cvt_f32_u32_e32 v6, s6
	v_cvt_f32_u32_e32 v7, s7
	s_sub_u32 s44, 0, s6
	s_subb_u32 s45, 0, s7
	v_fmac_f32_e32 v6, 0x4f800000, v7
	v_rcp_f32_e32 v6, v6
	s_nop 0
	v_mul_f32_e32 v6, 0x5f7ffffc, v6
	v_mul_f32_e32 v7, 0x2f800000, v6
	v_trunc_f32_e32 v7, v7
	v_fmac_f32_e32 v6, 0xcf800000, v7
	v_cvt_u32_f32_e32 v7, v7
	v_cvt_u32_f32_e32 v6, v6
	v_readfirstlane_b32 s46, v7
	v_readfirstlane_b32 s8, v6
	s_mul_i32 s9, s44, s46
	s_mul_hi_u32 s48, s44, s8
	s_mul_i32 s47, s45, s8
	s_add_i32 s9, s48, s9
	s_mul_i32 s49, s44, s8
	s_add_i32 s9, s9, s47
	s_mul_i32 s48, s8, s9
	s_mul_hi_u32 s50, s8, s49
	s_mul_hi_u32 s47, s8, s9
	s_add_u32 s48, s50, s48
	s_addc_u32 s47, 0, s47
	s_mul_hi_u32 s51, s46, s49
	s_mul_i32 s49, s46, s49
	s_add_u32 s48, s48, s49
	s_mul_hi_u32 s50, s46, s9
	s_addc_u32 s47, s47, s51
	s_addc_u32 s48, s50, 0
	s_mul_i32 s9, s46, s9
	s_add_u32 s9, s47, s9
	s_addc_u32 s47, 0, s48
	s_add_u32 s48, s8, s9
	s_cselect_b64 s[8:9], -1, 0
	s_cmp_lg_u64 s[8:9], 0
	s_addc_u32 s46, s46, s47
	s_mul_i32 s8, s44, s46
	s_mul_hi_u32 s9, s44, s48
	s_add_i32 s8, s9, s8
	s_mul_i32 s45, s45, s48
	s_add_i32 s8, s8, s45
	s_mul_i32 s44, s44, s48
	s_mul_hi_u32 s45, s46, s44
	s_mul_i32 s47, s46, s44
	s_mul_i32 s50, s48, s8
	s_mul_hi_u32 s44, s48, s44
	s_mul_hi_u32 s49, s48, s8
	s_add_u32 s44, s44, s50
	s_addc_u32 s49, 0, s49
	s_add_u32 s44, s44, s47
	s_mul_hi_u32 s9, s46, s8
	s_addc_u32 s44, s49, s45
	s_addc_u32 s9, s9, 0
	s_mul_i32 s8, s46, s8
	s_add_u32 s8, s44, s8
	s_addc_u32 s44, 0, s9
	s_add_u32 s47, s48, s8
	s_cselect_b64 s[8:9], -1, 0
	s_cmp_lg_u64 s[8:9], 0
	s_addc_u32 s46, s46, s44
	s_ashr_i32 s8, s95, 31
	v_readlane_b32 s44, v59, 25
	s_add_u32 s44, s44, s8
	s_mov_b32 s9, s8
	s_addc_u32 s45, s95, s8
	s_xor_b64 s[44:45], s[44:45], s[8:9]
	s_mul_i32 s49, s44, s46
	s_mul_hi_u32 s50, s44, s47
	s_mul_hi_u32 s48, s44, s46
	s_add_u32 s49, s50, s49
	s_addc_u32 s48, 0, s48
	s_mul_hi_u32 s51, s45, s47
	s_mul_i32 s47, s45, s47
	s_add_u32 s47, s49, s47
	s_mul_hi_u32 s50, s45, s46
	s_addc_u32 s47, s48, s51
	s_addc_u32 s48, s50, 0
	s_mul_i32 s46, s45, s46
	s_add_u32 s46, s47, s46
	s_addc_u32 s47, 0, s48
	s_mul_i32 s47, s6, s47
	s_mul_hi_u32 s48, s6, s46
	s_add_i32 s47, s48, s47
	s_mul_i32 s48, s7, s46
	s_add_i32 s50, s47, s48
	s_sub_i32 s48, s45, s50
	s_mul_i32 s46, s6, s46
	s_sub_u32 s44, s44, s46
	s_cselect_b64 s[46:47], -1, 0
	s_cmp_lg_u64 s[46:47], 0
	s_subb_u32 s51, s48, s7
	s_sub_u32 s52, s44, s6
	s_cselect_b64 s[48:49], -1, 0
	s_cmp_lg_u64 s[48:49], 0
	s_subb_u32 s53, s51, 0
	s_cmp_ge_u32 s53, s7
	s_cselect_b32 s55, -1, 0
	s_cmp_ge_u32 s52, s6
	s_cselect_b32 s56, -1, 0
	s_cmp_eq_u32 s53, s7
	s_cselect_b32 s55, s56, s55
	s_cmp_lg_u64 s[48:49], 0
	s_subb_u32 s51, s51, s7
	s_sub_u32 s56, s52, s6
	s_cselect_b64 s[48:49], -1, 0
	s_cmp_lg_u64 s[48:49], 0
	s_subb_u32 s48, s51, 0
	s_cmp_lg_u32 s55, 0
	s_cselect_b32 s49, s56, s52
	s_cselect_b32 s48, s48, s53
	s_cmp_lg_u64 s[46:47], 0
	s_subb_u32 s45, s45, s50
	s_cmp_ge_u32 s45, s7
	s_cselect_b32 s46, -1, 0
	s_cmp_ge_u32 s44, s6
	s_cselect_b32 s6, -1, 0
	s_cmp_eq_u32 s45, s7
	s_cselect_b32 s6, s6, s46
	s_cmp_lg_u32 s6, 0
	s_cselect_b32 s7, s48, s45
	s_cselect_b32 s6, s49, s44
	s_xor_b64 s[6:7], s[6:7], s[8:9]
	s_sub_u32 s6, s6, s8
	s_subb_u32 s7, s7, s8
	s_cbranch_execnz .LBB55_207
.LBB55_206:                             ;   in Loop: Header=BB55_32 Depth=1
	v_cvt_f32_u32_e32 v6, s80
	s_sub_i32 s6, 0, s80
	v_readlane_b32 s8, v59, 25
	v_rcp_iflag_f32_e32 v6, v6
	s_nop 0
	v_mul_f32_e32 v6, 0x4f7ffffe, v6
	v_cvt_u32_f32_e32 v6, v6
	s_nop 0
	v_readfirstlane_b32 s7, v6
	s_mul_i32 s6, s6, s7
	s_mul_hi_u32 s6, s7, s6
	s_add_i32 s7, s7, s6
	s_mul_hi_u32 s6, s8, s7
	s_mul_i32 s6, s6, s80
	s_sub_i32 s6, s8, s6
	s_sub_i32 s7, s6, s80
	s_cmp_ge_u32 s6, s80
	s_cselect_b32 s6, s7, s6
	s_sub_i32 s7, s6, s80
	s_cmp_ge_u32 s6, s80
	s_cselect_b32 s82, s7, s6
	s_mov_b64 s[6:7], s[82:83]
.LBB55_207:                             ;   in Loop: Header=BB55_32 Depth=1
	v_readlane_b32 s8, v59, 25
	s_sub_u32 s46, s8, s6
	s_subb_u32 s47, s95, s7
	v_cmp_gt_i64_e32 vcc, s[46:47], v[0:1]
	s_mov_b64 s[8:9], 0
	s_mov_b64 s[6:7], 0
                                        ; implicit-def: $vgpr37
	s_and_saveexec_b64 s[44:45], vcc
	v_readlane_b32 s56, v59, 48
	v_readlane_b32 s57, v59, 49
	s_cbranch_execz .LBB55_219
; %bb.208:                              ;   in Loop: Header=BB55_32 Depth=1
	v_mov_b64_e32 v[6:7], v[12:13]
	v_mov_b64_e32 v[8:9], v[0:1]
                                        ; implicit-def: $sgpr48_sgpr49
	s_branch .LBB55_212
.LBB55_209:                             ;   in Loop: Header=BB55_212 Depth=2
	s_or_b64 exec, exec, s[50:51]
	s_waitcnt lgkmcnt(0)
	s_barrier
	ds_read_b64 v[36:37], v3 offset:3072
	s_waitcnt lgkmcnt(0)
	s_barrier
	v_cmp_neq_f32_e32 vcc, 0, v36
	s_cbranch_vccnz .LBB55_215
; %bb.210:                              ;   in Loop: Header=BB55_212 Depth=2
	v_lshl_add_u64 v[8:9], v[8:9], 0, s[80:81]
	v_cmp_le_i64_e32 vcc, s[46:47], v[8:9]
	v_lshl_add_u64 v[6:7], v[6:7], 0, s[86:87]
	s_mov_b64 s[50:51], 0
	s_orn2_b64 s[52:53], vcc, exec
.LBB55_211:                             ;   in Loop: Header=BB55_212 Depth=2
	s_and_b64 s[52:53], exec, s[52:53]
	s_or_b64 s[6:7], s[52:53], s[6:7]
	s_andn2_b64 s[48:49], s[48:49], exec
	s_and_b64 s[50:51], s[50:51], exec
	s_or_b64 s[48:49], s[48:49], s[50:51]
	s_andn2_b64 exec, exec, s[6:7]
	s_cbranch_execz .LBB55_218
.LBB55_212:                             ;   Parent Loop BB55_32 Depth=1
                                        ; =>  This Inner Loop Header: Depth=2
	v_cmp_gt_i64_e32 vcc, s[60:61], v[8:9]
	s_and_saveexec_b64 s[50:51], vcc
	s_cbranch_execz .LBB55_209
; %bb.213:                              ;   in Loop: Header=BB55_212 Depth=2
	global_load_dword v35, v[6:7], off
	s_waitcnt vmcnt(0)
	v_cmp_lt_i32_e32 vcc, -1, v35
	s_nop 1
	v_cndmask_b32_e32 v10, -1, v57, vcc
	v_xor_b32_e32 v10, v10, v35
	v_cmp_o_f32_e32 vcc, v35, v35
	s_nop 1
	v_cndmask_b32_e32 v10, -1, v10, vcc
	v_and_b32_e32 v10, v10, v58
	v_cmp_eq_u32_e32 vcc, v10, v56
	s_and_b64 exec, exec, vcc
	s_cbranch_execz .LBB55_209
; %bb.214:                              ;   in Loop: Header=BB55_212 Depth=2
	ds_write_b64 v3, v[34:35] offset:3072
	s_branch .LBB55_209
.LBB55_215:                             ;   in Loop: Header=BB55_212 Depth=2
	s_mov_b64 s[52:53], -1
                                        ; implicit-def: $vgpr8_vgpr9
                                        ; implicit-def: $vgpr6_vgpr7
	s_mov_b64 s[50:51], -1
	s_branch .LBB55_211
.LBB55_216:                             ;   in Loop: Header=BB55_32 Depth=1
                                        ; implicit-def: $sgpr6_sgpr7
	s_andn2_b64 vcc, exec, s[8:9]
	s_cbranch_vccz .LBB55_158
	s_branch .LBB55_159
.LBB55_217:                             ;   in Loop: Header=BB55_32 Depth=1
                                        ; implicit-def: $sgpr8_sgpr9
	s_branch .LBB55_175
.LBB55_218:                             ;   in Loop: Header=BB55_32 Depth=1
	s_or_b64 exec, exec, s[6:7]
	s_and_b64 s[6:7], s[48:49], exec
.LBB55_219:                             ;   in Loop: Header=BB55_32 Depth=1
	s_or_b64 exec, exec, s[44:45]
.LBB55_220:                             ;   in Loop: Header=BB55_32 Depth=1
	s_and_b64 vcc, exec, s[8:9]
	s_cbranch_vccz .LBB55_235
; %bb.221:                              ;   in Loop: Header=BB55_32 Depth=1
	v_readlane_b32 s8, v59, 24
	s_add_u32 s44, s42, s8
	v_readlane_b32 s8, v59, 26
	s_addc_u32 s9, s43, s8
	s_mov_b32 s8, s83
	s_cmp_lg_u64 s[8:9], 0
	s_cbranch_scc0 .LBB55_264
; %bb.222:                              ;   in Loop: Header=BB55_32 Depth=1
	s_add_u32 s36, s80, 0
	s_addc_u32 s37, 0, 0
	s_xor_b64 s[36:37], s[36:37], 0
	v_cvt_f32_u32_e32 v6, s36
	v_cvt_f32_u32_e32 v7, s37
	s_sub_u32 s8, 0, s36
	s_subb_u32 s45, 0, s37
	v_fmac_f32_e32 v6, 0x4f800000, v7
	v_rcp_f32_e32 v6, v6
	s_nop 0
	v_mul_f32_e32 v6, 0x5f7ffffc, v6
	v_mul_f32_e32 v7, 0x2f800000, v6
	v_trunc_f32_e32 v7, v7
	v_fmac_f32_e32 v6, 0xcf800000, v7
	v_cvt_u32_f32_e32 v7, v7
	v_cvt_u32_f32_e32 v6, v6
	v_readfirstlane_b32 s46, v7
	v_readfirstlane_b32 s38, v6
	s_mul_i32 s39, s8, s46
	s_mul_hi_u32 s48, s8, s38
	s_mul_i32 s47, s45, s38
	s_add_i32 s39, s48, s39
	s_mul_i32 s49, s8, s38
	s_add_i32 s39, s39, s47
	s_mul_i32 s48, s38, s39
	s_mul_hi_u32 s50, s38, s49
	s_mul_hi_u32 s47, s38, s39
	s_add_u32 s48, s50, s48
	s_addc_u32 s47, 0, s47
	s_mul_hi_u32 s51, s46, s49
	s_mul_i32 s49, s46, s49
	s_add_u32 s48, s48, s49
	s_mul_hi_u32 s50, s46, s39
	s_addc_u32 s47, s47, s51
	s_addc_u32 s48, s50, 0
	s_mul_i32 s39, s46, s39
	s_add_u32 s39, s47, s39
	s_addc_u32 s47, 0, s48
	s_add_u32 s48, s38, s39
	s_cselect_b64 s[38:39], -1, 0
	s_cmp_lg_u64 s[38:39], 0
	s_addc_u32 s46, s46, s47
	s_mul_i32 s38, s8, s46
	s_mul_hi_u32 s39, s8, s48
	s_add_i32 s38, s39, s38
	s_mul_i32 s45, s45, s48
	s_add_i32 s38, s38, s45
	s_mul_i32 s8, s8, s48
	s_mul_hi_u32 s45, s46, s8
	s_mul_i32 s47, s46, s8
	s_mul_i32 s50, s48, s38
	s_mul_hi_u32 s8, s48, s8
	s_mul_hi_u32 s49, s48, s38
	s_add_u32 s8, s8, s50
	s_addc_u32 s49, 0, s49
	s_add_u32 s8, s8, s47
	s_mul_hi_u32 s39, s46, s38
	s_addc_u32 s8, s49, s45
	s_addc_u32 s39, s39, 0
	s_mul_i32 s38, s46, s38
	s_add_u32 s8, s8, s38
	s_addc_u32 s45, 0, s39
	s_add_u32 s8, s48, s8
	s_cselect_b64 s[38:39], -1, 0
	s_cmp_lg_u64 s[38:39], 0
	s_addc_u32 s45, s46, s45
	s_ashr_i32 s38, s9, 31
	s_add_u32 s46, s44, s38
	s_mov_b32 s39, s38
	s_addc_u32 s47, s9, s38
	s_xor_b64 s[46:47], s[46:47], s[38:39]
	s_mul_i32 s49, s46, s45
	s_mul_hi_u32 s50, s46, s8
	s_mul_hi_u32 s48, s46, s45
	s_add_u32 s49, s50, s49
	s_addc_u32 s48, 0, s48
	s_mul_hi_u32 s51, s47, s8
	s_mul_i32 s8, s47, s8
	s_add_u32 s8, s49, s8
	s_mul_hi_u32 s50, s47, s45
	s_addc_u32 s8, s48, s51
	s_addc_u32 s48, s50, 0
	s_mul_i32 s45, s47, s45
	s_add_u32 s8, s8, s45
	s_addc_u32 s45, 0, s48
	s_mul_i32 s45, s36, s45
	s_mul_hi_u32 s48, s36, s8
	s_add_i32 s45, s48, s45
	s_mul_i32 s48, s37, s8
	s_add_i32 s45, s45, s48
	s_sub_i32 s50, s47, s45
	s_mul_i32 s8, s36, s8
	s_sub_u32 s8, s46, s8
	s_cselect_b64 s[48:49], -1, 0
	s_cmp_lg_u64 s[48:49], 0
	s_subb_u32 s46, s50, s37
	s_sub_u32 s52, s8, s36
	s_cselect_b64 s[50:51], -1, 0
	s_cmp_lg_u64 s[50:51], 0
	s_subb_u32 s53, s46, 0
	s_cmp_ge_u32 s53, s37
	s_cselect_b32 s55, -1, 0
	s_cmp_ge_u32 s52, s36
	s_cselect_b32 s56, -1, 0
	s_cmp_eq_u32 s53, s37
	s_cselect_b32 s55, s56, s55
	s_cmp_lg_u64 s[50:51], 0
	s_subb_u32 s46, s46, s37
	s_sub_u32 s56, s52, s36
	s_cselect_b64 s[50:51], -1, 0
	s_cmp_lg_u64 s[50:51], 0
	s_subb_u32 s46, s46, 0
	s_cmp_lg_u32 s55, 0
	s_cselect_b32 s50, s56, s52
	s_cselect_b32 s46, s46, s53
	s_cmp_lg_u64 s[48:49], 0
	s_subb_u32 s45, s47, s45
	s_cmp_ge_u32 s45, s37
	s_cselect_b32 s47, -1, 0
	s_cmp_ge_u32 s8, s36
	s_cselect_b32 s36, -1, 0
	s_cmp_eq_u32 s45, s37
	s_cselect_b32 s36, s36, s47
	s_cmp_lg_u32 s36, 0
	s_cselect_b32 s37, s46, s45
	s_cselect_b32 s36, s50, s8
	s_xor_b64 s[36:37], s[36:37], s[38:39]
	v_readlane_b32 s56, v59, 48
	s_sub_u32 s36, s36, s38
	v_readlane_b32 s57, v59, 49
	s_subb_u32 s37, s37, s38
	s_cbranch_execnz .LBB55_224
.LBB55_223:                             ;   in Loop: Header=BB55_32 Depth=1
	v_cvt_f32_u32_e32 v6, s80
	s_sub_i32 s8, 0, s80
	v_rcp_iflag_f32_e32 v6, v6
	s_nop 0
	v_mul_f32_e32 v6, 0x4f7ffffe, v6
	v_cvt_u32_f32_e32 v6, v6
	s_nop 0
	v_readfirstlane_b32 s36, v6
	s_mul_i32 s8, s8, s36
	s_mul_hi_u32 s8, s36, s8
	s_add_i32 s36, s36, s8
	s_mul_hi_u32 s8, s44, s36
	s_mul_i32 s8, s8, s80
	s_sub_i32 s8, s44, s8
	s_sub_i32 s36, s8, s80
	s_cmp_ge_u32 s8, s80
	s_cselect_b32 s8, s36, s8
	s_sub_i32 s36, s8, s80
	s_cmp_ge_u32 s8, s80
	s_cselect_b32 s82, s36, s8
	s_mov_b64 s[36:37], s[82:83]
.LBB55_224:                             ;   in Loop: Header=BB55_32 Depth=1
	s_sub_u32 s36, s44, s36
	s_subb_u32 s37, s9, s37
	v_cmp_gt_i64_e32 vcc, s[36:37], v[0:1]
                                        ; implicit-def: $vgpr37
	s_and_saveexec_b64 s[8:9], vcc
	s_cbranch_execz .LBB55_234
; %bb.225:                              ;   in Loop: Header=BB55_32 Depth=1
	s_mov_b64 s[38:39], 0
	v_mov_b32_e32 v8, v14
	v_mov_b64_e32 v[6:7], v[0:1]
                                        ; implicit-def: $sgpr44_sgpr45
	s_branch .LBB55_229
.LBB55_226:                             ;   in Loop: Header=BB55_229 Depth=2
	s_or_b64 exec, exec, s[46:47]
	s_waitcnt lgkmcnt(0)
	s_barrier
	ds_read_b64 v[36:37], v3 offset:3072
	s_waitcnt lgkmcnt(0)
	s_barrier
	v_cmp_eq_f32_e32 vcc, 0, v36
	s_cbranch_vccz .LBB55_232
; %bb.227:                              ;   in Loop: Header=BB55_229 Depth=2
	v_lshl_add_u64 v[6:7], v[6:7], 0, s[80:81]
	v_cmp_le_i64_e32 vcc, s[36:37], v[6:7]
	v_add_u32_e32 v8, s92, v8
	s_mov_b64 s[46:47], 0
	s_orn2_b64 s[48:49], vcc, exec
.LBB55_228:                             ;   in Loop: Header=BB55_229 Depth=2
	s_and_b64 s[48:49], exec, s[48:49]
	s_or_b64 s[38:39], s[48:49], s[38:39]
	s_andn2_b64 s[44:45], s[44:45], exec
	s_and_b64 s[46:47], s[46:47], exec
	s_or_b64 s[44:45], s[44:45], s[46:47]
	s_andn2_b64 exec, exec, s[38:39]
	s_cbranch_execz .LBB55_233
.LBB55_229:                             ;   Parent Loop BB55_32 Depth=1
                                        ; =>  This Inner Loop Header: Depth=2
	v_cmp_gt_u64_e32 vcc, s[42:43], v[6:7]
	s_and_saveexec_b64 s[46:47], vcc
	s_cbranch_execz .LBB55_226
; %bb.230:                              ;   in Loop: Header=BB55_229 Depth=2
	ds_read_b32 v35, v8
	s_waitcnt lgkmcnt(0)
	v_cmp_lt_i32_e32 vcc, -1, v35
	s_nop 1
	v_cndmask_b32_e32 v9, -1, v57, vcc
	v_xor_b32_e32 v9, v9, v35
	v_cmp_o_f32_e32 vcc, v35, v35
	s_nop 1
	v_cndmask_b32_e32 v9, -1, v9, vcc
	v_and_b32_e32 v9, v9, v58
	v_cmp_eq_u32_e32 vcc, v9, v56
	s_and_b64 exec, exec, vcc
	s_cbranch_execz .LBB55_226
; %bb.231:                              ;   in Loop: Header=BB55_229 Depth=2
	ds_write_b64 v3, v[34:35] offset:3072
	s_branch .LBB55_226
.LBB55_232:                             ;   in Loop: Header=BB55_229 Depth=2
	s_mov_b64 s[48:49], -1
                                        ; implicit-def: $vgpr6_vgpr7
                                        ; implicit-def: $vgpr8
	s_mov_b64 s[46:47], -1
	s_branch .LBB55_228
.LBB55_233:                             ;   in Loop: Header=BB55_32 Depth=1
	s_or_b64 exec, exec, s[38:39]
	s_andn2_b64 s[6:7], s[6:7], exec
	s_and_b64 s[36:37], s[44:45], exec
	s_or_b64 s[6:7], s[6:7], s[36:37]
.LBB55_234:                             ;   in Loop: Header=BB55_32 Depth=1
	s_or_b64 exec, exec, s[8:9]
	s_mov_b64 s[36:37], 0
	s_mov_b64 s[38:39], -1
.LBB55_235:                             ;   in Loop: Header=BB55_32 Depth=1
	s_orn2_b64 s[6:7], s[6:7], exec
.LBB55_236:                             ;   in Loop: Header=BB55_32 Depth=1
	s_or_b64 exec, exec, s[40:41]
	s_mov_b64 s[8:9], 0
	s_and_saveexec_b64 s[40:41], s[6:7]
	s_cbranch_execz .LBB55_296
; %bb.237:                              ;   in Loop: Header=BB55_32 Depth=1
	s_xor_b64 s[8:9], s[0:1], -1
	v_mov_b32_e32 v2, 1
	s_mov_b64 s[6:7], 0
	v_mov_b64_e32 v[6:7], 1
	s_and_saveexec_b64 s[0:1], s[8:9]
	s_cbranch_execz .LBB55_246
; %bb.238:                              ;   in Loop: Header=BB55_32 Depth=1
	v_cmp_ge_i64_e32 vcc, s[24:25], v[4:5]
	s_and_saveexec_b64 s[6:7], vcc
	s_xor_b64 s[6:7], exec, s[6:7]
	s_cbranch_execz .LBB55_243
; %bb.239:                              ;   in Loop: Header=BB55_32 Depth=1
	ds_read_b64 v[6:7], v3 offset:5120
	v_and_b32_e32 v2, s54, v56
	v_lshl_or_b32 v56, 2, s5, v2
	v_or_b32_e32 v58, s76, v58
	s_waitcnt lgkmcnt(0)
	v_cmp_ne_u64_e32 vcc, 0, v[6:7]
	s_cbranch_vccnz .LBB55_243
; %bb.240:                              ;   in Loop: Header=BB55_32 Depth=1
	s_mov_b64 s[8:9], exec
	v_readlane_b32 s42, v59, 10
	v_readlane_b32 s43, v59, 11
	s_and_b64 s[42:43], s[8:9], s[42:43]
	s_mov_b64 exec, s[42:43]
; %bb.241:                              ;   in Loop: Header=BB55_32 Depth=1
	v_mov_b64_e32 v[6:7], s[24:25]
	ds_write_b64 v3, v[6:7] offset:5128
; %bb.242:                              ;   in Loop: Header=BB55_32 Depth=1
	s_or_b64 exec, exec, s[8:9]
	s_waitcnt lgkmcnt(0)
	s_barrier
.LBB55_243:                             ;   in Loop: Header=BB55_32 Depth=1
	s_or_saveexec_b64 s[6:7], s[6:7]
	s_mov_b64 s[8:9], 0
	v_mov_b32_e32 v2, 8
	s_xor_b64 exec, exec, s[6:7]
; %bb.244:                              ;   in Loop: Header=BB55_32 Depth=1
	v_mov_b32_e32 v2, s25
	v_subrev_co_u32_e32 v4, vcc, s24, v4
	s_mov_b64 s[8:9], exec
	s_nop 0
	v_subb_co_u32_e32 v5, vcc, v5, v2, vcc
	v_mov_b32_e32 v2, 0
; %bb.245:                              ;   in Loop: Header=BB55_32 Depth=1
	s_or_b64 exec, exec, s[6:7]
	s_and_b64 s[6:7], s[8:9], exec
	v_mov_b64_e32 v[6:7], v[4:5]
.LBB55_246:                             ;   in Loop: Header=BB55_32 Depth=1
	s_or_b64 exec, exec, s[0:1]
	s_mov_b64 s[0:1], -1
                                        ; implicit-def: $sgpr48_sgpr49
                                        ; implicit-def: $sgpr46_sgpr47
	s_and_saveexec_b64 s[24:25], s[6:7]
	s_cbranch_execz .LBB55_295
; %bb.247:                              ;   in Loop: Header=BB55_32 Depth=1
	s_cmp_eq_u64 s[16:17], 1
	s_cselect_b64 s[0:1], -1, 0
	v_cmp_eq_u64_e32 vcc, 1, v[6:7]
	s_and_b64 s[0:1], s[0:1], vcc
	s_mov_b64 s[8:9], -1
                                        ; implicit-def: $sgpr48_sgpr49
                                        ; implicit-def: $sgpr46_sgpr47
	s_and_saveexec_b64 s[42:43], s[0:1]
	s_cbranch_execz .LBB55_283
; %bb.248:                              ;   in Loop: Header=BB55_32 Depth=1
	ds_read_b64 v[4:5], v3 offset:5120
	s_waitcnt lgkmcnt(0)
	s_barrier
	v_readfirstlane_b32 s44, v4
	v_readfirstlane_b32 s45, v5
	s_mov_b64 s[6:7], exec
	v_readlane_b32 s8, v59, 12
	v_readlane_b32 s9, v59, 13
	s_and_b64 s[8:9], s[6:7], s[8:9]
	s_mov_b64 exec, s[8:9]
; %bb.249:                              ;   in Loop: Header=BB55_32 Depth=1
	ds_write_b32 v51, v3
; %bb.250:                              ;   in Loop: Header=BB55_32 Depth=1
	s_or_b64 exec, exec, s[6:7]
	v_cmp_gt_i64_e64 s[6:7], s[44:45], 0
	v_or_b32_e32 v56, s76, v56
	v_or_b32_e32 v58, s76, v58
	s_mov_b64 s[46:47], -1
	s_mov_b64 s[48:49], 0
	s_and_b64 vcc, exec, s[6:7]
	s_mov_b64 s[6:7], 0
	s_mov_b64 s[8:9], -1
	s_waitcnt lgkmcnt(0)
	s_barrier
                                        ; implicit-def: $vgpr37
	s_cbranch_vccnz .LBB55_267
; %bb.251:                              ;   in Loop: Header=BB55_32 Depth=1
	s_mov_b32 s94, s83
	s_cmp_lg_u64 s[94:95], 0
	s_cbranch_scc0 .LBB55_302
; %bb.252:                              ;   in Loop: Header=BB55_32 Depth=1
	s_add_u32 s6, s80, 0
	s_addc_u32 s7, 0, 0
	s_xor_b64 s[6:7], s[6:7], 0
	v_cvt_f32_u32_e32 v4, s6
	v_cvt_f32_u32_e32 v5, s7
	s_sub_u32 s50, 0, s6
	s_subb_u32 s51, 0, s7
	v_fmac_f32_e32 v4, 0x4f800000, v5
	v_rcp_f32_e32 v4, v4
	s_nop 0
	v_mul_f32_e32 v4, 0x5f7ffffc, v4
	v_mul_f32_e32 v5, 0x2f800000, v4
	v_trunc_f32_e32 v5, v5
	v_fmac_f32_e32 v4, 0xcf800000, v5
	v_cvt_u32_f32_e32 v5, v5
	v_cvt_u32_f32_e32 v4, v4
	v_readfirstlane_b32 s52, v5
	v_readfirstlane_b32 s8, v4
	s_mul_i32 s9, s50, s52
	s_mul_hi_u32 s54, s50, s8
	s_mul_i32 s53, s51, s8
	s_add_i32 s9, s54, s9
	s_mul_i32 s55, s50, s8
	s_add_i32 s9, s9, s53
	s_mul_i32 s54, s8, s9
	s_mul_hi_u32 s56, s8, s55
	s_mul_hi_u32 s53, s8, s9
	s_add_u32 s54, s56, s54
	s_addc_u32 s53, 0, s53
	s_mul_hi_u32 s57, s52, s55
	s_mul_i32 s55, s52, s55
	s_add_u32 s54, s54, s55
	s_mul_hi_u32 s56, s52, s9
	s_addc_u32 s53, s53, s57
	s_addc_u32 s54, s56, 0
	s_mul_i32 s9, s52, s9
	s_add_u32 s9, s53, s9
	s_addc_u32 s53, 0, s54
	s_add_u32 s54, s8, s9
	s_cselect_b64 s[8:9], -1, 0
	s_cmp_lg_u64 s[8:9], 0
	s_addc_u32 s52, s52, s53
	s_mul_i32 s8, s50, s52
	s_mul_hi_u32 s9, s50, s54
	s_add_i32 s8, s9, s8
	s_mul_i32 s51, s51, s54
	s_add_i32 s8, s8, s51
	s_mul_i32 s50, s50, s54
	s_mul_hi_u32 s51, s52, s50
	s_mul_i32 s53, s52, s50
	s_mul_i32 s56, s54, s8
	s_mul_hi_u32 s50, s54, s50
	s_mul_hi_u32 s55, s54, s8
	s_add_u32 s50, s50, s56
	s_addc_u32 s55, 0, s55
	s_add_u32 s50, s50, s53
	s_mul_hi_u32 s9, s52, s8
	s_addc_u32 s50, s55, s51
	s_addc_u32 s9, s9, 0
	s_mul_i32 s8, s52, s8
	s_add_u32 s8, s50, s8
	s_addc_u32 s50, 0, s9
	s_add_u32 s53, s54, s8
	s_cselect_b64 s[8:9], -1, 0
	s_cmp_lg_u64 s[8:9], 0
	s_addc_u32 s52, s52, s50
	s_ashr_i32 s8, s95, 31
	v_readlane_b32 s50, v59, 25
	s_add_u32 s50, s50, s8
	s_mov_b32 s9, s8
	s_addc_u32 s51, s95, s8
	s_xor_b64 s[50:51], s[50:51], s[8:9]
	s_mul_i32 s55, s50, s52
	s_mul_hi_u32 s56, s50, s53
	s_mul_hi_u32 s54, s50, s52
	s_add_u32 s55, s56, s55
	s_addc_u32 s54, 0, s54
	s_mul_hi_u32 s57, s51, s53
	s_mul_i32 s53, s51, s53
	s_add_u32 s53, s55, s53
	s_mul_hi_u32 s56, s51, s52
	s_addc_u32 s53, s54, s57
	s_addc_u32 s54, s56, 0
	s_mul_i32 s52, s51, s52
	s_add_u32 s52, s53, s52
	s_addc_u32 s53, 0, s54
	s_mul_i32 s53, s6, s53
	s_mul_hi_u32 s54, s6, s52
	s_add_i32 s53, s54, s53
	s_mul_i32 s54, s7, s52
	s_add_i32 s56, s53, s54
	s_sub_i32 s54, s51, s56
	s_mul_i32 s52, s6, s52
	s_sub_u32 s50, s50, s52
	s_cselect_b64 s[52:53], -1, 0
	s_cmp_lg_u64 s[52:53], 0
	s_subb_u32 s57, s54, s7
	s_sub_u32 s70, s50, s6
	s_cselect_b64 s[54:55], -1, 0
	s_cmp_lg_u64 s[54:55], 0
	s_subb_u32 s71, s57, 0
	s_cmp_ge_u32 s71, s7
	s_cselect_b32 s77, -1, 0
	s_cmp_ge_u32 s70, s6
	s_cselect_b32 s78, -1, 0
	s_cmp_eq_u32 s71, s7
	s_cselect_b32 s77, s78, s77
	s_cmp_lg_u64 s[54:55], 0
	s_subb_u32 s57, s57, s7
	s_sub_u32 s78, s70, s6
	s_cselect_b64 s[54:55], -1, 0
	s_cmp_lg_u64 s[54:55], 0
	s_subb_u32 s54, s57, 0
	s_cmp_lg_u32 s77, 0
	s_cselect_b32 s55, s78, s70
	s_cselect_b32 s54, s54, s71
	s_cmp_lg_u64 s[52:53], 0
	s_subb_u32 s51, s51, s56
	s_cmp_ge_u32 s51, s7
	s_cselect_b32 s52, -1, 0
	s_cmp_ge_u32 s50, s6
	s_cselect_b32 s6, -1, 0
	s_cmp_eq_u32 s51, s7
	s_cselect_b32 s6, s6, s52
	s_cmp_lg_u32 s6, 0
	s_cselect_b32 s7, s54, s51
	s_cselect_b32 s6, s55, s50
	s_xor_b64 s[6:7], s[6:7], s[8:9]
	s_sub_u32 s6, s6, s8
	s_subb_u32 s7, s7, s8
	s_cbranch_execnz .LBB55_254
.LBB55_253:                             ;   in Loop: Header=BB55_32 Depth=1
	v_cvt_f32_u32_e32 v4, s80
	s_sub_i32 s6, 0, s80
	v_readlane_b32 s8, v59, 25
	v_rcp_iflag_f32_e32 v4, v4
	s_nop 0
	v_mul_f32_e32 v4, 0x4f7ffffe, v4
	v_cvt_u32_f32_e32 v4, v4
	s_nop 0
	v_readfirstlane_b32 s7, v4
	s_mul_i32 s6, s6, s7
	s_mul_hi_u32 s6, s7, s6
	s_add_i32 s7, s7, s6
	s_mul_hi_u32 s6, s8, s7
	s_mul_i32 s6, s6, s80
	s_sub_i32 s6, s8, s6
	s_sub_i32 s7, s6, s80
	s_cmp_ge_u32 s6, s80
	s_cselect_b32 s6, s7, s6
	s_sub_i32 s7, s6, s80
	s_cmp_ge_u32 s6, s80
	s_cselect_b32 s82, s7, s6
	s_mov_b64 s[6:7], s[82:83]
.LBB55_254:                             ;   in Loop: Header=BB55_32 Depth=1
	v_readlane_b32 s8, v59, 25
	s_sub_u32 s52, s8, s6
	s_subb_u32 s53, s95, s7
	v_cmp_gt_i64_e32 vcc, s[52:53], v[0:1]
	s_mov_b64 s[8:9], 0
	s_mov_b64 s[6:7], 0
                                        ; implicit-def: $vgpr37
	s_and_saveexec_b64 s[50:51], vcc
	s_cbranch_execz .LBB55_266
; %bb.255:                              ;   in Loop: Header=BB55_32 Depth=1
	v_mov_b64_e32 v[4:5], v[12:13]
	v_mov_b64_e32 v[8:9], v[0:1]
                                        ; implicit-def: $sgpr54_sgpr55
	s_branch .LBB55_259
.LBB55_256:                             ;   in Loop: Header=BB55_259 Depth=2
	s_or_b64 exec, exec, s[56:57]
	s_waitcnt lgkmcnt(0)
	s_barrier
	ds_read_b64 v[36:37], v3 offset:3072
	s_waitcnt lgkmcnt(0)
	s_barrier
	v_cmp_neq_f32_e32 vcc, 0, v36
	s_cbranch_vccnz .LBB55_262
; %bb.257:                              ;   in Loop: Header=BB55_259 Depth=2
	v_lshl_add_u64 v[8:9], v[8:9], 0, s[80:81]
	v_cmp_le_i64_e32 vcc, s[52:53], v[8:9]
	v_lshl_add_u64 v[4:5], v[4:5], 0, s[86:87]
	s_mov_b64 s[56:57], 0
	s_orn2_b64 s[70:71], vcc, exec
.LBB55_258:                             ;   in Loop: Header=BB55_259 Depth=2
	s_and_b64 s[70:71], exec, s[70:71]
	s_or_b64 s[6:7], s[70:71], s[6:7]
	s_andn2_b64 s[54:55], s[54:55], exec
	s_and_b64 s[56:57], s[56:57], exec
	s_or_b64 s[54:55], s[54:55], s[56:57]
	s_andn2_b64 exec, exec, s[6:7]
	s_cbranch_execz .LBB55_265
.LBB55_259:                             ;   Parent Loop BB55_32 Depth=1
                                        ; =>  This Inner Loop Header: Depth=2
	v_cmp_gt_i64_e32 vcc, s[60:61], v[8:9]
	s_and_saveexec_b64 s[56:57], vcc
	s_cbranch_execz .LBB55_256
; %bb.260:                              ;   in Loop: Header=BB55_259 Depth=2
	global_load_dword v35, v[4:5], off
	s_waitcnt vmcnt(0)
	v_cmp_lt_i32_e32 vcc, -1, v35
	s_nop 1
	v_cndmask_b32_e32 v10, -1, v57, vcc
	v_xor_b32_e32 v10, v10, v35
	v_cmp_o_f32_e32 vcc, v35, v35
	s_nop 1
	v_cndmask_b32_e32 v10, -1, v10, vcc
	v_and_b32_e32 v10, v10, v58
	v_cmp_eq_u32_e32 vcc, v10, v56
	s_and_b64 exec, exec, vcc
	s_cbranch_execz .LBB55_256
; %bb.261:                              ;   in Loop: Header=BB55_259 Depth=2
	ds_write_b64 v3, v[34:35] offset:3072
	s_branch .LBB55_256
.LBB55_262:                             ;   in Loop: Header=BB55_259 Depth=2
	s_mov_b64 s[70:71], -1
                                        ; implicit-def: $vgpr8_vgpr9
                                        ; implicit-def: $vgpr4_vgpr5
	s_mov_b64 s[56:57], -1
	s_branch .LBB55_258
.LBB55_263:                             ;   in Loop: Header=BB55_32 Depth=1
                                        ; implicit-def: $sgpr6_sgpr7
	s_andn2_b64 vcc, exec, s[8:9]
	s_cbranch_vccz .LBB55_206
	s_branch .LBB55_207
.LBB55_264:                             ;   in Loop: Header=BB55_32 Depth=1
                                        ; implicit-def: $sgpr36_sgpr37
	s_branch .LBB55_223
.LBB55_265:                             ;   in Loop: Header=BB55_32 Depth=1
	s_or_b64 exec, exec, s[6:7]
	s_and_b64 s[6:7], s[54:55], exec
.LBB55_266:                             ;   in Loop: Header=BB55_32 Depth=1
	s_or_b64 exec, exec, s[50:51]
	v_readlane_b32 s56, v59, 48
	v_readlane_b32 s57, v59, 49
.LBB55_267:                             ;   in Loop: Header=BB55_32 Depth=1
	s_and_b64 vcc, exec, s[8:9]
	s_cbranch_vccz .LBB55_282
; %bb.268:                              ;   in Loop: Header=BB55_32 Depth=1
	v_readlane_b32 s8, v59, 24
	s_add_u32 s50, s44, s8
	v_readlane_b32 s8, v59, 26
	s_addc_u32 s9, s45, s8
	s_mov_b32 s8, s83
	s_cmp_lg_u64 s[8:9], 0
	s_cbranch_scc0 .LBB55_303
; %bb.269:                              ;   in Loop: Header=BB55_32 Depth=1
	s_add_u32 s46, s80, 0
	s_addc_u32 s47, 0, 0
	s_xor_b64 s[46:47], s[46:47], 0
	v_cvt_f32_u32_e32 v4, s46
	v_cvt_f32_u32_e32 v5, s47
	s_sub_u32 s8, 0, s46
	s_subb_u32 s51, 0, s47
	v_fmac_f32_e32 v4, 0x4f800000, v5
	v_rcp_f32_e32 v4, v4
	s_nop 0
	v_mul_f32_e32 v4, 0x5f7ffffc, v4
	v_mul_f32_e32 v5, 0x2f800000, v4
	v_trunc_f32_e32 v5, v5
	v_fmac_f32_e32 v4, 0xcf800000, v5
	v_cvt_u32_f32_e32 v5, v5
	v_cvt_u32_f32_e32 v4, v4
	v_readfirstlane_b32 s52, v5
	v_readfirstlane_b32 s48, v4
	s_mul_i32 s49, s8, s52
	s_mul_hi_u32 s54, s8, s48
	s_mul_i32 s53, s51, s48
	s_add_i32 s49, s54, s49
	s_mul_i32 s55, s8, s48
	s_add_i32 s49, s49, s53
	s_mul_i32 s54, s48, s49
	s_mul_hi_u32 s56, s48, s55
	s_mul_hi_u32 s53, s48, s49
	s_add_u32 s54, s56, s54
	s_addc_u32 s53, 0, s53
	s_mul_hi_u32 s57, s52, s55
	s_mul_i32 s55, s52, s55
	s_add_u32 s54, s54, s55
	s_mul_hi_u32 s56, s52, s49
	s_addc_u32 s53, s53, s57
	s_addc_u32 s54, s56, 0
	s_mul_i32 s49, s52, s49
	s_add_u32 s49, s53, s49
	s_addc_u32 s53, 0, s54
	s_add_u32 s54, s48, s49
	s_cselect_b64 s[48:49], -1, 0
	s_cmp_lg_u64 s[48:49], 0
	s_addc_u32 s52, s52, s53
	s_mul_i32 s48, s8, s52
	s_mul_hi_u32 s49, s8, s54
	s_add_i32 s48, s49, s48
	s_mul_i32 s51, s51, s54
	s_add_i32 s48, s48, s51
	s_mul_i32 s8, s8, s54
	s_mul_hi_u32 s51, s52, s8
	s_mul_i32 s53, s52, s8
	s_mul_i32 s56, s54, s48
	s_mul_hi_u32 s8, s54, s8
	s_mul_hi_u32 s55, s54, s48
	s_add_u32 s8, s8, s56
	s_addc_u32 s55, 0, s55
	s_add_u32 s8, s8, s53
	s_mul_hi_u32 s49, s52, s48
	s_addc_u32 s8, s55, s51
	s_addc_u32 s49, s49, 0
	s_mul_i32 s48, s52, s48
	s_add_u32 s8, s8, s48
	s_addc_u32 s51, 0, s49
	s_add_u32 s8, s54, s8
	s_cselect_b64 s[48:49], -1, 0
	s_cmp_lg_u64 s[48:49], 0
	s_addc_u32 s51, s52, s51
	s_ashr_i32 s48, s9, 31
	s_add_u32 s52, s50, s48
	s_mov_b32 s49, s48
	s_addc_u32 s53, s9, s48
	s_xor_b64 s[52:53], s[52:53], s[48:49]
	s_mul_i32 s55, s52, s51
	s_mul_hi_u32 s56, s52, s8
	s_mul_hi_u32 s54, s52, s51
	s_add_u32 s55, s56, s55
	s_addc_u32 s54, 0, s54
	s_mul_hi_u32 s57, s53, s8
	s_mul_i32 s8, s53, s8
	s_add_u32 s8, s55, s8
	s_mul_hi_u32 s56, s53, s51
	s_addc_u32 s8, s54, s57
	s_addc_u32 s54, s56, 0
	s_mul_i32 s51, s53, s51
	s_add_u32 s8, s8, s51
	s_addc_u32 s51, 0, s54
	s_mul_i32 s51, s46, s51
	s_mul_hi_u32 s54, s46, s8
	s_add_i32 s51, s54, s51
	s_mul_i32 s54, s47, s8
	s_add_i32 s51, s51, s54
	s_sub_i32 s56, s53, s51
	s_mul_i32 s8, s46, s8
	s_sub_u32 s8, s52, s8
	s_cselect_b64 s[54:55], -1, 0
	s_cmp_lg_u64 s[54:55], 0
	s_subb_u32 s52, s56, s47
	s_sub_u32 s70, s8, s46
	s_cselect_b64 s[56:57], -1, 0
	s_cmp_lg_u64 s[56:57], 0
	s_subb_u32 s71, s52, 0
	s_cmp_ge_u32 s71, s47
	s_cselect_b32 s77, -1, 0
	s_cmp_ge_u32 s70, s46
	s_cselect_b32 s78, -1, 0
	s_cmp_eq_u32 s71, s47
	s_cselect_b32 s77, s78, s77
	s_cmp_lg_u64 s[56:57], 0
	s_subb_u32 s52, s52, s47
	s_sub_u32 s78, s70, s46
	s_cselect_b64 s[56:57], -1, 0
	s_cmp_lg_u64 s[56:57], 0
	s_subb_u32 s52, s52, 0
	s_cmp_lg_u32 s77, 0
	s_cselect_b32 s56, s78, s70
	s_cselect_b32 s52, s52, s71
	s_cmp_lg_u64 s[54:55], 0
	s_subb_u32 s51, s53, s51
	s_cmp_ge_u32 s51, s47
	s_cselect_b32 s53, -1, 0
	s_cmp_ge_u32 s8, s46
	s_cselect_b32 s46, -1, 0
	s_cmp_eq_u32 s51, s47
	s_cselect_b32 s46, s46, s53
	s_cmp_lg_u32 s46, 0
	s_cselect_b32 s47, s52, s51
	s_cselect_b32 s46, s56, s8
	s_xor_b64 s[46:47], s[46:47], s[48:49]
	v_readlane_b32 s56, v59, 48
	s_sub_u32 s46, s46, s48
	v_readlane_b32 s57, v59, 49
	s_subb_u32 s47, s47, s48
	s_cbranch_execnz .LBB55_271
.LBB55_270:                             ;   in Loop: Header=BB55_32 Depth=1
	v_cvt_f32_u32_e32 v4, s80
	s_sub_i32 s8, 0, s80
	v_rcp_iflag_f32_e32 v4, v4
	s_nop 0
	v_mul_f32_e32 v4, 0x4f7ffffe, v4
	v_cvt_u32_f32_e32 v4, v4
	s_nop 0
	v_readfirstlane_b32 s46, v4
	s_mul_i32 s8, s8, s46
	s_mul_hi_u32 s8, s46, s8
	s_add_i32 s46, s46, s8
	s_mul_hi_u32 s8, s50, s46
	s_mul_i32 s8, s8, s80
	s_sub_i32 s8, s50, s8
	s_sub_i32 s46, s8, s80
	s_cmp_ge_u32 s8, s80
	s_cselect_b32 s8, s46, s8
	s_sub_i32 s46, s8, s80
	s_cmp_ge_u32 s8, s80
	s_cselect_b32 s82, s46, s8
	s_mov_b64 s[46:47], s[82:83]
.LBB55_271:                             ;   in Loop: Header=BB55_32 Depth=1
	s_sub_u32 s46, s50, s46
	s_subb_u32 s47, s9, s47
	v_cmp_gt_i64_e32 vcc, s[46:47], v[0:1]
                                        ; implicit-def: $vgpr37
	s_and_saveexec_b64 s[8:9], vcc
	s_cbranch_execz .LBB55_281
; %bb.272:                              ;   in Loop: Header=BB55_32 Depth=1
	s_mov_b64 s[48:49], 0
	v_mov_b32_e32 v8, v14
	v_mov_b64_e32 v[4:5], v[0:1]
                                        ; implicit-def: $sgpr50_sgpr51
	s_branch .LBB55_276
.LBB55_273:                             ;   in Loop: Header=BB55_276 Depth=2
	s_or_b64 exec, exec, s[52:53]
	s_waitcnt lgkmcnt(0)
	s_barrier
	ds_read_b64 v[36:37], v3 offset:3072
	s_waitcnt lgkmcnt(0)
	s_barrier
	v_cmp_eq_f32_e32 vcc, 0, v36
	s_cbranch_vccz .LBB55_279
; %bb.274:                              ;   in Loop: Header=BB55_276 Depth=2
	v_lshl_add_u64 v[4:5], v[4:5], 0, s[80:81]
	v_cmp_le_i64_e32 vcc, s[46:47], v[4:5]
	v_add_u32_e32 v8, s92, v8
	s_mov_b64 s[52:53], 0
	s_orn2_b64 s[54:55], vcc, exec
.LBB55_275:                             ;   in Loop: Header=BB55_276 Depth=2
	s_and_b64 s[54:55], exec, s[54:55]
	s_or_b64 s[48:49], s[54:55], s[48:49]
	s_andn2_b64 s[50:51], s[50:51], exec
	s_and_b64 s[52:53], s[52:53], exec
	s_or_b64 s[50:51], s[50:51], s[52:53]
	s_andn2_b64 exec, exec, s[48:49]
	s_cbranch_execz .LBB55_280
.LBB55_276:                             ;   Parent Loop BB55_32 Depth=1
                                        ; =>  This Inner Loop Header: Depth=2
	v_cmp_gt_u64_e32 vcc, s[44:45], v[4:5]
	s_and_saveexec_b64 s[52:53], vcc
	s_cbranch_execz .LBB55_273
; %bb.277:                              ;   in Loop: Header=BB55_276 Depth=2
	ds_read_b32 v35, v8
	s_waitcnt lgkmcnt(0)
	v_cmp_lt_i32_e32 vcc, -1, v35
	s_nop 1
	v_cndmask_b32_e32 v9, -1, v57, vcc
	v_xor_b32_e32 v9, v9, v35
	v_cmp_o_f32_e32 vcc, v35, v35
	s_nop 1
	v_cndmask_b32_e32 v9, -1, v9, vcc
	v_and_b32_e32 v9, v9, v58
	v_cmp_eq_u32_e32 vcc, v9, v56
	s_and_b64 exec, exec, vcc
	s_cbranch_execz .LBB55_273
; %bb.278:                              ;   in Loop: Header=BB55_276 Depth=2
	ds_write_b64 v3, v[34:35] offset:3072
	s_branch .LBB55_273
.LBB55_279:                             ;   in Loop: Header=BB55_276 Depth=2
	s_mov_b64 s[54:55], -1
                                        ; implicit-def: $vgpr4_vgpr5
                                        ; implicit-def: $vgpr8
	s_mov_b64 s[52:53], -1
	s_branch .LBB55_275
.LBB55_280:                             ;   in Loop: Header=BB55_32 Depth=1
	s_or_b64 exec, exec, s[48:49]
	s_andn2_b64 s[6:7], s[6:7], exec
	s_and_b64 s[44:45], s[50:51], exec
	s_or_b64 s[6:7], s[6:7], s[44:45]
.LBB55_281:                             ;   in Loop: Header=BB55_32 Depth=1
	s_or_b64 exec, exec, s[8:9]
	s_mov_b64 s[46:47], 0
	s_mov_b64 s[48:49], -1
.LBB55_282:                             ;   in Loop: Header=BB55_32 Depth=1
	s_orn2_b64 s[8:9], s[6:7], exec
.LBB55_283:                             ;   in Loop: Header=BB55_32 Depth=1
	s_or_b64 exec, exec, s[42:43]
	s_mov_b64 s[42:43], 0
	s_and_saveexec_b64 s[6:7], s[8:9]
	s_cbranch_execz .LBB55_294
; %bb.284:                              ;   in Loop: Header=BB55_32 Depth=1
	s_xor_b64 s[8:9], s[0:1], -1
	v_mov_b64_e32 v[4:5], 1
	v_mov_b32_e32 v2, 1
	s_and_saveexec_b64 s[0:1], s[8:9]
	s_cbranch_execz .LBB55_293
; %bb.285:                              ;   in Loop: Header=BB55_32 Depth=1
	v_cmp_ge_i64_e32 vcc, s[16:17], v[6:7]
	s_and_saveexec_b64 s[8:9], vcc
	s_xor_b64 s[8:9], exec, s[8:9]
	s_cbranch_execz .LBB55_290
; %bb.286:                              ;   in Loop: Header=BB55_32 Depth=1
	ds_read_b64 v[4:5], v3 offset:5120
	v_or_b32_e32 v56, s76, v56
	v_or_b32_e32 v58, s76, v58
	s_waitcnt lgkmcnt(0)
	v_cmp_ne_u64_e32 vcc, 0, v[4:5]
	s_cbranch_vccnz .LBB55_290
; %bb.287:                              ;   in Loop: Header=BB55_32 Depth=1
	s_mov_b64 s[42:43], exec
	v_readlane_b32 s44, v59, 10
	v_readlane_b32 s45, v59, 11
	s_and_b64 s[44:45], s[42:43], s[44:45]
	s_mov_b64 exec, s[44:45]
; %bb.288:                              ;   in Loop: Header=BB55_32 Depth=1
	v_mov_b64_e32 v[4:5], s[16:17]
	ds_write_b64 v3, v[4:5] offset:5128
; %bb.289:                              ;   in Loop: Header=BB55_32 Depth=1
	s_or_b64 exec, exec, s[42:43]
	s_waitcnt lgkmcnt(0)
	s_barrier
.LBB55_290:                             ;   in Loop: Header=BB55_32 Depth=1
	s_andn2_saveexec_b64 s[8:9], s[8:9]
; %bb.291:                              ;   in Loop: Header=BB55_32 Depth=1
	v_mov_b32_e32 v2, s17
	v_subrev_co_u32_e32 v6, vcc, s16, v6
	s_nop 1
	v_subb_co_u32_e32 v7, vcc, v7, v2, vcc
; %bb.292:                              ;   in Loop: Header=BB55_32 Depth=1
	s_or_b64 exec, exec, s[8:9]
	v_mov_b32_e32 v2, 8
	v_mov_b64_e32 v[4:5], v[6:7]
.LBB55_293:                             ;   in Loop: Header=BB55_32 Depth=1
	s_or_b64 exec, exec, s[0:1]
	s_mov_b64 s[42:43], exec
	v_mov_b64_e32 v[6:7], v[4:5]
.LBB55_294:                             ;   in Loop: Header=BB55_32 Depth=1
	s_or_b64 exec, exec, s[6:7]
	s_orn2_b64 s[0:1], s[42:43], exec
.LBB55_295:                             ;   in Loop: Header=BB55_32 Depth=1
	s_or_b64 exec, exec, s[24:25]
	s_andn2_b64 s[6:7], s[38:39], exec
	s_and_b64 s[8:9], s[48:49], exec
	s_or_b64 s[38:39], s[6:7], s[8:9]
	s_andn2_b64 s[6:7], s[36:37], exec
	s_and_b64 s[8:9], s[46:47], exec
	s_or_b64 s[36:37], s[6:7], s[8:9]
	s_and_b64 s[8:9], s[0:1], exec
	v_mov_b64_e32 v[4:5], v[6:7]
.LBB55_296:                             ;   in Loop: Header=BB55_32 Depth=1
	s_or_b64 exec, exec, s[40:41]
	s_orn2_b64 s[0:1], s[8:9], exec
.LBB55_297:                             ;   in Loop: Header=BB55_32 Depth=1
	s_or_b64 exec, exec, s[30:31]
	s_andn2_b64 s[6:7], s[26:27], exec
	s_and_b64 s[8:9], s[38:39], exec
	s_or_b64 s[26:27], s[6:7], s[8:9]
	s_andn2_b64 s[2:3], s[2:3], exec
	s_and_b64 s[6:7], s[36:37], exec
	s_or_b64 s[2:3], s[2:3], s[6:7]
	s_and_b64 s[8:9], s[0:1], exec
	v_mov_b64_e32 v[8:9], v[4:5]
.LBB55_298:                             ;   in Loop: Header=BB55_32 Depth=1
	s_or_b64 exec, exec, s[28:29]
	s_orn2_b64 s[0:1], s[8:9], exec
.LBB55_299:                             ;   in Loop: Header=BB55_32 Depth=1
	s_or_b64 exec, exec, s[22:23]
	s_mov_b64 s[6:7], 0
	s_and_saveexec_b64 s[8:9], s[0:1]
	s_xor_b64 s[0:1], exec, s[8:9]
	s_cbranch_execz .LBB55_30
; %bb.300:                              ;   in Loop: Header=BB55_32 Depth=1
	v_and_b32_e32 v2, 7, v2
	v_cmp_eq_u32_e32 vcc, 0, v2
	s_mov_b64 s[8:9], -1
	s_mov_b64 s[6:7], -1
	s_and_saveexec_b64 s[16:17], vcc
	s_cbranch_execz .LBB55_29
; %bb.301:                              ;   in Loop: Header=BB55_32 Depth=1
	s_xor_b32 s64, s64, 1
	s_add_i32 s20, s5, -2
	s_cmp_eq_u32 s5, 0
	s_cselect_b64 s[8:9], -1, 0
	s_xor_b64 s[6:7], exec, -1
	s_orn2_b64 s[8:9], s[8:9], exec
	s_mov_b32 s5, s20
	s_branch .LBB55_29
.LBB55_302:                             ;   in Loop: Header=BB55_32 Depth=1
                                        ; implicit-def: $sgpr6_sgpr7
	s_andn2_b64 vcc, exec, s[8:9]
	s_cbranch_vccz .LBB55_253
	s_branch .LBB55_254
.LBB55_303:                             ;   in Loop: Header=BB55_32 Depth=1
                                        ; implicit-def: $sgpr46_sgpr47
	s_branch .LBB55_270
.LBB55_304:
	s_or_b64 exec, exec, s[14:15]
	s_xor_b64 s[4:5], s[10:11], -1
	s_xor_b64 s[0:1], s[62:63], -1
	;; [unrolled: 1-line block ×3, first 2 shown]
	s_mov_b64 s[2:3], 0
	s_and_saveexec_b64 s[8:9], s[0:1]
	s_xor_b64 s[0:1], exec, s[8:9]
	s_cbranch_execnz .LBB55_309
; %bb.305:
	s_andn2_saveexec_b64 s[0:1], s[0:1]
	s_cbranch_execnz .LBB55_331
.LBB55_306:
	s_or_b64 exec, exec, s[0:1]
	s_and_saveexec_b64 s[0:1], s[2:3]
.LBB55_307:
	; divergent unreachable
.LBB55_308:
	s_endpgm
.LBB55_309:
	s_and_saveexec_b64 s[2:3], s[4:5]
	s_xor_b64 s[4:5], exec, s[2:3]
	s_cbranch_execz .LBB55_329
; %bb.310:
	s_and_saveexec_b64 s[2:3], s[6:7]
	s_xor_b64 s[2:3], exec, s[2:3]
; %bb.311:
	v_bfrev_b32_e32 v2, 1
	v_cmp_lt_i32_e32 vcc, -1, v56
	s_nop 1
	v_cndmask_b32_e64 v2, v2, -1, vcc
	v_xor_b32_e32 v37, v2, v56
; %bb.312:
	s_or_b64 exec, exec, s[2:3]
	s_mov_b64 s[2:3], exec
	v_readlane_b32 s6, v59, 10
	v_readlane_b32 s7, v59, 11
	s_and_b64 s[6:7], s[2:3], s[6:7]
	s_mov_b64 exec, s[6:7]
; %bb.313:
	v_mov_b32_e32 v2, 0
	v_mov_b32_e32 v3, s60
	ds_write_b32 v2, v3 offset:5140
; %bb.314:
	s_or_b64 exec, exec, s[2:3]
	s_waitcnt lgkmcnt(0)
	s_barrier
	s_mov_b64 s[6:7], exec
	v_readlane_b32 s2, v59, 20
	v_readlane_b32 s3, v59, 21
	s_and_b64 s[2:3], s[6:7], s[2:3]
	s_mov_b64 exec, s[2:3]
	s_cbranch_execz .LBB55_326
; %bb.315:
	v_mov_b32_e32 v2, 0
	ds_read_b32 v4, v2 offset:5140
	v_cmp_u_f32_e32 vcc, v37, v37
	s_mov_b64 s[8:9], 0
	s_xor_b64 s[10:11], vcc, -1
                                        ; implicit-def: $sgpr12_sgpr13
                                        ; implicit-def: $sgpr14_sgpr15
                                        ; implicit-def: $sgpr16_sgpr17
	s_waitcnt lgkmcnt(0)
	v_ashrrev_i32_e32 v5, 31, v4
	s_branch .LBB55_318
.LBB55_316:                             ;   in Loop: Header=BB55_318 Depth=1
	s_or_b64 exec, exec, s[22:23]
	s_andn2_b64 s[16:17], s[16:17], exec
	s_and_b64 s[2:3], s[2:3], exec
	s_or_b64 s[16:17], s[16:17], s[2:3]
	s_andn2_b64 s[2:3], s[14:15], exec
	s_and_b64 s[14:15], s[20:21], exec
	s_or_b64 s[14:15], s[2:3], s[14:15]
.LBB55_317:                             ;   in Loop: Header=BB55_318 Depth=1
	s_or_b64 exec, exec, s[18:19]
	s_and_b64 s[2:3], exec, s[14:15]
	s_or_b64 s[8:9], s[2:3], s[8:9]
	s_andn2_b64 s[2:3], s[12:13], exec
	s_and_b64 s[12:13], s[16:17], exec
	s_or_b64 s[12:13], s[2:3], s[12:13]
	s_andn2_b64 exec, exec, s[8:9]
	s_cbranch_execz .LBB55_321
.LBB55_318:                             ; =>This Inner Loop Header: Depth=1
	v_mov_b64_e32 v[2:3], v[0:1]
	v_cmp_lt_i64_e32 vcc, v[2:3], v[4:5]
	s_or_b64 s[16:17], s[16:17], exec
	s_or_b64 s[14:15], s[14:15], exec
                                        ; implicit-def: $vgpr0_vgpr1
	s_and_saveexec_b64 s[18:19], vcc
	s_cbranch_execz .LBB55_317
; %bb.319:                              ;   in Loop: Header=BB55_318 Depth=1
	global_load_dword v0, v[12:13], off
	s_mov_b64 s[20:21], -1
	s_waitcnt vmcnt(0)
	v_cmp_o_f32_e64 s[2:3], v0, v0
	v_cmp_neq_f32_e32 vcc, v0, v37
	s_or_b64 s[2:3], s[2:3], s[10:11]
	s_and_b64 s[24:25], vcc, s[2:3]
	s_mov_b64 s[2:3], 0
                                        ; implicit-def: $vgpr0_vgpr1
	s_and_saveexec_b64 s[22:23], s[24:25]
	s_cbranch_execz .LBB55_316
; %bb.320:                              ;   in Loop: Header=BB55_318 Depth=1
	v_lshl_add_u64 v[0:1], v[2:3], 0, s[80:81]
	v_cmp_le_i64_e32 vcc, s[60:61], v[0:1]
	s_mov_b64 s[2:3], exec
	v_lshl_add_u64 v[12:13], v[12:13], 0, s[86:87]
	s_orn2_b64 s[20:21], vcc, exec
	s_branch .LBB55_316
.LBB55_321:
	s_or_b64 exec, exec, s[8:9]
	s_xor_b64 s[2:3], s[12:13], -1
	s_and_saveexec_b64 s[8:9], s[2:3]
	s_xor_b64 s[8:9], exec, s[8:9]
	s_cbranch_execz .LBB55_326
; %bb.322:
	s_mov_b64 s[2:3], exec
	s_brev_b32 s8, -2
.LBB55_323:                             ; =>This Inner Loop Header: Depth=1
	s_ff1_i32_b64 s9, s[2:3]
	v_readlane_b32 s12, v2, s9
	s_lshl_b64 s[10:11], 1, s9
	s_min_i32 s8, s8, s12
	s_andn2_b64 s[2:3], s[2:3], s[10:11]
	s_cmp_lg_u64 s[2:3], 0
	s_cbranch_scc1 .LBB55_323
; %bb.324:
	v_mbcnt_lo_u32_b32 v0, exec_lo, 0
	v_mbcnt_hi_u32_b32 v0, exec_hi, v0
	v_cmp_eq_u32_e32 vcc, 0, v0
	s_and_saveexec_b64 s[2:3], vcc
	s_xor_b64 s[2:3], exec, s[2:3]
; %bb.325:
	v_mov_b32_e32 v0, 0
	v_mov_b32_e32 v1, s8
	ds_min_i32 v0, v1 offset:5140
.LBB55_326:
	s_or_b64 exec, exec, s[6:7]
	s_waitcnt lgkmcnt(0)
	s_barrier
	s_mov_b64 s[2:3], exec
	v_readlane_b32 s6, v59, 10
	v_readlane_b32 s7, v59, 11
	s_and_b64 s[6:7], s[2:3], s[6:7]
	s_mov_b64 exec, s[6:7]
	s_cbranch_execz .LBB55_328
; %bb.327:
	v_readlane_b32 s10, v59, 0
	v_readlane_b32 s8, v59, 2
	;; [unrolled: 1-line block ×4, first 2 shown]
	s_mul_i32 s6, s8, s11
	s_mul_hi_u32 s7, s8, s10
	s_add_i32 s6, s7, s6
	s_mul_i32 s7, s9, s10
	s_add_i32 s7, s6, s7
	s_mul_i32 s6, s8, s10
	v_readlane_b32 s10, v59, 4
	v_readlane_b32 s11, v59, 5
	s_mul_i32 s8, s10, s73
	s_mul_hi_u32 s9, s10, s72
	s_add_i32 s8, s9, s8
	s_mul_i32 s9, s11, s72
	s_add_i32 s9, s8, s9
	s_mul_i32 s8, s10, s72
	s_lshl_b64 s[6:7], s[6:7], 2
	v_readlane_b32 s10, v59, 6
	v_readlane_b32 s11, v59, 7
	s_add_u32 s10, s10, s6
	s_addc_u32 s11, s11, s7
	s_lshl_b64 s[6:7], s[58:59], 2
	v_mov_b32_e32 v2, 0
	s_add_u32 s6, s10, s6
	ds_read_b32 v0, v2 offset:5140
	s_addc_u32 s7, s11, s7
	s_lshl_b64 s[8:9], s[8:9], 3
	v_readlane_b32 s10, v59, 8
	v_readlane_b32 s11, v59, 9
	s_add_u32 s10, s10, s8
	s_addc_u32 s11, s11, s9
	s_lshl_b64 s[8:9], s[68:69], 3
	s_add_u32 s8, s10, s8
	s_addc_u32 s9, s11, s9
	s_waitcnt lgkmcnt(0)
	v_ashrrev_i32_e32 v1, 31, v0
	global_store_dwordx2 v2, v[0:1], s[8:9]
	global_store_dword v2, v37, s[6:7]
.LBB55_328:
	s_or_b64 exec, exec, s[2:3]
.LBB55_329:
	s_or_saveexec_b64 s[2:3], s[4:5]
	s_mov_b64 s[4:5], 0
	s_xor_b64 exec, exec, s[2:3]
	s_cbranch_execnz .LBB55_332
.LBB55_330:
	s_or_b64 exec, exec, s[2:3]
	s_and_b64 s[2:3], s[4:5], exec
	s_andn2_saveexec_b64 s[0:1], s[0:1]
	s_cbranch_execz .LBB55_306
.LBB55_331:
	s_or_b64 s[2:3], s[2:3], exec
	s_trap 2
	s_or_b64 exec, exec, s[0:1]
	s_and_saveexec_b64 s[0:1], s[2:3]
	s_cbranch_execnz .LBB55_307
	s_branch .LBB55_308
.LBB55_332:
	s_mov_b64 s[4:5], exec
	s_trap 2
	s_branch .LBB55_330
	.section	.rodata,"a",@progbits
	.p2align	6, 0x0
	.amdhsa_kernel _ZN2at6native12_GLOBAL__N_114gatherKthValueIflLin1EEEvNS_4cuda6detail10TensorInfoIKT_T0_EES8_S8_S8_S8_NS5_IS6_S8_EENS5_IlS8_EE
		.amdhsa_group_segment_fixed_size 5144
		.amdhsa_private_segment_fixed_size 0
		.amdhsa_kernarg_size 1536
		.amdhsa_user_sgpr_count 2
		.amdhsa_user_sgpr_dispatch_ptr 0
		.amdhsa_user_sgpr_queue_ptr 0
		.amdhsa_user_sgpr_kernarg_segment_ptr 1
		.amdhsa_user_sgpr_dispatch_id 0
		.amdhsa_user_sgpr_kernarg_preload_length 0
		.amdhsa_user_sgpr_kernarg_preload_offset 0
		.amdhsa_user_sgpr_private_segment_size 0
		.amdhsa_uses_dynamic_stack 0
		.amdhsa_enable_private_segment 0
		.amdhsa_system_sgpr_workgroup_id_x 1
		.amdhsa_system_sgpr_workgroup_id_y 1
		.amdhsa_system_sgpr_workgroup_id_z 1
		.amdhsa_system_sgpr_workgroup_info 0
		.amdhsa_system_vgpr_workitem_id 0
		.amdhsa_next_free_vgpr 66
		.amdhsa_next_free_sgpr 100
		.amdhsa_accum_offset 68
		.amdhsa_reserve_vcc 1
		.amdhsa_float_round_mode_32 0
		.amdhsa_float_round_mode_16_64 0
		.amdhsa_float_denorm_mode_32 3
		.amdhsa_float_denorm_mode_16_64 3
		.amdhsa_dx10_clamp 1
		.amdhsa_ieee_mode 1
		.amdhsa_fp16_overflow 0
		.amdhsa_tg_split 0
		.amdhsa_exception_fp_ieee_invalid_op 0
		.amdhsa_exception_fp_denorm_src 0
		.amdhsa_exception_fp_ieee_div_zero 0
		.amdhsa_exception_fp_ieee_overflow 0
		.amdhsa_exception_fp_ieee_underflow 0
		.amdhsa_exception_fp_ieee_inexact 0
		.amdhsa_exception_int_div_zero 0
	.end_amdhsa_kernel
	.section	.text._ZN2at6native12_GLOBAL__N_114gatherKthValueIflLin1EEEvNS_4cuda6detail10TensorInfoIKT_T0_EES8_S8_S8_S8_NS5_IS6_S8_EENS5_IlS8_EE,"axG",@progbits,_ZN2at6native12_GLOBAL__N_114gatherKthValueIflLin1EEEvNS_4cuda6detail10TensorInfoIKT_T0_EES8_S8_S8_S8_NS5_IS6_S8_EENS5_IlS8_EE,comdat
.Lfunc_end55:
	.size	_ZN2at6native12_GLOBAL__N_114gatherKthValueIflLin1EEEvNS_4cuda6detail10TensorInfoIKT_T0_EES8_S8_S8_S8_NS5_IS6_S8_EENS5_IlS8_EE, .Lfunc_end55-_ZN2at6native12_GLOBAL__N_114gatherKthValueIflLin1EEEvNS_4cuda6detail10TensorInfoIKT_T0_EES8_S8_S8_S8_NS5_IS6_S8_EENS5_IlS8_EE
                                        ; -- End function
	.set _ZN2at6native12_GLOBAL__N_114gatherKthValueIflLin1EEEvNS_4cuda6detail10TensorInfoIKT_T0_EES8_S8_S8_S8_NS5_IS6_S8_EENS5_IlS8_EE.num_vgpr, 66
	.set _ZN2at6native12_GLOBAL__N_114gatherKthValueIflLin1EEEvNS_4cuda6detail10TensorInfoIKT_T0_EES8_S8_S8_S8_NS5_IS6_S8_EENS5_IlS8_EE.num_agpr, 0
	.set _ZN2at6native12_GLOBAL__N_114gatherKthValueIflLin1EEEvNS_4cuda6detail10TensorInfoIKT_T0_EES8_S8_S8_S8_NS5_IS6_S8_EENS5_IlS8_EE.numbered_sgpr, 100
	.set _ZN2at6native12_GLOBAL__N_114gatherKthValueIflLin1EEEvNS_4cuda6detail10TensorInfoIKT_T0_EES8_S8_S8_S8_NS5_IS6_S8_EENS5_IlS8_EE.num_named_barrier, 0
	.set _ZN2at6native12_GLOBAL__N_114gatherKthValueIflLin1EEEvNS_4cuda6detail10TensorInfoIKT_T0_EES8_S8_S8_S8_NS5_IS6_S8_EENS5_IlS8_EE.private_seg_size, 0
	.set _ZN2at6native12_GLOBAL__N_114gatherKthValueIflLin1EEEvNS_4cuda6detail10TensorInfoIKT_T0_EES8_S8_S8_S8_NS5_IS6_S8_EENS5_IlS8_EE.uses_vcc, 1
	.set _ZN2at6native12_GLOBAL__N_114gatherKthValueIflLin1EEEvNS_4cuda6detail10TensorInfoIKT_T0_EES8_S8_S8_S8_NS5_IS6_S8_EENS5_IlS8_EE.uses_flat_scratch, 0
	.set _ZN2at6native12_GLOBAL__N_114gatherKthValueIflLin1EEEvNS_4cuda6detail10TensorInfoIKT_T0_EES8_S8_S8_S8_NS5_IS6_S8_EENS5_IlS8_EE.has_dyn_sized_stack, 0
	.set _ZN2at6native12_GLOBAL__N_114gatherKthValueIflLin1EEEvNS_4cuda6detail10TensorInfoIKT_T0_EES8_S8_S8_S8_NS5_IS6_S8_EENS5_IlS8_EE.has_recursion, 0
	.set _ZN2at6native12_GLOBAL__N_114gatherKthValueIflLin1EEEvNS_4cuda6detail10TensorInfoIKT_T0_EES8_S8_S8_S8_NS5_IS6_S8_EENS5_IlS8_EE.has_indirect_call, 0
	.section	.AMDGPU.csdata,"",@progbits
; Kernel info:
; codeLenInByte = 19596
; TotalNumSgprs: 106
; NumVgprs: 66
; NumAgprs: 0
; TotalNumVgprs: 66
; ScratchSize: 0
; MemoryBound: 0
; FloatMode: 240
; IeeeMode: 1
; LDSByteSize: 5144 bytes/workgroup (compile time only)
; SGPRBlocks: 13
; VGPRBlocks: 8
; NumSGPRsForWavesPerEU: 106
; NumVGPRsForWavesPerEU: 66
; AccumOffset: 68
; Occupancy: 7
; WaveLimiterHint : 1
; COMPUTE_PGM_RSRC2:SCRATCH_EN: 0
; COMPUTE_PGM_RSRC2:USER_SGPR: 2
; COMPUTE_PGM_RSRC2:TRAP_HANDLER: 0
; COMPUTE_PGM_RSRC2:TGID_X_EN: 1
; COMPUTE_PGM_RSRC2:TGID_Y_EN: 1
; COMPUTE_PGM_RSRC2:TGID_Z_EN: 1
; COMPUTE_PGM_RSRC2:TIDIG_COMP_CNT: 0
; COMPUTE_PGM_RSRC3_GFX90A:ACCUM_OFFSET: 16
; COMPUTE_PGM_RSRC3_GFX90A:TG_SPLIT: 0
	.section	.text._ZN2at6native12_GLOBAL__N_114gatherKthValueIN3c104HalfEiLi1EEEvNS_4cuda6detail10TensorInfoIKT_T0_EESA_SA_SA_SA_NS7_IS8_SA_EENS7_IlSA_EE,"axG",@progbits,_ZN2at6native12_GLOBAL__N_114gatherKthValueIN3c104HalfEiLi1EEEvNS_4cuda6detail10TensorInfoIKT_T0_EESA_SA_SA_SA_NS7_IS8_SA_EENS7_IlSA_EE,comdat
	.globl	_ZN2at6native12_GLOBAL__N_114gatherKthValueIN3c104HalfEiLi1EEEvNS_4cuda6detail10TensorInfoIKT_T0_EESA_SA_SA_SA_NS7_IS8_SA_EENS7_IlSA_EE ; -- Begin function _ZN2at6native12_GLOBAL__N_114gatherKthValueIN3c104HalfEiLi1EEEvNS_4cuda6detail10TensorInfoIKT_T0_EESA_SA_SA_SA_NS7_IS8_SA_EENS7_IlSA_EE
	.p2align	8
	.type	_ZN2at6native12_GLOBAL__N_114gatherKthValueIN3c104HalfEiLi1EEEvNS_4cuda6detail10TensorInfoIKT_T0_EESA_SA_SA_SA_NS7_IS8_SA_EENS7_IlSA_EE,@function
_ZN2at6native12_GLOBAL__N_114gatherKthValueIN3c104HalfEiLi1EEEvNS_4cuda6detail10TensorInfoIKT_T0_EESA_SA_SA_SA_NS7_IS8_SA_EENS7_IlSA_EE: ; @_ZN2at6native12_GLOBAL__N_114gatherKthValueIN3c104HalfEiLi1EEEvNS_4cuda6detail10TensorInfoIKT_T0_EESA_SA_SA_SA_NS7_IS8_SA_EENS7_IlSA_EE
; %bb.0:
	s_load_dwordx2 s[12:13], s[0:1], 0x298
	s_load_dwordx4 s[60:63], s[0:1], 0xd8
	s_add_u32 s10, s0, 0x298
	s_addc_u32 s11, s1, 0
	s_waitcnt lgkmcnt(0)
	s_mul_i32 s4, s13, s4
	s_add_i32 s3, s4, s3
	s_mul_i32 s3, s3, s12
	s_add_i32 s13, s3, s2
	s_cmp_ge_i32 s13, s62
	s_cbranch_scc1 .LBB56_245
; %bb.1:
	s_load_dwordx2 s[4:5], s[0:1], 0x1c0
                                        ; implicit-def: $vgpr56 : SGPR spill to VGPR lane
	v_cmp_eq_u32_e64 s[18:19], 0, v0
	s_waitcnt lgkmcnt(0)
	v_writelane_b32 v56, s4, 0
	s_nop 1
	v_writelane_b32 v56, s5, 1
	s_load_dwordx2 s[4:5], s[0:1], 0xe8
	s_waitcnt lgkmcnt(0)
	v_writelane_b32 v56, s4, 2
	s_nop 1
	v_writelane_b32 v56, s5, 3
	s_load_dword s3, s[0:1], 0x6c
	s_load_dwordx2 s[4:5], s[0:1], 0x0
	s_and_saveexec_b64 s[6:7], s[18:19]
; %bb.2:
	v_mov_b32_e32 v2, 0
	v_mov_b32_e32 v3, s60
	;; [unrolled: 1-line block ×3, first 2 shown]
	ds_write_b96 v2, v[2:4] offset:4096
; %bb.3:
	s_or_b64 exec, exec, s[6:7]
	s_load_dword s6, s[0:1], 0x22c
                                        ; kill: killed $sgpr0 killed $sgpr1
	s_waitcnt lgkmcnt(0)
	s_barrier
	v_mbcnt_lo_u32_b32 v1, -1, 0
	v_writelane_b32 v56, s6, 4
	s_load_dword s6, s[0:1], 0x154
	s_mul_i32 s0, s3, s13
	s_load_dword s3, s[10:11], 0xc
	s_ashr_i32 s1, s0, 31
	s_lshl_b64 s[0:1], s[0:1], 1
	s_add_u32 s68, s4, s0
	s_addc_u32 s69, s5, s1
	s_waitcnt lgkmcnt(0)
	s_and_b32 s62, s3, 0xffff
	v_mbcnt_hi_u32_b32 v20, -1, v1
	v_writelane_b32 v56, s6, 5
	v_cmp_gt_u32_e32 vcc, 64, v0
	v_cmp_gt_i32_e64 s[4:5], 4, v20
	s_add_i32 s6, s62, -1
	v_writelane_b32 v56, s13, 6
	s_lshl_b32 s71, s62, 2
	s_and_b64 s[72:73], vcc, s[4:5]
	s_add_i32 s80, s6, s60
	v_writelane_b32 v56, s6, 7
	s_cmpk_gt_i32 s60, 0x600
	v_cmp_gt_u32_e64 s[6:7], s60, v0
	s_cselect_b64 s[74:75], -1, 0
	s_cmp_gt_u32 s62, 63
	v_writelane_b32 v56, s6, 8
	s_cselect_b64 s[76:77], -1, 0
	s_cmp_lt_u32 s2, s12
	v_writelane_b32 v56, s7, 9
	v_cmp_gt_i32_e64 s[6:7], s60, v0
	s_cselect_b32 s2, 12, 18
	v_lshlrev_b64 v[2:3], v20, -1
	v_writelane_b32 v56, s6, 10
	v_not_b32_e32 v12, v2
	v_lshrrev_b32_e32 v2, 2, v0
	v_writelane_b32 v56, s7, 11
	s_add_u32 s6, s10, s2
	s_addc_u32 s7, s11, 0
	v_writelane_b32 v56, s6, 12
	v_and_b32_e32 v2, 0xf0, v2
	v_or_b32_e32 v23, 0xc00, v2
	v_writelane_b32 v56, s7, 13
	s_bfe_u32 s6, s3, 0xa0006
	s_add_i32 s2, s6, -2
	s_lshr_b32 s3, s2, 1
	s_add_i32 s3, s3, 1
	s_cmpk_gt_u32 s62, 0x7f
	s_cselect_b64 s[8:9], -1, 0
	v_writelane_b32 v56, s8, 14
	v_cvt_f32_u32_e32 v2, s71
	s_and_b32 s7, s6, 0x3fe
	v_writelane_b32 v56, s9, 15
	s_and_b32 s8, s3, 7
	s_cmp_gt_u32 s2, 13
	s_cselect_b64 s[10:11], -1, 0
	v_writelane_b32 v56, s10, 16
	v_rcp_iflag_f32_e32 v2, v2
	s_and_b32 s2, s3, -8
	v_writelane_b32 v56, s11, 17
	v_writelane_b32 v56, s2, 18
	s_cmp_lg_u32 s8, 0
	v_writelane_b32 v56, s8, 19
	s_cselect_b64 s[2:3], -1, 0
	v_writelane_b32 v56, s2, 20
	v_mul_f32_e32 v2, 0x4f7ffffe, v2
	v_cvt_u32_f32_e32 v2, v2
	v_writelane_b32 v56, s3, 21
	v_writelane_b32 v56, s6, 22
	s_cmp_lg_u32 s7, s6
	v_writelane_b32 v56, s7, 23
	s_cselect_b64 s[2:3], -1, 0
	v_writelane_b32 v56, s2, 24
	v_not_b32_e32 v1, v3
	v_cvt_f32_u32_e32 v3, s62
	v_writelane_b32 v56, s3, 25
	s_sub_i32 s2, 0, s71
	v_readfirstlane_b32 s3, v2
	s_mul_i32 s2, s2, s3
	s_mul_hi_u32 s2, s3, s2
	s_add_i32 s7, s3, s2
	s_mul_hi_u32 s2, s60, s7
	s_mul_i32 s2, s2, s71
	s_sub_i32 s2, s60, s2
	s_sub_i32 s3, s2, s71
	s_cmp_ge_u32 s2, s71
	s_cselect_b32 s2, s3, s2
	s_sub_i32 s3, s2, s71
	s_cmp_ge_u32 s2, s71
	s_cselect_b32 s2, s3, s2
	s_sub_i32 s8, s60, s2
	v_rcp_iflag_f32_e32 v5, v3
	v_add_u32_e32 v24, s8, v0
	v_mul_lo_u32 v2, v24, s63
	v_ashrrev_i32_e32 v3, 31, v2
	v_lshl_add_u64 v[14:15], v[2:3], 1, s[68:69]
	v_mul_f32_e32 v2, 0x4f7ffffe, v5
	v_cvt_u32_f32_e32 v2, v2
	s_sub_i32 s9, 0, s62
	s_abs_i32 s6, s80
	s_ashr_i32 s3, s80, 31
	v_readfirstlane_b32 s16, v2
	s_mul_i32 s9, s9, s16
	s_mul_hi_u32 s9, s16, s9
	s_add_i32 s9, s16, s9
	s_mul_hi_u32 s16, s6, s9
	s_mul_i32 s16, s16, s62
	s_sub_i32 s6, s6, s16
	s_sub_i32 s16, s6, s62
	s_cmp_ge_u32 s6, s62
	s_cselect_b32 s6, s16, s6
	s_sub_i32 s16, s6, s62
	s_cmp_ge_u32 s6, s62
	s_cselect_b32 s6, s16, s6
	v_lshlrev_b32_e32 v13, 2, v0
	s_xor_b32 s6, s6, s3
	s_sub_i32 s3, s3, s6
	v_mul_lo_u32 v2, s63, v13
	s_add_i32 s80, s80, s3
	v_add_u32_e32 v25, s63, v2
	v_or_b32_e32 v2, 2, v13
	v_cmp_gt_i32_e64 s[16:17], s80, v0
	v_mul_lo_u32 v26, s63, v2
	v_or_b32_e32 v2, 3, v13
	s_add_i32 s3, s62, s60
	v_mov_b32_e32 v9, 0
	v_writelane_b32 v56, s16, 26
	v_mul_lo_u32 v27, s63, v2
	v_add_u32_e32 v2, s3, v0
	s_mov_b32 s20, 0
	s_mov_b32 s21, 1
	v_lshlrev_b32_e32 v21, 1, v0
	v_mul_lo_u32 v6, s63, v0
	v_mov_b32_e32 v7, v9
	v_lshlrev_b32_e32 v4, 2, v20
	v_writelane_b32 v56, s17, 27
	s_mul_i32 s33, s63, s62
	v_subrev_u32_e32 v2, s2, v2
	s_mov_b32 s70, 0xffff
	v_cmp_eq_u32_e64 s[0:1], 0, v20
	v_cmp_gt_u32_e64 s[4:5], 2, v0
	v_add_u32_e32 v22, 0xc00, v21
	v_lshl_add_u64 v[10:11], v[6:7], 1, s[68:69]
	v_and_b32_e32 v7, 0x100, v4
	v_cmp_gt_i32_e64 s[10:11], s8, v13
	v_cmp_gt_u32_e64 s[12:13], s60, v24
	v_cmp_gt_i32_e64 s[14:15], s60, v24
	s_lshl_b32 s81, s33, 2
	v_lshlrev_b32_e32 v28, 2, v6
	v_mul_lo_u32 v30, s63, v2
	v_lshlrev_b32_e32 v31, 3, v0
	s_lshl_b32 s78, s62, 3
	s_lshl_b32 s79, s62, 1
	v_or_b32_e32 v32, 0xc00, v4
	s_mov_b64 s[88:89], 0
	v_mov_b32_e32 v34, 14
	v_mov_b32_e32 v41, s61
	;; [unrolled: 1-line block ×3, first 2 shown]
	s_movk_i32 s61, 0x3c00
	v_mov_b32_e32 v33, 0xffff
	v_mov_b32_e32 v35, 0x8000
	v_mov_b32_e32 v36, -1
	v_mov_b32_e32 v37, 0xc00
	v_mov_b32_e32 v38, 0x5040100
	;; [unrolled: 1-line block ×3, first 2 shown]
	v_writelane_b32 v56, s20, 28
	s_mov_b32 s16, s20
	v_mov_b32_e32 v29, 0
	v_mov_b32_e32 v39, 0
                                        ; implicit-def: $sgpr90_sgpr91
                                        ; implicit-def: $sgpr94_sgpr95
                                        ; implicit-def: $sgpr92_sgpr93
                                        ; implicit-def: $sgpr98_sgpr99
                                        ; implicit-def: $sgpr64_sgpr65
                                        ; implicit-def: $sgpr96_sgpr97
	v_writelane_b32 v56, s21, 29
	s_branch .LBB56_7
.LBB56_4:                               ;   in Loop: Header=BB56_7 Depth=1
	s_or_b64 exec, exec, s[30:31]
	s_and_b64 s[30:31], s[28:29], exec
	s_andn2_b64 s[26:27], s[26:27], exec
	s_andn2_b64 s[24:25], s[24:25], exec
	s_orn2_b64 s[20:21], s[20:21], exec
.LBB56_5:                               ;   in Loop: Header=BB56_7 Depth=1
	s_or_b64 exec, exec, s[22:23]
	s_andn2_b64 s[16:17], s[96:97], exec
	s_and_b64 s[22:23], s[30:31], exec
	s_or_b64 s[96:97], s[16:17], s[22:23]
	s_andn2_b64 s[16:17], s[64:65], exec
	s_and_b64 s[22:23], s[26:27], exec
	s_or_b64 s[64:65], s[16:17], s[22:23]
	;; [unrolled: 3-line block ×3, first 2 shown]
	s_orn2_b64 s[20:21], s[20:21], exec
.LBB56_6:                               ;   in Loop: Header=BB56_7 Depth=1
	s_or_b64 exec, exec, s[2:3]
	s_and_b64 s[2:3], exec, s[20:21]
	s_or_b64 s[88:89], s[2:3], s[88:89]
	s_andn2_b64 s[2:3], s[92:93], exec
	s_and_b64 s[16:17], s[96:97], exec
	s_or_b64 s[92:93], s[2:3], s[16:17]
	s_andn2_b64 s[2:3], s[94:95], exec
	s_and_b64 s[16:17], s[64:65], exec
	;; [unrolled: 3-line block ×3, first 2 shown]
	s_or_b64 s[90:91], s[2:3], s[16:17]
	s_mov_b32 s16, s6
	v_mov_b32_e32 v41, v16
	s_andn2_b64 exec, exec, s[88:89]
	s_cbranch_execz .LBB56_241
.LBB56_7:                               ; =>This Loop Header: Depth=1
                                        ;     Child Loop BB56_12 Depth 2
                                        ;     Child Loop BB56_27 Depth 2
	;; [unrolled: 1-line block ×17, first 2 shown]
	ds_read_b64 v[2:3], v9 offset:4096
	s_waitcnt lgkmcnt(0)
	v_readfirstlane_b32 s17, v2
	s_cmp_gt_i32 s17, 0
	s_cbranch_scc1 .LBB56_34
; %bb.8:                                ;   in Loop: Header=BB56_7 Depth=1
	s_and_b64 vcc, exec, s[74:75]
	s_cbranch_vccz .LBB56_20
; %bb.9:                                ;   in Loop: Header=BB56_7 Depth=1
	s_movk_i32 s2, 0x601
	v_cmp_gt_i32_e32 vcc, s2, v3
	s_mov_b64 s[20:21], 0
	s_mov_b64 s[2:3], 0
	s_cbranch_vccz .LBB56_21
; %bb.10:                               ;   in Loop: Header=BB56_7 Depth=1
	v_readlane_b32 s2, v56, 12
	v_readlane_b32 s3, v56, 13
	s_nop 4
	global_load_ushort v2, v9, s[2:3]
	global_load_ushort v4, v[10:11], off
	s_mov_b64 s[22:23], 0
	s_waitcnt vmcnt(1)
	v_add_u32_e32 v5, v0, v2
	v_mul_lo_u32 v3, s63, v2
	v_mul_lo_u32 v8, s63, v5
	v_mov_b32_e32 v5, v0
	s_branch .LBB56_12
.LBB56_11:                              ;   in Loop: Header=BB56_12 Depth=2
	s_or_b64 exec, exec, s[2:3]
	v_cmp_le_i32_e32 vcc, s60, v5
	v_add_u32_e32 v8, v8, v3
	s_or_b64 s[22:23], vcc, s[22:23]
	v_mov_b32_e32 v4, v16
	s_andn2_b64 exec, exec, s[22:23]
	s_cbranch_execz .LBB56_66
.LBB56_12:                              ;   Parent Loop BB56_7 Depth=1
                                        ; =>  This Inner Loop Header: Depth=2
	v_add_u32_e32 v5, v5, v2
	v_cmp_gt_u32_e32 vcc, s60, v5
	s_waitcnt lgkmcnt(0)
	v_mov_b32_e32 v17, 0
	v_mov_b32_e32 v16, 0
	s_and_saveexec_b64 s[2:3], vcc
	s_cbranch_execz .LBB56_14
; %bb.13:                               ;   in Loop: Header=BB56_12 Depth=2
	v_lshl_add_u64 v[18:19], v[8:9], 1, s[68:69]
	global_load_ushort v16, v[18:19], off
.LBB56_14:                              ;   in Loop: Header=BB56_12 Depth=2
	s_or_b64 exec, exec, s[2:3]
	s_waitcnt vmcnt(0)
	v_cmp_lt_i16_e32 vcc, -1, v4
	s_nop 1
	v_cndmask_b32_e32 v18, v33, v35, vcc
	v_xor_b32_sdwa v18, v18, v4 dst_sel:DWORD dst_unused:UNUSED_PAD src0_sel:DWORD src1_sel:WORD_0
	v_cmp_o_f16_e32 vcc, v4, v4
	s_nop 1
	v_cndmask_b32_e32 v18, v33, v18, vcc
	v_and_b32_e32 v18, v18, v39
	v_cmp_eq_u32_e32 vcc, v18, v29
	s_cmp_lg_u64 vcc, 0
	s_cselect_b64 s[2:3], -1, 0
	s_and_b64 s[2:3], s[0:1], s[2:3]
	s_and_saveexec_b64 s[24:25], s[2:3]
	s_cbranch_execz .LBB56_18
; %bb.15:                               ;   in Loop: Header=BB56_12 Depth=2
	s_mov_b64 s[28:29], exec
	v_mbcnt_lo_u32_b32 v17, s28, 0
	v_mbcnt_hi_u32_b32 v17, s29, v17
	s_bcnt1_i32_b64 s6, vcc
	v_cmp_eq_u32_e64 s[2:3], 0, v17
                                        ; implicit-def: $vgpr18
	s_and_saveexec_b64 s[26:27], s[2:3]
; %bb.16:                               ;   in Loop: Header=BB56_12 Depth=2
	s_bcnt1_i32_b64 s2, s[28:29]
	s_mul_i32 s2, s6, s2
	v_mov_b32_e32 v18, s2
	ds_add_rtn_u32 v18, v9, v18 offset:4104
; %bb.17:                               ;   in Loop: Header=BB56_12 Depth=2
	s_or_b64 exec, exec, s[26:27]
	s_waitcnt lgkmcnt(0)
	v_readfirstlane_b32 s2, v18
	s_nop 1
	v_mov_b32_e32 v18, s2
	v_mad_u32_u24 v17, s6, v17, v18
.LBB56_18:                              ;   in Loop: Header=BB56_12 Depth=2
	s_or_b64 exec, exec, s[24:25]
	ds_bpermute_b32 v17, v7, v17
	s_and_saveexec_b64 s[2:3], vcc
	s_cbranch_execz .LBB56_11
; %bb.19:                               ;   in Loop: Header=BB56_12 Depth=2
	v_and_b32_e32 v19, vcc_lo, v12
	v_and_b32_e32 v18, vcc_hi, v1
	v_bcnt_u32_b32 v19, v19, 0
	v_bcnt_u32_b32 v18, v18, v19
	v_lshlrev_b32_e32 v18, 1, v18
	s_waitcnt lgkmcnt(0)
	v_lshl_add_u32 v17, v17, 1, v18
	ds_write_b16 v17, v4
	s_branch .LBB56_11
.LBB56_20:                              ;   in Loop: Header=BB56_7 Depth=1
	s_mov_b64 s[20:21], -1
	s_mov_b64 s[2:3], 0
.LBB56_21:                              ;   in Loop: Header=BB56_7 Depth=1
	s_and_b64 vcc, exec, s[20:21]
	s_cbranch_vccz .LBB56_32
.LBB56_22:                              ;   in Loop: Header=BB56_7 Depth=1
	v_mov_b32_e32 v2, 0
	s_mov_b64 s[2:3], exec
	v_readlane_b32 s20, v56, 8
	v_readlane_b32 s21, v56, 9
	s_and_b64 s[20:21], s[2:3], s[20:21]
	s_mov_b64 exec, s[20:21]
	s_cbranch_execz .LBB56_24
; %bb.23:                               ;   in Loop: Header=BB56_7 Depth=1
	global_load_ushort v2, v[10:11], off
.LBB56_24:                              ;   in Loop: Header=BB56_7 Depth=1
	s_or_b64 exec, exec, s[2:3]
	s_mov_b64 s[2:3], exec
	v_readlane_b32 s20, v56, 10
	v_readlane_b32 s21, v56, 11
	s_and_b64 s[20:21], s[2:3], s[20:21]
	s_mov_b64 exec, s[20:21]
	s_cbranch_execz .LBB56_29
; %bb.25:                               ;   in Loop: Header=BB56_7 Depth=1
	v_readlane_b32 s20, v56, 12
	v_readlane_b32 s21, v56, 13
	v_mov_b32_e32 v4, v21
	v_mov_b32_e32 v17, v0
	s_nop 2
	global_load_ushort v3, v9, s[20:21]
	s_mov_b64 s[20:21], 0
	s_waitcnt vmcnt(0)
	v_add_u32_e32 v8, v0, v3
	v_lshlrev_b32_e32 v5, 1, v3
	v_mul_lo_u32 v16, s63, v3
	v_mul_lo_u32 v8, s63, v8
	s_branch .LBB56_27
.LBB56_26:                              ;   in Loop: Header=BB56_27 Depth=2
	s_or_b64 exec, exec, s[22:23]
	v_cmp_le_i32_e32 vcc, s60, v17
	ds_write_b16 v4, v2
	v_add_u32_e32 v4, v4, v5
	v_add_u32_e32 v8, v8, v16
	s_or_b64 s[20:21], vcc, s[20:21]
	s_waitcnt vmcnt(0)
	v_mov_b32_e32 v2, v18
	s_andn2_b64 exec, exec, s[20:21]
	s_cbranch_execz .LBB56_29
.LBB56_27:                              ;   Parent Loop BB56_7 Depth=1
                                        ; =>  This Inner Loop Header: Depth=2
	v_add_u32_e32 v17, v17, v3
	v_cmp_gt_u32_e32 vcc, s60, v17
	v_mov_b32_e32 v18, 0
	s_and_saveexec_b64 s[22:23], vcc
	s_cbranch_execz .LBB56_26
; %bb.28:                               ;   in Loop: Header=BB56_27 Depth=2
	v_lshl_add_u64 v[18:19], v[8:9], 1, s[68:69]
	global_load_ushort v18, v[18:19], off
	s_branch .LBB56_26
.LBB56_29:                              ;   in Loop: Header=BB56_7 Depth=1
	s_or_b64 exec, exec, s[2:3]
	s_waitcnt lgkmcnt(0)
	s_barrier
	s_and_saveexec_b64 s[2:3], s[18:19]
; %bb.30:                               ;   in Loop: Header=BB56_7 Depth=1
	ds_write_b32 v9, v42 offset:4096
; %bb.31:                               ;   in Loop: Header=BB56_7 Depth=1
	s_or_b64 exec, exec, s[2:3]
	s_mov_b64 s[2:3], -1
	s_waitcnt lgkmcnt(0)
	s_barrier
.LBB56_32:                              ;   in Loop: Header=BB56_7 Depth=1
	s_and_b64 vcc, exec, s[2:3]
	s_cbranch_vccz .LBB56_34
; %bb.33:                               ;   in Loop: Header=BB56_7 Depth=1
	s_waitcnt vmcnt(0)
	ds_read_b32 v2, v9 offset:4096
	s_waitcnt lgkmcnt(0)
	v_readfirstlane_b32 s17, v2
.LBB56_34:                              ;   in Loop: Header=BB56_7 Depth=1
	s_cmp_lt_i32 s17, 1
	s_mov_b64 s[2:3], -1
                                        ; implicit-def: $vgpr4_vgpr5
	s_cbranch_scc1 .LBB56_44
; %bb.35:                               ;   in Loop: Header=BB56_7 Depth=1
	s_and_b64 vcc, exec, s[2:3]
	s_cbranch_vccnz .LBB56_57
.LBB56_36:                              ;   in Loop: Header=BB56_7 Depth=1
	s_lshl_b32 s6, s16, 6
	s_and_saveexec_b64 s[2:3], s[0:1]
	s_cbranch_execz .LBB56_38
.LBB56_37:                              ;   in Loop: Header=BB56_7 Depth=1
	v_lshl_add_u32 v8, s6, 2, v23
	s_waitcnt vmcnt(0)
	ds_write_b128 v8, v[2:5]
.LBB56_38:                              ;   in Loop: Header=BB56_7 Depth=1
	s_or_b64 exec, exec, s[2:3]
	s_waitcnt lgkmcnt(0)
	s_barrier
	s_and_saveexec_b64 s[2:3], s[72:73]
	s_cbranch_execz .LBB56_77
; %bb.39:                               ;   in Loop: Header=BB56_7 Depth=1
	v_add_u32_e32 v4, s6, v20
	s_andn2_b64 vcc, exec, s[76:77]
	s_waitcnt vmcnt(0)
	v_mov_b32_e32 v2, 0
	s_cbranch_vccnz .LBB56_76
; %bb.40:                               ;   in Loop: Header=BB56_7 Depth=1
	v_readlane_b32 s20, v56, 14
	v_readlane_b32 s21, v56, 15
	s_andn2_b64 vcc, exec, s[20:21]
	s_cbranch_vccnz .LBB56_69
; %bb.41:                               ;   in Loop: Header=BB56_7 Depth=1
	v_readlane_b32 s20, v56, 16
	v_readlane_b32 s21, v56, 17
	s_andn2_b64 vcc, exec, s[20:21]
	v_lshl_add_u32 v5, v4, 2, v37
	s_cbranch_vccnz .LBB56_70
; %bb.42:                               ;   in Loop: Header=BB56_7 Depth=1
	s_mov_b32 s21, 1
	s_mov_b32 s20, 0
	v_mov_b32_e32 v2, 0
	v_mov_b32_e32 v3, 0
	v_readlane_b32 s17, v56, 18
.LBB56_43:                              ;   Parent Loop BB56_7 Depth=1
                                        ; =>  This Inner Loop Header: Depth=2
	v_lshl_add_u32 v8, s20, 4, v5
	v_lshl_add_u32 v43, s21, 4, v5
	ds_read2_b32 v[16:17], v8 offset1:8
	ds_read2_b32 v[18:19], v43 offset1:8
	ds_read2_b32 v[44:45], v8 offset0:16 offset1:24
	ds_read2_b32 v[46:47], v43 offset0:16 offset1:24
	;; [unrolled: 1-line block ×6, first 2 shown]
	s_waitcnt lgkmcnt(7)
	v_add3_u32 v2, v16, v2, v17
	s_waitcnt lgkmcnt(6)
	v_add3_u32 v3, v18, v3, v19
	;; [unrolled: 2-line block ×3, first 2 shown]
	v_add3_u32 v2, v44, v2, v45
	s_add_i32 s21, s21, 16
	s_add_i32 s20, s20, 16
	s_add_i32 s17, s17, -8
	s_waitcnt lgkmcnt(3)
	v_add3_u32 v2, v48, v2, v49
	s_waitcnt lgkmcnt(2)
	v_add3_u32 v3, v50, v3, v51
	s_cmp_lg_u32 s17, 0
	s_waitcnt lgkmcnt(0)
	v_add3_u32 v3, v54, v3, v55
	v_add3_u32 v2, v52, v2, v53
	s_cbranch_scc1 .LBB56_43
	s_branch .LBB56_71
.LBB56_44:                              ;   in Loop: Header=BB56_7 Depth=1
	v_mov_b32_e32 v8, v9
	v_mov_b64_e32 v[4:5], v[8:9]
	s_waitcnt vmcnt(0)
	v_mov_b64_e32 v[2:3], v[8:9]
	s_and_saveexec_b64 s[66:67], s[10:11]
	s_cbranch_execnz .LBB56_47
; %bb.45:                               ;   in Loop: Header=BB56_7 Depth=1
	s_or_b64 exec, exec, s[66:67]
	v_mov_b32_e32 v18, 0
	s_and_saveexec_b64 s[2:3], s[12:13]
	s_cbranch_execnz .LBB56_50
.LBB56_46:                              ;   in Loop: Header=BB56_7 Depth=1
	s_or_b64 exec, exec, s[2:3]
	s_and_saveexec_b64 s[20:21], s[14:15]
	s_cbranch_execnz .LBB56_51
	s_branch .LBB56_56
.LBB56_47:                              ;   in Loop: Header=BB56_7 Depth=1
	s_mov_b32 s6, 0
	s_mov_b64 s[82:83], 0
	v_mov_b32_e32 v8, v13
	s_mov_b32 s84, 0
	s_mov_b32 s85, s6
	;; [unrolled: 1-line block ×4, first 2 shown]
.LBB56_48:                              ;   Parent Loop BB56_7 Depth=1
                                        ; =>  This Inner Loop Header: Depth=2
	v_add_u32_e32 v2, s6, v28
	v_add_u32_e32 v4, s6, v25
	;; [unrolled: 1-line block ×4, first 2 shown]
	v_ashrrev_i32_e32 v3, 31, v2
	v_ashrrev_i32_e32 v5, 31, v4
	v_ashrrev_i32_e32 v17, 31, v16
	v_ashrrev_i32_e32 v19, 31, v18
	v_lshl_add_u64 v[2:3], v[2:3], 1, s[68:69]
	v_lshl_add_u64 v[4:5], v[4:5], 1, s[68:69]
	;; [unrolled: 1-line block ×4, first 2 shown]
	global_load_ushort v2, v[2:3], off
	s_nop 0
	global_load_ushort v3, v[4:5], off
	s_nop 0
	global_load_ushort v4, v[16:17], off
	global_load_ushort v5, v[18:19], off
	v_add_u32_e32 v8, s71, v8
	s_add_i32 s6, s6, s81
	v_cmp_le_i32_e32 vcc, s8, v8
	s_waitcnt vmcnt(3)
	v_cmp_lt_i16_e64 s[2:3], -1, v2
	s_nop 1
	v_cndmask_b32_e64 v16, v33, v35, s[2:3]
	s_waitcnt vmcnt(2)
	v_cmp_lt_i16_e64 s[2:3], -1, v3
	s_waitcnt vmcnt(1)
	v_cmp_o_f16_e64 s[20:21], v4, v4
	s_waitcnt vmcnt(0)
	v_cmp_o_f16_e64 s[22:23], v5, v5
	v_cndmask_b32_e64 v17, v33, v35, s[2:3]
	v_cmp_lt_i16_e64 s[2:3], -1, v4
	v_xor_b32_sdwa v17, v17, v3 dst_sel:DWORD dst_unused:UNUSED_PAD src0_sel:DWORD src1_sel:WORD_0
	v_cmp_o_f16_e64 s[24:25], v2, v2
	v_cndmask_b32_e64 v18, v33, v35, s[2:3]
	v_cmp_lt_i16_e64 s[2:3], -1, v5
	s_nop 1
	v_cndmask_b32_e64 v19, v33, v35, s[2:3]
	v_cmp_o_f16_e64 s[2:3], v3, v3
	v_xor_b32_sdwa v3, v18, v4 dst_sel:DWORD dst_unused:UNUSED_PAD src0_sel:DWORD src1_sel:WORD_0
	v_xor_b32_sdwa v4, v19, v5 dst_sel:DWORD dst_unused:UNUSED_PAD src0_sel:DWORD src1_sel:WORD_0
	;; [unrolled: 1-line block ×3, first 2 shown]
	v_cndmask_b32_e64 v2, v33, v5, s[24:25]
	v_cndmask_b32_e64 v5, v33, v17, s[2:3]
	v_and_b32_e32 v16, v2, v39
	v_bfe_u32 v2, v2, v34, 2
	v_cndmask_b32_e64 v3, v33, v3, s[20:21]
	v_and_b32_e32 v17, v5, v39
	v_bfe_u32 v5, v5, v34, 2
	v_cmp_eq_u32_e64 s[2:3], v16, v29
	v_cmp_eq_u32_e64 s[26:27], 0, v2
	v_cndmask_b32_e64 v4, v33, v4, s[22:23]
	v_and_b32_e32 v18, v3, v39
	v_bfe_u32 v3, v3, v34, 2
	v_cmp_eq_u32_e64 s[20:21], v17, v29
	v_cmp_eq_u32_e64 s[28:29], 0, v5
	s_and_b64 s[26:27], s[2:3], s[26:27]
	v_and_b32_e32 v19, v4, v39
	v_bfe_u32 v4, v4, v34, 2
	v_cmp_eq_u32_e64 s[22:23], v18, v29
	v_cmp_eq_u32_e64 s[30:31], 0, v3
	v_cmp_eq_u32_e64 s[36:37], 1, v2
	v_cmp_eq_u32_e64 s[44:45], 2, v2
	v_cmp_eq_u32_e64 s[52:53], 3, v2
	v_cndmask_b32_e64 v2, 0, 1, s[26:27]
	s_and_b64 s[26:27], s[20:21], s[28:29]
	v_cmp_eq_u32_e64 s[24:25], v19, v29
	v_cmp_eq_u32_e64 s[34:35], 0, v4
	v_cmp_eq_u32_e64 s[40:41], 1, v3
	v_cmp_eq_u32_e64 s[48:49], 2, v3
	v_cmp_eq_u32_e64 s[56:57], 3, v3
	v_cndmask_b32_e64 v3, 0, 1, s[26:27]
	s_and_b64 s[26:27], s[22:23], s[30:31]
	v_cmp_eq_u32_e64 s[42:43], 1, v4
	v_cmp_eq_u32_e64 s[50:51], 2, v4
	;; [unrolled: 1-line block ×3, first 2 shown]
	v_cndmask_b32_e64 v4, 0, 1, s[26:27]
	s_and_b64 s[26:27], s[24:25], s[34:35]
	v_cmp_eq_u32_e64 s[38:39], 1, v5
	v_cmp_eq_u32_e64 s[46:47], 2, v5
	;; [unrolled: 1-line block ×3, first 2 shown]
	v_cndmask_b32_e64 v5, 0, 1, s[26:27]
	s_and_b64 s[26:27], s[2:3], s[36:37]
	v_cndmask_b32_e64 v16, 0, 1, s[26:27]
	s_and_b64 s[26:27], s[20:21], s[38:39]
	;; [unrolled: 2-line block ×5, first 2 shown]
	s_and_b64 s[2:3], s[2:3], s[52:53]
	v_cndmask_b32_e64 v43, 0, 1, s[26:27]
	s_and_b64 s[26:27], s[20:21], s[46:47]
	v_cndmask_b32_e64 v47, 0, 1, s[2:3]
	;; [unrolled: 2-line block ×7, first 2 shown]
	v_cndmask_b32_e64 v50, 0, 1, s[2:3]
	v_cmp_ne_u32_e64 s[2:3], 0, v2
	v_cmp_ne_u32_e64 s[20:21], 0, v3
	;; [unrolled: 1-line block ×11, first 2 shown]
	s_bcnt1_i32_b64 s2, s[2:3]
	s_bcnt1_i32_b64 s3, s[20:21]
	;; [unrolled: 1-line block ×8, first 2 shown]
	v_cmp_ne_u32_e64 s[34:35], 0, v19
	v_cmp_ne_u32_e64 s[40:41], 0, v45
	;; [unrolled: 1-line block ×3, first 2 shown]
	s_bcnt1_i32_b64 s23, s[28:29]
	s_bcnt1_i32_b64 s27, s[38:39]
	;; [unrolled: 1-line block ×3, first 2 shown]
	s_add_i32 s2, s84, s2
	s_add_i32 s22, s85, s22
	s_add_i32 s26, s86, s26
	s_add_i32 s30, s87, s30
	v_cmp_ne_u32_e64 s[42:43], 0, v46
	v_cmp_ne_u32_e64 s[50:51], 0, v50
	s_bcnt1_i32_b64 s25, s[34:35]
	s_bcnt1_i32_b64 s28, s[40:41]
	;; [unrolled: 1-line block ×3, first 2 shown]
	s_add_i32 s22, s22, s23
	s_add_i32 s2, s2, s3
	;; [unrolled: 1-line block ×4, first 2 shown]
	s_bcnt1_i32_b64 s29, s[42:43]
	s_bcnt1_i32_b64 s35, s[50:51]
	s_add_i32 s2, s2, s20
	s_add_i32 s20, s22, s24
	;; [unrolled: 1-line block ×8, first 2 shown]
	s_or_b64 s[82:83], vcc, s[82:83]
	v_mov_b64_e32 v[2:3], s[84:85]
	v_mov_b64_e32 v[4:5], s[86:87]
	s_andn2_b64 exec, exec, s[82:83]
	s_cbranch_execnz .LBB56_48
; %bb.49:                               ;   in Loop: Header=BB56_7 Depth=1
	s_or_b64 exec, exec, s[82:83]
	s_or_b64 exec, exec, s[66:67]
	v_mov_b32_e32 v18, 0
	s_and_saveexec_b64 s[2:3], s[12:13]
	s_cbranch_execz .LBB56_46
.LBB56_50:                              ;   in Loop: Header=BB56_7 Depth=1
	global_load_ushort v18, v[14:15], off
	s_or_b64 exec, exec, s[2:3]
	s_and_saveexec_b64 s[20:21], s[14:15]
	s_cbranch_execz .LBB56_56
.LBB56_51:                              ;   in Loop: Header=BB56_7 Depth=1
	s_mov_b64 s[22:23], 0
	v_mov_b32_e32 v16, v30
	v_mov_b32_e32 v8, v24
	s_branch .LBB56_53
.LBB56_52:                              ;   in Loop: Header=BB56_53 Depth=2
	s_or_b64 exec, exec, s[2:3]
	s_waitcnt vmcnt(0)
	v_cmp_lt_i16_e32 vcc, -1, v18
	v_add_u32_e32 v16, s33, v16
	s_nop 0
	v_cndmask_b32_e32 v19, v33, v35, vcc
	v_xor_b32_sdwa v19, v19, v18 dst_sel:DWORD dst_unused:UNUSED_PAD src0_sel:DWORD src1_sel:WORD_0
	v_cmp_o_f16_e32 vcc, v18, v18
	s_nop 1
	v_cndmask_b32_e32 v18, v33, v19, vcc
	v_and_b32_e32 v19, v18, v39
	v_bfe_u32 v18, v18, v34, 2
	v_cmp_eq_u32_e32 vcc, v19, v29
	v_cmp_eq_u32_e64 s[2:3], 0, v18
	s_and_b64 s[2:3], vcc, s[2:3]
	s_nop 0
	v_cndmask_b32_e64 v19, 0, 1, s[2:3]
	v_cmp_ne_u32_e64 s[2:3], 0, v19
	s_bcnt1_i32_b64 s6, s[2:3]
	v_cmp_eq_u32_e64 s[2:3], 1, v18
	s_and_b64 s[2:3], vcc, s[2:3]
	v_add_u32_e32 v2, s6, v2
	v_cndmask_b32_e64 v19, 0, 1, s[2:3]
	v_cmp_ne_u32_e64 s[2:3], 0, v19
	s_bcnt1_i32_b64 s2, s[2:3]
	s_nop 0
	v_add_u32_e32 v3, s2, v3
	v_cmp_eq_u32_e64 s[2:3], 2, v18
	s_and_b64 s[2:3], vcc, s[2:3]
	s_nop 0
	v_cndmask_b32_e64 v19, 0, 1, s[2:3]
	v_cmp_ne_u32_e64 s[2:3], 0, v19
	s_bcnt1_i32_b64 s6, s[2:3]
	v_cmp_eq_u32_e64 s[2:3], 3, v18
	s_and_b64 s[2:3], vcc, s[2:3]
	v_add_u32_e32 v4, s6, v4
	v_cndmask_b32_e64 v18, 0, 1, s[2:3]
	v_cmp_ne_u32_e32 vcc, 0, v18
	s_bcnt1_i32_b64 s2, vcc
	v_cmp_le_i32_e32 vcc, s60, v8
	v_add_u32_e32 v5, s2, v5
	s_or_b64 s[22:23], vcc, s[22:23]
	v_mov_b32_e32 v18, v17
	s_andn2_b64 exec, exec, s[22:23]
	s_cbranch_execz .LBB56_55
.LBB56_53:                              ;   Parent Loop BB56_7 Depth=1
                                        ; =>  This Inner Loop Header: Depth=2
	v_add_u32_e32 v8, s62, v8
	v_cmp_gt_u32_e32 vcc, s60, v8
	v_mov_b32_e32 v17, 0
	s_and_saveexec_b64 s[2:3], vcc
	s_cbranch_execz .LBB56_52
; %bb.54:                               ;   in Loop: Header=BB56_53 Depth=2
	v_ashrrev_i32_e32 v17, 31, v16
	v_lshl_add_u64 v[44:45], v[16:17], 1, s[68:69]
	global_load_ushort v17, v[44:45], off
	s_branch .LBB56_52
.LBB56_55:                              ;   in Loop: Header=BB56_7 Depth=1
	s_or_b64 exec, exec, s[22:23]
.LBB56_56:                              ;   in Loop: Header=BB56_7 Depth=1
	s_or_b64 exec, exec, s[20:21]
	s_branch .LBB56_36
.LBB56_57:                              ;   in Loop: Header=BB56_7 Depth=1
	s_mul_hi_u32 s2, s17, s7
	s_mul_i32 s2, s2, s71
	s_sub_i32 s2, s17, s2
	s_sub_i32 s3, s2, s71
	s_cmp_ge_u32 s2, s71
	s_cselect_b32 s2, s3, s2
	s_sub_i32 s3, s2, s71
	s_cmp_ge_u32 s2, s71
	s_cselect_b32 s2, s3, s2
	s_sub_i32 s6, s17, s2
	v_mov_b32_e32 v8, v9
	v_cmp_gt_u32_e32 vcc, s6, v13
	v_mov_b64_e32 v[4:5], v[8:9]
	s_waitcnt vmcnt(0)
	v_mov_b64_e32 v[2:3], v[8:9]
	s_and_saveexec_b64 s[66:67], vcc
	s_cbranch_execz .LBB56_61
; %bb.58:                               ;   in Loop: Header=BB56_7 Depth=1
	s_mov_b32 s84, 0
	s_mov_b64 s[82:83], 0
	v_mov_b32_e32 v8, v31
	v_mov_b32_e32 v16, v13
	s_mov_b32 s85, s84
	s_mov_b32 s86, s84
	s_mov_b32 s87, s84
.LBB56_59:                              ;   Parent Loop BB56_7 Depth=1
                                        ; =>  This Inner Loop Header: Depth=2
	ds_read_b64 v[2:3], v8
	v_add_u32_e32 v16, s71, v16
	v_cmp_le_i32_e32 vcc, s6, v16
	v_add_u32_e32 v8, s78, v8
	s_waitcnt lgkmcnt(0)
	v_cmp_lt_i16_e64 s[2:3], -1, v2
	v_cmp_o_f16_e64 s[20:21], v3, v3
	s_nop 0
	v_cndmask_b32_e64 v4, v33, v35, s[2:3]
	v_cmp_gt_i16_sdwa s[2:3], v2, v36 src0_sel:WORD_1 src1_sel:DWORD
	v_cmp_o_f16_sdwa s[22:23], v3, v3 src0_sel:WORD_1 src1_sel:WORD_1
	v_cmp_o_f16_e64 s[24:25], v2, v2
	v_cndmask_b32_e64 v5, v33, v35, s[2:3]
	v_cmp_lt_i16_e64 s[2:3], -1, v3
	v_xor_b32_sdwa v5, v5, v2 dst_sel:DWORD dst_unused:UNUSED_PAD src0_sel:DWORD src1_sel:WORD_1
	s_nop 0
	v_cndmask_b32_e64 v17, v33, v35, s[2:3]
	v_cmp_gt_i16_sdwa s[2:3], v3, v36 src0_sel:WORD_1 src1_sel:DWORD
	v_bitop3_b32 v17, v17, v3, s70 bitop3:0x78
	s_nop 0
	v_cndmask_b32_e64 v18, v33, v35, s[2:3]
	v_xor_b32_sdwa v18, v18, v3 dst_sel:DWORD dst_unused:UNUSED_PAD src0_sel:DWORD src1_sel:WORD_1
	v_bitop3_b32 v3, v4, v2, s70 bitop3:0x78
	v_cmp_o_f16_sdwa s[2:3], v2, v2 src0_sel:WORD_1 src1_sel:WORD_1
	v_cndmask_b32_e64 v2, v33, v3, s[24:25]
	v_cndmask_b32_e64 v4, v33, v17, s[20:21]
	;; [unrolled: 1-line block ×3, first 2 shown]
	v_and_b32_e32 v17, v2, v39
	v_bfe_u32 v2, v2, v34, 2
	v_cndmask_b32_e64 v5, v33, v18, s[22:23]
	v_and_b32_e32 v18, v3, v39
	v_bfe_u32 v3, v3, v34, 2
	v_cmp_eq_u32_e64 s[2:3], v17, v29
	v_cmp_eq_u32_e64 s[26:27], 0, v2
	v_and_b32_e32 v19, v4, v39
	v_bfe_u32 v4, v4, v34, 2
	v_cmp_eq_u32_e64 s[20:21], v18, v29
	v_cmp_eq_u32_e64 s[28:29], 0, v3
	s_and_b64 s[26:27], s[2:3], s[26:27]
	v_and_b32_e32 v43, v5, v39
	v_bfe_u32 v5, v5, v34, 2
	v_cmp_eq_u32_e64 s[22:23], v19, v29
	v_cmp_eq_u32_e64 s[30:31], 0, v4
	;; [unrolled: 1-line block ×5, first 2 shown]
	v_cndmask_b32_e64 v2, 0, 1, s[26:27]
	s_and_b64 s[26:27], s[20:21], s[28:29]
	v_cmp_eq_u32_e64 s[24:25], v43, v29
	v_cmp_eq_u32_e64 s[34:35], 0, v5
	;; [unrolled: 1-line block ×5, first 2 shown]
	v_cndmask_b32_e64 v3, 0, 1, s[26:27]
	s_and_b64 s[26:27], s[22:23], s[30:31]
	v_cmp_eq_u32_e64 s[40:41], 1, v4
	v_cmp_eq_u32_e64 s[48:49], 2, v4
	;; [unrolled: 1-line block ×3, first 2 shown]
	v_cndmask_b32_e64 v4, 0, 1, s[26:27]
	s_and_b64 s[26:27], s[24:25], s[34:35]
	v_cmp_eq_u32_e64 s[42:43], 1, v5
	v_cmp_eq_u32_e64 s[50:51], 2, v5
	;; [unrolled: 1-line block ×3, first 2 shown]
	v_cndmask_b32_e64 v5, 0, 1, s[26:27]
	s_and_b64 s[26:27], s[2:3], s[36:37]
	v_cndmask_b32_e64 v17, 0, 1, s[26:27]
	s_and_b64 s[26:27], s[20:21], s[38:39]
	;; [unrolled: 2-line block ×5, first 2 shown]
	s_and_b64 s[2:3], s[2:3], s[52:53]
	v_cndmask_b32_e64 v44, 0, 1, s[26:27]
	s_and_b64 s[26:27], s[20:21], s[46:47]
	v_cndmask_b32_e64 v48, 0, 1, s[2:3]
	;; [unrolled: 2-line block ×7, first 2 shown]
	v_cndmask_b32_e64 v51, 0, 1, s[2:3]
	v_cmp_ne_u32_e64 s[2:3], 0, v2
	v_cmp_ne_u32_e64 s[20:21], 0, v3
	;; [unrolled: 1-line block ×11, first 2 shown]
	s_bcnt1_i32_b64 s2, s[2:3]
	s_bcnt1_i32_b64 s3, s[20:21]
	;; [unrolled: 1-line block ×8, first 2 shown]
	v_cmp_ne_u32_e64 s[34:35], 0, v43
	v_cmp_ne_u32_e64 s[40:41], 0, v46
	;; [unrolled: 1-line block ×3, first 2 shown]
	s_bcnt1_i32_b64 s23, s[28:29]
	s_bcnt1_i32_b64 s27, s[38:39]
	;; [unrolled: 1-line block ×3, first 2 shown]
	s_add_i32 s2, s84, s2
	s_add_i32 s22, s85, s22
	;; [unrolled: 1-line block ×4, first 2 shown]
	v_cmp_ne_u32_e64 s[42:43], 0, v47
	v_cmp_ne_u32_e64 s[50:51], 0, v51
	s_bcnt1_i32_b64 s25, s[34:35]
	s_bcnt1_i32_b64 s28, s[40:41]
	;; [unrolled: 1-line block ×3, first 2 shown]
	s_add_i32 s22, s22, s23
	s_add_i32 s2, s2, s3
	;; [unrolled: 1-line block ×4, first 2 shown]
	s_bcnt1_i32_b64 s29, s[42:43]
	s_bcnt1_i32_b64 s35, s[50:51]
	s_add_i32 s2, s2, s20
	s_add_i32 s20, s22, s24
	s_add_i32 s22, s23, s28
	s_add_i32 s3, s3, s34
	s_add_i32 s85, s20, s25
	s_add_i32 s84, s2, s21
	s_add_i32 s87, s3, s35
	s_add_i32 s86, s22, s29
	s_or_b64 s[82:83], vcc, s[82:83]
	v_mov_b64_e32 v[2:3], s[84:85]
	v_mov_b64_e32 v[4:5], s[86:87]
	s_andn2_b64 exec, exec, s[82:83]
	s_cbranch_execnz .LBB56_59
; %bb.60:                               ;   in Loop: Header=BB56_7 Depth=1
	s_or_b64 exec, exec, s[82:83]
.LBB56_61:                              ;   in Loop: Header=BB56_7 Depth=1
	s_or_b64 exec, exec, s[66:67]
	v_add_u32_e32 v8, s6, v0
	v_cmp_gt_i32_e32 vcc, s17, v8
	s_and_saveexec_b64 s[28:29], vcc
	s_cbranch_execz .LBB56_65
; %bb.62:                               ;   in Loop: Header=BB56_7 Depth=1
	v_lshlrev_b32_e32 v16, 1, v8
	s_mov_b64 s[30:31], 0
.LBB56_63:                              ;   Parent Loop BB56_7 Depth=1
                                        ; =>  This Inner Loop Header: Depth=2
	ds_read_u16 v17, v16
	v_add_u32_e32 v8, s62, v8
	v_cmp_le_i32_e32 vcc, s17, v8
	v_add_u32_e32 v16, s79, v16
	s_waitcnt lgkmcnt(0)
	v_cmp_lt_i16_e64 s[2:3], -1, v17
	s_nop 1
	v_cndmask_b32_e64 v18, v33, v35, s[2:3]
	v_xor_b32_sdwa v18, v18, v17 dst_sel:DWORD dst_unused:UNUSED_PAD src0_sel:DWORD src1_sel:WORD_0
	v_cmp_o_f16_e64 s[2:3], v17, v17
	s_nop 1
	v_cndmask_b32_e64 v17, v33, v18, s[2:3]
	v_and_b32_e32 v18, v17, v39
	v_bfe_u32 v17, v17, v34, 2
	v_cmp_eq_u32_e64 s[2:3], v18, v29
	v_cmp_eq_u32_e64 s[20:21], 0, v17
	;; [unrolled: 1-line block ×3, first 2 shown]
	s_and_b64 s[20:21], s[2:3], s[20:21]
	v_cmp_eq_u32_e64 s[24:25], 2, v17
	v_cmp_eq_u32_e64 s[26:27], 3, v17
	v_cndmask_b32_e64 v17, 0, 1, s[20:21]
	s_and_b64 s[20:21], s[2:3], s[22:23]
	v_cndmask_b32_e64 v18, 0, 1, s[20:21]
	s_and_b64 s[20:21], s[2:3], s[24:25]
	s_and_b64 s[2:3], s[2:3], s[26:27]
	v_cndmask_b32_e64 v19, 0, 1, s[20:21]
	v_cndmask_b32_e64 v43, 0, 1, s[2:3]
	v_cmp_ne_u32_e64 s[2:3], 0, v17
	v_cmp_ne_u32_e64 s[20:21], 0, v18
	;; [unrolled: 1-line block ×4, first 2 shown]
	s_bcnt1_i32_b64 s2, s[2:3]
	s_bcnt1_i32_b64 s3, s[20:21]
	;; [unrolled: 1-line block ×4, first 2 shown]
	v_add_u32_e32 v3, s3, v3
	v_add_u32_e32 v2, s2, v2
	;; [unrolled: 1-line block ×3, first 2 shown]
	s_or_b64 s[30:31], vcc, s[30:31]
	v_add_u32_e32 v4, s6, v4
	s_andn2_b64 exec, exec, s[30:31]
	s_cbranch_execnz .LBB56_63
; %bb.64:                               ;   in Loop: Header=BB56_7 Depth=1
	s_or_b64 exec, exec, s[30:31]
.LBB56_65:                              ;   in Loop: Header=BB56_7 Depth=1
	s_or_b64 exec, exec, s[28:29]
	s_lshl_b32 s6, s16, 6
	s_and_saveexec_b64 s[2:3], s[0:1]
	s_cbranch_execnz .LBB56_37
	s_branch .LBB56_38
.LBB56_66:                              ;   in Loop: Header=BB56_7 Depth=1
	s_or_b64 exec, exec, s[22:23]
	s_waitcnt lgkmcnt(0)
	s_barrier
	s_and_saveexec_b64 s[2:3], s[18:19]
	s_cbranch_execz .LBB56_68
; %bb.67:                               ;   in Loop: Header=BB56_7 Depth=1
	ds_read_b32 v2, v9 offset:4104
	s_waitcnt lgkmcnt(0)
	ds_write_b32 v9, v2 offset:4096
.LBB56_68:                              ;   in Loop: Header=BB56_7 Depth=1
	s_or_b64 exec, exec, s[2:3]
	s_waitcnt lgkmcnt(0)
	s_barrier
	s_mov_b64 s[2:3], -1
	s_and_b64 vcc, exec, s[20:21]
	s_cbranch_vccnz .LBB56_22
	s_branch .LBB56_32
.LBB56_69:                              ;   in Loop: Header=BB56_7 Depth=1
	v_mov_b32_e32 v2, 0
	s_mov_b32 s17, 0
	s_cbranch_execnz .LBB56_74
	s_branch .LBB56_76
.LBB56_70:                              ;   in Loop: Header=BB56_7 Depth=1
	v_mov_b32_e32 v8, v9
	v_readlane_b32 s20, v56, 28
	v_mov_b64_e32 v[2:3], v[8:9]
	v_readlane_b32 s21, v56, 29
.LBB56_71:                              ;   in Loop: Header=BB56_7 Depth=1
	v_readlane_b32 s22, v56, 20
	v_readlane_b32 s23, v56, 21
	s_andn2_b64 vcc, exec, s[22:23]
	v_readlane_b32 s17, v56, 19
	s_cbranch_vccnz .LBB56_73
.LBB56_72:                              ;   Parent Loop BB56_7 Depth=1
                                        ; =>  This Inner Loop Header: Depth=2
	v_lshl_add_u32 v8, s20, 4, v5
	v_lshl_add_u32 v16, s21, 4, v5
	ds_read_b32 v16, v16
	ds_read_b32 v8, v8
	s_add_i32 s21, s21, 2
	s_add_i32 s20, s20, 2
	s_add_i32 s17, s17, -1
	s_cmp_lg_u32 s17, 0
	s_waitcnt lgkmcnt(1)
	v_add_u32_e32 v3, v16, v3
	s_waitcnt lgkmcnt(0)
	v_add_u32_e32 v2, v8, v2
	s_cbranch_scc1 .LBB56_72
.LBB56_73:                              ;   in Loop: Header=BB56_7 Depth=1
	v_readlane_b32 s20, v56, 24
	v_add_u32_e32 v2, v2, v3
	v_readlane_b32 s17, v56, 23
	v_readlane_b32 s21, v56, 25
	s_and_b64 vcc, exec, s[20:21]
	s_cbranch_vccz .LBB56_76
.LBB56_74:                              ;   in Loop: Header=BB56_7 Depth=1
	s_lshl_b32 s20, s16, 8
	s_lshl_b32 s21, s17, 4
	s_add_i32 s20, s20, s21
	v_add_u32_e32 v3, s20, v32
	v_readlane_b32 s20, v56, 22
	s_sub_i32 s17, s20, s17
.LBB56_75:                              ;   Parent Loop BB56_7 Depth=1
                                        ; =>  This Inner Loop Header: Depth=2
	ds_read_b32 v5, v3
	s_add_i32 s17, s17, -1
	v_add_u32_e32 v3, 16, v3
	s_cmp_eq_u32 s17, 0
	s_waitcnt lgkmcnt(0)
	v_add_u32_e32 v2, v5, v2
	s_cbranch_scc0 .LBB56_75
.LBB56_76:                              ;   in Loop: Header=BB56_7 Depth=1
	v_lshlrev_b32_e32 v3, 2, v4
	ds_write_b32 v3, v2 offset:3072
.LBB56_77:                              ;   in Loop: Header=BB56_7 Depth=1
	s_or_b64 exec, exec, s[2:3]
	s_lshl_b32 s2, s6, 2
	s_waitcnt vmcnt(0)
	v_mov_b32_e32 v2, s2
	s_waitcnt lgkmcnt(0)
	s_barrier
	ds_read_b128 v[2:5], v2 offset:3072
	v_cmp_eq_u32_e32 vcc, 1, v41
	s_mov_b64 s[20:21], -1
	s_mov_b64 s[28:29], -1
                                        ; implicit-def: $sgpr26_sgpr27
                                        ; implicit-def: $sgpr24_sgpr25
	s_waitcnt lgkmcnt(0)
	v_readfirstlane_b32 s42, v2
	s_cmp_eq_u32 s42, 1
	v_readfirstlane_b32 s54, v4
	v_lshlrev_b32_e64 v4, v34, 3
	s_cselect_b64 s[2:3], -1, 0
	v_readfirstlane_b32 s46, v3
	v_readfirstlane_b32 s17, v5
	v_not_b32_e32 v8, v4
	s_and_b64 s[22:23], s[2:3], vcc
	s_and_saveexec_b64 s[2:3], s[22:23]
	s_cbranch_execz .LBB56_105
; %bb.78:                               ;   in Loop: Header=BB56_7 Depth=1
	ds_read_b32 v2, v9 offset:4096
	s_waitcnt lgkmcnt(0)
	s_barrier
	v_readfirstlane_b32 s6, v2
	s_and_saveexec_b64 s[24:25], s[4:5]
; %bb.79:                               ;   in Loop: Header=BB56_7 Depth=1
	ds_write_b16 v22, v9
; %bb.80:                               ;   in Loop: Header=BB56_7 Depth=1
	s_or_b64 exec, exec, s[24:25]
	v_and_b32_e32 v29, v29, v8
	v_or_b32_e32 v39, v39, v4
	s_mov_b64 s[24:25], -1
	s_mov_b64 s[26:27], 0
	s_cmp_lt_i32 s6, 1
	s_mov_b64 s[28:29], 0
	s_mov_b64 s[30:31], -1
	s_waitcnt lgkmcnt(0)
	s_barrier
                                        ; implicit-def: $vgpr40
	s_cbranch_scc0 .LBB56_92
; %bb.81:                               ;   in Loop: Header=BB56_7 Depth=1
	s_mov_b64 s[30:31], 0
                                        ; implicit-def: $vgpr40
	s_mov_b64 s[34:35], exec
	v_readlane_b32 s36, v56, 26
	v_readlane_b32 s37, v56, 27
	s_and_b64 s[36:37], s[34:35], s[36:37]
	s_mov_b64 exec, s[36:37]
	s_cbranch_execz .LBB56_91
; %bb.82:                               ;   in Loop: Header=BB56_7 Depth=1
	v_mov_b32_e32 v2, v6
	v_mov_b32_e32 v5, v0
                                        ; implicit-def: $sgpr36_sgpr37
	s_branch .LBB56_86
.LBB56_83:                              ;   in Loop: Header=BB56_86 Depth=2
	s_or_b64 exec, exec, s[38:39]
	s_waitcnt lgkmcnt(0)
	s_barrier
	ds_read_b32 v3, v9 offset:3072
	s_waitcnt lgkmcnt(0)
	s_barrier
	v_cmp_neq_f16_e32 vcc, 0, v3
	s_cbranch_vccnz .LBB56_89
; %bb.84:                               ;   in Loop: Header=BB56_86 Depth=2
	v_add_u32_e32 v5, s62, v5
	v_cmp_le_i32_e32 vcc, s80, v5
	v_add_u32_e32 v2, s33, v2
	s_mov_b64 s[38:39], 0
	s_orn2_b64 s[40:41], vcc, exec
.LBB56_85:                              ;   in Loop: Header=BB56_86 Depth=2
	s_and_b64 s[40:41], exec, s[40:41]
	s_or_b64 s[28:29], s[40:41], s[28:29]
	s_andn2_b64 s[36:37], s[36:37], exec
	s_and_b64 s[38:39], s[38:39], exec
	s_or_b64 s[36:37], s[36:37], s[38:39]
	s_andn2_b64 exec, exec, s[28:29]
	s_cbranch_execz .LBB56_90
.LBB56_86:                              ;   Parent Loop BB56_7 Depth=1
                                        ; =>  This Inner Loop Header: Depth=2
	v_cmp_gt_i32_e32 vcc, s60, v5
	s_and_saveexec_b64 s[38:39], vcc
	s_cbranch_execz .LBB56_83
; %bb.87:                               ;   in Loop: Header=BB56_86 Depth=2
	v_ashrrev_i32_e32 v3, 31, v2
	v_lshl_add_u64 v[16:17], v[2:3], 1, s[68:69]
	global_load_ushort v3, v[16:17], off
	s_waitcnt vmcnt(0)
	v_cmp_lt_i16_e32 vcc, -1, v3
	s_nop 1
	v_cndmask_b32_e32 v16, v33, v35, vcc
	v_xor_b32_sdwa v16, v16, v3 dst_sel:DWORD dst_unused:UNUSED_PAD src0_sel:DWORD src1_sel:WORD_0
	v_cmp_o_f16_e32 vcc, v3, v3
	s_nop 1
	v_cndmask_b32_e32 v16, v33, v16, vcc
	v_and_b32_e32 v16, v16, v39
	v_cmp_eq_u32_e32 vcc, v16, v29
	s_and_b64 exec, exec, vcc
	s_cbranch_execz .LBB56_83
; %bb.88:                               ;   in Loop: Header=BB56_86 Depth=2
	v_perm_b32 v3, v3, s61, v38
	ds_write_b32 v9, v3 offset:3072
	s_branch .LBB56_83
.LBB56_89:                              ;   in Loop: Header=BB56_86 Depth=2
	s_mov_b64 s[40:41], -1
                                        ; implicit-def: $vgpr5
                                        ; implicit-def: $vgpr2
	s_mov_b64 s[38:39], -1
	s_branch .LBB56_85
.LBB56_90:                              ;   in Loop: Header=BB56_7 Depth=1
	s_or_b64 exec, exec, s[28:29]
	v_lshrrev_b32_e32 v40, 16, v3
	s_and_b64 s[28:29], s[36:37], exec
.LBB56_91:                              ;   in Loop: Header=BB56_7 Depth=1
	s_or_b64 exec, exec, s[34:35]
.LBB56_92:                              ;   in Loop: Header=BB56_7 Depth=1
	s_and_b64 vcc, exec, s[30:31]
	s_cbranch_vccz .LBB56_104
; %bb.93:                               ;   in Loop: Header=BB56_7 Depth=1
	v_readlane_b32 s24, v56, 7
	s_add_i32 s38, s6, s24
	s_abs_i32 s25, s38
	s_mul_hi_u32 s26, s25, s9
	s_mul_i32 s26, s26, s62
	s_sub_i32 s25, s25, s26
	s_ashr_i32 s24, s38, 31
	s_sub_i32 s26, s25, s62
	s_cmp_ge_u32 s25, s62
	s_cselect_b32 s25, s26, s25
	s_sub_i32 s26, s25, s62
	s_cmp_ge_u32 s25, s62
	s_cselect_b32 s25, s26, s25
	s_xor_b32 s25, s25, s24
	s_sub_i32 s24, s24, s25
	s_add_i32 s38, s38, s24
	v_cmp_gt_i32_e32 vcc, s38, v0
                                        ; implicit-def: $vgpr40
	s_and_saveexec_b64 s[24:25], vcc
	s_cbranch_execz .LBB56_103
; %bb.94:                               ;   in Loop: Header=BB56_7 Depth=1
	s_mov_b64 s[26:27], 0
	v_mov_b32_e32 v2, v21
	v_mov_b32_e32 v3, v0
                                        ; implicit-def: $sgpr30_sgpr31
	s_branch .LBB56_98
.LBB56_95:                              ;   in Loop: Header=BB56_98 Depth=2
	s_or_b64 exec, exec, s[34:35]
	s_waitcnt lgkmcnt(0)
	s_barrier
	ds_read_b32 v5, v9 offset:3072
	s_waitcnt lgkmcnt(0)
	s_barrier
	v_cmp_neq_f16_e32 vcc, 0, v5
	s_cbranch_vccnz .LBB56_101
; %bb.96:                               ;   in Loop: Header=BB56_98 Depth=2
	v_add_u32_e32 v3, s62, v3
	v_cmp_le_i32_e32 vcc, s38, v3
	v_add_u32_e32 v2, s79, v2
	s_mov_b64 s[34:35], 0
	s_orn2_b64 s[36:37], vcc, exec
.LBB56_97:                              ;   in Loop: Header=BB56_98 Depth=2
	s_and_b64 s[36:37], exec, s[36:37]
	s_or_b64 s[26:27], s[36:37], s[26:27]
	s_andn2_b64 s[30:31], s[30:31], exec
	s_and_b64 s[34:35], s[34:35], exec
	s_or_b64 s[30:31], s[30:31], s[34:35]
	s_andn2_b64 exec, exec, s[26:27]
	s_cbranch_execz .LBB56_102
.LBB56_98:                              ;   Parent Loop BB56_7 Depth=1
                                        ; =>  This Inner Loop Header: Depth=2
	v_cmp_gt_i32_e32 vcc, s6, v3
	s_and_saveexec_b64 s[34:35], vcc
	s_cbranch_execz .LBB56_95
; %bb.99:                               ;   in Loop: Header=BB56_98 Depth=2
	ds_read_u16 v5, v2
	s_waitcnt lgkmcnt(0)
	v_cmp_lt_i16_e32 vcc, -1, v5
	s_nop 1
	v_cndmask_b32_e32 v16, v33, v35, vcc
	v_xor_b32_sdwa v16, v16, v5 dst_sel:DWORD dst_unused:UNUSED_PAD src0_sel:DWORD src1_sel:WORD_0
	v_cmp_o_f16_e32 vcc, v5, v5
	s_nop 1
	v_cndmask_b32_e32 v16, v33, v16, vcc
	v_and_b32_e32 v16, v16, v39
	v_cmp_eq_u32_e32 vcc, v16, v29
	s_and_b64 exec, exec, vcc
	s_cbranch_execz .LBB56_95
; %bb.100:                              ;   in Loop: Header=BB56_98 Depth=2
	v_perm_b32 v5, v5, s61, v38
	ds_write_b32 v9, v5 offset:3072
	s_branch .LBB56_95
.LBB56_101:                             ;   in Loop: Header=BB56_98 Depth=2
	s_mov_b64 s[36:37], -1
                                        ; implicit-def: $vgpr3
                                        ; implicit-def: $vgpr2
	s_mov_b64 s[34:35], -1
	s_branch .LBB56_97
.LBB56_102:                             ;   in Loop: Header=BB56_7 Depth=1
	s_or_b64 exec, exec, s[26:27]
	s_andn2_b64 s[26:27], s[28:29], exec
	s_and_b64 s[28:29], s[30:31], exec
	v_lshrrev_b32_e32 v40, 16, v5
	s_or_b64 s[28:29], s[26:27], s[28:29]
.LBB56_103:                             ;   in Loop: Header=BB56_7 Depth=1
	s_or_b64 exec, exec, s[24:25]
	s_mov_b64 s[24:25], 0
	s_mov_b64 s[26:27], -1
.LBB56_104:                             ;   in Loop: Header=BB56_7 Depth=1
	s_orn2_b64 s[28:29], s[28:29], exec
.LBB56_105:                             ;   in Loop: Header=BB56_7 Depth=1
	s_or_b64 exec, exec, s[2:3]
	s_andn2_b64 s[2:3], s[64:65], exec
	s_and_b64 s[26:27], s[26:27], exec
	s_or_b64 s[64:65], s[2:3], s[26:27]
	s_andn2_b64 s[2:3], s[98:99], exec
	s_and_b64 s[24:25], s[24:25], exec
	v_readfirstlane_b32 s6, v0
	s_andn2_b64 s[96:97], s[96:97], exec
	s_or_b64 s[98:99], s[2:3], s[24:25]
                                        ; implicit-def: $vgpr16
	s_and_saveexec_b64 s[2:3], s[28:29]
	s_cbranch_execz .LBB56_6
; %bb.106:                              ;   in Loop: Header=BB56_7 Depth=1
	s_xor_b64 s[24:25], s[22:23], -1
	s_mov_b64 s[22:23], 0
	v_mov_b32_e32 v16, 1
	v_mov_b32_e32 v5, 1
	s_and_saveexec_b64 s[20:21], s[24:25]
	s_cbranch_execz .LBB56_115
; %bb.107:                              ;   in Loop: Header=BB56_7 Depth=1
	v_cmp_ge_i32_e32 vcc, s42, v41
	s_and_saveexec_b64 s[22:23], vcc
	s_xor_b64 s[22:23], exec, s[22:23]
	s_cbranch_execz .LBB56_112
; %bb.108:                              ;   in Loop: Header=BB56_7 Depth=1
	ds_read_b32 v2, v9 offset:4096
	v_and_b32_e32 v29, v29, v8
	v_or_b32_e32 v39, v39, v4
	s_waitcnt lgkmcnt(0)
	v_cmp_ne_u32_e32 vcc, 0, v2
	s_cbranch_vccnz .LBB56_112
; %bb.109:                              ;   in Loop: Header=BB56_7 Depth=1
	s_and_saveexec_b64 s[24:25], s[18:19]
; %bb.110:                              ;   in Loop: Header=BB56_7 Depth=1
	v_mov_b32_e32 v2, s42
	ds_write_b32 v9, v2 offset:4100
; %bb.111:                              ;   in Loop: Header=BB56_7 Depth=1
	s_or_b64 exec, exec, s[24:25]
	s_waitcnt lgkmcnt(0)
	s_barrier
.LBB56_112:                             ;   in Loop: Header=BB56_7 Depth=1
	s_or_saveexec_b64 s[22:23], s[22:23]
	s_mov_b64 s[24:25], 0
	v_mov_b32_e32 v5, 8
	s_xor_b64 exec, exec, s[22:23]
; %bb.113:                              ;   in Loop: Header=BB56_7 Depth=1
	s_mov_b64 s[24:25], exec
	v_subrev_u32_e32 v41, s42, v41
	v_mov_b32_e32 v5, 0
; %bb.114:                              ;   in Loop: Header=BB56_7 Depth=1
	s_or_b64 exec, exec, s[22:23]
	s_and_b64 s[22:23], s[24:25], exec
	v_mov_b32_e32 v16, v41
.LBB56_115:                             ;   in Loop: Header=BB56_7 Depth=1
	s_or_b64 exec, exec, s[20:21]
	s_mov_b64 s[20:21], -1
	s_mov_b64 s[28:29], -1
                                        ; implicit-def: $sgpr24_sgpr25
                                        ; implicit-def: $sgpr26_sgpr27
	s_and_saveexec_b64 s[30:31], s[22:23]
	s_xor_b64 s[22:23], exec, s[30:31]
	s_cbranch_execz .LBB56_238
; %bb.116:                              ;   in Loop: Header=BB56_7 Depth=1
	s_cmp_eq_u32 s46, 1
	s_cselect_b64 s[24:25], -1, 0
	v_cmp_eq_u32_e32 vcc, 1, v16
	s_and_b64 s[30:31], s[24:25], vcc
	s_mov_b64 s[34:35], -1
                                        ; implicit-def: $sgpr26_sgpr27
                                        ; implicit-def: $sgpr24_sgpr25
	s_and_saveexec_b64 s[28:29], s[30:31]
	s_cbranch_execz .LBB56_144
; %bb.117:                              ;   in Loop: Header=BB56_7 Depth=1
	ds_read_b32 v2, v9 offset:4096
	s_waitcnt lgkmcnt(0)
	s_barrier
	v_readfirstlane_b32 s6, v2
	s_and_saveexec_b64 s[24:25], s[4:5]
; %bb.118:                              ;   in Loop: Header=BB56_7 Depth=1
	ds_write_b16 v22, v9
; %bb.119:                              ;   in Loop: Header=BB56_7 Depth=1
	s_or_b64 exec, exec, s[24:25]
	v_and_b32_e32 v2, v29, v8
	v_lshl_or_b32 v29, 1, v34, v2
	v_or_b32_e32 v39, v39, v4
	s_mov_b64 s[24:25], -1
	s_mov_b64 s[26:27], 0
	s_cmp_gt_i32 s6, 0
	s_mov_b64 s[34:35], 0
	s_mov_b64 s[36:37], -1
	s_waitcnt lgkmcnt(0)
	s_barrier
                                        ; implicit-def: $vgpr40
	s_cbranch_scc1 .LBB56_131
; %bb.120:                              ;   in Loop: Header=BB56_7 Depth=1
	s_mov_b64 s[36:37], 0
                                        ; implicit-def: $vgpr40
	s_mov_b64 s[38:39], exec
	v_readlane_b32 s40, v56, 26
	v_readlane_b32 s41, v56, 27
	s_and_b64 s[40:41], s[38:39], s[40:41]
	s_mov_b64 exec, s[40:41]
	s_cbranch_execz .LBB56_130
; %bb.121:                              ;   in Loop: Header=BB56_7 Depth=1
	v_mov_b32_e32 v2, v6
	v_mov_b32_e32 v17, v0
                                        ; implicit-def: $sgpr40_sgpr41
	s_branch .LBB56_125
.LBB56_122:                             ;   in Loop: Header=BB56_125 Depth=2
	s_or_b64 exec, exec, s[42:43]
	s_waitcnt lgkmcnt(0)
	s_barrier
	ds_read_b32 v3, v9 offset:3072
	s_waitcnt lgkmcnt(0)
	s_barrier
	v_cmp_neq_f16_e32 vcc, 0, v3
	s_cbranch_vccnz .LBB56_128
; %bb.123:                              ;   in Loop: Header=BB56_125 Depth=2
	v_add_u32_e32 v17, s62, v17
	v_cmp_le_i32_e32 vcc, s80, v17
	v_add_u32_e32 v2, s33, v2
	s_mov_b64 s[42:43], 0
	s_orn2_b64 s[44:45], vcc, exec
.LBB56_124:                             ;   in Loop: Header=BB56_125 Depth=2
	s_and_b64 s[44:45], exec, s[44:45]
	s_or_b64 s[34:35], s[44:45], s[34:35]
	s_andn2_b64 s[40:41], s[40:41], exec
	s_and_b64 s[42:43], s[42:43], exec
	s_or_b64 s[40:41], s[40:41], s[42:43]
	s_andn2_b64 exec, exec, s[34:35]
	s_cbranch_execz .LBB56_129
.LBB56_125:                             ;   Parent Loop BB56_7 Depth=1
                                        ; =>  This Inner Loop Header: Depth=2
	v_cmp_gt_i32_e32 vcc, s60, v17
	s_and_saveexec_b64 s[42:43], vcc
	s_cbranch_execz .LBB56_122
; %bb.126:                              ;   in Loop: Header=BB56_125 Depth=2
	v_ashrrev_i32_e32 v3, 31, v2
	v_lshl_add_u64 v[18:19], v[2:3], 1, s[68:69]
	global_load_ushort v3, v[18:19], off
	s_waitcnt vmcnt(0)
	v_cmp_lt_i16_e32 vcc, -1, v3
	s_nop 1
	v_cndmask_b32_e32 v18, v33, v35, vcc
	v_xor_b32_sdwa v18, v18, v3 dst_sel:DWORD dst_unused:UNUSED_PAD src0_sel:DWORD src1_sel:WORD_0
	v_cmp_o_f16_e32 vcc, v3, v3
	s_nop 1
	v_cndmask_b32_e32 v18, v33, v18, vcc
	v_and_b32_e32 v18, v18, v39
	v_cmp_eq_u32_e32 vcc, v18, v29
	s_and_b64 exec, exec, vcc
	s_cbranch_execz .LBB56_122
; %bb.127:                              ;   in Loop: Header=BB56_125 Depth=2
	v_perm_b32 v3, v3, s61, v38
	ds_write_b32 v9, v3 offset:3072
	s_branch .LBB56_122
.LBB56_128:                             ;   in Loop: Header=BB56_125 Depth=2
	s_mov_b64 s[44:45], -1
                                        ; implicit-def: $vgpr17
                                        ; implicit-def: $vgpr2
	s_mov_b64 s[42:43], -1
	s_branch .LBB56_124
.LBB56_129:                             ;   in Loop: Header=BB56_7 Depth=1
	s_or_b64 exec, exec, s[34:35]
	v_lshrrev_b32_e32 v40, 16, v3
	s_and_b64 s[34:35], s[40:41], exec
.LBB56_130:                             ;   in Loop: Header=BB56_7 Depth=1
	s_or_b64 exec, exec, s[38:39]
.LBB56_131:                             ;   in Loop: Header=BB56_7 Depth=1
	s_and_b64 vcc, exec, s[36:37]
	s_cbranch_vccz .LBB56_143
; %bb.132:                              ;   in Loop: Header=BB56_7 Depth=1
	v_readlane_b32 s24, v56, 7
	s_add_i32 s42, s6, s24
	s_abs_i32 s25, s42
	s_mul_hi_u32 s26, s25, s9
	s_mul_i32 s26, s26, s62
	s_sub_i32 s25, s25, s26
	s_ashr_i32 s24, s42, 31
	s_sub_i32 s26, s25, s62
	s_cmp_ge_u32 s25, s62
	s_cselect_b32 s25, s26, s25
	s_sub_i32 s26, s25, s62
	s_cmp_ge_u32 s25, s62
	s_cselect_b32 s25, s26, s25
	s_xor_b32 s25, s25, s24
	s_sub_i32 s24, s24, s25
	s_add_i32 s42, s42, s24
	v_cmp_gt_i32_e32 vcc, s42, v0
                                        ; implicit-def: $vgpr40
	s_and_saveexec_b64 s[24:25], vcc
	s_cbranch_execz .LBB56_142
; %bb.133:                              ;   in Loop: Header=BB56_7 Depth=1
	s_mov_b64 s[26:27], 0
	v_mov_b32_e32 v2, v21
	v_mov_b32_e32 v3, v0
                                        ; implicit-def: $sgpr36_sgpr37
	s_branch .LBB56_137
.LBB56_134:                             ;   in Loop: Header=BB56_137 Depth=2
	s_or_b64 exec, exec, s[38:39]
	s_waitcnt lgkmcnt(0)
	s_barrier
	ds_read_b32 v17, v9 offset:3072
	s_waitcnt lgkmcnt(0)
	s_barrier
	v_cmp_eq_f16_e32 vcc, 0, v17
	s_cbranch_vccz .LBB56_140
; %bb.135:                              ;   in Loop: Header=BB56_137 Depth=2
	v_add_u32_e32 v3, s62, v3
	v_cmp_le_i32_e32 vcc, s42, v3
	v_add_u32_e32 v2, s79, v2
	s_mov_b64 s[38:39], 0
	s_orn2_b64 s[40:41], vcc, exec
.LBB56_136:                             ;   in Loop: Header=BB56_137 Depth=2
	s_and_b64 s[40:41], exec, s[40:41]
	s_or_b64 s[26:27], s[40:41], s[26:27]
	s_andn2_b64 s[36:37], s[36:37], exec
	s_and_b64 s[38:39], s[38:39], exec
	s_or_b64 s[36:37], s[36:37], s[38:39]
	s_andn2_b64 exec, exec, s[26:27]
	s_cbranch_execz .LBB56_141
.LBB56_137:                             ;   Parent Loop BB56_7 Depth=1
                                        ; =>  This Inner Loop Header: Depth=2
	v_cmp_gt_i32_e32 vcc, s6, v3
	s_and_saveexec_b64 s[38:39], vcc
	s_cbranch_execz .LBB56_134
; %bb.138:                              ;   in Loop: Header=BB56_137 Depth=2
	ds_read_u16 v17, v2
	s_waitcnt lgkmcnt(0)
	v_cmp_lt_i16_e32 vcc, -1, v17
	s_nop 1
	v_cndmask_b32_e32 v18, v33, v35, vcc
	v_xor_b32_sdwa v18, v18, v17 dst_sel:DWORD dst_unused:UNUSED_PAD src0_sel:DWORD src1_sel:WORD_0
	v_cmp_o_f16_e32 vcc, v17, v17
	s_nop 1
	v_cndmask_b32_e32 v18, v33, v18, vcc
	v_and_b32_e32 v18, v18, v39
	v_cmp_eq_u32_e32 vcc, v18, v29
	s_and_b64 exec, exec, vcc
	s_cbranch_execz .LBB56_134
; %bb.139:                              ;   in Loop: Header=BB56_137 Depth=2
	v_perm_b32 v17, v17, s61, v38
	ds_write_b32 v9, v17 offset:3072
	s_branch .LBB56_134
.LBB56_140:                             ;   in Loop: Header=BB56_137 Depth=2
	s_mov_b64 s[40:41], -1
                                        ; implicit-def: $vgpr3
                                        ; implicit-def: $vgpr2
	s_mov_b64 s[38:39], -1
	s_branch .LBB56_136
.LBB56_141:                             ;   in Loop: Header=BB56_7 Depth=1
	s_or_b64 exec, exec, s[26:27]
	s_andn2_b64 s[26:27], s[34:35], exec
	s_and_b64 s[34:35], s[36:37], exec
	v_lshrrev_b32_e32 v40, 16, v17
	s_or_b64 s[34:35], s[26:27], s[34:35]
.LBB56_142:                             ;   in Loop: Header=BB56_7 Depth=1
	s_or_b64 exec, exec, s[24:25]
	s_mov_b64 s[24:25], 0
	s_mov_b64 s[26:27], -1
.LBB56_143:                             ;   in Loop: Header=BB56_7 Depth=1
	s_orn2_b64 s[34:35], s[34:35], exec
.LBB56_144:                             ;   in Loop: Header=BB56_7 Depth=1
	s_or_b64 exec, exec, s[28:29]
	s_mov_b64 s[36:37], 0
	s_and_saveexec_b64 s[28:29], s[34:35]
	s_cbranch_execz .LBB56_237
; %bb.145:                              ;   in Loop: Header=BB56_7 Depth=1
	s_xor_b64 s[34:35], s[30:31], -1
	s_mov_b64 s[40:41], 0
	v_mov_b32_e32 v17, 1
	v_mov_b32_e32 v5, 1
	s_and_saveexec_b64 s[30:31], s[34:35]
	s_cbranch_execz .LBB56_154
; %bb.146:                              ;   in Loop: Header=BB56_7 Depth=1
	v_cmp_ge_i32_e32 vcc, s46, v16
	s_and_saveexec_b64 s[34:35], vcc
	s_xor_b64 s[34:35], exec, s[34:35]
	s_cbranch_execz .LBB56_151
; %bb.147:                              ;   in Loop: Header=BB56_7 Depth=1
	ds_read_b32 v2, v9 offset:4096
	v_and_b32_e32 v3, v29, v8
	v_lshl_or_b32 v29, 1, v34, v3
	v_or_b32_e32 v39, v39, v4
	s_waitcnt lgkmcnt(0)
	v_cmp_ne_u32_e32 vcc, 0, v2
	s_cbranch_vccnz .LBB56_151
; %bb.148:                              ;   in Loop: Header=BB56_7 Depth=1
	s_and_saveexec_b64 s[36:37], s[18:19]
; %bb.149:                              ;   in Loop: Header=BB56_7 Depth=1
	v_mov_b32_e32 v2, s46
	ds_write_b32 v9, v2 offset:4100
; %bb.150:                              ;   in Loop: Header=BB56_7 Depth=1
	s_or_b64 exec, exec, s[36:37]
	s_waitcnt lgkmcnt(0)
	s_barrier
.LBB56_151:                             ;   in Loop: Header=BB56_7 Depth=1
	s_or_saveexec_b64 s[34:35], s[34:35]
	s_mov_b64 s[36:37], 0
	v_mov_b32_e32 v5, 8
	s_xor_b64 exec, exec, s[34:35]
; %bb.152:                              ;   in Loop: Header=BB56_7 Depth=1
	s_mov_b64 s[36:37], exec
	v_subrev_u32_e32 v16, s46, v16
	v_mov_b32_e32 v5, 0
; %bb.153:                              ;   in Loop: Header=BB56_7 Depth=1
	s_or_b64 exec, exec, s[34:35]
	s_and_b64 s[40:41], s[36:37], exec
	v_mov_b32_e32 v17, v16
.LBB56_154:                             ;   in Loop: Header=BB56_7 Depth=1
	s_or_b64 exec, exec, s[30:31]
	s_mov_b64 s[38:39], -1
                                        ; implicit-def: $sgpr34_sgpr35
                                        ; implicit-def: $sgpr36_sgpr37
	s_and_saveexec_b64 s[30:31], s[40:41]
	s_cbranch_execz .LBB56_236
; %bb.155:                              ;   in Loop: Header=BB56_7 Depth=1
	s_cmp_eq_u32 s54, 1
	s_cselect_b64 s[34:35], -1, 0
	v_cmp_eq_u32_e32 vcc, 1, v17
	s_and_b64 s[40:41], s[34:35], vcc
	s_mov_b64 s[42:43], -1
                                        ; implicit-def: $sgpr36_sgpr37
                                        ; implicit-def: $sgpr34_sgpr35
	s_and_saveexec_b64 s[38:39], s[40:41]
	s_cbranch_execz .LBB56_183
; %bb.156:                              ;   in Loop: Header=BB56_7 Depth=1
	ds_read_b32 v2, v9 offset:4096
	s_waitcnt lgkmcnt(0)
	s_barrier
	v_readfirstlane_b32 s6, v2
	s_and_saveexec_b64 s[34:35], s[4:5]
; %bb.157:                              ;   in Loop: Header=BB56_7 Depth=1
	ds_write_b16 v22, v9
; %bb.158:                              ;   in Loop: Header=BB56_7 Depth=1
	s_or_b64 exec, exec, s[34:35]
	v_and_b32_e32 v2, v29, v8
	v_lshl_or_b32 v29, 2, v34, v2
	v_or_b32_e32 v39, v39, v4
	s_mov_b64 s[34:35], -1
	s_mov_b64 s[36:37], 0
	s_cmp_gt_i32 s6, 0
	s_mov_b64 s[42:43], 0
	s_mov_b64 s[44:45], -1
	s_waitcnt lgkmcnt(0)
	s_barrier
                                        ; implicit-def: $vgpr40
	s_cbranch_scc1 .LBB56_170
; %bb.159:                              ;   in Loop: Header=BB56_7 Depth=1
	s_mov_b64 s[44:45], 0
                                        ; implicit-def: $vgpr40
	s_mov_b64 s[46:47], exec
	v_readlane_b32 s48, v56, 26
	v_readlane_b32 s49, v56, 27
	s_and_b64 s[48:49], s[46:47], s[48:49]
	s_mov_b64 exec, s[48:49]
	s_cbranch_execz .LBB56_169
; %bb.160:                              ;   in Loop: Header=BB56_7 Depth=1
	v_mov_b32_e32 v2, v6
	v_mov_b32_e32 v16, v0
                                        ; implicit-def: $sgpr48_sgpr49
	s_branch .LBB56_164
.LBB56_161:                             ;   in Loop: Header=BB56_164 Depth=2
	s_or_b64 exec, exec, s[50:51]
	s_waitcnt lgkmcnt(0)
	s_barrier
	ds_read_b32 v3, v9 offset:3072
	s_waitcnt lgkmcnt(0)
	s_barrier
	v_cmp_neq_f16_e32 vcc, 0, v3
	s_cbranch_vccnz .LBB56_167
; %bb.162:                              ;   in Loop: Header=BB56_164 Depth=2
	v_add_u32_e32 v16, s62, v16
	v_cmp_le_i32_e32 vcc, s80, v16
	v_add_u32_e32 v2, s33, v2
	s_mov_b64 s[50:51], 0
	s_orn2_b64 s[52:53], vcc, exec
.LBB56_163:                             ;   in Loop: Header=BB56_164 Depth=2
	s_and_b64 s[52:53], exec, s[52:53]
	s_or_b64 s[42:43], s[52:53], s[42:43]
	s_andn2_b64 s[48:49], s[48:49], exec
	s_and_b64 s[50:51], s[50:51], exec
	s_or_b64 s[48:49], s[48:49], s[50:51]
	s_andn2_b64 exec, exec, s[42:43]
	s_cbranch_execz .LBB56_168
.LBB56_164:                             ;   Parent Loop BB56_7 Depth=1
                                        ; =>  This Inner Loop Header: Depth=2
	v_cmp_gt_i32_e32 vcc, s60, v16
	s_and_saveexec_b64 s[50:51], vcc
	s_cbranch_execz .LBB56_161
; %bb.165:                              ;   in Loop: Header=BB56_164 Depth=2
	v_ashrrev_i32_e32 v3, 31, v2
	v_lshl_add_u64 v[18:19], v[2:3], 1, s[68:69]
	global_load_ushort v3, v[18:19], off
	s_waitcnt vmcnt(0)
	v_cmp_lt_i16_e32 vcc, -1, v3
	s_nop 1
	v_cndmask_b32_e32 v18, v33, v35, vcc
	v_xor_b32_sdwa v18, v18, v3 dst_sel:DWORD dst_unused:UNUSED_PAD src0_sel:DWORD src1_sel:WORD_0
	v_cmp_o_f16_e32 vcc, v3, v3
	s_nop 1
	v_cndmask_b32_e32 v18, v33, v18, vcc
	v_and_b32_e32 v18, v18, v39
	v_cmp_eq_u32_e32 vcc, v18, v29
	s_and_b64 exec, exec, vcc
	s_cbranch_execz .LBB56_161
; %bb.166:                              ;   in Loop: Header=BB56_164 Depth=2
	v_perm_b32 v3, v3, s61, v38
	ds_write_b32 v9, v3 offset:3072
	s_branch .LBB56_161
.LBB56_167:                             ;   in Loop: Header=BB56_164 Depth=2
	s_mov_b64 s[52:53], -1
                                        ; implicit-def: $vgpr16
                                        ; implicit-def: $vgpr2
	s_mov_b64 s[50:51], -1
	s_branch .LBB56_163
.LBB56_168:                             ;   in Loop: Header=BB56_7 Depth=1
	s_or_b64 exec, exec, s[42:43]
	v_lshrrev_b32_e32 v40, 16, v3
	s_and_b64 s[42:43], s[48:49], exec
.LBB56_169:                             ;   in Loop: Header=BB56_7 Depth=1
	s_or_b64 exec, exec, s[46:47]
.LBB56_170:                             ;   in Loop: Header=BB56_7 Depth=1
	s_and_b64 vcc, exec, s[44:45]
	s_cbranch_vccz .LBB56_182
; %bb.171:                              ;   in Loop: Header=BB56_7 Depth=1
	v_readlane_b32 s34, v56, 7
	s_add_i32 s50, s6, s34
	s_abs_i32 s35, s50
	s_mul_hi_u32 s36, s35, s9
	s_mul_i32 s36, s36, s62
	s_sub_i32 s35, s35, s36
	s_ashr_i32 s34, s50, 31
	s_sub_i32 s36, s35, s62
	s_cmp_ge_u32 s35, s62
	s_cselect_b32 s35, s36, s35
	s_sub_i32 s36, s35, s62
	s_cmp_ge_u32 s35, s62
	s_cselect_b32 s35, s36, s35
	s_xor_b32 s35, s35, s34
	s_sub_i32 s34, s34, s35
	s_add_i32 s50, s50, s34
	v_cmp_gt_i32_e32 vcc, s50, v0
                                        ; implicit-def: $vgpr40
	s_and_saveexec_b64 s[34:35], vcc
	s_cbranch_execz .LBB56_181
; %bb.172:                              ;   in Loop: Header=BB56_7 Depth=1
	s_mov_b64 s[36:37], 0
	v_mov_b32_e32 v2, v21
	v_mov_b32_e32 v3, v0
                                        ; implicit-def: $sgpr44_sgpr45
	s_branch .LBB56_176
.LBB56_173:                             ;   in Loop: Header=BB56_176 Depth=2
	s_or_b64 exec, exec, s[46:47]
	s_waitcnt lgkmcnt(0)
	s_barrier
	ds_read_b32 v16, v9 offset:3072
	s_waitcnt lgkmcnt(0)
	s_barrier
	v_cmp_eq_f16_e32 vcc, 0, v16
	s_cbranch_vccz .LBB56_179
; %bb.174:                              ;   in Loop: Header=BB56_176 Depth=2
	v_add_u32_e32 v3, s62, v3
	v_cmp_le_i32_e32 vcc, s50, v3
	v_add_u32_e32 v2, s79, v2
	s_mov_b64 s[46:47], 0
	s_orn2_b64 s[48:49], vcc, exec
.LBB56_175:                             ;   in Loop: Header=BB56_176 Depth=2
	s_and_b64 s[48:49], exec, s[48:49]
	s_or_b64 s[36:37], s[48:49], s[36:37]
	s_andn2_b64 s[44:45], s[44:45], exec
	s_and_b64 s[46:47], s[46:47], exec
	s_or_b64 s[44:45], s[44:45], s[46:47]
	s_andn2_b64 exec, exec, s[36:37]
	s_cbranch_execz .LBB56_180
.LBB56_176:                             ;   Parent Loop BB56_7 Depth=1
                                        ; =>  This Inner Loop Header: Depth=2
	v_cmp_gt_i32_e32 vcc, s6, v3
	s_and_saveexec_b64 s[46:47], vcc
	s_cbranch_execz .LBB56_173
; %bb.177:                              ;   in Loop: Header=BB56_176 Depth=2
	ds_read_u16 v16, v2
	s_waitcnt lgkmcnt(0)
	v_cmp_lt_i16_e32 vcc, -1, v16
	s_nop 1
	v_cndmask_b32_e32 v18, v33, v35, vcc
	v_xor_b32_sdwa v18, v18, v16 dst_sel:DWORD dst_unused:UNUSED_PAD src0_sel:DWORD src1_sel:WORD_0
	v_cmp_o_f16_e32 vcc, v16, v16
	s_nop 1
	v_cndmask_b32_e32 v18, v33, v18, vcc
	v_and_b32_e32 v18, v18, v39
	v_cmp_eq_u32_e32 vcc, v18, v29
	s_and_b64 exec, exec, vcc
	s_cbranch_execz .LBB56_173
; %bb.178:                              ;   in Loop: Header=BB56_176 Depth=2
	v_perm_b32 v16, v16, s61, v38
	ds_write_b32 v9, v16 offset:3072
	s_branch .LBB56_173
.LBB56_179:                             ;   in Loop: Header=BB56_176 Depth=2
	s_mov_b64 s[48:49], -1
                                        ; implicit-def: $vgpr3
                                        ; implicit-def: $vgpr2
	s_mov_b64 s[46:47], -1
	s_branch .LBB56_175
.LBB56_180:                             ;   in Loop: Header=BB56_7 Depth=1
	s_or_b64 exec, exec, s[36:37]
	s_andn2_b64 s[36:37], s[42:43], exec
	s_and_b64 s[42:43], s[44:45], exec
	v_lshrrev_b32_e32 v40, 16, v16
	s_or_b64 s[42:43], s[36:37], s[42:43]
.LBB56_181:                             ;   in Loop: Header=BB56_7 Depth=1
	s_or_b64 exec, exec, s[34:35]
	s_mov_b64 s[34:35], 0
	s_mov_b64 s[36:37], -1
.LBB56_182:                             ;   in Loop: Header=BB56_7 Depth=1
	s_orn2_b64 s[42:43], s[42:43], exec
.LBB56_183:                             ;   in Loop: Header=BB56_7 Depth=1
	s_or_b64 exec, exec, s[38:39]
	s_mov_b64 s[44:45], 0
	s_and_saveexec_b64 s[38:39], s[42:43]
	s_cbranch_execz .LBB56_235
; %bb.184:                              ;   in Loop: Header=BB56_7 Depth=1
	s_xor_b64 s[42:43], s[40:41], -1
	s_mov_b64 s[48:49], 0
	v_mov_b32_e32 v16, 1
	v_mov_b32_e32 v5, 1
	s_and_saveexec_b64 s[40:41], s[42:43]
	s_cbranch_execz .LBB56_193
; %bb.185:                              ;   in Loop: Header=BB56_7 Depth=1
	v_cmp_ge_i32_e32 vcc, s54, v17
	s_and_saveexec_b64 s[42:43], vcc
	s_xor_b64 s[42:43], exec, s[42:43]
	s_cbranch_execz .LBB56_190
; %bb.186:                              ;   in Loop: Header=BB56_7 Depth=1
	ds_read_b32 v2, v9 offset:4096
	v_and_b32_e32 v3, v29, v8
	v_lshl_or_b32 v29, 2, v34, v3
	v_or_b32_e32 v39, v39, v4
	s_waitcnt lgkmcnt(0)
	v_cmp_ne_u32_e32 vcc, 0, v2
	s_cbranch_vccnz .LBB56_190
; %bb.187:                              ;   in Loop: Header=BB56_7 Depth=1
	s_and_saveexec_b64 s[44:45], s[18:19]
; %bb.188:                              ;   in Loop: Header=BB56_7 Depth=1
	v_mov_b32_e32 v2, s54
	ds_write_b32 v9, v2 offset:4100
; %bb.189:                              ;   in Loop: Header=BB56_7 Depth=1
	s_or_b64 exec, exec, s[44:45]
	s_waitcnt lgkmcnt(0)
	s_barrier
.LBB56_190:                             ;   in Loop: Header=BB56_7 Depth=1
	s_or_saveexec_b64 s[42:43], s[42:43]
	s_mov_b64 s[44:45], 0
	v_mov_b32_e32 v5, 8
	s_xor_b64 exec, exec, s[42:43]
; %bb.191:                              ;   in Loop: Header=BB56_7 Depth=1
	s_mov_b64 s[44:45], exec
	v_subrev_u32_e32 v17, s54, v17
	v_mov_b32_e32 v5, 0
; %bb.192:                              ;   in Loop: Header=BB56_7 Depth=1
	s_or_b64 exec, exec, s[42:43]
	s_and_b64 s[48:49], s[44:45], exec
	v_mov_b32_e32 v16, v17
.LBB56_193:                             ;   in Loop: Header=BB56_7 Depth=1
	s_or_b64 exec, exec, s[40:41]
	s_mov_b64 s[42:43], -1
                                        ; implicit-def: $sgpr46_sgpr47
                                        ; implicit-def: $sgpr44_sgpr45
	s_and_saveexec_b64 s[40:41], s[48:49]
	s_cbranch_execz .LBB56_234
; %bb.194:                              ;   in Loop: Header=BB56_7 Depth=1
	s_cmp_eq_u32 s17, 1
	s_cselect_b64 s[42:43], -1, 0
	v_cmp_eq_u32_e32 vcc, 1, v16
	s_and_b64 s[42:43], s[42:43], vcc
	s_mov_b64 s[50:51], -1
                                        ; implicit-def: $sgpr46_sgpr47
                                        ; implicit-def: $sgpr44_sgpr45
	s_and_saveexec_b64 s[48:49], s[42:43]
	s_cbranch_execz .LBB56_222
; %bb.195:                              ;   in Loop: Header=BB56_7 Depth=1
	ds_read_b32 v2, v9 offset:4096
	s_waitcnt lgkmcnt(0)
	s_barrier
	v_readfirstlane_b32 s6, v2
	s_and_saveexec_b64 s[44:45], s[4:5]
; %bb.196:                              ;   in Loop: Header=BB56_7 Depth=1
	ds_write_b16 v22, v9
; %bb.197:                              ;   in Loop: Header=BB56_7 Depth=1
	s_or_b64 exec, exec, s[44:45]
	v_or_b32_e32 v29, v29, v4
	v_or_b32_e32 v39, v39, v4
	s_mov_b64 s[44:45], -1
	s_mov_b64 s[46:47], 0
	s_cmp_gt_i32 s6, 0
	s_mov_b64 s[50:51], 0
	s_mov_b64 s[52:53], -1
	s_waitcnt lgkmcnt(0)
	s_barrier
                                        ; implicit-def: $vgpr40
	s_cbranch_scc1 .LBB56_209
; %bb.198:                              ;   in Loop: Header=BB56_7 Depth=1
	s_mov_b64 s[52:53], 0
                                        ; implicit-def: $vgpr40
	s_mov_b64 s[54:55], exec
	v_readlane_b32 s56, v56, 26
	v_readlane_b32 s57, v56, 27
	s_and_b64 s[56:57], s[54:55], s[56:57]
	s_mov_b64 exec, s[56:57]
	s_cbranch_execz .LBB56_208
; %bb.199:                              ;   in Loop: Header=BB56_7 Depth=1
	v_mov_b32_e32 v2, v6
	v_mov_b32_e32 v8, v0
                                        ; implicit-def: $sgpr56_sgpr57
	s_branch .LBB56_203
.LBB56_200:                             ;   in Loop: Header=BB56_203 Depth=2
	s_or_b64 exec, exec, s[58:59]
	s_waitcnt lgkmcnt(0)
	s_barrier
	ds_read_b32 v3, v9 offset:3072
	s_waitcnt lgkmcnt(0)
	s_barrier
	v_cmp_neq_f16_e32 vcc, 0, v3
	s_cbranch_vccnz .LBB56_206
; %bb.201:                              ;   in Loop: Header=BB56_203 Depth=2
	v_add_u32_e32 v8, s62, v8
	v_cmp_le_i32_e32 vcc, s80, v8
	v_add_u32_e32 v2, s33, v2
	s_mov_b64 s[58:59], 0
	s_orn2_b64 s[66:67], vcc, exec
.LBB56_202:                             ;   in Loop: Header=BB56_203 Depth=2
	s_and_b64 s[66:67], exec, s[66:67]
	s_or_b64 s[50:51], s[66:67], s[50:51]
	s_andn2_b64 s[56:57], s[56:57], exec
	s_and_b64 s[58:59], s[58:59], exec
	s_or_b64 s[56:57], s[56:57], s[58:59]
	s_andn2_b64 exec, exec, s[50:51]
	s_cbranch_execz .LBB56_207
.LBB56_203:                             ;   Parent Loop BB56_7 Depth=1
                                        ; =>  This Inner Loop Header: Depth=2
	v_cmp_gt_i32_e32 vcc, s60, v8
	s_and_saveexec_b64 s[58:59], vcc
	s_cbranch_execz .LBB56_200
; %bb.204:                              ;   in Loop: Header=BB56_203 Depth=2
	v_ashrrev_i32_e32 v3, 31, v2
	v_lshl_add_u64 v[18:19], v[2:3], 1, s[68:69]
	global_load_ushort v3, v[18:19], off
	s_waitcnt vmcnt(0)
	v_cmp_lt_i16_e32 vcc, -1, v3
	s_nop 1
	v_cndmask_b32_e32 v17, v33, v35, vcc
	v_xor_b32_sdwa v17, v17, v3 dst_sel:DWORD dst_unused:UNUSED_PAD src0_sel:DWORD src1_sel:WORD_0
	v_cmp_o_f16_e32 vcc, v3, v3
	s_nop 1
	v_cndmask_b32_e32 v17, v33, v17, vcc
	v_and_b32_e32 v17, v17, v39
	v_cmp_eq_u32_e32 vcc, v17, v29
	s_and_b64 exec, exec, vcc
	s_cbranch_execz .LBB56_200
; %bb.205:                              ;   in Loop: Header=BB56_203 Depth=2
	v_perm_b32 v3, v3, s61, v38
	ds_write_b32 v9, v3 offset:3072
	s_branch .LBB56_200
.LBB56_206:                             ;   in Loop: Header=BB56_203 Depth=2
	s_mov_b64 s[66:67], -1
                                        ; implicit-def: $vgpr8
                                        ; implicit-def: $vgpr2
	s_mov_b64 s[58:59], -1
	s_branch .LBB56_202
.LBB56_207:                             ;   in Loop: Header=BB56_7 Depth=1
	s_or_b64 exec, exec, s[50:51]
	v_lshrrev_b32_e32 v40, 16, v3
	s_and_b64 s[50:51], s[56:57], exec
.LBB56_208:                             ;   in Loop: Header=BB56_7 Depth=1
	s_or_b64 exec, exec, s[54:55]
.LBB56_209:                             ;   in Loop: Header=BB56_7 Depth=1
	s_and_b64 vcc, exec, s[52:53]
	s_cbranch_vccz .LBB56_221
; %bb.210:                              ;   in Loop: Header=BB56_7 Depth=1
	v_readlane_b32 s44, v56, 7
	s_add_i32 s58, s6, s44
	s_abs_i32 s45, s58
	s_mul_hi_u32 s46, s45, s9
	s_mul_i32 s46, s46, s62
	s_sub_i32 s45, s45, s46
	s_ashr_i32 s44, s58, 31
	s_sub_i32 s46, s45, s62
	s_cmp_ge_u32 s45, s62
	s_cselect_b32 s45, s46, s45
	s_sub_i32 s46, s45, s62
	s_cmp_ge_u32 s45, s62
	s_cselect_b32 s45, s46, s45
	s_xor_b32 s45, s45, s44
	s_sub_i32 s44, s44, s45
	s_add_i32 s58, s58, s44
	v_cmp_gt_i32_e32 vcc, s58, v0
                                        ; implicit-def: $vgpr40
	s_and_saveexec_b64 s[44:45], vcc
	s_cbranch_execz .LBB56_220
; %bb.211:                              ;   in Loop: Header=BB56_7 Depth=1
	s_mov_b64 s[46:47], 0
	v_mov_b32_e32 v2, v21
	v_mov_b32_e32 v3, v0
                                        ; implicit-def: $sgpr52_sgpr53
	s_branch .LBB56_215
.LBB56_212:                             ;   in Loop: Header=BB56_215 Depth=2
	s_or_b64 exec, exec, s[54:55]
	s_waitcnt lgkmcnt(0)
	s_barrier
	ds_read_b32 v8, v9 offset:3072
	s_waitcnt lgkmcnt(0)
	s_barrier
	v_cmp_eq_f16_e32 vcc, 0, v8
	s_cbranch_vccz .LBB56_218
; %bb.213:                              ;   in Loop: Header=BB56_215 Depth=2
	v_add_u32_e32 v3, s62, v3
	v_cmp_le_i32_e32 vcc, s58, v3
	v_add_u32_e32 v2, s79, v2
	s_mov_b64 s[54:55], 0
	s_orn2_b64 s[56:57], vcc, exec
.LBB56_214:                             ;   in Loop: Header=BB56_215 Depth=2
	s_and_b64 s[56:57], exec, s[56:57]
	s_or_b64 s[46:47], s[56:57], s[46:47]
	s_andn2_b64 s[52:53], s[52:53], exec
	s_and_b64 s[54:55], s[54:55], exec
	s_or_b64 s[52:53], s[52:53], s[54:55]
	s_andn2_b64 exec, exec, s[46:47]
	s_cbranch_execz .LBB56_219
.LBB56_215:                             ;   Parent Loop BB56_7 Depth=1
                                        ; =>  This Inner Loop Header: Depth=2
	v_cmp_gt_i32_e32 vcc, s6, v3
	s_and_saveexec_b64 s[54:55], vcc
	s_cbranch_execz .LBB56_212
; %bb.216:                              ;   in Loop: Header=BB56_215 Depth=2
	ds_read_u16 v8, v2
	s_waitcnt lgkmcnt(0)
	v_cmp_lt_i16_e32 vcc, -1, v8
	s_nop 1
	v_cndmask_b32_e32 v17, v33, v35, vcc
	v_xor_b32_sdwa v17, v17, v8 dst_sel:DWORD dst_unused:UNUSED_PAD src0_sel:DWORD src1_sel:WORD_0
	v_cmp_o_f16_e32 vcc, v8, v8
	s_nop 1
	v_cndmask_b32_e32 v17, v33, v17, vcc
	v_and_b32_e32 v17, v17, v39
	v_cmp_eq_u32_e32 vcc, v17, v29
	s_and_b64 exec, exec, vcc
	s_cbranch_execz .LBB56_212
; %bb.217:                              ;   in Loop: Header=BB56_215 Depth=2
	v_perm_b32 v8, v8, s61, v38
	ds_write_b32 v9, v8 offset:3072
	s_branch .LBB56_212
.LBB56_218:                             ;   in Loop: Header=BB56_215 Depth=2
	s_mov_b64 s[56:57], -1
                                        ; implicit-def: $vgpr3
                                        ; implicit-def: $vgpr2
	s_mov_b64 s[54:55], -1
	s_branch .LBB56_214
.LBB56_219:                             ;   in Loop: Header=BB56_7 Depth=1
	s_or_b64 exec, exec, s[46:47]
	s_andn2_b64 s[46:47], s[50:51], exec
	s_and_b64 s[50:51], s[52:53], exec
	v_lshrrev_b32_e32 v40, 16, v8
	s_or_b64 s[50:51], s[46:47], s[50:51]
.LBB56_220:                             ;   in Loop: Header=BB56_7 Depth=1
	s_or_b64 exec, exec, s[44:45]
	s_mov_b64 s[44:45], 0
	s_mov_b64 s[46:47], -1
.LBB56_221:                             ;   in Loop: Header=BB56_7 Depth=1
	s_orn2_b64 s[50:51], s[50:51], exec
.LBB56_222:                             ;   in Loop: Header=BB56_7 Depth=1
	s_or_b64 exec, exec, s[48:49]
	s_mov_b64 s[52:53], 0
	s_and_saveexec_b64 s[48:49], s[50:51]
	s_cbranch_execz .LBB56_233
; %bb.223:                              ;   in Loop: Header=BB56_7 Depth=1
	s_xor_b64 s[50:51], s[42:43], -1
	v_mov_b32_e32 v5, 1
	v_mov_b32_e32 v2, 1
	s_and_saveexec_b64 s[42:43], s[50:51]
	s_cbranch_execz .LBB56_232
; %bb.224:                              ;   in Loop: Header=BB56_7 Depth=1
	v_cmp_ge_i32_e32 vcc, s17, v16
	s_and_saveexec_b64 s[50:51], vcc
	s_xor_b64 s[50:51], exec, s[50:51]
	s_cbranch_execz .LBB56_229
; %bb.225:                              ;   in Loop: Header=BB56_7 Depth=1
	ds_read_b32 v2, v9 offset:4096
	v_or_b32_e32 v29, v29, v4
	v_or_b32_e32 v39, v39, v4
	s_waitcnt lgkmcnt(0)
	v_cmp_ne_u32_e32 vcc, 0, v2
	s_cbranch_vccnz .LBB56_229
; %bb.226:                              ;   in Loop: Header=BB56_7 Depth=1
	s_and_saveexec_b64 s[52:53], s[18:19]
; %bb.227:                              ;   in Loop: Header=BB56_7 Depth=1
	v_mov_b32_e32 v2, s17
	ds_write_b32 v9, v2 offset:4100
; %bb.228:                              ;   in Loop: Header=BB56_7 Depth=1
	s_or_b64 exec, exec, s[52:53]
	s_waitcnt lgkmcnt(0)
	s_barrier
.LBB56_229:                             ;   in Loop: Header=BB56_7 Depth=1
	s_andn2_saveexec_b64 s[50:51], s[50:51]
; %bb.230:                              ;   in Loop: Header=BB56_7 Depth=1
	v_subrev_u32_e32 v16, s17, v16
; %bb.231:                              ;   in Loop: Header=BB56_7 Depth=1
	s_or_b64 exec, exec, s[50:51]
	v_mov_b32_e32 v5, 8
	v_mov_b32_e32 v2, v16
.LBB56_232:                             ;   in Loop: Header=BB56_7 Depth=1
	s_or_b64 exec, exec, s[42:43]
	s_mov_b64 s[52:53], exec
	v_mov_b32_e32 v16, v2
.LBB56_233:                             ;   in Loop: Header=BB56_7 Depth=1
	s_or_b64 exec, exec, s[48:49]
	s_orn2_b64 s[42:43], s[52:53], exec
.LBB56_234:                             ;   in Loop: Header=BB56_7 Depth=1
	s_or_b64 exec, exec, s[40:41]
	s_andn2_b64 s[36:37], s[36:37], exec
	s_and_b64 s[40:41], s[46:47], exec
	s_or_b64 s[36:37], s[36:37], s[40:41]
	s_andn2_b64 s[34:35], s[34:35], exec
	s_and_b64 s[40:41], s[44:45], exec
	s_or_b64 s[34:35], s[34:35], s[40:41]
	s_and_b64 s[44:45], s[42:43], exec
	v_mov_b32_e32 v17, v16
.LBB56_235:                             ;   in Loop: Header=BB56_7 Depth=1
	s_or_b64 exec, exec, s[38:39]
	s_orn2_b64 s[38:39], s[44:45], exec
.LBB56_236:                             ;   in Loop: Header=BB56_7 Depth=1
	s_or_b64 exec, exec, s[30:31]
	s_andn2_b64 s[26:27], s[26:27], exec
	s_and_b64 s[30:31], s[36:37], exec
	s_or_b64 s[26:27], s[26:27], s[30:31]
	s_andn2_b64 s[24:25], s[24:25], exec
	s_and_b64 s[30:31], s[34:35], exec
	s_or_b64 s[24:25], s[24:25], s[30:31]
	s_and_b64 s[36:37], s[38:39], exec
	v_mov_b32_e32 v16, v17
.LBB56_237:                             ;   in Loop: Header=BB56_7 Depth=1
	s_or_b64 exec, exec, s[28:29]
	s_orn2_b64 s[28:29], s[36:37], exec
.LBB56_238:                             ;   in Loop: Header=BB56_7 Depth=1
	s_or_b64 exec, exec, s[22:23]
	s_mov_b64 s[30:31], 0
                                        ; implicit-def: $sgpr6
	s_and_saveexec_b64 s[22:23], s[28:29]
	s_xor_b64 s[22:23], exec, s[22:23]
	s_cbranch_execz .LBB56_5
; %bb.239:                              ;   in Loop: Header=BB56_7 Depth=1
	v_and_b32_e32 v2, 7, v5
	v_cmp_eq_u32_e32 vcc, 0, v2
	s_mov_b64 s[20:21], -1
	s_mov_b64 s[28:29], -1
                                        ; implicit-def: $sgpr6
	s_and_saveexec_b64 s[30:31], vcc
	s_cbranch_execz .LBB56_4
; %bb.240:                              ;   in Loop: Header=BB56_7 Depth=1
	v_add_u32_e32 v2, -2, v34
	v_cmp_eq_u32_e32 vcc, 0, v34
	s_xor_b32 s6, s16, 1
	s_xor_b64 s[28:29], exec, -1
	s_orn2_b64 s[20:21], vcc, exec
	v_mov_b32_e32 v34, v2
	s_branch .LBB56_4
.LBB56_241:
	s_or_b64 exec, exec, s[88:89]
	s_xor_b64 s[4:5], s[94:95], -1
	s_xor_b64 s[2:3], s[90:91], -1
	;; [unrolled: 1-line block ×3, first 2 shown]
	s_mov_b64 s[0:1], 0
	s_and_saveexec_b64 s[8:9], s[2:3]
	s_xor_b64 s[2:3], exec, s[8:9]
	s_cbranch_execnz .LBB56_246
; %bb.242:
	s_andn2_saveexec_b64 s[2:3], s[2:3]
	s_cbranch_execnz .LBB56_266
.LBB56_243:
	s_or_b64 exec, exec, s[2:3]
	s_and_saveexec_b64 s[2:3], s[0:1]
.LBB56_244:
	; divergent unreachable
.LBB56_245:
	s_endpgm
.LBB56_246:
	s_and_saveexec_b64 s[0:1], s[4:5]
	s_xor_b64 s[4:5], exec, s[0:1]
	s_cbranch_execz .LBB56_264
; %bb.247:
	s_and_saveexec_b64 s[0:1], s[6:7]
	s_xor_b64 s[0:1], exec, s[0:1]
; %bb.248:
	v_and_b32_e32 v1, 0x8000, v29
	v_mov_b32_e32 v2, 0x8000
	v_mov_b32_e32 v3, 0xffff
	v_cmp_eq_u32_e32 vcc, 0, v1
	s_nop 1
	v_cndmask_b32_e32 v1, v2, v3, vcc
	v_xor_b32_e32 v40, v1, v29
; %bb.249:
	s_or_b64 exec, exec, s[0:1]
	s_and_saveexec_b64 s[0:1], s[18:19]
	v_readlane_b32 s22, v56, 6
; %bb.250:
	v_mov_b32_e32 v1, 0
	v_mov_b32_e32 v2, s60
	ds_write_b32 v1, v2 offset:4108
; %bb.251:
	s_or_b64 exec, exec, s[0:1]
	v_mov_b32_e32 v1, 0
	s_waitcnt lgkmcnt(0)
	s_barrier
	ds_read_b32 v1, v1 offset:4108
	s_waitcnt lgkmcnt(0)
	v_min_i32_e32 v2, s60, v1
	v_cmp_lt_i32_e32 vcc, v0, v2
	s_and_saveexec_b64 s[6:7], vcc
	s_cbranch_execz .LBB56_261
; %bb.252:
	v_cmp_u_f16_e32 vcc, v40, v40
	s_mov_b64 s[8:9], 0
	s_xor_b64 s[12:13], vcc, -1
                                        ; implicit-def: $sgpr10_sgpr11
                                        ; implicit-def: $sgpr16_sgpr17
                                        ; implicit-def: $sgpr14_sgpr15
	s_branch .LBB56_254
.LBB56_253:                             ;   in Loop: Header=BB56_254 Depth=1
	s_or_b64 exec, exec, s[0:1]
	s_and_b64 s[0:1], exec, s[16:17]
	s_or_b64 s[8:9], s[0:1], s[8:9]
	s_andn2_b64 s[0:1], s[10:11], exec
	s_and_b64 s[10:11], s[14:15], exec
	s_or_b64 s[10:11], s[0:1], s[10:11]
	s_andn2_b64 exec, exec, s[8:9]
	s_cbranch_execz .LBB56_256
.LBB56_254:                             ; =>This Inner Loop Header: Depth=1
	v_ashrrev_i32_e32 v7, 31, v6
	v_lshl_add_u64 v[4:5], v[6:7], 1, s[68:69]
	global_load_ushort v3, v[4:5], off
	v_mov_b32_e32 v1, v0
	s_or_b64 s[14:15], s[14:15], exec
	s_or_b64 s[16:17], s[16:17], exec
                                        ; implicit-def: $vgpr0
	s_waitcnt vmcnt(0)
	v_cmp_o_f16_e64 s[0:1], v3, v3
	v_cmp_neq_f16_e32 vcc, v3, v40
	s_or_b64 s[0:1], s[12:13], s[0:1]
	s_and_b64 s[20:21], vcc, s[0:1]
	s_and_saveexec_b64 s[0:1], s[20:21]
	s_cbranch_execz .LBB56_253
; %bb.255:                              ;   in Loop: Header=BB56_254 Depth=1
	v_add_u32_e32 v0, s62, v1
	v_cmp_ge_i32_e32 vcc, v0, v2
	s_andn2_b64 s[16:17], s[16:17], exec
	s_and_b64 s[20:21], vcc, exec
	v_add_u32_e32 v6, s33, v6
	s_andn2_b64 s[14:15], s[14:15], exec
	s_or_b64 s[16:17], s[16:17], s[20:21]
	s_branch .LBB56_253
.LBB56_256:
	s_or_b64 exec, exec, s[8:9]
	s_and_saveexec_b64 s[0:1], s[10:11]
	s_xor_b64 s[0:1], exec, s[0:1]
	s_cbranch_execz .LBB56_261
; %bb.257:
	s_mov_b64 s[0:1], exec
	s_brev_b32 s8, -2
.LBB56_258:                             ; =>This Inner Loop Header: Depth=1
	s_ff1_i32_b64 s9, s[0:1]
	v_readlane_b32 s12, v1, s9
	s_lshl_b64 s[10:11], 1, s9
	s_min_i32 s8, s8, s12
	s_andn2_b64 s[0:1], s[0:1], s[10:11]
	s_cmp_lg_u64 s[0:1], 0
	s_cbranch_scc1 .LBB56_258
; %bb.259:
	v_mbcnt_lo_u32_b32 v0, exec_lo, 0
	v_mbcnt_hi_u32_b32 v0, exec_hi, v0
	v_cmp_eq_u32_e32 vcc, 0, v0
	s_and_saveexec_b64 s[0:1], vcc
	s_xor_b64 s[0:1], exec, s[0:1]
; %bb.260:
	v_mov_b32_e32 v0, 0
	v_mov_b32_e32 v1, s8
	ds_min_i32 v0, v1 offset:4108
.LBB56_261:
	s_or_b64 exec, exec, s[6:7]
	s_waitcnt lgkmcnt(0)
	s_barrier
	s_and_saveexec_b64 s[0:1], s[18:19]
	s_cbranch_execz .LBB56_263
; %bb.262:
	v_readlane_b32 s6, v56, 5
	s_mul_i32 s6, s6, s22
	v_readlane_b32 s7, v56, 4
	s_mul_i32 s8, s7, s22
	s_ashr_i32 s7, s6, 31
	v_mov_b32_e32 v2, 0
	s_lshl_b64 s[6:7], s[6:7], 1
	v_readlane_b32 s10, v56, 2
	ds_read_b32 v0, v2 offset:4108
	v_readlane_b32 s11, v56, 3
	s_add_u32 s6, s10, s6
	s_addc_u32 s7, s11, s7
	s_ashr_i32 s9, s8, 31
	s_lshl_b64 s[8:9], s[8:9], 3
	v_readlane_b32 s10, v56, 0
	v_readlane_b32 s11, v56, 1
	s_add_u32 s8, s10, s8
	s_addc_u32 s9, s11, s9
	s_waitcnt lgkmcnt(0)
	v_ashrrev_i32_e32 v1, 31, v0
	global_store_dwordx2 v2, v[0:1], s[8:9]
	global_store_short v2, v40, s[6:7]
.LBB56_263:
	s_or_b64 exec, exec, s[0:1]
.LBB56_264:
	s_or_saveexec_b64 s[0:1], s[4:5]
	s_mov_b64 s[4:5], 0
	s_xor_b64 exec, exec, s[0:1]
	s_cbranch_execnz .LBB56_267
.LBB56_265:
	s_or_b64 exec, exec, s[0:1]
	s_and_b64 s[0:1], s[4:5], exec
	s_andn2_saveexec_b64 s[2:3], s[2:3]
	s_cbranch_execz .LBB56_243
.LBB56_266:
	s_or_b64 s[0:1], s[0:1], exec
	s_trap 2
	s_or_b64 exec, exec, s[2:3]
	s_and_saveexec_b64 s[2:3], s[0:1]
	s_cbranch_execnz .LBB56_244
	s_branch .LBB56_245
.LBB56_267:
	s_mov_b64 s[4:5], exec
	s_trap 2
	s_branch .LBB56_265
	.section	.rodata,"a",@progbits
	.p2align	6, 0x0
	.amdhsa_kernel _ZN2at6native12_GLOBAL__N_114gatherKthValueIN3c104HalfEiLi1EEEvNS_4cuda6detail10TensorInfoIKT_T0_EESA_SA_SA_SA_NS7_IS8_SA_EENS7_IlSA_EE
		.amdhsa_group_segment_fixed_size 4112
		.amdhsa_private_segment_fixed_size 0
		.amdhsa_kernarg_size 920
		.amdhsa_user_sgpr_count 2
		.amdhsa_user_sgpr_dispatch_ptr 0
		.amdhsa_user_sgpr_queue_ptr 0
		.amdhsa_user_sgpr_kernarg_segment_ptr 1
		.amdhsa_user_sgpr_dispatch_id 0
		.amdhsa_user_sgpr_kernarg_preload_length 0
		.amdhsa_user_sgpr_kernarg_preload_offset 0
		.amdhsa_user_sgpr_private_segment_size 0
		.amdhsa_uses_dynamic_stack 0
		.amdhsa_enable_private_segment 0
		.amdhsa_system_sgpr_workgroup_id_x 1
		.amdhsa_system_sgpr_workgroup_id_y 1
		.amdhsa_system_sgpr_workgroup_id_z 1
		.amdhsa_system_sgpr_workgroup_info 0
		.amdhsa_system_vgpr_workitem_id 0
		.amdhsa_next_free_vgpr 57
		.amdhsa_next_free_sgpr 100
		.amdhsa_accum_offset 60
		.amdhsa_reserve_vcc 1
		.amdhsa_float_round_mode_32 0
		.amdhsa_float_round_mode_16_64 0
		.amdhsa_float_denorm_mode_32 3
		.amdhsa_float_denorm_mode_16_64 3
		.amdhsa_dx10_clamp 1
		.amdhsa_ieee_mode 1
		.amdhsa_fp16_overflow 0
		.amdhsa_tg_split 0
		.amdhsa_exception_fp_ieee_invalid_op 0
		.amdhsa_exception_fp_denorm_src 0
		.amdhsa_exception_fp_ieee_div_zero 0
		.amdhsa_exception_fp_ieee_overflow 0
		.amdhsa_exception_fp_ieee_underflow 0
		.amdhsa_exception_fp_ieee_inexact 0
		.amdhsa_exception_int_div_zero 0
	.end_amdhsa_kernel
	.section	.text._ZN2at6native12_GLOBAL__N_114gatherKthValueIN3c104HalfEiLi1EEEvNS_4cuda6detail10TensorInfoIKT_T0_EESA_SA_SA_SA_NS7_IS8_SA_EENS7_IlSA_EE,"axG",@progbits,_ZN2at6native12_GLOBAL__N_114gatherKthValueIN3c104HalfEiLi1EEEvNS_4cuda6detail10TensorInfoIKT_T0_EESA_SA_SA_SA_NS7_IS8_SA_EENS7_IlSA_EE,comdat
.Lfunc_end56:
	.size	_ZN2at6native12_GLOBAL__N_114gatherKthValueIN3c104HalfEiLi1EEEvNS_4cuda6detail10TensorInfoIKT_T0_EESA_SA_SA_SA_NS7_IS8_SA_EENS7_IlSA_EE, .Lfunc_end56-_ZN2at6native12_GLOBAL__N_114gatherKthValueIN3c104HalfEiLi1EEEvNS_4cuda6detail10TensorInfoIKT_T0_EESA_SA_SA_SA_NS7_IS8_SA_EENS7_IlSA_EE
                                        ; -- End function
	.set _ZN2at6native12_GLOBAL__N_114gatherKthValueIN3c104HalfEiLi1EEEvNS_4cuda6detail10TensorInfoIKT_T0_EESA_SA_SA_SA_NS7_IS8_SA_EENS7_IlSA_EE.num_vgpr, 57
	.set _ZN2at6native12_GLOBAL__N_114gatherKthValueIN3c104HalfEiLi1EEEvNS_4cuda6detail10TensorInfoIKT_T0_EESA_SA_SA_SA_NS7_IS8_SA_EENS7_IlSA_EE.num_agpr, 0
	.set _ZN2at6native12_GLOBAL__N_114gatherKthValueIN3c104HalfEiLi1EEEvNS_4cuda6detail10TensorInfoIKT_T0_EESA_SA_SA_SA_NS7_IS8_SA_EENS7_IlSA_EE.numbered_sgpr, 100
	.set _ZN2at6native12_GLOBAL__N_114gatherKthValueIN3c104HalfEiLi1EEEvNS_4cuda6detail10TensorInfoIKT_T0_EESA_SA_SA_SA_NS7_IS8_SA_EENS7_IlSA_EE.num_named_barrier, 0
	.set _ZN2at6native12_GLOBAL__N_114gatherKthValueIN3c104HalfEiLi1EEEvNS_4cuda6detail10TensorInfoIKT_T0_EESA_SA_SA_SA_NS7_IS8_SA_EENS7_IlSA_EE.private_seg_size, 0
	.set _ZN2at6native12_GLOBAL__N_114gatherKthValueIN3c104HalfEiLi1EEEvNS_4cuda6detail10TensorInfoIKT_T0_EESA_SA_SA_SA_NS7_IS8_SA_EENS7_IlSA_EE.uses_vcc, 1
	.set _ZN2at6native12_GLOBAL__N_114gatherKthValueIN3c104HalfEiLi1EEEvNS_4cuda6detail10TensorInfoIKT_T0_EESA_SA_SA_SA_NS7_IS8_SA_EENS7_IlSA_EE.uses_flat_scratch, 0
	.set _ZN2at6native12_GLOBAL__N_114gatherKthValueIN3c104HalfEiLi1EEEvNS_4cuda6detail10TensorInfoIKT_T0_EESA_SA_SA_SA_NS7_IS8_SA_EENS7_IlSA_EE.has_dyn_sized_stack, 0
	.set _ZN2at6native12_GLOBAL__N_114gatherKthValueIN3c104HalfEiLi1EEEvNS_4cuda6detail10TensorInfoIKT_T0_EESA_SA_SA_SA_NS7_IS8_SA_EENS7_IlSA_EE.has_recursion, 0
	.set _ZN2at6native12_GLOBAL__N_114gatherKthValueIN3c104HalfEiLi1EEEvNS_4cuda6detail10TensorInfoIKT_T0_EESA_SA_SA_SA_NS7_IS8_SA_EENS7_IlSA_EE.has_indirect_call, 0
	.section	.AMDGPU.csdata,"",@progbits
; Kernel info:
; codeLenInByte = 9724
; TotalNumSgprs: 106
; NumVgprs: 57
; NumAgprs: 0
; TotalNumVgprs: 57
; ScratchSize: 0
; MemoryBound: 0
; FloatMode: 240
; IeeeMode: 1
; LDSByteSize: 4112 bytes/workgroup (compile time only)
; SGPRBlocks: 13
; VGPRBlocks: 7
; NumSGPRsForWavesPerEU: 106
; NumVGPRsForWavesPerEU: 57
; AccumOffset: 60
; Occupancy: 7
; WaveLimiterHint : 1
; COMPUTE_PGM_RSRC2:SCRATCH_EN: 0
; COMPUTE_PGM_RSRC2:USER_SGPR: 2
; COMPUTE_PGM_RSRC2:TRAP_HANDLER: 0
; COMPUTE_PGM_RSRC2:TGID_X_EN: 1
; COMPUTE_PGM_RSRC2:TGID_Y_EN: 1
; COMPUTE_PGM_RSRC2:TGID_Z_EN: 1
; COMPUTE_PGM_RSRC2:TIDIG_COMP_CNT: 0
; COMPUTE_PGM_RSRC3_GFX90A:ACCUM_OFFSET: 14
; COMPUTE_PGM_RSRC3_GFX90A:TG_SPLIT: 0
	.section	.text._ZN2at6native12_GLOBAL__N_114gatherKthValueIN3c104HalfEiLi2EEEvNS_4cuda6detail10TensorInfoIKT_T0_EESA_SA_SA_SA_NS7_IS8_SA_EENS7_IlSA_EE,"axG",@progbits,_ZN2at6native12_GLOBAL__N_114gatherKthValueIN3c104HalfEiLi2EEEvNS_4cuda6detail10TensorInfoIKT_T0_EESA_SA_SA_SA_NS7_IS8_SA_EENS7_IlSA_EE,comdat
	.globl	_ZN2at6native12_GLOBAL__N_114gatherKthValueIN3c104HalfEiLi2EEEvNS_4cuda6detail10TensorInfoIKT_T0_EESA_SA_SA_SA_NS7_IS8_SA_EENS7_IlSA_EE ; -- Begin function _ZN2at6native12_GLOBAL__N_114gatherKthValueIN3c104HalfEiLi2EEEvNS_4cuda6detail10TensorInfoIKT_T0_EESA_SA_SA_SA_NS7_IS8_SA_EENS7_IlSA_EE
	.p2align	8
	.type	_ZN2at6native12_GLOBAL__N_114gatherKthValueIN3c104HalfEiLi2EEEvNS_4cuda6detail10TensorInfoIKT_T0_EESA_SA_SA_SA_NS7_IS8_SA_EENS7_IlSA_EE,@function
_ZN2at6native12_GLOBAL__N_114gatherKthValueIN3c104HalfEiLi2EEEvNS_4cuda6detail10TensorInfoIKT_T0_EESA_SA_SA_SA_NS7_IS8_SA_EENS7_IlSA_EE: ; @_ZN2at6native12_GLOBAL__N_114gatherKthValueIN3c104HalfEiLi2EEEvNS_4cuda6detail10TensorInfoIKT_T0_EESA_SA_SA_SA_NS7_IS8_SA_EENS7_IlSA_EE
; %bb.0:
	s_load_dwordx2 s[12:13], s[0:1], 0x298
	s_load_dwordx4 s[60:63], s[0:1], 0xd8
	s_add_u32 s10, s0, 0x298
	s_addc_u32 s11, s1, 0
	s_waitcnt lgkmcnt(0)
	s_mul_i32 s4, s13, s4
	s_add_i32 s3, s4, s3
	s_mul_i32 s3, s3, s12
	s_add_i32 s18, s3, s2
	s_cmp_ge_i32 s18, s62
	s_cbranch_scc1 .LBB57_245
; %bb.1:
	s_load_dword s3, s[0:1], 0xc
	s_load_dwordx2 s[4:5], s[0:1], 0xe8
                                        ; implicit-def: $vgpr56 : SGPR spill to VGPR lane
                                        ; kill: killed $sgpr0 killed $sgpr1
	s_abs_i32 s21, s18
	s_ashr_i32 s20, s18, 31
	s_load_dword s22, s[0:1], 0xf4
	s_waitcnt lgkmcnt(0)
	s_abs_i32 s13, s3
	v_writelane_b32 v56, s4, 0
	v_cvt_f32_u32_e32 v1, s13
	s_ashr_i32 s14, s3, 31
	v_writelane_b32 v56, s5, 1
	s_load_dwordx2 s[6:7], s[0:1], 0x6c
	s_load_dwordx2 s[4:5], s[0:1], 0x0
	;; [unrolled: 1-line block ×3, first 2 shown]
	v_rcp_iflag_f32_e32 v1, v1
	s_waitcnt lgkmcnt(0)
	v_writelane_b32 v56, s8, 2
	s_nop 1
	v_writelane_b32 v56, s9, 3
	s_load_dword s19, s[0:1], 0x1cc
	s_load_dwordx2 s[8:9], s[0:1], 0x1c0
	v_mul_f32_e32 v1, 0x4f7ffffe, v1
	v_cvt_u32_f32_e32 v1, v1
	s_waitcnt lgkmcnt(0)
	v_writelane_b32 v56, s8, 4
	s_nop 1
	v_writelane_b32 v56, s9, 5
	s_load_dwordx2 s[8:9], s[0:1], 0x154
	v_readfirstlane_b32 s1, v1
	s_sub_i32 s0, 0, s13
	s_mul_i32 s0, s0, s1
	s_mul_hi_u32 s0, s1, s0
	s_waitcnt lgkmcnt(0)
	v_writelane_b32 v56, s8, 6
	s_add_i32 s1, s1, s0
	s_mul_hi_u32 s15, s21, s1
	v_writelane_b32 v56, s9, 7
	s_abs_i32 s9, s22
	v_cvt_f32_u32_e32 v2, s9
	s_abs_i32 s8, s19
	s_sub_i32 s0, 0, s9
	v_writelane_b32 v56, s9, 8
	v_rcp_iflag_f32_e32 v1, v2
	v_cvt_f32_u32_e32 v2, s8
	v_mul_f32_e32 v1, 0x4f7ffffe, v1
	v_cvt_u32_f32_e32 v1, v1
	v_rcp_iflag_f32_e32 v2, v2
	v_readfirstlane_b32 s1, v1
	v_mul_f32_e32 v1, 0x4f7ffffe, v2
	s_mul_i32 s0, s0, s1
	v_cvt_u32_f32_e32 v1, v1
	s_mul_hi_u32 s0, s1, s0
	s_add_i32 s1, s1, s0
	s_mul_hi_u32 s0, s21, s1
	v_writelane_b32 v56, s0, 9
	s_sub_i32 s0, 0, s8
	v_readfirstlane_b32 s1, v1
	s_mul_i32 s0, s0, s1
	s_mul_hi_u32 s0, s1, s0
	s_add_i32 s1, s1, s0
	v_writelane_b32 v56, s8, 10
	s_mul_hi_u32 s0, s21, s1
	v_writelane_b32 v56, s0, 11
	v_cmp_eq_u32_e64 s[0:1], 0, v0
	s_and_saveexec_b64 s[8:9], s[0:1]
; %bb.2:
	v_mov_b32_e32 v2, 0
	v_mov_b32_e32 v3, s60
	;; [unrolled: 1-line block ×3, first 2 shown]
	ds_write_b96 v2, v[2:4] offset:4096
; %bb.3:
	s_or_b64 exec, exec, s[8:9]
	v_writelane_b32 v56, s22, 12
	s_ashr_i32 s8, s22, 31
	v_writelane_b32 v56, s8, 13
	s_mul_i32 s9, s15, s13
	v_writelane_b32 v56, s19, 14
	s_ashr_i32 s8, s19, 31
	s_sub_i32 s9, s21, s9
	v_writelane_b32 v56, s8, 15
	s_xor_b32 s8, s20, s14
	s_add_i32 s14, s15, 1
	s_sub_i32 s16, s9, s13
	s_cmp_ge_u32 s9, s13
	s_cselect_b32 s14, s14, s15
	s_cselect_b32 s9, s16, s9
	s_add_i32 s15, s14, 1
	s_cmp_ge_u32 s9, s13
	s_cselect_b32 s9, s15, s14
	s_xor_b32 s9, s9, s8
	s_sub_i32 s8, s9, s8
	s_mul_i32 s3, s8, s3
	s_sub_i32 s3, s18, s3
	s_mul_i32 s3, s3, s7
	s_mul_i32 s6, s8, s6
	s_add_i32 s6, s6, s3
	s_waitcnt lgkmcnt(0)
	s_barrier
	s_load_dword s3, s[10:11], 0xc
	s_ashr_i32 s7, s6, 31
	s_lshl_b64 s[6:7], s[6:7], 1
	s_add_u32 s72, s4, s6
	v_mbcnt_lo_u32_b32 v1, -1, 0
	v_writelane_b32 v56, s20, 16
	s_addc_u32 s73, s5, s7
	s_waitcnt lgkmcnt(0)
	s_and_b32 s62, s3, 0xffff
	v_mbcnt_hi_u32_b32 v20, -1, v1
	v_writelane_b32 v56, s21, 17
	v_cmp_gt_u32_e32 vcc, 64, v0
	v_cmp_gt_i32_e64 s[4:5], 4, v20
	s_add_i32 s6, s62, -1
	v_writelane_b32 v56, s18, 18
	s_lshl_b32 s33, s62, 2
	s_and_b64 s[76:77], vcc, s[4:5]
	s_add_i32 s84, s6, s60
	v_writelane_b32 v56, s6, 19
	s_cmpk_gt_i32 s60, 0x600
	v_cmp_gt_u32_e64 s[6:7], s60, v0
	s_cselect_b64 s[78:79], -1, 0
	s_cmp_gt_u32 s62, 63
	v_writelane_b32 v56, s6, 20
	s_cselect_b64 s[80:81], -1, 0
	s_cmp_lt_u32 s2, s12
	v_writelane_b32 v56, s7, 21
	v_cmp_gt_i32_e64 s[6:7], s60, v0
	s_cselect_b32 s2, 12, 18
	v_lshlrev_b64 v[2:3], v20, -1
	v_writelane_b32 v56, s6, 22
	v_not_b32_e32 v12, v2
	v_lshrrev_b32_e32 v2, 2, v0
	v_writelane_b32 v56, s7, 23
	s_add_u32 s6, s10, s2
	s_addc_u32 s7, s11, 0
	v_writelane_b32 v56, s6, 24
	v_and_b32_e32 v2, 0xf0, v2
	v_or_b32_e32 v23, 0xc00, v2
	v_writelane_b32 v56, s7, 25
	s_bfe_u32 s6, s3, 0xa0006
	s_add_i32 s2, s6, -2
	s_lshr_b32 s3, s2, 1
	s_add_i32 s3, s3, 1
	s_cmpk_gt_u32 s62, 0x7f
	s_cselect_b64 s[8:9], -1, 0
	v_writelane_b32 v56, s8, 26
	v_cvt_f32_u32_e32 v2, s33
	s_and_b32 s7, s6, 0x3fe
	v_writelane_b32 v56, s9, 27
	s_and_b32 s8, s3, 7
	s_cmp_gt_u32 s2, 13
	s_cselect_b64 s[10:11], -1, 0
	v_writelane_b32 v56, s10, 28
	v_rcp_iflag_f32_e32 v2, v2
	s_and_b32 s2, s3, -8
	v_writelane_b32 v56, s11, 29
	v_writelane_b32 v56, s2, 30
	s_cmp_lg_u32 s8, 0
	v_writelane_b32 v56, s8, 31
	s_cselect_b64 s[2:3], -1, 0
	v_writelane_b32 v56, s2, 32
	v_mul_f32_e32 v2, 0x4f7ffffe, v2
	v_cvt_u32_f32_e32 v2, v2
	v_writelane_b32 v56, s3, 33
	v_writelane_b32 v56, s6, 34
	s_cmp_lg_u32 s7, s6
	v_writelane_b32 v56, s7, 35
	s_cselect_b64 s[2:3], -1, 0
	v_writelane_b32 v56, s2, 36
	v_not_b32_e32 v1, v3
	v_cvt_f32_u32_e32 v3, s62
	v_writelane_b32 v56, s3, 37
	s_sub_i32 s2, 0, s33
	v_readfirstlane_b32 s3, v2
	s_mul_i32 s2, s2, s3
	s_mul_hi_u32 s2, s3, s2
	s_add_i32 s7, s3, s2
	s_mul_hi_u32 s2, s60, s7
	s_mul_i32 s2, s2, s33
	s_sub_i32 s2, s60, s2
	s_sub_i32 s3, s2, s33
	s_cmp_ge_u32 s2, s33
	s_cselect_b32 s2, s3, s2
	s_sub_i32 s3, s2, s33
	s_cmp_ge_u32 s2, s33
	s_cselect_b32 s2, s3, s2
	s_sub_i32 s8, s60, s2
	v_rcp_iflag_f32_e32 v5, v3
	v_add_u32_e32 v24, s8, v0
	v_mul_lo_u32 v2, v24, s63
	v_ashrrev_i32_e32 v3, 31, v2
	v_lshl_add_u64 v[14:15], v[2:3], 1, s[72:73]
	v_mul_f32_e32 v2, 0x4f7ffffe, v5
	v_cvt_u32_f32_e32 v2, v2
	s_sub_i32 s9, 0, s62
	s_abs_i32 s6, s84
	s_ashr_i32 s3, s84, 31
	v_readfirstlane_b32 s16, v2
	s_mul_i32 s9, s9, s16
	s_mul_hi_u32 s9, s16, s9
	s_add_i32 s9, s16, s9
	s_mul_hi_u32 s16, s6, s9
	s_mul_i32 s16, s16, s62
	s_sub_i32 s6, s6, s16
	s_sub_i32 s16, s6, s62
	s_cmp_ge_u32 s6, s62
	s_cselect_b32 s6, s16, s6
	s_sub_i32 s16, s6, s62
	s_cmp_ge_u32 s6, s62
	s_cselect_b32 s6, s16, s6
	v_lshlrev_b32_e32 v13, 2, v0
	s_xor_b32 s6, s6, s3
	s_sub_i32 s3, s3, s6
	v_mul_lo_u32 v2, s63, v13
	s_add_i32 s84, s84, s3
	v_add_u32_e32 v25, s63, v2
	v_or_b32_e32 v2, 2, v13
	v_cmp_gt_i32_e64 s[16:17], s84, v0
	v_mul_lo_u32 v26, s63, v2
	v_or_b32_e32 v2, 3, v13
	s_add_i32 s3, s62, s60
	v_mov_b32_e32 v9, 0
	v_writelane_b32 v56, s16, 38
	v_mul_lo_u32 v27, s63, v2
	v_add_u32_e32 v2, s3, v0
	s_mov_b32 s20, 0
	s_mov_b32 s21, 1
	v_lshlrev_b32_e32 v21, 1, v0
	v_mul_lo_u32 v6, s63, v0
	v_mov_b32_e32 v7, v9
	v_lshlrev_b32_e32 v4, 2, v20
	v_writelane_b32 v56, s17, 39
	s_mul_i32 s74, s63, s62
	v_subrev_u32_e32 v2, s2, v2
	s_mov_b32 s75, 0xffff
	v_cmp_eq_u32_e64 s[18:19], 0, v20
	v_cmp_gt_u32_e64 s[4:5], 2, v0
	v_add_u32_e32 v22, 0xc00, v21
	v_lshl_add_u64 v[10:11], v[6:7], 1, s[72:73]
	v_and_b32_e32 v7, 0x100, v4
	v_cmp_gt_i32_e64 s[10:11], s8, v13
	v_cmp_gt_u32_e64 s[12:13], s60, v24
	v_cmp_gt_i32_e64 s[14:15], s60, v24
	s_lshl_b32 s85, s74, 2
	v_lshlrev_b32_e32 v28, 2, v6
	v_mul_lo_u32 v30, s63, v2
	v_lshlrev_b32_e32 v31, 3, v0
	s_lshl_b32 s82, s62, 3
	s_lshl_b32 s83, s62, 1
	v_or_b32_e32 v32, 0xc00, v4
	s_mov_b64 s[92:93], 0
	v_mov_b32_e32 v34, 14
	v_mov_b32_e32 v41, s61
	;; [unrolled: 1-line block ×3, first 2 shown]
	s_movk_i32 s61, 0x3c00
	v_mov_b32_e32 v33, 0xffff
	v_mov_b32_e32 v35, 0x8000
	v_mov_b32_e32 v36, -1
	v_mov_b32_e32 v37, 0xc00
	v_mov_b32_e32 v38, 0x5040100
	;; [unrolled: 1-line block ×3, first 2 shown]
	v_writelane_b32 v56, s20, 40
	s_mov_b32 s16, s20
	v_mov_b32_e32 v29, 0
	v_mov_b32_e32 v39, 0
                                        ; implicit-def: $sgpr94_sgpr95
                                        ; implicit-def: $sgpr98_sgpr99
                                        ; implicit-def: $sgpr96_sgpr97
                                        ; implicit-def: $sgpr64_sgpr65
	v_writelane_b32 v56, s21, 41
                                        ; implicit-def: $sgpr68_sgpr69
                                        ; implicit-def: $sgpr66_sgpr67
	s_branch .LBB57_7
.LBB57_4:                               ;   in Loop: Header=BB57_7 Depth=1
	s_or_b64 exec, exec, s[30:31]
	s_and_b64 s[30:31], s[28:29], exec
	s_andn2_b64 s[26:27], s[26:27], exec
	s_andn2_b64 s[24:25], s[24:25], exec
	s_orn2_b64 s[20:21], s[20:21], exec
.LBB57_5:                               ;   in Loop: Header=BB57_7 Depth=1
	s_or_b64 exec, exec, s[22:23]
	s_andn2_b64 s[16:17], s[66:67], exec
	s_and_b64 s[22:23], s[30:31], exec
	s_or_b64 s[66:67], s[16:17], s[22:23]
	s_andn2_b64 s[16:17], s[68:69], exec
	s_and_b64 s[22:23], s[26:27], exec
	s_or_b64 s[68:69], s[16:17], s[22:23]
	;; [unrolled: 3-line block ×3, first 2 shown]
	s_orn2_b64 s[20:21], s[20:21], exec
.LBB57_6:                               ;   in Loop: Header=BB57_7 Depth=1
	s_or_b64 exec, exec, s[2:3]
	s_and_b64 s[2:3], exec, s[20:21]
	s_or_b64 s[92:93], s[2:3], s[92:93]
	s_andn2_b64 s[2:3], s[96:97], exec
	s_and_b64 s[16:17], s[66:67], exec
	s_or_b64 s[96:97], s[2:3], s[16:17]
	s_andn2_b64 s[2:3], s[98:99], exec
	s_and_b64 s[16:17], s[68:69], exec
	;; [unrolled: 3-line block ×3, first 2 shown]
	s_or_b64 s[94:95], s[2:3], s[16:17]
	s_mov_b32 s16, s6
	v_mov_b32_e32 v41, v16
	s_andn2_b64 exec, exec, s[92:93]
	s_cbranch_execz .LBB57_241
.LBB57_7:                               ; =>This Loop Header: Depth=1
                                        ;     Child Loop BB57_12 Depth 2
                                        ;     Child Loop BB57_27 Depth 2
	;; [unrolled: 1-line block ×17, first 2 shown]
	ds_read_b64 v[2:3], v9 offset:4096
	s_waitcnt lgkmcnt(0)
	v_readfirstlane_b32 s17, v2
	s_cmp_gt_i32 s17, 0
	s_cbranch_scc1 .LBB57_34
; %bb.8:                                ;   in Loop: Header=BB57_7 Depth=1
	s_and_b64 vcc, exec, s[78:79]
	s_cbranch_vccz .LBB57_20
; %bb.9:                                ;   in Loop: Header=BB57_7 Depth=1
	s_movk_i32 s2, 0x601
	v_cmp_gt_i32_e32 vcc, s2, v3
	s_mov_b64 s[20:21], 0
	s_mov_b64 s[2:3], 0
	s_cbranch_vccz .LBB57_21
; %bb.10:                               ;   in Loop: Header=BB57_7 Depth=1
	v_readlane_b32 s2, v56, 24
	v_readlane_b32 s3, v56, 25
	s_nop 4
	global_load_ushort v2, v9, s[2:3]
	global_load_ushort v4, v[10:11], off
	s_mov_b64 s[22:23], 0
	s_waitcnt vmcnt(1)
	v_add_u32_e32 v5, v0, v2
	v_mul_lo_u32 v3, s63, v2
	v_mul_lo_u32 v8, s63, v5
	v_mov_b32_e32 v5, v0
	s_branch .LBB57_12
.LBB57_11:                              ;   in Loop: Header=BB57_12 Depth=2
	s_or_b64 exec, exec, s[2:3]
	v_cmp_le_i32_e32 vcc, s60, v5
	v_add_u32_e32 v8, v8, v3
	s_or_b64 s[22:23], vcc, s[22:23]
	v_mov_b32_e32 v4, v16
	s_andn2_b64 exec, exec, s[22:23]
	s_cbranch_execz .LBB57_66
.LBB57_12:                              ;   Parent Loop BB57_7 Depth=1
                                        ; =>  This Inner Loop Header: Depth=2
	v_add_u32_e32 v5, v5, v2
	v_cmp_gt_u32_e32 vcc, s60, v5
	s_waitcnt lgkmcnt(0)
	v_mov_b32_e32 v17, 0
	v_mov_b32_e32 v16, 0
	s_and_saveexec_b64 s[2:3], vcc
	s_cbranch_execz .LBB57_14
; %bb.13:                               ;   in Loop: Header=BB57_12 Depth=2
	v_lshl_add_u64 v[18:19], v[8:9], 1, s[72:73]
	global_load_ushort v16, v[18:19], off
.LBB57_14:                              ;   in Loop: Header=BB57_12 Depth=2
	s_or_b64 exec, exec, s[2:3]
	s_waitcnt vmcnt(0)
	v_cmp_lt_i16_e32 vcc, -1, v4
	s_nop 1
	v_cndmask_b32_e32 v18, v33, v35, vcc
	v_xor_b32_sdwa v18, v18, v4 dst_sel:DWORD dst_unused:UNUSED_PAD src0_sel:DWORD src1_sel:WORD_0
	v_cmp_o_f16_e32 vcc, v4, v4
	s_nop 1
	v_cndmask_b32_e32 v18, v33, v18, vcc
	v_and_b32_e32 v18, v18, v39
	v_cmp_eq_u32_e32 vcc, v18, v29
	s_cmp_lg_u64 vcc, 0
	s_cselect_b64 s[2:3], -1, 0
	s_and_b64 s[2:3], s[18:19], s[2:3]
	s_and_saveexec_b64 s[24:25], s[2:3]
	s_cbranch_execz .LBB57_18
; %bb.15:                               ;   in Loop: Header=BB57_12 Depth=2
	s_mov_b64 s[28:29], exec
	v_mbcnt_lo_u32_b32 v17, s28, 0
	v_mbcnt_hi_u32_b32 v17, s29, v17
	s_bcnt1_i32_b64 s6, vcc
	v_cmp_eq_u32_e64 s[2:3], 0, v17
                                        ; implicit-def: $vgpr18
	s_and_saveexec_b64 s[26:27], s[2:3]
; %bb.16:                               ;   in Loop: Header=BB57_12 Depth=2
	s_bcnt1_i32_b64 s2, s[28:29]
	s_mul_i32 s2, s6, s2
	v_mov_b32_e32 v18, s2
	ds_add_rtn_u32 v18, v9, v18 offset:4104
; %bb.17:                               ;   in Loop: Header=BB57_12 Depth=2
	s_or_b64 exec, exec, s[26:27]
	s_waitcnt lgkmcnt(0)
	v_readfirstlane_b32 s2, v18
	s_nop 1
	v_mov_b32_e32 v18, s2
	v_mad_u32_u24 v17, s6, v17, v18
.LBB57_18:                              ;   in Loop: Header=BB57_12 Depth=2
	s_or_b64 exec, exec, s[24:25]
	ds_bpermute_b32 v17, v7, v17
	s_and_saveexec_b64 s[2:3], vcc
	s_cbranch_execz .LBB57_11
; %bb.19:                               ;   in Loop: Header=BB57_12 Depth=2
	v_and_b32_e32 v19, vcc_lo, v12
	v_and_b32_e32 v18, vcc_hi, v1
	v_bcnt_u32_b32 v19, v19, 0
	v_bcnt_u32_b32 v18, v18, v19
	v_lshlrev_b32_e32 v18, 1, v18
	s_waitcnt lgkmcnt(0)
	v_lshl_add_u32 v17, v17, 1, v18
	ds_write_b16 v17, v4
	s_branch .LBB57_11
.LBB57_20:                              ;   in Loop: Header=BB57_7 Depth=1
	s_mov_b64 s[20:21], -1
	s_mov_b64 s[2:3], 0
.LBB57_21:                              ;   in Loop: Header=BB57_7 Depth=1
	s_and_b64 vcc, exec, s[20:21]
	s_cbranch_vccz .LBB57_32
.LBB57_22:                              ;   in Loop: Header=BB57_7 Depth=1
	v_mov_b32_e32 v2, 0
	s_mov_b64 s[2:3], exec
	v_readlane_b32 s20, v56, 20
	v_readlane_b32 s21, v56, 21
	s_and_b64 s[20:21], s[2:3], s[20:21]
	s_mov_b64 exec, s[20:21]
	s_cbranch_execz .LBB57_24
; %bb.23:                               ;   in Loop: Header=BB57_7 Depth=1
	global_load_ushort v2, v[10:11], off
.LBB57_24:                              ;   in Loop: Header=BB57_7 Depth=1
	s_or_b64 exec, exec, s[2:3]
	s_mov_b64 s[2:3], exec
	v_readlane_b32 s20, v56, 22
	v_readlane_b32 s21, v56, 23
	s_and_b64 s[20:21], s[2:3], s[20:21]
	s_mov_b64 exec, s[20:21]
	s_cbranch_execz .LBB57_29
; %bb.25:                               ;   in Loop: Header=BB57_7 Depth=1
	v_readlane_b32 s20, v56, 24
	v_readlane_b32 s21, v56, 25
	v_mov_b32_e32 v4, v21
	v_mov_b32_e32 v17, v0
	s_nop 2
	global_load_ushort v3, v9, s[20:21]
	s_mov_b64 s[20:21], 0
	s_waitcnt vmcnt(0)
	v_add_u32_e32 v8, v0, v3
	v_lshlrev_b32_e32 v5, 1, v3
	v_mul_lo_u32 v16, s63, v3
	v_mul_lo_u32 v8, s63, v8
	s_branch .LBB57_27
.LBB57_26:                              ;   in Loop: Header=BB57_27 Depth=2
	s_or_b64 exec, exec, s[22:23]
	v_cmp_le_i32_e32 vcc, s60, v17
	ds_write_b16 v4, v2
	v_add_u32_e32 v4, v4, v5
	v_add_u32_e32 v8, v8, v16
	s_or_b64 s[20:21], vcc, s[20:21]
	s_waitcnt vmcnt(0)
	v_mov_b32_e32 v2, v18
	s_andn2_b64 exec, exec, s[20:21]
	s_cbranch_execz .LBB57_29
.LBB57_27:                              ;   Parent Loop BB57_7 Depth=1
                                        ; =>  This Inner Loop Header: Depth=2
	v_add_u32_e32 v17, v17, v3
	v_cmp_gt_u32_e32 vcc, s60, v17
	v_mov_b32_e32 v18, 0
	s_and_saveexec_b64 s[22:23], vcc
	s_cbranch_execz .LBB57_26
; %bb.28:                               ;   in Loop: Header=BB57_27 Depth=2
	v_lshl_add_u64 v[18:19], v[8:9], 1, s[72:73]
	global_load_ushort v18, v[18:19], off
	s_branch .LBB57_26
.LBB57_29:                              ;   in Loop: Header=BB57_7 Depth=1
	s_or_b64 exec, exec, s[2:3]
	s_waitcnt lgkmcnt(0)
	s_barrier
	s_and_saveexec_b64 s[2:3], s[0:1]
; %bb.30:                               ;   in Loop: Header=BB57_7 Depth=1
	ds_write_b32 v9, v42 offset:4096
; %bb.31:                               ;   in Loop: Header=BB57_7 Depth=1
	s_or_b64 exec, exec, s[2:3]
	s_mov_b64 s[2:3], -1
	s_waitcnt lgkmcnt(0)
	s_barrier
.LBB57_32:                              ;   in Loop: Header=BB57_7 Depth=1
	s_and_b64 vcc, exec, s[2:3]
	s_cbranch_vccz .LBB57_34
; %bb.33:                               ;   in Loop: Header=BB57_7 Depth=1
	s_waitcnt vmcnt(0)
	ds_read_b32 v2, v9 offset:4096
	s_waitcnt lgkmcnt(0)
	v_readfirstlane_b32 s17, v2
.LBB57_34:                              ;   in Loop: Header=BB57_7 Depth=1
	s_cmp_lt_i32 s17, 1
	s_mov_b64 s[2:3], -1
                                        ; implicit-def: $vgpr4_vgpr5
	s_cbranch_scc1 .LBB57_44
; %bb.35:                               ;   in Loop: Header=BB57_7 Depth=1
	s_and_b64 vcc, exec, s[2:3]
	s_cbranch_vccnz .LBB57_57
.LBB57_36:                              ;   in Loop: Header=BB57_7 Depth=1
	s_lshl_b32 s6, s16, 6
	s_and_saveexec_b64 s[2:3], s[18:19]
	s_cbranch_execz .LBB57_38
.LBB57_37:                              ;   in Loop: Header=BB57_7 Depth=1
	v_lshl_add_u32 v8, s6, 2, v23
	s_waitcnt vmcnt(0)
	ds_write_b128 v8, v[2:5]
.LBB57_38:                              ;   in Loop: Header=BB57_7 Depth=1
	s_or_b64 exec, exec, s[2:3]
	s_waitcnt lgkmcnt(0)
	s_barrier
	s_and_saveexec_b64 s[2:3], s[76:77]
	s_cbranch_execz .LBB57_77
; %bb.39:                               ;   in Loop: Header=BB57_7 Depth=1
	v_add_u32_e32 v4, s6, v20
	s_andn2_b64 vcc, exec, s[80:81]
	s_waitcnt vmcnt(0)
	v_mov_b32_e32 v2, 0
	s_cbranch_vccnz .LBB57_76
; %bb.40:                               ;   in Loop: Header=BB57_7 Depth=1
	v_readlane_b32 s20, v56, 26
	v_readlane_b32 s21, v56, 27
	s_andn2_b64 vcc, exec, s[20:21]
	s_cbranch_vccnz .LBB57_69
; %bb.41:                               ;   in Loop: Header=BB57_7 Depth=1
	v_readlane_b32 s20, v56, 28
	v_readlane_b32 s21, v56, 29
	s_andn2_b64 vcc, exec, s[20:21]
	v_lshl_add_u32 v5, v4, 2, v37
	s_cbranch_vccnz .LBB57_70
; %bb.42:                               ;   in Loop: Header=BB57_7 Depth=1
	s_mov_b32 s21, 1
	s_mov_b32 s20, 0
	v_mov_b32_e32 v2, 0
	v_mov_b32_e32 v3, 0
	v_readlane_b32 s17, v56, 30
.LBB57_43:                              ;   Parent Loop BB57_7 Depth=1
                                        ; =>  This Inner Loop Header: Depth=2
	v_lshl_add_u32 v8, s20, 4, v5
	v_lshl_add_u32 v43, s21, 4, v5
	ds_read2_b32 v[16:17], v8 offset1:8
	ds_read2_b32 v[18:19], v43 offset1:8
	ds_read2_b32 v[44:45], v8 offset0:16 offset1:24
	ds_read2_b32 v[46:47], v43 offset0:16 offset1:24
	;; [unrolled: 1-line block ×6, first 2 shown]
	s_waitcnt lgkmcnt(7)
	v_add3_u32 v2, v16, v2, v17
	s_waitcnt lgkmcnt(6)
	v_add3_u32 v3, v18, v3, v19
	;; [unrolled: 2-line block ×3, first 2 shown]
	v_add3_u32 v2, v44, v2, v45
	s_add_i32 s21, s21, 16
	s_add_i32 s20, s20, 16
	s_add_i32 s17, s17, -8
	s_waitcnt lgkmcnt(3)
	v_add3_u32 v2, v48, v2, v49
	s_waitcnt lgkmcnt(2)
	v_add3_u32 v3, v50, v3, v51
	s_cmp_lg_u32 s17, 0
	s_waitcnt lgkmcnt(0)
	v_add3_u32 v3, v54, v3, v55
	v_add3_u32 v2, v52, v2, v53
	s_cbranch_scc1 .LBB57_43
	s_branch .LBB57_71
.LBB57_44:                              ;   in Loop: Header=BB57_7 Depth=1
	v_mov_b32_e32 v8, v9
	v_mov_b64_e32 v[4:5], v[8:9]
	s_waitcnt vmcnt(0)
	v_mov_b64_e32 v[2:3], v[8:9]
	s_and_saveexec_b64 s[70:71], s[10:11]
	s_cbranch_execnz .LBB57_47
; %bb.45:                               ;   in Loop: Header=BB57_7 Depth=1
	s_or_b64 exec, exec, s[70:71]
	v_mov_b32_e32 v18, 0
	s_and_saveexec_b64 s[2:3], s[12:13]
	s_cbranch_execnz .LBB57_50
.LBB57_46:                              ;   in Loop: Header=BB57_7 Depth=1
	s_or_b64 exec, exec, s[2:3]
	s_and_saveexec_b64 s[20:21], s[14:15]
	s_cbranch_execnz .LBB57_51
	s_branch .LBB57_56
.LBB57_47:                              ;   in Loop: Header=BB57_7 Depth=1
	s_mov_b32 s6, 0
	s_mov_b64 s[86:87], 0
	v_mov_b32_e32 v8, v13
	s_mov_b32 s88, 0
	s_mov_b32 s89, s6
	;; [unrolled: 1-line block ×4, first 2 shown]
.LBB57_48:                              ;   Parent Loop BB57_7 Depth=1
                                        ; =>  This Inner Loop Header: Depth=2
	v_add_u32_e32 v2, s6, v28
	v_add_u32_e32 v4, s6, v25
	;; [unrolled: 1-line block ×4, first 2 shown]
	v_ashrrev_i32_e32 v3, 31, v2
	v_ashrrev_i32_e32 v5, 31, v4
	;; [unrolled: 1-line block ×4, first 2 shown]
	v_lshl_add_u64 v[2:3], v[2:3], 1, s[72:73]
	v_lshl_add_u64 v[4:5], v[4:5], 1, s[72:73]
	;; [unrolled: 1-line block ×4, first 2 shown]
	global_load_ushort v2, v[2:3], off
	s_nop 0
	global_load_ushort v3, v[4:5], off
	s_nop 0
	global_load_ushort v4, v[16:17], off
	global_load_ushort v5, v[18:19], off
	v_add_u32_e32 v8, s33, v8
	s_add_i32 s6, s6, s85
	v_cmp_le_i32_e32 vcc, s8, v8
	s_waitcnt vmcnt(3)
	v_cmp_lt_i16_e64 s[2:3], -1, v2
	s_nop 1
	v_cndmask_b32_e64 v16, v33, v35, s[2:3]
	s_waitcnt vmcnt(2)
	v_cmp_lt_i16_e64 s[2:3], -1, v3
	s_waitcnt vmcnt(1)
	v_cmp_o_f16_e64 s[20:21], v4, v4
	s_waitcnt vmcnt(0)
	v_cmp_o_f16_e64 s[22:23], v5, v5
	v_cndmask_b32_e64 v17, v33, v35, s[2:3]
	v_cmp_lt_i16_e64 s[2:3], -1, v4
	v_xor_b32_sdwa v17, v17, v3 dst_sel:DWORD dst_unused:UNUSED_PAD src0_sel:DWORD src1_sel:WORD_0
	v_cmp_o_f16_e64 s[24:25], v2, v2
	v_cndmask_b32_e64 v18, v33, v35, s[2:3]
	v_cmp_lt_i16_e64 s[2:3], -1, v5
	s_nop 1
	v_cndmask_b32_e64 v19, v33, v35, s[2:3]
	v_cmp_o_f16_e64 s[2:3], v3, v3
	v_xor_b32_sdwa v3, v18, v4 dst_sel:DWORD dst_unused:UNUSED_PAD src0_sel:DWORD src1_sel:WORD_0
	v_xor_b32_sdwa v4, v19, v5 dst_sel:DWORD dst_unused:UNUSED_PAD src0_sel:DWORD src1_sel:WORD_0
	;; [unrolled: 1-line block ×3, first 2 shown]
	v_cndmask_b32_e64 v2, v33, v5, s[24:25]
	v_cndmask_b32_e64 v5, v33, v17, s[2:3]
	v_and_b32_e32 v16, v2, v39
	v_bfe_u32 v2, v2, v34, 2
	v_cndmask_b32_e64 v3, v33, v3, s[20:21]
	v_and_b32_e32 v17, v5, v39
	v_bfe_u32 v5, v5, v34, 2
	v_cmp_eq_u32_e64 s[2:3], v16, v29
	v_cmp_eq_u32_e64 s[26:27], 0, v2
	v_cndmask_b32_e64 v4, v33, v4, s[22:23]
	v_and_b32_e32 v18, v3, v39
	v_bfe_u32 v3, v3, v34, 2
	v_cmp_eq_u32_e64 s[20:21], v17, v29
	v_cmp_eq_u32_e64 s[28:29], 0, v5
	s_and_b64 s[26:27], s[2:3], s[26:27]
	v_and_b32_e32 v19, v4, v39
	v_bfe_u32 v4, v4, v34, 2
	v_cmp_eq_u32_e64 s[22:23], v18, v29
	v_cmp_eq_u32_e64 s[30:31], 0, v3
	;; [unrolled: 1-line block ×5, first 2 shown]
	v_cndmask_b32_e64 v2, 0, 1, s[26:27]
	s_and_b64 s[26:27], s[20:21], s[28:29]
	v_cmp_eq_u32_e64 s[24:25], v19, v29
	v_cmp_eq_u32_e64 s[34:35], 0, v4
	;; [unrolled: 1-line block ×5, first 2 shown]
	v_cndmask_b32_e64 v3, 0, 1, s[26:27]
	s_and_b64 s[26:27], s[22:23], s[30:31]
	v_cmp_eq_u32_e64 s[42:43], 1, v4
	v_cmp_eq_u32_e64 s[50:51], 2, v4
	;; [unrolled: 1-line block ×3, first 2 shown]
	v_cndmask_b32_e64 v4, 0, 1, s[26:27]
	s_and_b64 s[26:27], s[24:25], s[34:35]
	v_cmp_eq_u32_e64 s[38:39], 1, v5
	v_cmp_eq_u32_e64 s[46:47], 2, v5
	;; [unrolled: 1-line block ×3, first 2 shown]
	v_cndmask_b32_e64 v5, 0, 1, s[26:27]
	s_and_b64 s[26:27], s[2:3], s[36:37]
	v_cndmask_b32_e64 v16, 0, 1, s[26:27]
	s_and_b64 s[26:27], s[20:21], s[38:39]
	;; [unrolled: 2-line block ×5, first 2 shown]
	s_and_b64 s[2:3], s[2:3], s[52:53]
	v_cndmask_b32_e64 v43, 0, 1, s[26:27]
	s_and_b64 s[26:27], s[20:21], s[46:47]
	v_cndmask_b32_e64 v47, 0, 1, s[2:3]
	;; [unrolled: 2-line block ×7, first 2 shown]
	v_cndmask_b32_e64 v50, 0, 1, s[2:3]
	v_cmp_ne_u32_e64 s[2:3], 0, v2
	v_cmp_ne_u32_e64 s[20:21], 0, v3
	;; [unrolled: 1-line block ×11, first 2 shown]
	s_bcnt1_i32_b64 s2, s[2:3]
	s_bcnt1_i32_b64 s3, s[20:21]
	;; [unrolled: 1-line block ×8, first 2 shown]
	v_cmp_ne_u32_e64 s[34:35], 0, v19
	v_cmp_ne_u32_e64 s[40:41], 0, v45
	;; [unrolled: 1-line block ×3, first 2 shown]
	s_bcnt1_i32_b64 s23, s[28:29]
	s_bcnt1_i32_b64 s27, s[38:39]
	;; [unrolled: 1-line block ×3, first 2 shown]
	s_add_i32 s2, s88, s2
	s_add_i32 s22, s89, s22
	;; [unrolled: 1-line block ×4, first 2 shown]
	v_cmp_ne_u32_e64 s[42:43], 0, v46
	v_cmp_ne_u32_e64 s[50:51], 0, v50
	s_bcnt1_i32_b64 s25, s[34:35]
	s_bcnt1_i32_b64 s28, s[40:41]
	;; [unrolled: 1-line block ×3, first 2 shown]
	s_add_i32 s22, s22, s23
	s_add_i32 s2, s2, s3
	;; [unrolled: 1-line block ×4, first 2 shown]
	s_bcnt1_i32_b64 s29, s[42:43]
	s_bcnt1_i32_b64 s35, s[50:51]
	s_add_i32 s2, s2, s20
	s_add_i32 s20, s22, s24
	;; [unrolled: 1-line block ×8, first 2 shown]
	s_or_b64 s[86:87], vcc, s[86:87]
	v_mov_b64_e32 v[2:3], s[88:89]
	v_mov_b64_e32 v[4:5], s[90:91]
	s_andn2_b64 exec, exec, s[86:87]
	s_cbranch_execnz .LBB57_48
; %bb.49:                               ;   in Loop: Header=BB57_7 Depth=1
	s_or_b64 exec, exec, s[86:87]
	s_or_b64 exec, exec, s[70:71]
	v_mov_b32_e32 v18, 0
	s_and_saveexec_b64 s[2:3], s[12:13]
	s_cbranch_execz .LBB57_46
.LBB57_50:                              ;   in Loop: Header=BB57_7 Depth=1
	global_load_ushort v18, v[14:15], off
	s_or_b64 exec, exec, s[2:3]
	s_and_saveexec_b64 s[20:21], s[14:15]
	s_cbranch_execz .LBB57_56
.LBB57_51:                              ;   in Loop: Header=BB57_7 Depth=1
	s_mov_b64 s[22:23], 0
	v_mov_b32_e32 v16, v30
	v_mov_b32_e32 v8, v24
	s_branch .LBB57_53
.LBB57_52:                              ;   in Loop: Header=BB57_53 Depth=2
	s_or_b64 exec, exec, s[2:3]
	s_waitcnt vmcnt(0)
	v_cmp_lt_i16_e32 vcc, -1, v18
	v_add_u32_e32 v16, s74, v16
	s_nop 0
	v_cndmask_b32_e32 v19, v33, v35, vcc
	v_xor_b32_sdwa v19, v19, v18 dst_sel:DWORD dst_unused:UNUSED_PAD src0_sel:DWORD src1_sel:WORD_0
	v_cmp_o_f16_e32 vcc, v18, v18
	s_nop 1
	v_cndmask_b32_e32 v18, v33, v19, vcc
	v_and_b32_e32 v19, v18, v39
	v_bfe_u32 v18, v18, v34, 2
	v_cmp_eq_u32_e32 vcc, v19, v29
	v_cmp_eq_u32_e64 s[2:3], 0, v18
	s_and_b64 s[2:3], vcc, s[2:3]
	s_nop 0
	v_cndmask_b32_e64 v19, 0, 1, s[2:3]
	v_cmp_ne_u32_e64 s[2:3], 0, v19
	s_bcnt1_i32_b64 s6, s[2:3]
	v_cmp_eq_u32_e64 s[2:3], 1, v18
	s_and_b64 s[2:3], vcc, s[2:3]
	v_add_u32_e32 v2, s6, v2
	v_cndmask_b32_e64 v19, 0, 1, s[2:3]
	v_cmp_ne_u32_e64 s[2:3], 0, v19
	s_bcnt1_i32_b64 s2, s[2:3]
	s_nop 0
	v_add_u32_e32 v3, s2, v3
	v_cmp_eq_u32_e64 s[2:3], 2, v18
	s_and_b64 s[2:3], vcc, s[2:3]
	s_nop 0
	v_cndmask_b32_e64 v19, 0, 1, s[2:3]
	v_cmp_ne_u32_e64 s[2:3], 0, v19
	s_bcnt1_i32_b64 s6, s[2:3]
	v_cmp_eq_u32_e64 s[2:3], 3, v18
	s_and_b64 s[2:3], vcc, s[2:3]
	v_add_u32_e32 v4, s6, v4
	v_cndmask_b32_e64 v18, 0, 1, s[2:3]
	v_cmp_ne_u32_e32 vcc, 0, v18
	s_bcnt1_i32_b64 s2, vcc
	v_cmp_le_i32_e32 vcc, s60, v8
	v_add_u32_e32 v5, s2, v5
	s_or_b64 s[22:23], vcc, s[22:23]
	v_mov_b32_e32 v18, v17
	s_andn2_b64 exec, exec, s[22:23]
	s_cbranch_execz .LBB57_55
.LBB57_53:                              ;   Parent Loop BB57_7 Depth=1
                                        ; =>  This Inner Loop Header: Depth=2
	v_add_u32_e32 v8, s62, v8
	v_cmp_gt_u32_e32 vcc, s60, v8
	v_mov_b32_e32 v17, 0
	s_and_saveexec_b64 s[2:3], vcc
	s_cbranch_execz .LBB57_52
; %bb.54:                               ;   in Loop: Header=BB57_53 Depth=2
	v_ashrrev_i32_e32 v17, 31, v16
	v_lshl_add_u64 v[44:45], v[16:17], 1, s[72:73]
	global_load_ushort v17, v[44:45], off
	s_branch .LBB57_52
.LBB57_55:                              ;   in Loop: Header=BB57_7 Depth=1
	s_or_b64 exec, exec, s[22:23]
.LBB57_56:                              ;   in Loop: Header=BB57_7 Depth=1
	s_or_b64 exec, exec, s[20:21]
	s_branch .LBB57_36
.LBB57_57:                              ;   in Loop: Header=BB57_7 Depth=1
	s_mul_hi_u32 s2, s17, s7
	s_mul_i32 s2, s2, s33
	s_sub_i32 s2, s17, s2
	s_sub_i32 s3, s2, s33
	s_cmp_ge_u32 s2, s33
	s_cselect_b32 s2, s3, s2
	s_sub_i32 s3, s2, s33
	s_cmp_ge_u32 s2, s33
	s_cselect_b32 s2, s3, s2
	s_sub_i32 s6, s17, s2
	v_mov_b32_e32 v8, v9
	v_cmp_gt_u32_e32 vcc, s6, v13
	v_mov_b64_e32 v[4:5], v[8:9]
	s_waitcnt vmcnt(0)
	v_mov_b64_e32 v[2:3], v[8:9]
	s_and_saveexec_b64 s[70:71], vcc
	s_cbranch_execz .LBB57_61
; %bb.58:                               ;   in Loop: Header=BB57_7 Depth=1
	s_mov_b32 s88, 0
	s_mov_b64 s[86:87], 0
	v_mov_b32_e32 v8, v31
	v_mov_b32_e32 v16, v13
	s_mov_b32 s89, s88
	s_mov_b32 s90, s88
	;; [unrolled: 1-line block ×3, first 2 shown]
.LBB57_59:                              ;   Parent Loop BB57_7 Depth=1
                                        ; =>  This Inner Loop Header: Depth=2
	ds_read_b64 v[2:3], v8
	v_add_u32_e32 v16, s33, v16
	v_cmp_le_i32_e32 vcc, s6, v16
	v_add_u32_e32 v8, s82, v8
	s_waitcnt lgkmcnt(0)
	v_cmp_lt_i16_e64 s[2:3], -1, v2
	v_cmp_o_f16_e64 s[20:21], v3, v3
	s_nop 0
	v_cndmask_b32_e64 v4, v33, v35, s[2:3]
	v_cmp_gt_i16_sdwa s[2:3], v2, v36 src0_sel:WORD_1 src1_sel:DWORD
	v_cmp_o_f16_sdwa s[22:23], v3, v3 src0_sel:WORD_1 src1_sel:WORD_1
	v_cmp_o_f16_e64 s[24:25], v2, v2
	v_cndmask_b32_e64 v5, v33, v35, s[2:3]
	v_cmp_lt_i16_e64 s[2:3], -1, v3
	v_xor_b32_sdwa v5, v5, v2 dst_sel:DWORD dst_unused:UNUSED_PAD src0_sel:DWORD src1_sel:WORD_1
	s_nop 0
	v_cndmask_b32_e64 v17, v33, v35, s[2:3]
	v_cmp_gt_i16_sdwa s[2:3], v3, v36 src0_sel:WORD_1 src1_sel:DWORD
	v_bitop3_b32 v17, v17, v3, s75 bitop3:0x78
	s_nop 0
	v_cndmask_b32_e64 v18, v33, v35, s[2:3]
	v_xor_b32_sdwa v18, v18, v3 dst_sel:DWORD dst_unused:UNUSED_PAD src0_sel:DWORD src1_sel:WORD_1
	v_bitop3_b32 v3, v4, v2, s75 bitop3:0x78
	v_cmp_o_f16_sdwa s[2:3], v2, v2 src0_sel:WORD_1 src1_sel:WORD_1
	v_cndmask_b32_e64 v2, v33, v3, s[24:25]
	v_cndmask_b32_e64 v4, v33, v17, s[20:21]
	;; [unrolled: 1-line block ×3, first 2 shown]
	v_and_b32_e32 v17, v2, v39
	v_bfe_u32 v2, v2, v34, 2
	v_cndmask_b32_e64 v5, v33, v18, s[22:23]
	v_and_b32_e32 v18, v3, v39
	v_bfe_u32 v3, v3, v34, 2
	v_cmp_eq_u32_e64 s[2:3], v17, v29
	v_cmp_eq_u32_e64 s[26:27], 0, v2
	v_and_b32_e32 v19, v4, v39
	v_bfe_u32 v4, v4, v34, 2
	v_cmp_eq_u32_e64 s[20:21], v18, v29
	v_cmp_eq_u32_e64 s[28:29], 0, v3
	s_and_b64 s[26:27], s[2:3], s[26:27]
	v_and_b32_e32 v43, v5, v39
	v_bfe_u32 v5, v5, v34, 2
	v_cmp_eq_u32_e64 s[22:23], v19, v29
	v_cmp_eq_u32_e64 s[30:31], 0, v4
	;; [unrolled: 1-line block ×5, first 2 shown]
	v_cndmask_b32_e64 v2, 0, 1, s[26:27]
	s_and_b64 s[26:27], s[20:21], s[28:29]
	v_cmp_eq_u32_e64 s[24:25], v43, v29
	v_cmp_eq_u32_e64 s[34:35], 0, v5
	;; [unrolled: 1-line block ×5, first 2 shown]
	v_cndmask_b32_e64 v3, 0, 1, s[26:27]
	s_and_b64 s[26:27], s[22:23], s[30:31]
	v_cmp_eq_u32_e64 s[40:41], 1, v4
	v_cmp_eq_u32_e64 s[48:49], 2, v4
	;; [unrolled: 1-line block ×3, first 2 shown]
	v_cndmask_b32_e64 v4, 0, 1, s[26:27]
	s_and_b64 s[26:27], s[24:25], s[34:35]
	v_cmp_eq_u32_e64 s[42:43], 1, v5
	v_cmp_eq_u32_e64 s[50:51], 2, v5
	v_cmp_eq_u32_e64 s[58:59], 3, v5
	v_cndmask_b32_e64 v5, 0, 1, s[26:27]
	s_and_b64 s[26:27], s[2:3], s[36:37]
	v_cndmask_b32_e64 v17, 0, 1, s[26:27]
	s_and_b64 s[26:27], s[20:21], s[38:39]
	;; [unrolled: 2-line block ×5, first 2 shown]
	s_and_b64 s[2:3], s[2:3], s[52:53]
	v_cndmask_b32_e64 v44, 0, 1, s[26:27]
	s_and_b64 s[26:27], s[20:21], s[46:47]
	v_cndmask_b32_e64 v48, 0, 1, s[2:3]
	;; [unrolled: 2-line block ×7, first 2 shown]
	v_cndmask_b32_e64 v51, 0, 1, s[2:3]
	v_cmp_ne_u32_e64 s[2:3], 0, v2
	v_cmp_ne_u32_e64 s[20:21], 0, v3
	;; [unrolled: 1-line block ×11, first 2 shown]
	s_bcnt1_i32_b64 s2, s[2:3]
	s_bcnt1_i32_b64 s3, s[20:21]
	;; [unrolled: 1-line block ×8, first 2 shown]
	v_cmp_ne_u32_e64 s[34:35], 0, v43
	v_cmp_ne_u32_e64 s[40:41], 0, v46
	;; [unrolled: 1-line block ×3, first 2 shown]
	s_bcnt1_i32_b64 s23, s[28:29]
	s_bcnt1_i32_b64 s27, s[38:39]
	;; [unrolled: 1-line block ×3, first 2 shown]
	s_add_i32 s2, s88, s2
	s_add_i32 s22, s89, s22
	;; [unrolled: 1-line block ×4, first 2 shown]
	v_cmp_ne_u32_e64 s[42:43], 0, v47
	v_cmp_ne_u32_e64 s[50:51], 0, v51
	s_bcnt1_i32_b64 s25, s[34:35]
	s_bcnt1_i32_b64 s28, s[40:41]
	;; [unrolled: 1-line block ×3, first 2 shown]
	s_add_i32 s22, s22, s23
	s_add_i32 s2, s2, s3
	;; [unrolled: 1-line block ×4, first 2 shown]
	s_bcnt1_i32_b64 s29, s[42:43]
	s_bcnt1_i32_b64 s35, s[50:51]
	s_add_i32 s2, s2, s20
	s_add_i32 s20, s22, s24
	;; [unrolled: 1-line block ×8, first 2 shown]
	s_or_b64 s[86:87], vcc, s[86:87]
	v_mov_b64_e32 v[2:3], s[88:89]
	v_mov_b64_e32 v[4:5], s[90:91]
	s_andn2_b64 exec, exec, s[86:87]
	s_cbranch_execnz .LBB57_59
; %bb.60:                               ;   in Loop: Header=BB57_7 Depth=1
	s_or_b64 exec, exec, s[86:87]
.LBB57_61:                              ;   in Loop: Header=BB57_7 Depth=1
	s_or_b64 exec, exec, s[70:71]
	v_add_u32_e32 v8, s6, v0
	v_cmp_gt_i32_e32 vcc, s17, v8
	s_and_saveexec_b64 s[28:29], vcc
	s_cbranch_execz .LBB57_65
; %bb.62:                               ;   in Loop: Header=BB57_7 Depth=1
	v_lshlrev_b32_e32 v16, 1, v8
	s_mov_b64 s[30:31], 0
.LBB57_63:                              ;   Parent Loop BB57_7 Depth=1
                                        ; =>  This Inner Loop Header: Depth=2
	ds_read_u16 v17, v16
	v_add_u32_e32 v8, s62, v8
	v_cmp_le_i32_e32 vcc, s17, v8
	v_add_u32_e32 v16, s83, v16
	s_waitcnt lgkmcnt(0)
	v_cmp_lt_i16_e64 s[2:3], -1, v17
	s_nop 1
	v_cndmask_b32_e64 v18, v33, v35, s[2:3]
	v_xor_b32_sdwa v18, v18, v17 dst_sel:DWORD dst_unused:UNUSED_PAD src0_sel:DWORD src1_sel:WORD_0
	v_cmp_o_f16_e64 s[2:3], v17, v17
	s_nop 1
	v_cndmask_b32_e64 v17, v33, v18, s[2:3]
	v_and_b32_e32 v18, v17, v39
	v_bfe_u32 v17, v17, v34, 2
	v_cmp_eq_u32_e64 s[2:3], v18, v29
	v_cmp_eq_u32_e64 s[20:21], 0, v17
	;; [unrolled: 1-line block ×3, first 2 shown]
	s_and_b64 s[20:21], s[2:3], s[20:21]
	v_cmp_eq_u32_e64 s[24:25], 2, v17
	v_cmp_eq_u32_e64 s[26:27], 3, v17
	v_cndmask_b32_e64 v17, 0, 1, s[20:21]
	s_and_b64 s[20:21], s[2:3], s[22:23]
	v_cndmask_b32_e64 v18, 0, 1, s[20:21]
	s_and_b64 s[20:21], s[2:3], s[24:25]
	s_and_b64 s[2:3], s[2:3], s[26:27]
	v_cndmask_b32_e64 v19, 0, 1, s[20:21]
	v_cndmask_b32_e64 v43, 0, 1, s[2:3]
	v_cmp_ne_u32_e64 s[2:3], 0, v17
	v_cmp_ne_u32_e64 s[20:21], 0, v18
	v_cmp_ne_u32_e64 s[22:23], 0, v19
	v_cmp_ne_u32_e64 s[24:25], 0, v43
	s_bcnt1_i32_b64 s2, s[2:3]
	s_bcnt1_i32_b64 s3, s[20:21]
	;; [unrolled: 1-line block ×4, first 2 shown]
	v_add_u32_e32 v3, s3, v3
	v_add_u32_e32 v2, s2, v2
	;; [unrolled: 1-line block ×3, first 2 shown]
	s_or_b64 s[30:31], vcc, s[30:31]
	v_add_u32_e32 v4, s6, v4
	s_andn2_b64 exec, exec, s[30:31]
	s_cbranch_execnz .LBB57_63
; %bb.64:                               ;   in Loop: Header=BB57_7 Depth=1
	s_or_b64 exec, exec, s[30:31]
.LBB57_65:                              ;   in Loop: Header=BB57_7 Depth=1
	s_or_b64 exec, exec, s[28:29]
	s_lshl_b32 s6, s16, 6
	s_and_saveexec_b64 s[2:3], s[18:19]
	s_cbranch_execnz .LBB57_37
	s_branch .LBB57_38
.LBB57_66:                              ;   in Loop: Header=BB57_7 Depth=1
	s_or_b64 exec, exec, s[22:23]
	s_waitcnt lgkmcnt(0)
	s_barrier
	s_and_saveexec_b64 s[2:3], s[0:1]
	s_cbranch_execz .LBB57_68
; %bb.67:                               ;   in Loop: Header=BB57_7 Depth=1
	ds_read_b32 v2, v9 offset:4104
	s_waitcnt lgkmcnt(0)
	ds_write_b32 v9, v2 offset:4096
.LBB57_68:                              ;   in Loop: Header=BB57_7 Depth=1
	s_or_b64 exec, exec, s[2:3]
	s_waitcnt lgkmcnt(0)
	s_barrier
	s_mov_b64 s[2:3], -1
	s_and_b64 vcc, exec, s[20:21]
	s_cbranch_vccnz .LBB57_22
	s_branch .LBB57_32
.LBB57_69:                              ;   in Loop: Header=BB57_7 Depth=1
	v_mov_b32_e32 v2, 0
	s_mov_b32 s17, 0
	s_cbranch_execnz .LBB57_74
	s_branch .LBB57_76
.LBB57_70:                              ;   in Loop: Header=BB57_7 Depth=1
	v_mov_b32_e32 v8, v9
	v_readlane_b32 s20, v56, 40
	v_mov_b64_e32 v[2:3], v[8:9]
	v_readlane_b32 s21, v56, 41
.LBB57_71:                              ;   in Loop: Header=BB57_7 Depth=1
	v_readlane_b32 s22, v56, 32
	v_readlane_b32 s23, v56, 33
	s_andn2_b64 vcc, exec, s[22:23]
	v_readlane_b32 s17, v56, 31
	s_cbranch_vccnz .LBB57_73
.LBB57_72:                              ;   Parent Loop BB57_7 Depth=1
                                        ; =>  This Inner Loop Header: Depth=2
	v_lshl_add_u32 v8, s20, 4, v5
	v_lshl_add_u32 v16, s21, 4, v5
	ds_read_b32 v16, v16
	ds_read_b32 v8, v8
	s_add_i32 s21, s21, 2
	s_add_i32 s20, s20, 2
	s_add_i32 s17, s17, -1
	s_cmp_lg_u32 s17, 0
	s_waitcnt lgkmcnt(1)
	v_add_u32_e32 v3, v16, v3
	s_waitcnt lgkmcnt(0)
	v_add_u32_e32 v2, v8, v2
	s_cbranch_scc1 .LBB57_72
.LBB57_73:                              ;   in Loop: Header=BB57_7 Depth=1
	v_readlane_b32 s20, v56, 36
	v_add_u32_e32 v2, v2, v3
	v_readlane_b32 s17, v56, 35
	v_readlane_b32 s21, v56, 37
	s_and_b64 vcc, exec, s[20:21]
	s_cbranch_vccz .LBB57_76
.LBB57_74:                              ;   in Loop: Header=BB57_7 Depth=1
	s_lshl_b32 s20, s16, 8
	s_lshl_b32 s21, s17, 4
	s_add_i32 s20, s20, s21
	v_add_u32_e32 v3, s20, v32
	v_readlane_b32 s20, v56, 34
	s_sub_i32 s17, s20, s17
.LBB57_75:                              ;   Parent Loop BB57_7 Depth=1
                                        ; =>  This Inner Loop Header: Depth=2
	ds_read_b32 v5, v3
	s_add_i32 s17, s17, -1
	v_add_u32_e32 v3, 16, v3
	s_cmp_eq_u32 s17, 0
	s_waitcnt lgkmcnt(0)
	v_add_u32_e32 v2, v5, v2
	s_cbranch_scc0 .LBB57_75
.LBB57_76:                              ;   in Loop: Header=BB57_7 Depth=1
	v_lshlrev_b32_e32 v3, 2, v4
	ds_write_b32 v3, v2 offset:3072
.LBB57_77:                              ;   in Loop: Header=BB57_7 Depth=1
	s_or_b64 exec, exec, s[2:3]
	s_lshl_b32 s2, s6, 2
	s_waitcnt vmcnt(0)
	v_mov_b32_e32 v2, s2
	s_waitcnt lgkmcnt(0)
	s_barrier
	ds_read_b128 v[2:5], v2 offset:3072
	v_cmp_eq_u32_e32 vcc, 1, v41
	s_mov_b64 s[20:21], -1
	s_mov_b64 s[28:29], -1
                                        ; implicit-def: $sgpr26_sgpr27
                                        ; implicit-def: $sgpr24_sgpr25
	s_waitcnt lgkmcnt(0)
	v_readfirstlane_b32 s42, v2
	s_cmp_eq_u32 s42, 1
	v_readfirstlane_b32 s54, v4
	v_lshlrev_b32_e64 v4, v34, 3
	s_cselect_b64 s[2:3], -1, 0
	v_readfirstlane_b32 s46, v3
	v_readfirstlane_b32 s17, v5
	v_not_b32_e32 v8, v4
	s_and_b64 s[22:23], s[2:3], vcc
	s_and_saveexec_b64 s[2:3], s[22:23]
	s_cbranch_execz .LBB57_105
; %bb.78:                               ;   in Loop: Header=BB57_7 Depth=1
	ds_read_b32 v2, v9 offset:4096
	s_waitcnt lgkmcnt(0)
	s_barrier
	v_readfirstlane_b32 s6, v2
	s_and_saveexec_b64 s[24:25], s[4:5]
; %bb.79:                               ;   in Loop: Header=BB57_7 Depth=1
	ds_write_b16 v22, v9
; %bb.80:                               ;   in Loop: Header=BB57_7 Depth=1
	s_or_b64 exec, exec, s[24:25]
	v_and_b32_e32 v29, v29, v8
	v_or_b32_e32 v39, v39, v4
	s_mov_b64 s[24:25], -1
	s_mov_b64 s[26:27], 0
	s_cmp_lt_i32 s6, 1
	s_mov_b64 s[28:29], 0
	s_mov_b64 s[30:31], -1
	s_waitcnt lgkmcnt(0)
	s_barrier
                                        ; implicit-def: $vgpr40
	s_cbranch_scc0 .LBB57_92
; %bb.81:                               ;   in Loop: Header=BB57_7 Depth=1
	s_mov_b64 s[30:31], 0
                                        ; implicit-def: $vgpr40
	s_mov_b64 s[34:35], exec
	v_readlane_b32 s36, v56, 38
	v_readlane_b32 s37, v56, 39
	s_and_b64 s[36:37], s[34:35], s[36:37]
	s_mov_b64 exec, s[36:37]
	s_cbranch_execz .LBB57_91
; %bb.82:                               ;   in Loop: Header=BB57_7 Depth=1
	v_mov_b32_e32 v2, v6
	v_mov_b32_e32 v5, v0
                                        ; implicit-def: $sgpr36_sgpr37
	s_branch .LBB57_86
.LBB57_83:                              ;   in Loop: Header=BB57_86 Depth=2
	s_or_b64 exec, exec, s[38:39]
	s_waitcnt lgkmcnt(0)
	s_barrier
	ds_read_b32 v3, v9 offset:3072
	s_waitcnt lgkmcnt(0)
	s_barrier
	v_cmp_neq_f16_e32 vcc, 0, v3
	s_cbranch_vccnz .LBB57_89
; %bb.84:                               ;   in Loop: Header=BB57_86 Depth=2
	v_add_u32_e32 v5, s62, v5
	v_cmp_le_i32_e32 vcc, s84, v5
	v_add_u32_e32 v2, s74, v2
	s_mov_b64 s[38:39], 0
	s_orn2_b64 s[40:41], vcc, exec
.LBB57_85:                              ;   in Loop: Header=BB57_86 Depth=2
	s_and_b64 s[40:41], exec, s[40:41]
	s_or_b64 s[28:29], s[40:41], s[28:29]
	s_andn2_b64 s[36:37], s[36:37], exec
	s_and_b64 s[38:39], s[38:39], exec
	s_or_b64 s[36:37], s[36:37], s[38:39]
	s_andn2_b64 exec, exec, s[28:29]
	s_cbranch_execz .LBB57_90
.LBB57_86:                              ;   Parent Loop BB57_7 Depth=1
                                        ; =>  This Inner Loop Header: Depth=2
	v_cmp_gt_i32_e32 vcc, s60, v5
	s_and_saveexec_b64 s[38:39], vcc
	s_cbranch_execz .LBB57_83
; %bb.87:                               ;   in Loop: Header=BB57_86 Depth=2
	v_ashrrev_i32_e32 v3, 31, v2
	v_lshl_add_u64 v[16:17], v[2:3], 1, s[72:73]
	global_load_ushort v3, v[16:17], off
	s_waitcnt vmcnt(0)
	v_cmp_lt_i16_e32 vcc, -1, v3
	s_nop 1
	v_cndmask_b32_e32 v16, v33, v35, vcc
	v_xor_b32_sdwa v16, v16, v3 dst_sel:DWORD dst_unused:UNUSED_PAD src0_sel:DWORD src1_sel:WORD_0
	v_cmp_o_f16_e32 vcc, v3, v3
	s_nop 1
	v_cndmask_b32_e32 v16, v33, v16, vcc
	v_and_b32_e32 v16, v16, v39
	v_cmp_eq_u32_e32 vcc, v16, v29
	s_and_b64 exec, exec, vcc
	s_cbranch_execz .LBB57_83
; %bb.88:                               ;   in Loop: Header=BB57_86 Depth=2
	v_perm_b32 v3, v3, s61, v38
	ds_write_b32 v9, v3 offset:3072
	s_branch .LBB57_83
.LBB57_89:                              ;   in Loop: Header=BB57_86 Depth=2
	s_mov_b64 s[40:41], -1
                                        ; implicit-def: $vgpr5
                                        ; implicit-def: $vgpr2
	s_mov_b64 s[38:39], -1
	s_branch .LBB57_85
.LBB57_90:                              ;   in Loop: Header=BB57_7 Depth=1
	s_or_b64 exec, exec, s[28:29]
	v_lshrrev_b32_e32 v40, 16, v3
	s_and_b64 s[28:29], s[36:37], exec
.LBB57_91:                              ;   in Loop: Header=BB57_7 Depth=1
	s_or_b64 exec, exec, s[34:35]
.LBB57_92:                              ;   in Loop: Header=BB57_7 Depth=1
	s_and_b64 vcc, exec, s[30:31]
	s_cbranch_vccz .LBB57_104
; %bb.93:                               ;   in Loop: Header=BB57_7 Depth=1
	v_readlane_b32 s24, v56, 19
	s_add_i32 s38, s6, s24
	s_abs_i32 s25, s38
	s_mul_hi_u32 s26, s25, s9
	s_mul_i32 s26, s26, s62
	s_sub_i32 s25, s25, s26
	s_ashr_i32 s24, s38, 31
	s_sub_i32 s26, s25, s62
	s_cmp_ge_u32 s25, s62
	s_cselect_b32 s25, s26, s25
	s_sub_i32 s26, s25, s62
	s_cmp_ge_u32 s25, s62
	s_cselect_b32 s25, s26, s25
	s_xor_b32 s25, s25, s24
	s_sub_i32 s24, s24, s25
	s_add_i32 s38, s38, s24
	v_cmp_gt_i32_e32 vcc, s38, v0
                                        ; implicit-def: $vgpr40
	s_and_saveexec_b64 s[24:25], vcc
	s_cbranch_execz .LBB57_103
; %bb.94:                               ;   in Loop: Header=BB57_7 Depth=1
	s_mov_b64 s[26:27], 0
	v_mov_b32_e32 v2, v21
	v_mov_b32_e32 v3, v0
                                        ; implicit-def: $sgpr30_sgpr31
	s_branch .LBB57_98
.LBB57_95:                              ;   in Loop: Header=BB57_98 Depth=2
	s_or_b64 exec, exec, s[34:35]
	s_waitcnt lgkmcnt(0)
	s_barrier
	ds_read_b32 v5, v9 offset:3072
	s_waitcnt lgkmcnt(0)
	s_barrier
	v_cmp_neq_f16_e32 vcc, 0, v5
	s_cbranch_vccnz .LBB57_101
; %bb.96:                               ;   in Loop: Header=BB57_98 Depth=2
	v_add_u32_e32 v3, s62, v3
	v_cmp_le_i32_e32 vcc, s38, v3
	v_add_u32_e32 v2, s83, v2
	s_mov_b64 s[34:35], 0
	s_orn2_b64 s[36:37], vcc, exec
.LBB57_97:                              ;   in Loop: Header=BB57_98 Depth=2
	s_and_b64 s[36:37], exec, s[36:37]
	s_or_b64 s[26:27], s[36:37], s[26:27]
	s_andn2_b64 s[30:31], s[30:31], exec
	s_and_b64 s[34:35], s[34:35], exec
	s_or_b64 s[30:31], s[30:31], s[34:35]
	s_andn2_b64 exec, exec, s[26:27]
	s_cbranch_execz .LBB57_102
.LBB57_98:                              ;   Parent Loop BB57_7 Depth=1
                                        ; =>  This Inner Loop Header: Depth=2
	v_cmp_gt_i32_e32 vcc, s6, v3
	s_and_saveexec_b64 s[34:35], vcc
	s_cbranch_execz .LBB57_95
; %bb.99:                               ;   in Loop: Header=BB57_98 Depth=2
	ds_read_u16 v5, v2
	s_waitcnt lgkmcnt(0)
	v_cmp_lt_i16_e32 vcc, -1, v5
	s_nop 1
	v_cndmask_b32_e32 v16, v33, v35, vcc
	v_xor_b32_sdwa v16, v16, v5 dst_sel:DWORD dst_unused:UNUSED_PAD src0_sel:DWORD src1_sel:WORD_0
	v_cmp_o_f16_e32 vcc, v5, v5
	s_nop 1
	v_cndmask_b32_e32 v16, v33, v16, vcc
	v_and_b32_e32 v16, v16, v39
	v_cmp_eq_u32_e32 vcc, v16, v29
	s_and_b64 exec, exec, vcc
	s_cbranch_execz .LBB57_95
; %bb.100:                              ;   in Loop: Header=BB57_98 Depth=2
	v_perm_b32 v5, v5, s61, v38
	ds_write_b32 v9, v5 offset:3072
	s_branch .LBB57_95
.LBB57_101:                             ;   in Loop: Header=BB57_98 Depth=2
	s_mov_b64 s[36:37], -1
                                        ; implicit-def: $vgpr3
                                        ; implicit-def: $vgpr2
	s_mov_b64 s[34:35], -1
	s_branch .LBB57_97
.LBB57_102:                             ;   in Loop: Header=BB57_7 Depth=1
	s_or_b64 exec, exec, s[26:27]
	s_andn2_b64 s[26:27], s[28:29], exec
	s_and_b64 s[28:29], s[30:31], exec
	v_lshrrev_b32_e32 v40, 16, v5
	s_or_b64 s[28:29], s[26:27], s[28:29]
.LBB57_103:                             ;   in Loop: Header=BB57_7 Depth=1
	s_or_b64 exec, exec, s[24:25]
	s_mov_b64 s[24:25], 0
	s_mov_b64 s[26:27], -1
.LBB57_104:                             ;   in Loop: Header=BB57_7 Depth=1
	s_orn2_b64 s[28:29], s[28:29], exec
.LBB57_105:                             ;   in Loop: Header=BB57_7 Depth=1
	s_or_b64 exec, exec, s[2:3]
	s_andn2_b64 s[2:3], s[68:69], exec
	s_and_b64 s[26:27], s[26:27], exec
	s_or_b64 s[68:69], s[2:3], s[26:27]
	s_andn2_b64 s[2:3], s[64:65], exec
	s_and_b64 s[24:25], s[24:25], exec
	v_readfirstlane_b32 s6, v0
	s_andn2_b64 s[66:67], s[66:67], exec
	s_or_b64 s[64:65], s[2:3], s[24:25]
                                        ; implicit-def: $vgpr16
	s_and_saveexec_b64 s[2:3], s[28:29]
	s_cbranch_execz .LBB57_6
; %bb.106:                              ;   in Loop: Header=BB57_7 Depth=1
	s_xor_b64 s[24:25], s[22:23], -1
	s_mov_b64 s[22:23], 0
	v_mov_b32_e32 v16, 1
	v_mov_b32_e32 v5, 1
	s_and_saveexec_b64 s[20:21], s[24:25]
	s_cbranch_execz .LBB57_115
; %bb.107:                              ;   in Loop: Header=BB57_7 Depth=1
	v_cmp_ge_i32_e32 vcc, s42, v41
	s_and_saveexec_b64 s[22:23], vcc
	s_xor_b64 s[22:23], exec, s[22:23]
	s_cbranch_execz .LBB57_112
; %bb.108:                              ;   in Loop: Header=BB57_7 Depth=1
	ds_read_b32 v2, v9 offset:4096
	v_and_b32_e32 v29, v29, v8
	v_or_b32_e32 v39, v39, v4
	s_waitcnt lgkmcnt(0)
	v_cmp_ne_u32_e32 vcc, 0, v2
	s_cbranch_vccnz .LBB57_112
; %bb.109:                              ;   in Loop: Header=BB57_7 Depth=1
	s_and_saveexec_b64 s[24:25], s[0:1]
; %bb.110:                              ;   in Loop: Header=BB57_7 Depth=1
	v_mov_b32_e32 v2, s42
	ds_write_b32 v9, v2 offset:4100
; %bb.111:                              ;   in Loop: Header=BB57_7 Depth=1
	s_or_b64 exec, exec, s[24:25]
	s_waitcnt lgkmcnt(0)
	s_barrier
.LBB57_112:                             ;   in Loop: Header=BB57_7 Depth=1
	s_or_saveexec_b64 s[22:23], s[22:23]
	s_mov_b64 s[24:25], 0
	v_mov_b32_e32 v5, 8
	s_xor_b64 exec, exec, s[22:23]
; %bb.113:                              ;   in Loop: Header=BB57_7 Depth=1
	s_mov_b64 s[24:25], exec
	v_subrev_u32_e32 v41, s42, v41
	v_mov_b32_e32 v5, 0
; %bb.114:                              ;   in Loop: Header=BB57_7 Depth=1
	s_or_b64 exec, exec, s[22:23]
	s_and_b64 s[22:23], s[24:25], exec
	v_mov_b32_e32 v16, v41
.LBB57_115:                             ;   in Loop: Header=BB57_7 Depth=1
	s_or_b64 exec, exec, s[20:21]
	s_mov_b64 s[20:21], -1
	s_mov_b64 s[28:29], -1
                                        ; implicit-def: $sgpr24_sgpr25
                                        ; implicit-def: $sgpr26_sgpr27
	s_and_saveexec_b64 s[30:31], s[22:23]
	s_xor_b64 s[22:23], exec, s[30:31]
	s_cbranch_execz .LBB57_238
; %bb.116:                              ;   in Loop: Header=BB57_7 Depth=1
	s_cmp_eq_u32 s46, 1
	s_cselect_b64 s[24:25], -1, 0
	v_cmp_eq_u32_e32 vcc, 1, v16
	s_and_b64 s[30:31], s[24:25], vcc
	s_mov_b64 s[34:35], -1
                                        ; implicit-def: $sgpr26_sgpr27
                                        ; implicit-def: $sgpr24_sgpr25
	s_and_saveexec_b64 s[28:29], s[30:31]
	s_cbranch_execz .LBB57_144
; %bb.117:                              ;   in Loop: Header=BB57_7 Depth=1
	ds_read_b32 v2, v9 offset:4096
	s_waitcnt lgkmcnt(0)
	s_barrier
	v_readfirstlane_b32 s6, v2
	s_and_saveexec_b64 s[24:25], s[4:5]
; %bb.118:                              ;   in Loop: Header=BB57_7 Depth=1
	ds_write_b16 v22, v9
; %bb.119:                              ;   in Loop: Header=BB57_7 Depth=1
	s_or_b64 exec, exec, s[24:25]
	v_and_b32_e32 v2, v29, v8
	v_lshl_or_b32 v29, 1, v34, v2
	v_or_b32_e32 v39, v39, v4
	s_mov_b64 s[24:25], -1
	s_mov_b64 s[26:27], 0
	s_cmp_gt_i32 s6, 0
	s_mov_b64 s[34:35], 0
	s_mov_b64 s[36:37], -1
	s_waitcnt lgkmcnt(0)
	s_barrier
                                        ; implicit-def: $vgpr40
	s_cbranch_scc1 .LBB57_131
; %bb.120:                              ;   in Loop: Header=BB57_7 Depth=1
	s_mov_b64 s[36:37], 0
                                        ; implicit-def: $vgpr40
	s_mov_b64 s[38:39], exec
	v_readlane_b32 s40, v56, 38
	v_readlane_b32 s41, v56, 39
	s_and_b64 s[40:41], s[38:39], s[40:41]
	s_mov_b64 exec, s[40:41]
	s_cbranch_execz .LBB57_130
; %bb.121:                              ;   in Loop: Header=BB57_7 Depth=1
	v_mov_b32_e32 v2, v6
	v_mov_b32_e32 v17, v0
                                        ; implicit-def: $sgpr40_sgpr41
	s_branch .LBB57_125
.LBB57_122:                             ;   in Loop: Header=BB57_125 Depth=2
	s_or_b64 exec, exec, s[42:43]
	s_waitcnt lgkmcnt(0)
	s_barrier
	ds_read_b32 v3, v9 offset:3072
	s_waitcnt lgkmcnt(0)
	s_barrier
	v_cmp_neq_f16_e32 vcc, 0, v3
	s_cbranch_vccnz .LBB57_128
; %bb.123:                              ;   in Loop: Header=BB57_125 Depth=2
	v_add_u32_e32 v17, s62, v17
	v_cmp_le_i32_e32 vcc, s84, v17
	v_add_u32_e32 v2, s74, v2
	s_mov_b64 s[42:43], 0
	s_orn2_b64 s[44:45], vcc, exec
.LBB57_124:                             ;   in Loop: Header=BB57_125 Depth=2
	s_and_b64 s[44:45], exec, s[44:45]
	s_or_b64 s[34:35], s[44:45], s[34:35]
	s_andn2_b64 s[40:41], s[40:41], exec
	s_and_b64 s[42:43], s[42:43], exec
	s_or_b64 s[40:41], s[40:41], s[42:43]
	s_andn2_b64 exec, exec, s[34:35]
	s_cbranch_execz .LBB57_129
.LBB57_125:                             ;   Parent Loop BB57_7 Depth=1
                                        ; =>  This Inner Loop Header: Depth=2
	v_cmp_gt_i32_e32 vcc, s60, v17
	s_and_saveexec_b64 s[42:43], vcc
	s_cbranch_execz .LBB57_122
; %bb.126:                              ;   in Loop: Header=BB57_125 Depth=2
	v_ashrrev_i32_e32 v3, 31, v2
	v_lshl_add_u64 v[18:19], v[2:3], 1, s[72:73]
	global_load_ushort v3, v[18:19], off
	s_waitcnt vmcnt(0)
	v_cmp_lt_i16_e32 vcc, -1, v3
	s_nop 1
	v_cndmask_b32_e32 v18, v33, v35, vcc
	v_xor_b32_sdwa v18, v18, v3 dst_sel:DWORD dst_unused:UNUSED_PAD src0_sel:DWORD src1_sel:WORD_0
	v_cmp_o_f16_e32 vcc, v3, v3
	s_nop 1
	v_cndmask_b32_e32 v18, v33, v18, vcc
	v_and_b32_e32 v18, v18, v39
	v_cmp_eq_u32_e32 vcc, v18, v29
	s_and_b64 exec, exec, vcc
	s_cbranch_execz .LBB57_122
; %bb.127:                              ;   in Loop: Header=BB57_125 Depth=2
	v_perm_b32 v3, v3, s61, v38
	ds_write_b32 v9, v3 offset:3072
	s_branch .LBB57_122
.LBB57_128:                             ;   in Loop: Header=BB57_125 Depth=2
	s_mov_b64 s[44:45], -1
                                        ; implicit-def: $vgpr17
                                        ; implicit-def: $vgpr2
	s_mov_b64 s[42:43], -1
	s_branch .LBB57_124
.LBB57_129:                             ;   in Loop: Header=BB57_7 Depth=1
	s_or_b64 exec, exec, s[34:35]
	v_lshrrev_b32_e32 v40, 16, v3
	s_and_b64 s[34:35], s[40:41], exec
.LBB57_130:                             ;   in Loop: Header=BB57_7 Depth=1
	s_or_b64 exec, exec, s[38:39]
.LBB57_131:                             ;   in Loop: Header=BB57_7 Depth=1
	s_and_b64 vcc, exec, s[36:37]
	s_cbranch_vccz .LBB57_143
; %bb.132:                              ;   in Loop: Header=BB57_7 Depth=1
	v_readlane_b32 s24, v56, 19
	s_add_i32 s42, s6, s24
	s_abs_i32 s25, s42
	s_mul_hi_u32 s26, s25, s9
	s_mul_i32 s26, s26, s62
	s_sub_i32 s25, s25, s26
	s_ashr_i32 s24, s42, 31
	s_sub_i32 s26, s25, s62
	s_cmp_ge_u32 s25, s62
	s_cselect_b32 s25, s26, s25
	s_sub_i32 s26, s25, s62
	s_cmp_ge_u32 s25, s62
	s_cselect_b32 s25, s26, s25
	s_xor_b32 s25, s25, s24
	s_sub_i32 s24, s24, s25
	s_add_i32 s42, s42, s24
	v_cmp_gt_i32_e32 vcc, s42, v0
                                        ; implicit-def: $vgpr40
	s_and_saveexec_b64 s[24:25], vcc
	s_cbranch_execz .LBB57_142
; %bb.133:                              ;   in Loop: Header=BB57_7 Depth=1
	s_mov_b64 s[26:27], 0
	v_mov_b32_e32 v2, v21
	v_mov_b32_e32 v3, v0
                                        ; implicit-def: $sgpr36_sgpr37
	s_branch .LBB57_137
.LBB57_134:                             ;   in Loop: Header=BB57_137 Depth=2
	s_or_b64 exec, exec, s[38:39]
	s_waitcnt lgkmcnt(0)
	s_barrier
	ds_read_b32 v17, v9 offset:3072
	s_waitcnt lgkmcnt(0)
	s_barrier
	v_cmp_eq_f16_e32 vcc, 0, v17
	s_cbranch_vccz .LBB57_140
; %bb.135:                              ;   in Loop: Header=BB57_137 Depth=2
	v_add_u32_e32 v3, s62, v3
	v_cmp_le_i32_e32 vcc, s42, v3
	v_add_u32_e32 v2, s83, v2
	s_mov_b64 s[38:39], 0
	s_orn2_b64 s[40:41], vcc, exec
.LBB57_136:                             ;   in Loop: Header=BB57_137 Depth=2
	s_and_b64 s[40:41], exec, s[40:41]
	s_or_b64 s[26:27], s[40:41], s[26:27]
	s_andn2_b64 s[36:37], s[36:37], exec
	s_and_b64 s[38:39], s[38:39], exec
	s_or_b64 s[36:37], s[36:37], s[38:39]
	s_andn2_b64 exec, exec, s[26:27]
	s_cbranch_execz .LBB57_141
.LBB57_137:                             ;   Parent Loop BB57_7 Depth=1
                                        ; =>  This Inner Loop Header: Depth=2
	v_cmp_gt_i32_e32 vcc, s6, v3
	s_and_saveexec_b64 s[38:39], vcc
	s_cbranch_execz .LBB57_134
; %bb.138:                              ;   in Loop: Header=BB57_137 Depth=2
	ds_read_u16 v17, v2
	s_waitcnt lgkmcnt(0)
	v_cmp_lt_i16_e32 vcc, -1, v17
	s_nop 1
	v_cndmask_b32_e32 v18, v33, v35, vcc
	v_xor_b32_sdwa v18, v18, v17 dst_sel:DWORD dst_unused:UNUSED_PAD src0_sel:DWORD src1_sel:WORD_0
	v_cmp_o_f16_e32 vcc, v17, v17
	s_nop 1
	v_cndmask_b32_e32 v18, v33, v18, vcc
	v_and_b32_e32 v18, v18, v39
	v_cmp_eq_u32_e32 vcc, v18, v29
	s_and_b64 exec, exec, vcc
	s_cbranch_execz .LBB57_134
; %bb.139:                              ;   in Loop: Header=BB57_137 Depth=2
	v_perm_b32 v17, v17, s61, v38
	ds_write_b32 v9, v17 offset:3072
	s_branch .LBB57_134
.LBB57_140:                             ;   in Loop: Header=BB57_137 Depth=2
	s_mov_b64 s[40:41], -1
                                        ; implicit-def: $vgpr3
                                        ; implicit-def: $vgpr2
	s_mov_b64 s[38:39], -1
	s_branch .LBB57_136
.LBB57_141:                             ;   in Loop: Header=BB57_7 Depth=1
	s_or_b64 exec, exec, s[26:27]
	s_andn2_b64 s[26:27], s[34:35], exec
	s_and_b64 s[34:35], s[36:37], exec
	v_lshrrev_b32_e32 v40, 16, v17
	s_or_b64 s[34:35], s[26:27], s[34:35]
.LBB57_142:                             ;   in Loop: Header=BB57_7 Depth=1
	s_or_b64 exec, exec, s[24:25]
	s_mov_b64 s[24:25], 0
	s_mov_b64 s[26:27], -1
.LBB57_143:                             ;   in Loop: Header=BB57_7 Depth=1
	s_orn2_b64 s[34:35], s[34:35], exec
.LBB57_144:                             ;   in Loop: Header=BB57_7 Depth=1
	s_or_b64 exec, exec, s[28:29]
	s_mov_b64 s[36:37], 0
	s_and_saveexec_b64 s[28:29], s[34:35]
	s_cbranch_execz .LBB57_237
; %bb.145:                              ;   in Loop: Header=BB57_7 Depth=1
	s_xor_b64 s[34:35], s[30:31], -1
	s_mov_b64 s[40:41], 0
	v_mov_b32_e32 v17, 1
	v_mov_b32_e32 v5, 1
	s_and_saveexec_b64 s[30:31], s[34:35]
	s_cbranch_execz .LBB57_154
; %bb.146:                              ;   in Loop: Header=BB57_7 Depth=1
	v_cmp_ge_i32_e32 vcc, s46, v16
	s_and_saveexec_b64 s[34:35], vcc
	s_xor_b64 s[34:35], exec, s[34:35]
	s_cbranch_execz .LBB57_151
; %bb.147:                              ;   in Loop: Header=BB57_7 Depth=1
	ds_read_b32 v2, v9 offset:4096
	v_and_b32_e32 v3, v29, v8
	v_lshl_or_b32 v29, 1, v34, v3
	v_or_b32_e32 v39, v39, v4
	s_waitcnt lgkmcnt(0)
	v_cmp_ne_u32_e32 vcc, 0, v2
	s_cbranch_vccnz .LBB57_151
; %bb.148:                              ;   in Loop: Header=BB57_7 Depth=1
	s_and_saveexec_b64 s[36:37], s[0:1]
; %bb.149:                              ;   in Loop: Header=BB57_7 Depth=1
	v_mov_b32_e32 v2, s46
	ds_write_b32 v9, v2 offset:4100
; %bb.150:                              ;   in Loop: Header=BB57_7 Depth=1
	s_or_b64 exec, exec, s[36:37]
	s_waitcnt lgkmcnt(0)
	s_barrier
.LBB57_151:                             ;   in Loop: Header=BB57_7 Depth=1
	s_or_saveexec_b64 s[34:35], s[34:35]
	s_mov_b64 s[36:37], 0
	v_mov_b32_e32 v5, 8
	s_xor_b64 exec, exec, s[34:35]
; %bb.152:                              ;   in Loop: Header=BB57_7 Depth=1
	s_mov_b64 s[36:37], exec
	v_subrev_u32_e32 v16, s46, v16
	v_mov_b32_e32 v5, 0
; %bb.153:                              ;   in Loop: Header=BB57_7 Depth=1
	s_or_b64 exec, exec, s[34:35]
	s_and_b64 s[40:41], s[36:37], exec
	v_mov_b32_e32 v17, v16
.LBB57_154:                             ;   in Loop: Header=BB57_7 Depth=1
	s_or_b64 exec, exec, s[30:31]
	s_mov_b64 s[38:39], -1
                                        ; implicit-def: $sgpr34_sgpr35
                                        ; implicit-def: $sgpr36_sgpr37
	s_and_saveexec_b64 s[30:31], s[40:41]
	s_cbranch_execz .LBB57_236
; %bb.155:                              ;   in Loop: Header=BB57_7 Depth=1
	s_cmp_eq_u32 s54, 1
	s_cselect_b64 s[34:35], -1, 0
	v_cmp_eq_u32_e32 vcc, 1, v17
	s_and_b64 s[40:41], s[34:35], vcc
	s_mov_b64 s[42:43], -1
                                        ; implicit-def: $sgpr36_sgpr37
                                        ; implicit-def: $sgpr34_sgpr35
	s_and_saveexec_b64 s[38:39], s[40:41]
	s_cbranch_execz .LBB57_183
; %bb.156:                              ;   in Loop: Header=BB57_7 Depth=1
	ds_read_b32 v2, v9 offset:4096
	s_waitcnt lgkmcnt(0)
	s_barrier
	v_readfirstlane_b32 s6, v2
	s_and_saveexec_b64 s[34:35], s[4:5]
; %bb.157:                              ;   in Loop: Header=BB57_7 Depth=1
	ds_write_b16 v22, v9
; %bb.158:                              ;   in Loop: Header=BB57_7 Depth=1
	s_or_b64 exec, exec, s[34:35]
	v_and_b32_e32 v2, v29, v8
	v_lshl_or_b32 v29, 2, v34, v2
	v_or_b32_e32 v39, v39, v4
	s_mov_b64 s[34:35], -1
	s_mov_b64 s[36:37], 0
	s_cmp_gt_i32 s6, 0
	s_mov_b64 s[42:43], 0
	s_mov_b64 s[44:45], -1
	s_waitcnt lgkmcnt(0)
	s_barrier
                                        ; implicit-def: $vgpr40
	s_cbranch_scc1 .LBB57_170
; %bb.159:                              ;   in Loop: Header=BB57_7 Depth=1
	s_mov_b64 s[44:45], 0
                                        ; implicit-def: $vgpr40
	s_mov_b64 s[46:47], exec
	v_readlane_b32 s48, v56, 38
	v_readlane_b32 s49, v56, 39
	s_and_b64 s[48:49], s[46:47], s[48:49]
	s_mov_b64 exec, s[48:49]
	s_cbranch_execz .LBB57_169
; %bb.160:                              ;   in Loop: Header=BB57_7 Depth=1
	v_mov_b32_e32 v2, v6
	v_mov_b32_e32 v16, v0
                                        ; implicit-def: $sgpr48_sgpr49
	s_branch .LBB57_164
.LBB57_161:                             ;   in Loop: Header=BB57_164 Depth=2
	s_or_b64 exec, exec, s[50:51]
	s_waitcnt lgkmcnt(0)
	s_barrier
	ds_read_b32 v3, v9 offset:3072
	s_waitcnt lgkmcnt(0)
	s_barrier
	v_cmp_neq_f16_e32 vcc, 0, v3
	s_cbranch_vccnz .LBB57_167
; %bb.162:                              ;   in Loop: Header=BB57_164 Depth=2
	v_add_u32_e32 v16, s62, v16
	v_cmp_le_i32_e32 vcc, s84, v16
	v_add_u32_e32 v2, s74, v2
	s_mov_b64 s[50:51], 0
	s_orn2_b64 s[52:53], vcc, exec
.LBB57_163:                             ;   in Loop: Header=BB57_164 Depth=2
	s_and_b64 s[52:53], exec, s[52:53]
	s_or_b64 s[42:43], s[52:53], s[42:43]
	s_andn2_b64 s[48:49], s[48:49], exec
	s_and_b64 s[50:51], s[50:51], exec
	s_or_b64 s[48:49], s[48:49], s[50:51]
	s_andn2_b64 exec, exec, s[42:43]
	s_cbranch_execz .LBB57_168
.LBB57_164:                             ;   Parent Loop BB57_7 Depth=1
                                        ; =>  This Inner Loop Header: Depth=2
	v_cmp_gt_i32_e32 vcc, s60, v16
	s_and_saveexec_b64 s[50:51], vcc
	s_cbranch_execz .LBB57_161
; %bb.165:                              ;   in Loop: Header=BB57_164 Depth=2
	v_ashrrev_i32_e32 v3, 31, v2
	v_lshl_add_u64 v[18:19], v[2:3], 1, s[72:73]
	global_load_ushort v3, v[18:19], off
	s_waitcnt vmcnt(0)
	v_cmp_lt_i16_e32 vcc, -1, v3
	s_nop 1
	v_cndmask_b32_e32 v18, v33, v35, vcc
	v_xor_b32_sdwa v18, v18, v3 dst_sel:DWORD dst_unused:UNUSED_PAD src0_sel:DWORD src1_sel:WORD_0
	v_cmp_o_f16_e32 vcc, v3, v3
	s_nop 1
	v_cndmask_b32_e32 v18, v33, v18, vcc
	v_and_b32_e32 v18, v18, v39
	v_cmp_eq_u32_e32 vcc, v18, v29
	s_and_b64 exec, exec, vcc
	s_cbranch_execz .LBB57_161
; %bb.166:                              ;   in Loop: Header=BB57_164 Depth=2
	v_perm_b32 v3, v3, s61, v38
	ds_write_b32 v9, v3 offset:3072
	s_branch .LBB57_161
.LBB57_167:                             ;   in Loop: Header=BB57_164 Depth=2
	s_mov_b64 s[52:53], -1
                                        ; implicit-def: $vgpr16
                                        ; implicit-def: $vgpr2
	s_mov_b64 s[50:51], -1
	s_branch .LBB57_163
.LBB57_168:                             ;   in Loop: Header=BB57_7 Depth=1
	s_or_b64 exec, exec, s[42:43]
	v_lshrrev_b32_e32 v40, 16, v3
	s_and_b64 s[42:43], s[48:49], exec
.LBB57_169:                             ;   in Loop: Header=BB57_7 Depth=1
	s_or_b64 exec, exec, s[46:47]
.LBB57_170:                             ;   in Loop: Header=BB57_7 Depth=1
	s_and_b64 vcc, exec, s[44:45]
	s_cbranch_vccz .LBB57_182
; %bb.171:                              ;   in Loop: Header=BB57_7 Depth=1
	v_readlane_b32 s34, v56, 19
	s_add_i32 s50, s6, s34
	s_abs_i32 s35, s50
	s_mul_hi_u32 s36, s35, s9
	s_mul_i32 s36, s36, s62
	s_sub_i32 s35, s35, s36
	s_ashr_i32 s34, s50, 31
	s_sub_i32 s36, s35, s62
	s_cmp_ge_u32 s35, s62
	s_cselect_b32 s35, s36, s35
	s_sub_i32 s36, s35, s62
	s_cmp_ge_u32 s35, s62
	s_cselect_b32 s35, s36, s35
	s_xor_b32 s35, s35, s34
	s_sub_i32 s34, s34, s35
	s_add_i32 s50, s50, s34
	v_cmp_gt_i32_e32 vcc, s50, v0
                                        ; implicit-def: $vgpr40
	s_and_saveexec_b64 s[34:35], vcc
	s_cbranch_execz .LBB57_181
; %bb.172:                              ;   in Loop: Header=BB57_7 Depth=1
	s_mov_b64 s[36:37], 0
	v_mov_b32_e32 v2, v21
	v_mov_b32_e32 v3, v0
                                        ; implicit-def: $sgpr44_sgpr45
	s_branch .LBB57_176
.LBB57_173:                             ;   in Loop: Header=BB57_176 Depth=2
	s_or_b64 exec, exec, s[46:47]
	s_waitcnt lgkmcnt(0)
	s_barrier
	ds_read_b32 v16, v9 offset:3072
	s_waitcnt lgkmcnt(0)
	s_barrier
	v_cmp_eq_f16_e32 vcc, 0, v16
	s_cbranch_vccz .LBB57_179
; %bb.174:                              ;   in Loop: Header=BB57_176 Depth=2
	v_add_u32_e32 v3, s62, v3
	v_cmp_le_i32_e32 vcc, s50, v3
	v_add_u32_e32 v2, s83, v2
	s_mov_b64 s[46:47], 0
	s_orn2_b64 s[48:49], vcc, exec
.LBB57_175:                             ;   in Loop: Header=BB57_176 Depth=2
	s_and_b64 s[48:49], exec, s[48:49]
	s_or_b64 s[36:37], s[48:49], s[36:37]
	s_andn2_b64 s[44:45], s[44:45], exec
	s_and_b64 s[46:47], s[46:47], exec
	s_or_b64 s[44:45], s[44:45], s[46:47]
	s_andn2_b64 exec, exec, s[36:37]
	s_cbranch_execz .LBB57_180
.LBB57_176:                             ;   Parent Loop BB57_7 Depth=1
                                        ; =>  This Inner Loop Header: Depth=2
	v_cmp_gt_i32_e32 vcc, s6, v3
	s_and_saveexec_b64 s[46:47], vcc
	s_cbranch_execz .LBB57_173
; %bb.177:                              ;   in Loop: Header=BB57_176 Depth=2
	ds_read_u16 v16, v2
	s_waitcnt lgkmcnt(0)
	v_cmp_lt_i16_e32 vcc, -1, v16
	s_nop 1
	v_cndmask_b32_e32 v18, v33, v35, vcc
	v_xor_b32_sdwa v18, v18, v16 dst_sel:DWORD dst_unused:UNUSED_PAD src0_sel:DWORD src1_sel:WORD_0
	v_cmp_o_f16_e32 vcc, v16, v16
	s_nop 1
	v_cndmask_b32_e32 v18, v33, v18, vcc
	v_and_b32_e32 v18, v18, v39
	v_cmp_eq_u32_e32 vcc, v18, v29
	s_and_b64 exec, exec, vcc
	s_cbranch_execz .LBB57_173
; %bb.178:                              ;   in Loop: Header=BB57_176 Depth=2
	v_perm_b32 v16, v16, s61, v38
	ds_write_b32 v9, v16 offset:3072
	s_branch .LBB57_173
.LBB57_179:                             ;   in Loop: Header=BB57_176 Depth=2
	s_mov_b64 s[48:49], -1
                                        ; implicit-def: $vgpr3
                                        ; implicit-def: $vgpr2
	s_mov_b64 s[46:47], -1
	s_branch .LBB57_175
.LBB57_180:                             ;   in Loop: Header=BB57_7 Depth=1
	s_or_b64 exec, exec, s[36:37]
	s_andn2_b64 s[36:37], s[42:43], exec
	s_and_b64 s[42:43], s[44:45], exec
	v_lshrrev_b32_e32 v40, 16, v16
	s_or_b64 s[42:43], s[36:37], s[42:43]
.LBB57_181:                             ;   in Loop: Header=BB57_7 Depth=1
	s_or_b64 exec, exec, s[34:35]
	s_mov_b64 s[34:35], 0
	s_mov_b64 s[36:37], -1
.LBB57_182:                             ;   in Loop: Header=BB57_7 Depth=1
	s_orn2_b64 s[42:43], s[42:43], exec
.LBB57_183:                             ;   in Loop: Header=BB57_7 Depth=1
	s_or_b64 exec, exec, s[38:39]
	s_mov_b64 s[44:45], 0
	s_and_saveexec_b64 s[38:39], s[42:43]
	s_cbranch_execz .LBB57_235
; %bb.184:                              ;   in Loop: Header=BB57_7 Depth=1
	s_xor_b64 s[42:43], s[40:41], -1
	s_mov_b64 s[48:49], 0
	v_mov_b32_e32 v16, 1
	v_mov_b32_e32 v5, 1
	s_and_saveexec_b64 s[40:41], s[42:43]
	s_cbranch_execz .LBB57_193
; %bb.185:                              ;   in Loop: Header=BB57_7 Depth=1
	v_cmp_ge_i32_e32 vcc, s54, v17
	s_and_saveexec_b64 s[42:43], vcc
	s_xor_b64 s[42:43], exec, s[42:43]
	s_cbranch_execz .LBB57_190
; %bb.186:                              ;   in Loop: Header=BB57_7 Depth=1
	ds_read_b32 v2, v9 offset:4096
	v_and_b32_e32 v3, v29, v8
	v_lshl_or_b32 v29, 2, v34, v3
	v_or_b32_e32 v39, v39, v4
	s_waitcnt lgkmcnt(0)
	v_cmp_ne_u32_e32 vcc, 0, v2
	s_cbranch_vccnz .LBB57_190
; %bb.187:                              ;   in Loop: Header=BB57_7 Depth=1
	s_and_saveexec_b64 s[44:45], s[0:1]
; %bb.188:                              ;   in Loop: Header=BB57_7 Depth=1
	v_mov_b32_e32 v2, s54
	ds_write_b32 v9, v2 offset:4100
; %bb.189:                              ;   in Loop: Header=BB57_7 Depth=1
	s_or_b64 exec, exec, s[44:45]
	s_waitcnt lgkmcnt(0)
	s_barrier
.LBB57_190:                             ;   in Loop: Header=BB57_7 Depth=1
	s_or_saveexec_b64 s[42:43], s[42:43]
	s_mov_b64 s[44:45], 0
	v_mov_b32_e32 v5, 8
	s_xor_b64 exec, exec, s[42:43]
; %bb.191:                              ;   in Loop: Header=BB57_7 Depth=1
	s_mov_b64 s[44:45], exec
	v_subrev_u32_e32 v17, s54, v17
	v_mov_b32_e32 v5, 0
; %bb.192:                              ;   in Loop: Header=BB57_7 Depth=1
	s_or_b64 exec, exec, s[42:43]
	s_and_b64 s[48:49], s[44:45], exec
	v_mov_b32_e32 v16, v17
.LBB57_193:                             ;   in Loop: Header=BB57_7 Depth=1
	s_or_b64 exec, exec, s[40:41]
	s_mov_b64 s[42:43], -1
                                        ; implicit-def: $sgpr46_sgpr47
                                        ; implicit-def: $sgpr44_sgpr45
	s_and_saveexec_b64 s[40:41], s[48:49]
	s_cbranch_execz .LBB57_234
; %bb.194:                              ;   in Loop: Header=BB57_7 Depth=1
	s_cmp_eq_u32 s17, 1
	s_cselect_b64 s[42:43], -1, 0
	v_cmp_eq_u32_e32 vcc, 1, v16
	s_and_b64 s[42:43], s[42:43], vcc
	s_mov_b64 s[50:51], -1
                                        ; implicit-def: $sgpr46_sgpr47
                                        ; implicit-def: $sgpr44_sgpr45
	s_and_saveexec_b64 s[48:49], s[42:43]
	s_cbranch_execz .LBB57_222
; %bb.195:                              ;   in Loop: Header=BB57_7 Depth=1
	ds_read_b32 v2, v9 offset:4096
	s_waitcnt lgkmcnt(0)
	s_barrier
	v_readfirstlane_b32 s6, v2
	s_and_saveexec_b64 s[44:45], s[4:5]
; %bb.196:                              ;   in Loop: Header=BB57_7 Depth=1
	ds_write_b16 v22, v9
; %bb.197:                              ;   in Loop: Header=BB57_7 Depth=1
	s_or_b64 exec, exec, s[44:45]
	v_or_b32_e32 v29, v29, v4
	v_or_b32_e32 v39, v39, v4
	s_mov_b64 s[44:45], -1
	s_mov_b64 s[46:47], 0
	s_cmp_gt_i32 s6, 0
	s_mov_b64 s[50:51], 0
	s_mov_b64 s[52:53], -1
	s_waitcnt lgkmcnt(0)
	s_barrier
                                        ; implicit-def: $vgpr40
	s_cbranch_scc1 .LBB57_209
; %bb.198:                              ;   in Loop: Header=BB57_7 Depth=1
	s_mov_b64 s[52:53], 0
                                        ; implicit-def: $vgpr40
	s_mov_b64 s[54:55], exec
	v_readlane_b32 s56, v56, 38
	v_readlane_b32 s57, v56, 39
	s_and_b64 s[56:57], s[54:55], s[56:57]
	s_mov_b64 exec, s[56:57]
	s_cbranch_execz .LBB57_208
; %bb.199:                              ;   in Loop: Header=BB57_7 Depth=1
	v_mov_b32_e32 v2, v6
	v_mov_b32_e32 v8, v0
                                        ; implicit-def: $sgpr56_sgpr57
	s_branch .LBB57_203
.LBB57_200:                             ;   in Loop: Header=BB57_203 Depth=2
	s_or_b64 exec, exec, s[58:59]
	s_waitcnt lgkmcnt(0)
	s_barrier
	ds_read_b32 v3, v9 offset:3072
	s_waitcnt lgkmcnt(0)
	s_barrier
	v_cmp_neq_f16_e32 vcc, 0, v3
	s_cbranch_vccnz .LBB57_206
; %bb.201:                              ;   in Loop: Header=BB57_203 Depth=2
	v_add_u32_e32 v8, s62, v8
	v_cmp_le_i32_e32 vcc, s84, v8
	v_add_u32_e32 v2, s74, v2
	s_mov_b64 s[58:59], 0
	s_orn2_b64 s[70:71], vcc, exec
.LBB57_202:                             ;   in Loop: Header=BB57_203 Depth=2
	s_and_b64 s[70:71], exec, s[70:71]
	s_or_b64 s[50:51], s[70:71], s[50:51]
	s_andn2_b64 s[56:57], s[56:57], exec
	s_and_b64 s[58:59], s[58:59], exec
	s_or_b64 s[56:57], s[56:57], s[58:59]
	s_andn2_b64 exec, exec, s[50:51]
	s_cbranch_execz .LBB57_207
.LBB57_203:                             ;   Parent Loop BB57_7 Depth=1
                                        ; =>  This Inner Loop Header: Depth=2
	v_cmp_gt_i32_e32 vcc, s60, v8
	s_and_saveexec_b64 s[58:59], vcc
	s_cbranch_execz .LBB57_200
; %bb.204:                              ;   in Loop: Header=BB57_203 Depth=2
	v_ashrrev_i32_e32 v3, 31, v2
	v_lshl_add_u64 v[18:19], v[2:3], 1, s[72:73]
	global_load_ushort v3, v[18:19], off
	s_waitcnt vmcnt(0)
	v_cmp_lt_i16_e32 vcc, -1, v3
	s_nop 1
	v_cndmask_b32_e32 v17, v33, v35, vcc
	v_xor_b32_sdwa v17, v17, v3 dst_sel:DWORD dst_unused:UNUSED_PAD src0_sel:DWORD src1_sel:WORD_0
	v_cmp_o_f16_e32 vcc, v3, v3
	s_nop 1
	v_cndmask_b32_e32 v17, v33, v17, vcc
	v_and_b32_e32 v17, v17, v39
	v_cmp_eq_u32_e32 vcc, v17, v29
	s_and_b64 exec, exec, vcc
	s_cbranch_execz .LBB57_200
; %bb.205:                              ;   in Loop: Header=BB57_203 Depth=2
	v_perm_b32 v3, v3, s61, v38
	ds_write_b32 v9, v3 offset:3072
	s_branch .LBB57_200
.LBB57_206:                             ;   in Loop: Header=BB57_203 Depth=2
	s_mov_b64 s[70:71], -1
                                        ; implicit-def: $vgpr8
                                        ; implicit-def: $vgpr2
	s_mov_b64 s[58:59], -1
	s_branch .LBB57_202
.LBB57_207:                             ;   in Loop: Header=BB57_7 Depth=1
	s_or_b64 exec, exec, s[50:51]
	v_lshrrev_b32_e32 v40, 16, v3
	s_and_b64 s[50:51], s[56:57], exec
.LBB57_208:                             ;   in Loop: Header=BB57_7 Depth=1
	s_or_b64 exec, exec, s[54:55]
.LBB57_209:                             ;   in Loop: Header=BB57_7 Depth=1
	s_and_b64 vcc, exec, s[52:53]
	s_cbranch_vccz .LBB57_221
; %bb.210:                              ;   in Loop: Header=BB57_7 Depth=1
	v_readlane_b32 s44, v56, 19
	s_add_i32 s58, s6, s44
	s_abs_i32 s45, s58
	s_mul_hi_u32 s46, s45, s9
	s_mul_i32 s46, s46, s62
	s_sub_i32 s45, s45, s46
	s_ashr_i32 s44, s58, 31
	s_sub_i32 s46, s45, s62
	s_cmp_ge_u32 s45, s62
	s_cselect_b32 s45, s46, s45
	s_sub_i32 s46, s45, s62
	s_cmp_ge_u32 s45, s62
	s_cselect_b32 s45, s46, s45
	s_xor_b32 s45, s45, s44
	s_sub_i32 s44, s44, s45
	s_add_i32 s58, s58, s44
	v_cmp_gt_i32_e32 vcc, s58, v0
                                        ; implicit-def: $vgpr40
	s_and_saveexec_b64 s[44:45], vcc
	s_cbranch_execz .LBB57_220
; %bb.211:                              ;   in Loop: Header=BB57_7 Depth=1
	s_mov_b64 s[46:47], 0
	v_mov_b32_e32 v2, v21
	v_mov_b32_e32 v3, v0
                                        ; implicit-def: $sgpr52_sgpr53
	s_branch .LBB57_215
.LBB57_212:                             ;   in Loop: Header=BB57_215 Depth=2
	s_or_b64 exec, exec, s[54:55]
	s_waitcnt lgkmcnt(0)
	s_barrier
	ds_read_b32 v8, v9 offset:3072
	s_waitcnt lgkmcnt(0)
	s_barrier
	v_cmp_eq_f16_e32 vcc, 0, v8
	s_cbranch_vccz .LBB57_218
; %bb.213:                              ;   in Loop: Header=BB57_215 Depth=2
	v_add_u32_e32 v3, s62, v3
	v_cmp_le_i32_e32 vcc, s58, v3
	v_add_u32_e32 v2, s83, v2
	s_mov_b64 s[54:55], 0
	s_orn2_b64 s[56:57], vcc, exec
.LBB57_214:                             ;   in Loop: Header=BB57_215 Depth=2
	s_and_b64 s[56:57], exec, s[56:57]
	s_or_b64 s[46:47], s[56:57], s[46:47]
	s_andn2_b64 s[52:53], s[52:53], exec
	s_and_b64 s[54:55], s[54:55], exec
	s_or_b64 s[52:53], s[52:53], s[54:55]
	s_andn2_b64 exec, exec, s[46:47]
	s_cbranch_execz .LBB57_219
.LBB57_215:                             ;   Parent Loop BB57_7 Depth=1
                                        ; =>  This Inner Loop Header: Depth=2
	v_cmp_gt_i32_e32 vcc, s6, v3
	s_and_saveexec_b64 s[54:55], vcc
	s_cbranch_execz .LBB57_212
; %bb.216:                              ;   in Loop: Header=BB57_215 Depth=2
	ds_read_u16 v8, v2
	s_waitcnt lgkmcnt(0)
	v_cmp_lt_i16_e32 vcc, -1, v8
	s_nop 1
	v_cndmask_b32_e32 v17, v33, v35, vcc
	v_xor_b32_sdwa v17, v17, v8 dst_sel:DWORD dst_unused:UNUSED_PAD src0_sel:DWORD src1_sel:WORD_0
	v_cmp_o_f16_e32 vcc, v8, v8
	s_nop 1
	v_cndmask_b32_e32 v17, v33, v17, vcc
	v_and_b32_e32 v17, v17, v39
	v_cmp_eq_u32_e32 vcc, v17, v29
	s_and_b64 exec, exec, vcc
	s_cbranch_execz .LBB57_212
; %bb.217:                              ;   in Loop: Header=BB57_215 Depth=2
	v_perm_b32 v8, v8, s61, v38
	ds_write_b32 v9, v8 offset:3072
	s_branch .LBB57_212
.LBB57_218:                             ;   in Loop: Header=BB57_215 Depth=2
	s_mov_b64 s[56:57], -1
                                        ; implicit-def: $vgpr3
                                        ; implicit-def: $vgpr2
	s_mov_b64 s[54:55], -1
	s_branch .LBB57_214
.LBB57_219:                             ;   in Loop: Header=BB57_7 Depth=1
	s_or_b64 exec, exec, s[46:47]
	s_andn2_b64 s[46:47], s[50:51], exec
	s_and_b64 s[50:51], s[52:53], exec
	v_lshrrev_b32_e32 v40, 16, v8
	s_or_b64 s[50:51], s[46:47], s[50:51]
.LBB57_220:                             ;   in Loop: Header=BB57_7 Depth=1
	s_or_b64 exec, exec, s[44:45]
	s_mov_b64 s[44:45], 0
	s_mov_b64 s[46:47], -1
.LBB57_221:                             ;   in Loop: Header=BB57_7 Depth=1
	s_orn2_b64 s[50:51], s[50:51], exec
.LBB57_222:                             ;   in Loop: Header=BB57_7 Depth=1
	s_or_b64 exec, exec, s[48:49]
	s_mov_b64 s[52:53], 0
	s_and_saveexec_b64 s[48:49], s[50:51]
	s_cbranch_execz .LBB57_233
; %bb.223:                              ;   in Loop: Header=BB57_7 Depth=1
	s_xor_b64 s[50:51], s[42:43], -1
	v_mov_b32_e32 v5, 1
	v_mov_b32_e32 v2, 1
	s_and_saveexec_b64 s[42:43], s[50:51]
	s_cbranch_execz .LBB57_232
; %bb.224:                              ;   in Loop: Header=BB57_7 Depth=1
	v_cmp_ge_i32_e32 vcc, s17, v16
	s_and_saveexec_b64 s[50:51], vcc
	s_xor_b64 s[50:51], exec, s[50:51]
	s_cbranch_execz .LBB57_229
; %bb.225:                              ;   in Loop: Header=BB57_7 Depth=1
	ds_read_b32 v2, v9 offset:4096
	v_or_b32_e32 v29, v29, v4
	v_or_b32_e32 v39, v39, v4
	s_waitcnt lgkmcnt(0)
	v_cmp_ne_u32_e32 vcc, 0, v2
	s_cbranch_vccnz .LBB57_229
; %bb.226:                              ;   in Loop: Header=BB57_7 Depth=1
	s_and_saveexec_b64 s[52:53], s[0:1]
; %bb.227:                              ;   in Loop: Header=BB57_7 Depth=1
	v_mov_b32_e32 v2, s17
	ds_write_b32 v9, v2 offset:4100
; %bb.228:                              ;   in Loop: Header=BB57_7 Depth=1
	s_or_b64 exec, exec, s[52:53]
	s_waitcnt lgkmcnt(0)
	s_barrier
.LBB57_229:                             ;   in Loop: Header=BB57_7 Depth=1
	s_andn2_saveexec_b64 s[50:51], s[50:51]
; %bb.230:                              ;   in Loop: Header=BB57_7 Depth=1
	v_subrev_u32_e32 v16, s17, v16
; %bb.231:                              ;   in Loop: Header=BB57_7 Depth=1
	s_or_b64 exec, exec, s[50:51]
	v_mov_b32_e32 v5, 8
	v_mov_b32_e32 v2, v16
.LBB57_232:                             ;   in Loop: Header=BB57_7 Depth=1
	s_or_b64 exec, exec, s[42:43]
	s_mov_b64 s[52:53], exec
	v_mov_b32_e32 v16, v2
.LBB57_233:                             ;   in Loop: Header=BB57_7 Depth=1
	s_or_b64 exec, exec, s[48:49]
	s_orn2_b64 s[42:43], s[52:53], exec
.LBB57_234:                             ;   in Loop: Header=BB57_7 Depth=1
	s_or_b64 exec, exec, s[40:41]
	s_andn2_b64 s[36:37], s[36:37], exec
	s_and_b64 s[40:41], s[46:47], exec
	s_or_b64 s[36:37], s[36:37], s[40:41]
	s_andn2_b64 s[34:35], s[34:35], exec
	s_and_b64 s[40:41], s[44:45], exec
	s_or_b64 s[34:35], s[34:35], s[40:41]
	s_and_b64 s[44:45], s[42:43], exec
	v_mov_b32_e32 v17, v16
.LBB57_235:                             ;   in Loop: Header=BB57_7 Depth=1
	s_or_b64 exec, exec, s[38:39]
	s_orn2_b64 s[38:39], s[44:45], exec
.LBB57_236:                             ;   in Loop: Header=BB57_7 Depth=1
	s_or_b64 exec, exec, s[30:31]
	s_andn2_b64 s[26:27], s[26:27], exec
	s_and_b64 s[30:31], s[36:37], exec
	s_or_b64 s[26:27], s[26:27], s[30:31]
	s_andn2_b64 s[24:25], s[24:25], exec
	s_and_b64 s[30:31], s[34:35], exec
	s_or_b64 s[24:25], s[24:25], s[30:31]
	s_and_b64 s[36:37], s[38:39], exec
	v_mov_b32_e32 v16, v17
.LBB57_237:                             ;   in Loop: Header=BB57_7 Depth=1
	s_or_b64 exec, exec, s[28:29]
	s_orn2_b64 s[28:29], s[36:37], exec
.LBB57_238:                             ;   in Loop: Header=BB57_7 Depth=1
	s_or_b64 exec, exec, s[22:23]
	s_mov_b64 s[30:31], 0
                                        ; implicit-def: $sgpr6
	s_and_saveexec_b64 s[22:23], s[28:29]
	s_xor_b64 s[22:23], exec, s[22:23]
	s_cbranch_execz .LBB57_5
; %bb.239:                              ;   in Loop: Header=BB57_7 Depth=1
	v_and_b32_e32 v2, 7, v5
	v_cmp_eq_u32_e32 vcc, 0, v2
	s_mov_b64 s[20:21], -1
	s_mov_b64 s[28:29], -1
                                        ; implicit-def: $sgpr6
	s_and_saveexec_b64 s[30:31], vcc
	s_cbranch_execz .LBB57_4
; %bb.240:                              ;   in Loop: Header=BB57_7 Depth=1
	v_add_u32_e32 v2, -2, v34
	v_cmp_eq_u32_e32 vcc, 0, v34
	s_xor_b32 s6, s16, 1
	s_xor_b64 s[28:29], exec, -1
	s_orn2_b64 s[20:21], vcc, exec
	v_mov_b32_e32 v34, v2
	s_branch .LBB57_4
.LBB57_241:
	s_or_b64 exec, exec, s[92:93]
	s_xor_b64 s[6:7], s[98:99], -1
	s_xor_b64 s[4:5], s[94:95], -1
	;; [unrolled: 1-line block ×3, first 2 shown]
	s_mov_b64 s[2:3], 0
	s_and_saveexec_b64 s[10:11], s[4:5]
	s_xor_b64 s[4:5], exec, s[10:11]
	s_cbranch_execnz .LBB57_246
; %bb.242:
	s_andn2_saveexec_b64 s[0:1], s[4:5]
	s_cbranch_execnz .LBB57_266
.LBB57_243:
	s_or_b64 exec, exec, s[0:1]
	s_and_saveexec_b64 s[0:1], s[2:3]
.LBB57_244:
	; divergent unreachable
.LBB57_245:
	s_endpgm
.LBB57_246:
	s_and_saveexec_b64 s[2:3], s[6:7]
	s_xor_b64 s[6:7], exec, s[2:3]
	s_cbranch_execz .LBB57_264
; %bb.247:
	s_and_saveexec_b64 s[2:3], s[8:9]
	s_xor_b64 s[2:3], exec, s[2:3]
; %bb.248:
	v_and_b32_e32 v1, 0x8000, v29
	v_mov_b32_e32 v2, 0x8000
	v_mov_b32_e32 v3, 0xffff
	v_cmp_eq_u32_e32 vcc, 0, v1
	s_nop 1
	v_cndmask_b32_e32 v1, v2, v3, vcc
	v_xor_b32_e32 v40, v1, v29
; %bb.249:
	s_or_b64 exec, exec, s[2:3]
	s_and_saveexec_b64 s[2:3], s[0:1]
	v_readlane_b32 s22, v56, 18
	v_readlane_b32 s23, v56, 14
	;; [unrolled: 1-line block ×5, first 2 shown]
; %bb.250:
	v_mov_b32_e32 v1, 0
	v_mov_b32_e32 v2, s60
	ds_write_b32 v1, v2 offset:4108
; %bb.251:
	s_or_b64 exec, exec, s[2:3]
	v_mov_b32_e32 v1, 0
	s_waitcnt lgkmcnt(0)
	s_barrier
	ds_read_b32 v1, v1 offset:4108
	s_waitcnt lgkmcnt(0)
	v_min_i32_e32 v2, s60, v1
	v_cmp_lt_i32_e32 vcc, v0, v2
	s_and_saveexec_b64 s[8:9], vcc
	s_cbranch_execz .LBB57_261
; %bb.252:
	v_cmp_u_f16_e32 vcc, v40, v40
	s_mov_b64 s[10:11], 0
	s_xor_b64 s[14:15], vcc, -1
                                        ; implicit-def: $sgpr12_sgpr13
                                        ; implicit-def: $sgpr18_sgpr19
                                        ; implicit-def: $sgpr16_sgpr17
	s_branch .LBB57_254
.LBB57_253:                             ;   in Loop: Header=BB57_254 Depth=1
	s_or_b64 exec, exec, s[2:3]
	s_and_b64 s[2:3], exec, s[18:19]
	s_or_b64 s[10:11], s[2:3], s[10:11]
	s_andn2_b64 s[2:3], s[12:13], exec
	s_and_b64 s[12:13], s[16:17], exec
	s_or_b64 s[12:13], s[2:3], s[12:13]
	s_andn2_b64 exec, exec, s[10:11]
	s_cbranch_execz .LBB57_256
.LBB57_254:                             ; =>This Inner Loop Header: Depth=1
	v_ashrrev_i32_e32 v7, 31, v6
	v_lshl_add_u64 v[4:5], v[6:7], 1, s[72:73]
	global_load_ushort v3, v[4:5], off
	v_mov_b32_e32 v1, v0
	s_or_b64 s[16:17], s[16:17], exec
	s_or_b64 s[18:19], s[18:19], exec
                                        ; implicit-def: $vgpr0
	s_waitcnt vmcnt(0)
	v_cmp_o_f16_e64 s[2:3], v3, v3
	v_cmp_neq_f16_e32 vcc, v3, v40
	s_or_b64 s[2:3], s[14:15], s[2:3]
	s_and_b64 s[20:21], vcc, s[2:3]
	s_and_saveexec_b64 s[2:3], s[20:21]
	s_cbranch_execz .LBB57_253
; %bb.255:                              ;   in Loop: Header=BB57_254 Depth=1
	v_add_u32_e32 v0, s62, v1
	v_cmp_ge_i32_e32 vcc, v0, v2
	s_andn2_b64 s[18:19], s[18:19], exec
	s_and_b64 s[20:21], vcc, exec
	v_add_u32_e32 v6, s74, v6
	s_andn2_b64 s[16:17], s[16:17], exec
	s_or_b64 s[18:19], s[18:19], s[20:21]
	s_branch .LBB57_253
.LBB57_256:
	s_or_b64 exec, exec, s[10:11]
	s_and_saveexec_b64 s[2:3], s[12:13]
	s_xor_b64 s[2:3], exec, s[2:3]
	s_cbranch_execz .LBB57_261
; %bb.257:
	s_mov_b64 s[2:3], exec
	s_brev_b32 s10, -2
.LBB57_258:                             ; =>This Inner Loop Header: Depth=1
	s_ff1_i32_b64 s11, s[2:3]
	v_readlane_b32 s14, v1, s11
	s_lshl_b64 s[12:13], 1, s11
	s_min_i32 s10, s10, s14
	s_andn2_b64 s[2:3], s[2:3], s[12:13]
	s_cmp_lg_u64 s[2:3], 0
	s_cbranch_scc1 .LBB57_258
; %bb.259:
	v_mbcnt_lo_u32_b32 v0, exec_lo, 0
	v_mbcnt_hi_u32_b32 v0, exec_hi, v0
	v_cmp_eq_u32_e32 vcc, 0, v0
	s_and_saveexec_b64 s[2:3], vcc
	s_xor_b64 s[2:3], exec, s[2:3]
; %bb.260:
	v_mov_b32_e32 v0, 0
	v_mov_b32_e32 v1, s10
	ds_min_i32 v0, v1 offset:4108
.LBB57_261:
	s_or_b64 exec, exec, s[8:9]
	s_waitcnt lgkmcnt(0)
	s_barrier
	s_and_saveexec_b64 s[2:3], s[0:1]
	s_cbranch_execz .LBB57_263
; %bb.262:
	v_readlane_b32 s10, v56, 8
	v_readlane_b32 s11, v56, 9
	s_mul_i32 s1, s11, s10
	v_readlane_b32 s0, v56, 13
	s_sub_i32 s1, s25, s1
	s_xor_b32 s0, s24, s0
	s_add_i32 s8, s11, 1
	s_sub_i32 s9, s1, s10
	s_cmp_ge_u32 s1, s10
	s_cselect_b32 s8, s8, s11
	s_cselect_b32 s1, s9, s1
	s_add_i32 s9, s8, 1
	s_cmp_ge_u32 s1, s10
	s_cselect_b32 s1, s9, s8
	s_xor_b32 s1, s1, s0
	s_sub_i32 s0, s1, s0
	s_mul_i32 s1, s0, s26
	v_readlane_b32 s8, v56, 6
	s_sub_i32 s1, s22, s1
	v_readlane_b32 s9, v56, 7
	v_readlane_b32 s11, v56, 10
	;; [unrolled: 1-line block ×3, first 2 shown]
	s_mul_i32 s1, s1, s9
	s_mul_i32 s0, s0, s8
	;; [unrolled: 1-line block ×3, first 2 shown]
	s_add_i32 s0, s0, s1
	v_readlane_b32 s1, v56, 15
	s_sub_i32 s8, s25, s8
	s_xor_b32 s1, s24, s1
	s_add_i32 s9, s12, 1
	s_sub_i32 s10, s8, s11
	s_cmp_ge_u32 s8, s11
	s_cselect_b32 s9, s9, s12
	s_cselect_b32 s8, s10, s8
	s_add_i32 s10, s9, 1
	s_cmp_ge_u32 s8, s11
	s_cselect_b32 s8, s10, s9
	s_xor_b32 s8, s8, s1
	s_sub_i32 s1, s8, s1
	s_mul_i32 s8, s1, s23
	v_readlane_b32 s10, v56, 2
	s_sub_i32 s8, s22, s8
	v_readlane_b32 s11, v56, 3
	s_mul_i32 s8, s8, s11
	s_mul_i32 s1, s1, s10
	s_add_i32 s8, s1, s8
	s_ashr_i32 s1, s0, 31
	v_mov_b32_e32 v2, 0
	s_lshl_b64 s[0:1], s[0:1], 1
	v_readlane_b32 s10, v56, 0
	ds_read_b32 v0, v2 offset:4108
	v_readlane_b32 s11, v56, 1
	s_add_u32 s0, s10, s0
	s_addc_u32 s1, s11, s1
	s_ashr_i32 s9, s8, 31
	s_lshl_b64 s[8:9], s[8:9], 3
	v_readlane_b32 s10, v56, 4
	v_readlane_b32 s11, v56, 5
	s_add_u32 s8, s10, s8
	s_addc_u32 s9, s11, s9
	s_waitcnt lgkmcnt(0)
	v_ashrrev_i32_e32 v1, 31, v0
	global_store_dwordx2 v2, v[0:1], s[8:9]
	global_store_short v2, v40, s[0:1]
.LBB57_263:
	s_or_b64 exec, exec, s[2:3]
.LBB57_264:
	s_or_saveexec_b64 s[0:1], s[6:7]
	s_mov_b64 s[2:3], 0
	s_xor_b64 exec, exec, s[0:1]
	s_cbranch_execnz .LBB57_267
.LBB57_265:
	s_or_b64 exec, exec, s[0:1]
	s_and_b64 s[2:3], s[2:3], exec
	s_andn2_saveexec_b64 s[0:1], s[4:5]
	s_cbranch_execz .LBB57_243
.LBB57_266:
	s_or_b64 s[2:3], s[2:3], exec
	s_trap 2
	s_or_b64 exec, exec, s[0:1]
	s_and_saveexec_b64 s[0:1], s[2:3]
	s_cbranch_execnz .LBB57_244
	s_branch .LBB57_245
.LBB57_267:
	s_mov_b64 s[2:3], exec
	s_trap 2
	s_branch .LBB57_265
	.section	.rodata,"a",@progbits
	.p2align	6, 0x0
	.amdhsa_kernel _ZN2at6native12_GLOBAL__N_114gatherKthValueIN3c104HalfEiLi2EEEvNS_4cuda6detail10TensorInfoIKT_T0_EESA_SA_SA_SA_NS7_IS8_SA_EENS7_IlSA_EE
		.amdhsa_group_segment_fixed_size 4112
		.amdhsa_private_segment_fixed_size 0
		.amdhsa_kernarg_size 920
		.amdhsa_user_sgpr_count 2
		.amdhsa_user_sgpr_dispatch_ptr 0
		.amdhsa_user_sgpr_queue_ptr 0
		.amdhsa_user_sgpr_kernarg_segment_ptr 1
		.amdhsa_user_sgpr_dispatch_id 0
		.amdhsa_user_sgpr_kernarg_preload_length 0
		.amdhsa_user_sgpr_kernarg_preload_offset 0
		.amdhsa_user_sgpr_private_segment_size 0
		.amdhsa_uses_dynamic_stack 0
		.amdhsa_enable_private_segment 0
		.amdhsa_system_sgpr_workgroup_id_x 1
		.amdhsa_system_sgpr_workgroup_id_y 1
		.amdhsa_system_sgpr_workgroup_id_z 1
		.amdhsa_system_sgpr_workgroup_info 0
		.amdhsa_system_vgpr_workitem_id 0
		.amdhsa_next_free_vgpr 57
		.amdhsa_next_free_sgpr 100
		.amdhsa_accum_offset 60
		.amdhsa_reserve_vcc 1
		.amdhsa_float_round_mode_32 0
		.amdhsa_float_round_mode_16_64 0
		.amdhsa_float_denorm_mode_32 3
		.amdhsa_float_denorm_mode_16_64 3
		.amdhsa_dx10_clamp 1
		.amdhsa_ieee_mode 1
		.amdhsa_fp16_overflow 0
		.amdhsa_tg_split 0
		.amdhsa_exception_fp_ieee_invalid_op 0
		.amdhsa_exception_fp_denorm_src 0
		.amdhsa_exception_fp_ieee_div_zero 0
		.amdhsa_exception_fp_ieee_overflow 0
		.amdhsa_exception_fp_ieee_underflow 0
		.amdhsa_exception_fp_ieee_inexact 0
		.amdhsa_exception_int_div_zero 0
	.end_amdhsa_kernel
	.section	.text._ZN2at6native12_GLOBAL__N_114gatherKthValueIN3c104HalfEiLi2EEEvNS_4cuda6detail10TensorInfoIKT_T0_EESA_SA_SA_SA_NS7_IS8_SA_EENS7_IlSA_EE,"axG",@progbits,_ZN2at6native12_GLOBAL__N_114gatherKthValueIN3c104HalfEiLi2EEEvNS_4cuda6detail10TensorInfoIKT_T0_EESA_SA_SA_SA_NS7_IS8_SA_EENS7_IlSA_EE,comdat
.Lfunc_end57:
	.size	_ZN2at6native12_GLOBAL__N_114gatherKthValueIN3c104HalfEiLi2EEEvNS_4cuda6detail10TensorInfoIKT_T0_EESA_SA_SA_SA_NS7_IS8_SA_EENS7_IlSA_EE, .Lfunc_end57-_ZN2at6native12_GLOBAL__N_114gatherKthValueIN3c104HalfEiLi2EEEvNS_4cuda6detail10TensorInfoIKT_T0_EESA_SA_SA_SA_NS7_IS8_SA_EENS7_IlSA_EE
                                        ; -- End function
	.set _ZN2at6native12_GLOBAL__N_114gatherKthValueIN3c104HalfEiLi2EEEvNS_4cuda6detail10TensorInfoIKT_T0_EESA_SA_SA_SA_NS7_IS8_SA_EENS7_IlSA_EE.num_vgpr, 57
	.set _ZN2at6native12_GLOBAL__N_114gatherKthValueIN3c104HalfEiLi2EEEvNS_4cuda6detail10TensorInfoIKT_T0_EESA_SA_SA_SA_NS7_IS8_SA_EENS7_IlSA_EE.num_agpr, 0
	.set _ZN2at6native12_GLOBAL__N_114gatherKthValueIN3c104HalfEiLi2EEEvNS_4cuda6detail10TensorInfoIKT_T0_EESA_SA_SA_SA_NS7_IS8_SA_EENS7_IlSA_EE.numbered_sgpr, 100
	.set _ZN2at6native12_GLOBAL__N_114gatherKthValueIN3c104HalfEiLi2EEEvNS_4cuda6detail10TensorInfoIKT_T0_EESA_SA_SA_SA_NS7_IS8_SA_EENS7_IlSA_EE.num_named_barrier, 0
	.set _ZN2at6native12_GLOBAL__N_114gatherKthValueIN3c104HalfEiLi2EEEvNS_4cuda6detail10TensorInfoIKT_T0_EESA_SA_SA_SA_NS7_IS8_SA_EENS7_IlSA_EE.private_seg_size, 0
	.set _ZN2at6native12_GLOBAL__N_114gatherKthValueIN3c104HalfEiLi2EEEvNS_4cuda6detail10TensorInfoIKT_T0_EESA_SA_SA_SA_NS7_IS8_SA_EENS7_IlSA_EE.uses_vcc, 1
	.set _ZN2at6native12_GLOBAL__N_114gatherKthValueIN3c104HalfEiLi2EEEvNS_4cuda6detail10TensorInfoIKT_T0_EESA_SA_SA_SA_NS7_IS8_SA_EENS7_IlSA_EE.uses_flat_scratch, 0
	.set _ZN2at6native12_GLOBAL__N_114gatherKthValueIN3c104HalfEiLi2EEEvNS_4cuda6detail10TensorInfoIKT_T0_EESA_SA_SA_SA_NS7_IS8_SA_EENS7_IlSA_EE.has_dyn_sized_stack, 0
	.set _ZN2at6native12_GLOBAL__N_114gatherKthValueIN3c104HalfEiLi2EEEvNS_4cuda6detail10TensorInfoIKT_T0_EESA_SA_SA_SA_NS7_IS8_SA_EENS7_IlSA_EE.has_recursion, 0
	.set _ZN2at6native12_GLOBAL__N_114gatherKthValueIN3c104HalfEiLi2EEEvNS_4cuda6detail10TensorInfoIKT_T0_EESA_SA_SA_SA_NS7_IS8_SA_EENS7_IlSA_EE.has_indirect_call, 0
	.section	.AMDGPU.csdata,"",@progbits
; Kernel info:
; codeLenInByte = 10316
; TotalNumSgprs: 106
; NumVgprs: 57
; NumAgprs: 0
; TotalNumVgprs: 57
; ScratchSize: 0
; MemoryBound: 0
; FloatMode: 240
; IeeeMode: 1
; LDSByteSize: 4112 bytes/workgroup (compile time only)
; SGPRBlocks: 13
; VGPRBlocks: 7
; NumSGPRsForWavesPerEU: 106
; NumVGPRsForWavesPerEU: 57
; AccumOffset: 60
; Occupancy: 7
; WaveLimiterHint : 1
; COMPUTE_PGM_RSRC2:SCRATCH_EN: 0
; COMPUTE_PGM_RSRC2:USER_SGPR: 2
; COMPUTE_PGM_RSRC2:TRAP_HANDLER: 0
; COMPUTE_PGM_RSRC2:TGID_X_EN: 1
; COMPUTE_PGM_RSRC2:TGID_Y_EN: 1
; COMPUTE_PGM_RSRC2:TGID_Z_EN: 1
; COMPUTE_PGM_RSRC2:TIDIG_COMP_CNT: 0
; COMPUTE_PGM_RSRC3_GFX90A:ACCUM_OFFSET: 14
; COMPUTE_PGM_RSRC3_GFX90A:TG_SPLIT: 0
	.section	.text._ZN2at6native12_GLOBAL__N_114gatherKthValueIN3c104HalfEiLi3EEEvNS_4cuda6detail10TensorInfoIKT_T0_EESA_SA_SA_SA_NS7_IS8_SA_EENS7_IlSA_EE,"axG",@progbits,_ZN2at6native12_GLOBAL__N_114gatherKthValueIN3c104HalfEiLi3EEEvNS_4cuda6detail10TensorInfoIKT_T0_EESA_SA_SA_SA_NS7_IS8_SA_EENS7_IlSA_EE,comdat
	.globl	_ZN2at6native12_GLOBAL__N_114gatherKthValueIN3c104HalfEiLi3EEEvNS_4cuda6detail10TensorInfoIKT_T0_EESA_SA_SA_SA_NS7_IS8_SA_EENS7_IlSA_EE ; -- Begin function _ZN2at6native12_GLOBAL__N_114gatherKthValueIN3c104HalfEiLi3EEEvNS_4cuda6detail10TensorInfoIKT_T0_EESA_SA_SA_SA_NS7_IS8_SA_EENS7_IlSA_EE
	.p2align	8
	.type	_ZN2at6native12_GLOBAL__N_114gatherKthValueIN3c104HalfEiLi3EEEvNS_4cuda6detail10TensorInfoIKT_T0_EESA_SA_SA_SA_NS7_IS8_SA_EENS7_IlSA_EE,@function
_ZN2at6native12_GLOBAL__N_114gatherKthValueIN3c104HalfEiLi3EEEvNS_4cuda6detail10TensorInfoIKT_T0_EESA_SA_SA_SA_NS7_IS8_SA_EENS7_IlSA_EE: ; @_ZN2at6native12_GLOBAL__N_114gatherKthValueIN3c104HalfEiLi3EEEvNS_4cuda6detail10TensorInfoIKT_T0_EESA_SA_SA_SA_NS7_IS8_SA_EENS7_IlSA_EE
; %bb.0:
	s_load_dwordx2 s[12:13], s[0:1], 0x298
	s_load_dwordx4 s[68:71], s[0:1], 0xd8
	s_add_u32 s10, s0, 0x298
	s_addc_u32 s11, s1, 0
	s_waitcnt lgkmcnt(0)
	s_mul_i32 s4, s13, s4
	s_add_i32 s3, s4, s3
	s_mul_i32 s3, s3, s12
	s_add_i32 s24, s3, s2
	s_cmp_ge_i32 s24, s70
	s_cbranch_scc1 .LBB58_245
; %bb.1:
	s_load_dwordx2 s[8:9], s[0:1], 0xc
	s_load_dwordx2 s[26:27], s[0:1], 0xf4
	s_abs_i32 s5, s24
	s_ashr_i32 s4, s24, 31
	s_load_dwordx4 s[28:31], s[0:1], 0x154
	s_waitcnt lgkmcnt(0)
	s_abs_i32 s3, s9
	v_cvt_f32_u32_e32 v1, s3
	s_sub_i32 s7, 0, s3
	s_ashr_i32 s6, s9, 31
	s_xor_b32 s6, s4, s6
	v_rcp_iflag_f32_e32 v1, v1
                                        ; implicit-def: $vgpr56 : SGPR spill to VGPR lane
                                        ; kill: killed $sgpr0 killed $sgpr1
	v_writelane_b32 v56, s28, 0
	v_mul_f32_e32 v1, 0x4f7ffffe, v1
	v_cvt_u32_f32_e32 v1, v1
	v_writelane_b32 v56, s29, 1
	v_writelane_b32 v56, s30, 2
	;; [unrolled: 1-line block ×3, first 2 shown]
	v_readfirstlane_b32 s13, v1
	s_mul_i32 s7, s7, s13
	s_mul_hi_u32 s7, s13, s7
	s_add_i32 s13, s13, s7
	s_mul_hi_u32 s7, s5, s13
	s_mul_i32 s13, s7, s3
	s_sub_i32 s13, s5, s13
	s_add_i32 s14, s7, 1
	s_sub_i32 s15, s13, s3
	s_cmp_ge_u32 s13, s3
	s_cselect_b32 s7, s14, s7
	s_cselect_b32 s13, s15, s13
	s_add_i32 s14, s7, 1
	s_cmp_ge_u32 s13, s3
	s_cselect_b32 s7, s14, s7
	s_abs_i32 s3, s8
	v_cvt_f32_u32_e32 v1, s3
	s_abs_i32 s15, s27
	v_cvt_f32_u32_e32 v2, s15
	s_xor_b32 s7, s7, s6
	v_rcp_iflag_f32_e32 v1, v1
	s_sub_i32 s16, 0, s3
	v_rcp_iflag_f32_e32 v2, v2
	s_sub_i32 s18, s7, s6
	v_mul_f32_e32 v1, 0x4f7ffffe, v1
	v_cvt_u32_f32_e32 v1, v1
	v_mul_f32_e32 v2, 0x4f7ffffe, v2
	v_cvt_u32_f32_e32 v2, v2
	s_ashr_i32 s14, s27, 31
	v_readfirstlane_b32 s6, v1
	s_mul_i32 s16, s16, s6
	s_mul_hi_u32 s7, s6, s16
	s_add_i32 s16, s6, s7
	s_sub_i32 s6, 0, s15
	v_readfirstlane_b32 s7, v2
	s_mul_i32 s6, s6, s7
	s_mul_hi_u32 s6, s7, s6
	s_add_i32 s7, s7, s6
	s_mul_hi_u32 s6, s5, s7
	s_mul_i32 s7, s6, s15
	s_sub_i32 s7, s5, s7
	s_ashr_i32 s13, s8, 31
	s_xor_b32 s17, s4, s14
	s_ashr_i32 s19, s18, 31
	s_abs_i32 s20, s18
	s_add_i32 s14, s6, 1
	s_sub_i32 s21, s7, s15
	s_cmp_ge_u32 s7, s15
	s_cselect_b32 s6, s14, s6
	s_cselect_b32 s7, s21, s7
	s_add_i32 s14, s6, 1
	s_cmp_ge_u32 s7, s15
	s_cselect_b32 s6, s14, s6
	s_load_dwordx2 s[14:15], s[0:1], 0x0
	s_load_dwordx4 s[28:31], s[0:1], 0x22c
	s_abs_i32 s7, s26
	v_cvt_f32_u32_e32 v1, s7
	s_xor_b32 s6, s6, s17
	s_sub_i32 s25, s6, s17
	s_waitcnt lgkmcnt(0)
	v_writelane_b32 v56, s28, 4
	v_rcp_iflag_f32_e32 v1, v1
	s_nop 0
	v_writelane_b32 v56, s29, 5
	v_writelane_b32 v56, s30, 6
	;; [unrolled: 1-line block ×3, first 2 shown]
	s_load_dwordx2 s[28:29], s[0:1], 0x1cc
	s_load_dwordx2 s[22:23], s[0:1], 0x1c0
	v_mul_f32_e32 v1, 0x4f7ffffe, v1
	v_cvt_u32_f32_e32 v1, v1
	s_waitcnt lgkmcnt(0)
	s_abs_i32 s6, s29
	v_cvt_f32_u32_e32 v2, s6
	v_readfirstlane_b32 s17, v1
	v_writelane_b32 v56, s22, 8
	v_rcp_iflag_f32_e32 v1, v2
	s_nop 0
	v_writelane_b32 v56, s23, 9
	v_writelane_b32 v56, s7, 10
	s_sub_i32 s7, 0, s7
	v_mul_f32_e32 v1, 0x4f7ffffe, v1
	v_cvt_u32_f32_e32 v1, v1
	s_mul_i32 s7, s7, s17
	s_mul_hi_u32 s7, s17, s7
	s_add_i32 s17, s17, s7
	s_ashr_i32 s7, s29, 31
	s_xor_b32 s21, s4, s7
	s_sub_i32 s4, 0, s6
	v_readfirstlane_b32 s7, v1
	s_mul_i32 s4, s4, s7
	s_mul_hi_u32 s4, s7, s4
	s_add_i32 s7, s7, s4
	s_mul_hi_u32 s4, s5, s7
	s_mul_i32 s7, s4, s6
	s_sub_i32 s5, s5, s7
	s_abs_i32 s23, s25
	s_add_i32 s7, s4, 1
	s_sub_i32 s22, s5, s6
	s_cmp_ge_u32 s5, s6
	s_cselect_b32 s4, s7, s4
	s_cselect_b32 s5, s22, s5
	s_add_i32 s7, s4, 1
	s_cmp_ge_u32 s5, s6
	s_cselect_b32 s22, s7, s4
	s_abs_i32 s30, s28
	v_cvt_f32_u32_e32 v1, s30
	s_load_dwordx2 s[4:5], s[0:1], 0xe8
	v_rcp_iflag_f32_e32 v1, v1
	s_waitcnt lgkmcnt(0)
	v_writelane_b32 v56, s4, 11
	v_mul_f32_e32 v1, 0x4f7ffffe, v1
	v_cvt_u32_f32_e32 v1, v1
	v_writelane_b32 v56, s5, 12
	s_load_dwordx4 s[4:7], s[0:1], 0x6c
	v_writelane_b32 v56, s23, 13
	s_mul_hi_u32 s0, s23, s17
	v_writelane_b32 v56, s0, 14
	s_xor_b32 s0, s22, s21
	s_sub_i32 s21, s0, s21
	s_sub_i32 s0, 0, s30
	v_readfirstlane_b32 s1, v1
	s_mul_i32 s0, s0, s1
	s_mul_hi_u32 s0, s1, s0
	s_waitcnt lgkmcnt(0)
	s_mul_hi_u32 s7, s20, s16
	s_abs_i32 s16, s21
	v_writelane_b32 v56, s30, 15
	s_add_i32 s1, s1, s0
	v_writelane_b32 v56, s16, 16
	s_mul_hi_u32 s0, s16, s1
	v_writelane_b32 v56, s0, 17
	v_cmp_eq_u32_e64 s[0:1], 0, v0
	s_and_saveexec_b64 s[16:17], s[0:1]
; %bb.2:
	v_mov_b32_e32 v2, 0
	v_mov_b32_e32 v3, s68
	;; [unrolled: 1-line block ×3, first 2 shown]
	ds_write_b96 v2, v[2:4] offset:4096
; %bb.3:
	s_or_b64 exec, exec, s[16:17]
	v_writelane_b32 v56, s25, 18
	s_ashr_i32 s16, s25, 31
	v_writelane_b32 v56, s16, 19
	v_writelane_b32 v56, s26, 20
	s_ashr_i32 s16, s26, 31
	s_mul_i32 s9, s18, s9
	v_writelane_b32 v56, s27, 21
	v_writelane_b32 v56, s16, 22
	;; [unrolled: 1-line block ×3, first 2 shown]
	s_ashr_i32 s16, s21, 31
	v_writelane_b32 v56, s16, 24
	s_sub_i32 s9, s24, s9
	v_writelane_b32 v56, s28, 25
	s_mul_i32 s9, s9, s6
	s_xor_b32 s6, s19, s13
	s_mul_i32 s13, s7, s3
	v_writelane_b32 v56, s29, 26
	s_ashr_i32 s16, s28, 31
	s_sub_i32 s13, s20, s13
	v_writelane_b32 v56, s16, 27
	s_add_i32 s16, s7, 1
	s_sub_i32 s17, s13, s3
	s_cmp_ge_u32 s13, s3
	s_cselect_b32 s7, s16, s7
	s_cselect_b32 s13, s17, s13
	s_add_i32 s16, s7, 1
	s_cmp_ge_u32 s13, s3
	s_cselect_b32 s3, s16, s7
	s_xor_b32 s3, s3, s6
	s_sub_i32 s3, s3, s6
	s_mul_i32 s6, s3, s8
	s_sub_i32 s6, s18, s6
	s_mul_i32 s5, s6, s5
	s_add_i32 s5, s5, s9
	s_mul_i32 s3, s3, s4
	s_add_i32 s4, s5, s3
	s_waitcnt lgkmcnt(0)
	s_barrier
	s_load_dword s3, s[10:11], 0xc
	s_ashr_i32 s5, s4, 31
	s_lshl_b64 s[4:5], s[4:5], 1
	s_add_u32 s80, s14, s4
	v_mbcnt_lo_u32_b32 v1, -1, 0
	s_addc_u32 s81, s15, s5
	s_waitcnt lgkmcnt(0)
	s_and_b32 s70, s3, 0xffff
	v_mbcnt_hi_u32_b32 v20, -1, v1
	v_cmp_gt_u32_e32 vcc, 64, v0
	v_cmp_gt_i32_e64 s[4:5], 4, v20
	s_add_i32 s6, s70, -1
	v_writelane_b32 v56, s24, 28
	s_lshl_b32 s33, s70, 2
	s_and_b64 s[84:85], vcc, s[4:5]
	s_add_i32 s92, s6, s68
	v_writelane_b32 v56, s6, 29
	s_cmpk_gt_i32 s68, 0x600
	v_cmp_gt_u32_e64 s[6:7], s68, v0
	s_cselect_b64 s[86:87], -1, 0
	s_cmp_gt_u32 s70, 63
	v_writelane_b32 v56, s6, 30
	s_cselect_b64 s[88:89], -1, 0
	s_cmp_lt_u32 s2, s12
	v_writelane_b32 v56, s7, 31
	v_cmp_gt_i32_e64 s[6:7], s68, v0
	s_cselect_b32 s2, 12, 18
	v_lshlrev_b64 v[2:3], v20, -1
	v_writelane_b32 v56, s6, 32
	v_not_b32_e32 v12, v2
	v_lshrrev_b32_e32 v2, 2, v0
	v_writelane_b32 v56, s7, 33
	s_add_u32 s6, s10, s2
	s_addc_u32 s7, s11, 0
	v_writelane_b32 v56, s6, 34
	v_and_b32_e32 v2, 0xf0, v2
	v_or_b32_e32 v23, 0xc00, v2
	v_writelane_b32 v56, s7, 35
	s_bfe_u32 s6, s3, 0xa0006
	s_add_i32 s2, s6, -2
	s_lshr_b32 s3, s2, 1
	s_add_i32 s3, s3, 1
	s_cmpk_gt_u32 s70, 0x7f
	s_cselect_b64 s[8:9], -1, 0
	v_writelane_b32 v56, s8, 36
	v_cvt_f32_u32_e32 v2, s33
	s_and_b32 s7, s6, 0x3fe
	v_writelane_b32 v56, s9, 37
	s_and_b32 s8, s3, 7
	s_cmp_gt_u32 s2, 13
	s_cselect_b64 s[10:11], -1, 0
	v_writelane_b32 v56, s10, 38
	v_rcp_iflag_f32_e32 v2, v2
	s_and_b32 s2, s3, -8
	v_writelane_b32 v56, s11, 39
	v_writelane_b32 v56, s2, 40
	s_cmp_lg_u32 s8, 0
	v_writelane_b32 v56, s8, 41
	s_cselect_b64 s[2:3], -1, 0
	v_writelane_b32 v56, s2, 42
	v_mul_f32_e32 v2, 0x4f7ffffe, v2
	v_cvt_u32_f32_e32 v2, v2
	v_writelane_b32 v56, s3, 43
	v_writelane_b32 v56, s6, 44
	s_cmp_lg_u32 s7, s6
	v_writelane_b32 v56, s7, 45
	s_cselect_b64 s[2:3], -1, 0
	v_writelane_b32 v56, s2, 46
	v_not_b32_e32 v1, v3
	v_cvt_f32_u32_e32 v3, s70
	v_writelane_b32 v56, s3, 47
	s_sub_i32 s2, 0, s33
	v_readfirstlane_b32 s3, v2
	s_mul_i32 s2, s2, s3
	s_mul_hi_u32 s2, s3, s2
	s_add_i32 s7, s3, s2
	s_mul_hi_u32 s2, s68, s7
	s_mul_i32 s2, s2, s33
	s_sub_i32 s2, s68, s2
	s_sub_i32 s3, s2, s33
	s_cmp_ge_u32 s2, s33
	s_cselect_b32 s2, s3, s2
	s_sub_i32 s3, s2, s33
	s_cmp_ge_u32 s2, s33
	s_cselect_b32 s2, s3, s2
	s_sub_i32 s8, s68, s2
	v_rcp_iflag_f32_e32 v5, v3
	v_add_u32_e32 v24, s8, v0
	v_mul_lo_u32 v2, v24, s71
	v_ashrrev_i32_e32 v3, 31, v2
	v_lshl_add_u64 v[14:15], v[2:3], 1, s[80:81]
	v_mul_f32_e32 v2, 0x4f7ffffe, v5
	v_cvt_u32_f32_e32 v2, v2
	s_sub_i32 s9, 0, s70
	s_abs_i32 s6, s92
	s_ashr_i32 s3, s92, 31
	v_readfirstlane_b32 s16, v2
	s_mul_i32 s9, s9, s16
	s_mul_hi_u32 s9, s16, s9
	s_add_i32 s9, s16, s9
	s_mul_hi_u32 s16, s6, s9
	s_mul_i32 s16, s16, s70
	s_sub_i32 s6, s6, s16
	s_sub_i32 s16, s6, s70
	s_cmp_ge_u32 s6, s70
	s_cselect_b32 s6, s16, s6
	s_sub_i32 s16, s6, s70
	s_cmp_ge_u32 s6, s70
	v_lshlrev_b32_e32 v13, 2, v0
	s_cselect_b32 s6, s16, s6
	s_xor_b32 s6, s6, s3
	v_mul_lo_u32 v2, s71, v13
	s_sub_i32 s3, s3, s6
	v_add_u32_e32 v25, s71, v2
	v_or_b32_e32 v2, 2, v13
	s_add_i32 s92, s92, s3
	v_mul_lo_u32 v26, s71, v2
	v_or_b32_e32 v2, 3, v13
	s_add_i32 s3, s70, s68
	v_mov_b32_e32 v9, 0
	v_cmp_gt_i32_e64 s[16:17], s92, v0
	v_mul_lo_u32 v27, s71, v2
	v_add_u32_e32 v2, s3, v0
	v_lshlrev_b32_e32 v21, 1, v0
	v_mul_lo_u32 v6, s71, v0
	v_mov_b32_e32 v7, v9
	v_lshlrev_b32_e32 v4, 2, v20
	v_writelane_b32 v56, s16, 48
	s_mul_i32 s98, s71, s70
	v_subrev_u32_e32 v2, s2, v2
	s_mov_b32 s2, 0
	s_mov_b32 s99, 0xffff
	v_cmp_eq_u32_e64 s[18:19], 0, v20
	v_cmp_gt_u32_e64 s[4:5], 2, v0
	v_add_u32_e32 v22, 0xc00, v21
	v_lshl_add_u64 v[10:11], v[6:7], 1, s[80:81]
	v_and_b32_e32 v7, 0x100, v4
	v_cmp_gt_i32_e64 s[10:11], s8, v13
	v_cmp_gt_u32_e64 s[12:13], s68, v24
	v_cmp_gt_i32_e64 s[14:15], s68, v24
	v_writelane_b32 v56, s17, 49
	s_lshl_b32 s93, s98, 2
	v_lshlrev_b32_e32 v28, 2, v6
	v_mul_lo_u32 v30, s71, v2
	v_lshlrev_b32_e32 v31, 3, v0
	s_lshl_b32 s90, s70, 3
	s_lshl_b32 s91, s70, 1
	v_or_b32_e32 v32, 0xc00, v4
	s_mov_b64 s[74:75], 0
	v_mov_b32_e32 v34, 14
	v_mov_b32_e32 v41, s69
	;; [unrolled: 1-line block ×3, first 2 shown]
	s_movk_i32 s69, 0x3c00
	v_mov_b32_e32 v33, 0xffff
	v_mov_b32_e32 v35, 0x8000
	v_mov_b32_e32 v36, -1
	v_mov_b32_e32 v37, 0xc00
	v_mov_b32_e32 v38, 0x5040100
	;; [unrolled: 1-line block ×3, first 2 shown]
	s_mov_b32 s3, 1
	s_mov_b32 s16, s2
	v_mov_b32_e32 v29, 0
	v_mov_b32_e32 v39, 0
                                        ; implicit-def: $sgpr78_sgpr79
                                        ; implicit-def: $sgpr60_sgpr61
                                        ; implicit-def: $sgpr62_sgpr63
                                        ; implicit-def: $sgpr66_sgpr67
                                        ; implicit-def: $sgpr82_sgpr83
                                        ; implicit-def: $sgpr64_sgpr65
	s_branch .LBB58_7
.LBB58_4:                               ;   in Loop: Header=BB58_7 Depth=1
	s_or_b64 exec, exec, s[30:31]
	s_and_b64 s[30:31], s[28:29], exec
	s_andn2_b64 s[26:27], s[26:27], exec
	s_andn2_b64 s[24:25], s[24:25], exec
	s_orn2_b64 s[20:21], s[20:21], exec
.LBB58_5:                               ;   in Loop: Header=BB58_7 Depth=1
	s_or_b64 exec, exec, s[22:23]
	s_andn2_b64 s[16:17], s[64:65], exec
	s_and_b64 s[22:23], s[30:31], exec
	s_or_b64 s[64:65], s[16:17], s[22:23]
	s_andn2_b64 s[16:17], s[82:83], exec
	s_and_b64 s[22:23], s[26:27], exec
	s_or_b64 s[82:83], s[16:17], s[22:23]
	;; [unrolled: 3-line block ×3, first 2 shown]
	s_orn2_b64 s[20:21], s[20:21], exec
.LBB58_6:                               ;   in Loop: Header=BB58_7 Depth=1
	s_or_b64 exec, exec, s[2:3]
	s_and_b64 s[2:3], exec, s[20:21]
	s_or_b64 s[74:75], s[2:3], s[74:75]
	s_andn2_b64 s[2:3], s[62:63], exec
	s_and_b64 s[16:17], s[64:65], exec
	s_or_b64 s[62:63], s[2:3], s[16:17]
	s_andn2_b64 s[2:3], s[60:61], exec
	s_and_b64 s[16:17], s[82:83], exec
	;; [unrolled: 3-line block ×3, first 2 shown]
	s_or_b64 s[78:79], s[2:3], s[16:17]
	s_mov_b32 s16, s6
	v_mov_b32_e32 v41, v16
	s_andn2_b64 exec, exec, s[74:75]
	s_cbranch_execz .LBB58_241
.LBB58_7:                               ; =>This Loop Header: Depth=1
                                        ;     Child Loop BB58_12 Depth 2
                                        ;     Child Loop BB58_27 Depth 2
	;; [unrolled: 1-line block ×17, first 2 shown]
	ds_read_b64 v[2:3], v9 offset:4096
	s_waitcnt lgkmcnt(0)
	v_readfirstlane_b32 s17, v2
	s_cmp_gt_i32 s17, 0
	s_cbranch_scc1 .LBB58_34
; %bb.8:                                ;   in Loop: Header=BB58_7 Depth=1
	s_and_b64 vcc, exec, s[86:87]
	s_cbranch_vccz .LBB58_20
; %bb.9:                                ;   in Loop: Header=BB58_7 Depth=1
	s_movk_i32 s2, 0x601
	v_cmp_gt_i32_e32 vcc, s2, v3
	s_mov_b64 s[20:21], 0
	s_mov_b64 s[2:3], 0
	s_cbranch_vccz .LBB58_21
; %bb.10:                               ;   in Loop: Header=BB58_7 Depth=1
	v_readlane_b32 s2, v56, 34
	v_readlane_b32 s3, v56, 35
	s_nop 4
	global_load_ushort v2, v9, s[2:3]
	global_load_ushort v4, v[10:11], off
	s_mov_b64 s[22:23], 0
	s_waitcnt vmcnt(1)
	v_add_u32_e32 v5, v0, v2
	v_mul_lo_u32 v3, s71, v2
	v_mul_lo_u32 v8, s71, v5
	v_mov_b32_e32 v5, v0
	s_branch .LBB58_12
.LBB58_11:                              ;   in Loop: Header=BB58_12 Depth=2
	s_or_b64 exec, exec, s[2:3]
	v_cmp_le_i32_e32 vcc, s68, v5
	v_add_u32_e32 v8, v8, v3
	s_or_b64 s[22:23], vcc, s[22:23]
	v_mov_b32_e32 v4, v16
	s_andn2_b64 exec, exec, s[22:23]
	s_cbranch_execz .LBB58_66
.LBB58_12:                              ;   Parent Loop BB58_7 Depth=1
                                        ; =>  This Inner Loop Header: Depth=2
	v_add_u32_e32 v5, v5, v2
	v_cmp_gt_u32_e32 vcc, s68, v5
	s_waitcnt lgkmcnt(0)
	v_mov_b32_e32 v17, 0
	v_mov_b32_e32 v16, 0
	s_and_saveexec_b64 s[2:3], vcc
	s_cbranch_execz .LBB58_14
; %bb.13:                               ;   in Loop: Header=BB58_12 Depth=2
	v_lshl_add_u64 v[18:19], v[8:9], 1, s[80:81]
	global_load_ushort v16, v[18:19], off
.LBB58_14:                              ;   in Loop: Header=BB58_12 Depth=2
	s_or_b64 exec, exec, s[2:3]
	s_waitcnt vmcnt(0)
	v_cmp_lt_i16_e32 vcc, -1, v4
	s_nop 1
	v_cndmask_b32_e32 v18, v33, v35, vcc
	v_xor_b32_sdwa v18, v18, v4 dst_sel:DWORD dst_unused:UNUSED_PAD src0_sel:DWORD src1_sel:WORD_0
	v_cmp_o_f16_e32 vcc, v4, v4
	s_nop 1
	v_cndmask_b32_e32 v18, v33, v18, vcc
	v_and_b32_e32 v18, v18, v39
	v_cmp_eq_u32_e32 vcc, v18, v29
	s_cmp_lg_u64 vcc, 0
	s_cselect_b64 s[2:3], -1, 0
	s_and_b64 s[2:3], s[18:19], s[2:3]
	s_and_saveexec_b64 s[24:25], s[2:3]
	s_cbranch_execz .LBB58_18
; %bb.15:                               ;   in Loop: Header=BB58_12 Depth=2
	s_mov_b64 s[28:29], exec
	v_mbcnt_lo_u32_b32 v17, s28, 0
	v_mbcnt_hi_u32_b32 v17, s29, v17
	s_bcnt1_i32_b64 s6, vcc
	v_cmp_eq_u32_e64 s[2:3], 0, v17
                                        ; implicit-def: $vgpr18
	s_and_saveexec_b64 s[26:27], s[2:3]
; %bb.16:                               ;   in Loop: Header=BB58_12 Depth=2
	s_bcnt1_i32_b64 s2, s[28:29]
	s_mul_i32 s2, s6, s2
	v_mov_b32_e32 v18, s2
	ds_add_rtn_u32 v18, v9, v18 offset:4104
; %bb.17:                               ;   in Loop: Header=BB58_12 Depth=2
	s_or_b64 exec, exec, s[26:27]
	s_waitcnt lgkmcnt(0)
	v_readfirstlane_b32 s2, v18
	s_nop 1
	v_mov_b32_e32 v18, s2
	v_mad_u32_u24 v17, s6, v17, v18
.LBB58_18:                              ;   in Loop: Header=BB58_12 Depth=2
	s_or_b64 exec, exec, s[24:25]
	ds_bpermute_b32 v17, v7, v17
	s_and_saveexec_b64 s[2:3], vcc
	s_cbranch_execz .LBB58_11
; %bb.19:                               ;   in Loop: Header=BB58_12 Depth=2
	v_and_b32_e32 v19, vcc_lo, v12
	v_and_b32_e32 v18, vcc_hi, v1
	v_bcnt_u32_b32 v19, v19, 0
	v_bcnt_u32_b32 v18, v18, v19
	v_lshlrev_b32_e32 v18, 1, v18
	s_waitcnt lgkmcnt(0)
	v_lshl_add_u32 v17, v17, 1, v18
	ds_write_b16 v17, v4
	s_branch .LBB58_11
.LBB58_20:                              ;   in Loop: Header=BB58_7 Depth=1
	s_mov_b64 s[20:21], -1
	s_mov_b64 s[2:3], 0
.LBB58_21:                              ;   in Loop: Header=BB58_7 Depth=1
	s_and_b64 vcc, exec, s[20:21]
	s_cbranch_vccz .LBB58_32
.LBB58_22:                              ;   in Loop: Header=BB58_7 Depth=1
	v_mov_b32_e32 v2, 0
	s_mov_b64 s[2:3], exec
	v_readlane_b32 s20, v56, 30
	v_readlane_b32 s21, v56, 31
	s_and_b64 s[20:21], s[2:3], s[20:21]
	s_mov_b64 exec, s[20:21]
	s_cbranch_execz .LBB58_24
; %bb.23:                               ;   in Loop: Header=BB58_7 Depth=1
	global_load_ushort v2, v[10:11], off
.LBB58_24:                              ;   in Loop: Header=BB58_7 Depth=1
	s_or_b64 exec, exec, s[2:3]
	s_mov_b64 s[2:3], exec
	v_readlane_b32 s20, v56, 32
	v_readlane_b32 s21, v56, 33
	s_and_b64 s[20:21], s[2:3], s[20:21]
	s_mov_b64 exec, s[20:21]
	s_cbranch_execz .LBB58_29
; %bb.25:                               ;   in Loop: Header=BB58_7 Depth=1
	v_readlane_b32 s20, v56, 34
	v_readlane_b32 s21, v56, 35
	v_mov_b32_e32 v4, v21
	v_mov_b32_e32 v17, v0
	s_nop 2
	global_load_ushort v3, v9, s[20:21]
	s_mov_b64 s[20:21], 0
	s_waitcnt vmcnt(0)
	v_add_u32_e32 v8, v0, v3
	v_lshlrev_b32_e32 v5, 1, v3
	v_mul_lo_u32 v16, s71, v3
	v_mul_lo_u32 v8, s71, v8
	s_branch .LBB58_27
.LBB58_26:                              ;   in Loop: Header=BB58_27 Depth=2
	s_or_b64 exec, exec, s[22:23]
	v_cmp_le_i32_e32 vcc, s68, v17
	ds_write_b16 v4, v2
	v_add_u32_e32 v4, v4, v5
	v_add_u32_e32 v8, v8, v16
	s_or_b64 s[20:21], vcc, s[20:21]
	s_waitcnt vmcnt(0)
	v_mov_b32_e32 v2, v18
	s_andn2_b64 exec, exec, s[20:21]
	s_cbranch_execz .LBB58_29
.LBB58_27:                              ;   Parent Loop BB58_7 Depth=1
                                        ; =>  This Inner Loop Header: Depth=2
	v_add_u32_e32 v17, v17, v3
	v_cmp_gt_u32_e32 vcc, s68, v17
	v_mov_b32_e32 v18, 0
	s_and_saveexec_b64 s[22:23], vcc
	s_cbranch_execz .LBB58_26
; %bb.28:                               ;   in Loop: Header=BB58_27 Depth=2
	v_lshl_add_u64 v[18:19], v[8:9], 1, s[80:81]
	global_load_ushort v18, v[18:19], off
	s_branch .LBB58_26
.LBB58_29:                              ;   in Loop: Header=BB58_7 Depth=1
	s_or_b64 exec, exec, s[2:3]
	s_waitcnt lgkmcnt(0)
	s_barrier
	s_and_saveexec_b64 s[2:3], s[0:1]
; %bb.30:                               ;   in Loop: Header=BB58_7 Depth=1
	ds_write_b32 v9, v42 offset:4096
; %bb.31:                               ;   in Loop: Header=BB58_7 Depth=1
	s_or_b64 exec, exec, s[2:3]
	s_mov_b64 s[2:3], -1
	s_waitcnt lgkmcnt(0)
	s_barrier
.LBB58_32:                              ;   in Loop: Header=BB58_7 Depth=1
	s_and_b64 vcc, exec, s[2:3]
	s_cbranch_vccz .LBB58_34
; %bb.33:                               ;   in Loop: Header=BB58_7 Depth=1
	s_waitcnt vmcnt(0)
	ds_read_b32 v2, v9 offset:4096
	s_waitcnt lgkmcnt(0)
	v_readfirstlane_b32 s17, v2
.LBB58_34:                              ;   in Loop: Header=BB58_7 Depth=1
	s_cmp_lt_i32 s17, 1
	s_mov_b64 s[2:3], -1
                                        ; implicit-def: $vgpr4_vgpr5
	s_cbranch_scc1 .LBB58_44
; %bb.35:                               ;   in Loop: Header=BB58_7 Depth=1
	s_and_b64 vcc, exec, s[2:3]
	s_cbranch_vccnz .LBB58_57
.LBB58_36:                              ;   in Loop: Header=BB58_7 Depth=1
	s_lshl_b32 s6, s16, 6
	s_and_saveexec_b64 s[2:3], s[18:19]
	s_cbranch_execz .LBB58_38
.LBB58_37:                              ;   in Loop: Header=BB58_7 Depth=1
	v_lshl_add_u32 v8, s6, 2, v23
	s_waitcnt vmcnt(0)
	ds_write_b128 v8, v[2:5]
.LBB58_38:                              ;   in Loop: Header=BB58_7 Depth=1
	s_or_b64 exec, exec, s[2:3]
	s_waitcnt lgkmcnt(0)
	s_barrier
	s_and_saveexec_b64 s[2:3], s[84:85]
	s_cbranch_execz .LBB58_77
; %bb.39:                               ;   in Loop: Header=BB58_7 Depth=1
	v_add_u32_e32 v4, s6, v20
	s_andn2_b64 vcc, exec, s[88:89]
	s_waitcnt vmcnt(0)
	v_mov_b32_e32 v2, 0
	s_cbranch_vccnz .LBB58_76
; %bb.40:                               ;   in Loop: Header=BB58_7 Depth=1
	v_readlane_b32 s20, v56, 36
	v_readlane_b32 s21, v56, 37
	s_andn2_b64 vcc, exec, s[20:21]
	s_cbranch_vccnz .LBB58_69
; %bb.41:                               ;   in Loop: Header=BB58_7 Depth=1
	v_readlane_b32 s20, v56, 38
	v_readlane_b32 s21, v56, 39
	s_andn2_b64 vcc, exec, s[20:21]
	v_lshl_add_u32 v5, v4, 2, v37
	s_cbranch_vccnz .LBB58_70
; %bb.42:                               ;   in Loop: Header=BB58_7 Depth=1
	s_mov_b32 s21, 1
	s_mov_b32 s20, 0
	v_mov_b32_e32 v2, 0
	v_mov_b32_e32 v3, 0
	v_readlane_b32 s17, v56, 40
.LBB58_43:                              ;   Parent Loop BB58_7 Depth=1
                                        ; =>  This Inner Loop Header: Depth=2
	v_lshl_add_u32 v8, s20, 4, v5
	v_lshl_add_u32 v43, s21, 4, v5
	ds_read2_b32 v[16:17], v8 offset1:8
	ds_read2_b32 v[18:19], v43 offset1:8
	ds_read2_b32 v[44:45], v8 offset0:16 offset1:24
	ds_read2_b32 v[46:47], v43 offset0:16 offset1:24
	;; [unrolled: 1-line block ×6, first 2 shown]
	s_waitcnt lgkmcnt(7)
	v_add3_u32 v2, v16, v2, v17
	s_waitcnt lgkmcnt(6)
	v_add3_u32 v3, v18, v3, v19
	;; [unrolled: 2-line block ×3, first 2 shown]
	v_add3_u32 v2, v44, v2, v45
	s_add_i32 s21, s21, 16
	s_add_i32 s20, s20, 16
	s_add_i32 s17, s17, -8
	s_waitcnt lgkmcnt(3)
	v_add3_u32 v2, v48, v2, v49
	s_waitcnt lgkmcnt(2)
	v_add3_u32 v3, v50, v3, v51
	s_cmp_lg_u32 s17, 0
	s_waitcnt lgkmcnt(0)
	v_add3_u32 v3, v54, v3, v55
	v_add3_u32 v2, v52, v2, v53
	s_cbranch_scc1 .LBB58_43
	s_branch .LBB58_71
.LBB58_44:                              ;   in Loop: Header=BB58_7 Depth=1
	v_mov_b32_e32 v8, v9
	v_mov_b64_e32 v[4:5], v[8:9]
	s_waitcnt vmcnt(0)
	v_mov_b64_e32 v[2:3], v[8:9]
	s_and_saveexec_b64 s[72:73], s[10:11]
	s_cbranch_execnz .LBB58_47
; %bb.45:                               ;   in Loop: Header=BB58_7 Depth=1
	s_or_b64 exec, exec, s[72:73]
	v_mov_b32_e32 v18, 0
	s_and_saveexec_b64 s[2:3], s[12:13]
	s_cbranch_execnz .LBB58_50
.LBB58_46:                              ;   in Loop: Header=BB58_7 Depth=1
	s_or_b64 exec, exec, s[2:3]
	s_and_saveexec_b64 s[20:21], s[14:15]
	s_cbranch_execnz .LBB58_51
	s_branch .LBB58_56
.LBB58_47:                              ;   in Loop: Header=BB58_7 Depth=1
	s_mov_b32 s6, 0
	s_mov_b64 s[76:77], 0
	v_mov_b32_e32 v8, v13
	s_mov_b32 s94, 0
	s_mov_b32 s95, s6
	;; [unrolled: 1-line block ×4, first 2 shown]
.LBB58_48:                              ;   Parent Loop BB58_7 Depth=1
                                        ; =>  This Inner Loop Header: Depth=2
	v_add_u32_e32 v2, s6, v28
	v_add_u32_e32 v4, s6, v25
	v_add_u32_e32 v16, s6, v26
	v_add_u32_e32 v18, s6, v27
	v_ashrrev_i32_e32 v3, 31, v2
	v_ashrrev_i32_e32 v5, 31, v4
	;; [unrolled: 1-line block ×4, first 2 shown]
	v_lshl_add_u64 v[2:3], v[2:3], 1, s[80:81]
	v_lshl_add_u64 v[4:5], v[4:5], 1, s[80:81]
	;; [unrolled: 1-line block ×4, first 2 shown]
	global_load_ushort v2, v[2:3], off
	s_nop 0
	global_load_ushort v3, v[4:5], off
	s_nop 0
	global_load_ushort v4, v[16:17], off
	global_load_ushort v5, v[18:19], off
	v_add_u32_e32 v8, s33, v8
	s_add_i32 s6, s6, s93
	v_cmp_le_i32_e32 vcc, s8, v8
	s_waitcnt vmcnt(3)
	v_cmp_lt_i16_e64 s[2:3], -1, v2
	s_nop 1
	v_cndmask_b32_e64 v16, v33, v35, s[2:3]
	s_waitcnt vmcnt(2)
	v_cmp_lt_i16_e64 s[2:3], -1, v3
	s_waitcnt vmcnt(1)
	v_cmp_o_f16_e64 s[20:21], v4, v4
	s_waitcnt vmcnt(0)
	v_cmp_o_f16_e64 s[22:23], v5, v5
	v_cndmask_b32_e64 v17, v33, v35, s[2:3]
	v_cmp_lt_i16_e64 s[2:3], -1, v4
	v_xor_b32_sdwa v17, v17, v3 dst_sel:DWORD dst_unused:UNUSED_PAD src0_sel:DWORD src1_sel:WORD_0
	v_cmp_o_f16_e64 s[24:25], v2, v2
	v_cndmask_b32_e64 v18, v33, v35, s[2:3]
	v_cmp_lt_i16_e64 s[2:3], -1, v5
	s_nop 1
	v_cndmask_b32_e64 v19, v33, v35, s[2:3]
	v_cmp_o_f16_e64 s[2:3], v3, v3
	v_xor_b32_sdwa v3, v18, v4 dst_sel:DWORD dst_unused:UNUSED_PAD src0_sel:DWORD src1_sel:WORD_0
	v_xor_b32_sdwa v4, v19, v5 dst_sel:DWORD dst_unused:UNUSED_PAD src0_sel:DWORD src1_sel:WORD_0
	;; [unrolled: 1-line block ×3, first 2 shown]
	v_cndmask_b32_e64 v2, v33, v5, s[24:25]
	v_cndmask_b32_e64 v5, v33, v17, s[2:3]
	v_and_b32_e32 v16, v2, v39
	v_bfe_u32 v2, v2, v34, 2
	v_cndmask_b32_e64 v3, v33, v3, s[20:21]
	v_and_b32_e32 v17, v5, v39
	v_bfe_u32 v5, v5, v34, 2
	v_cmp_eq_u32_e64 s[2:3], v16, v29
	v_cmp_eq_u32_e64 s[26:27], 0, v2
	v_cndmask_b32_e64 v4, v33, v4, s[22:23]
	v_and_b32_e32 v18, v3, v39
	v_bfe_u32 v3, v3, v34, 2
	v_cmp_eq_u32_e64 s[20:21], v17, v29
	v_cmp_eq_u32_e64 s[28:29], 0, v5
	s_and_b64 s[26:27], s[2:3], s[26:27]
	v_and_b32_e32 v19, v4, v39
	v_bfe_u32 v4, v4, v34, 2
	v_cmp_eq_u32_e64 s[22:23], v18, v29
	v_cmp_eq_u32_e64 s[30:31], 0, v3
	;; [unrolled: 1-line block ×5, first 2 shown]
	v_cndmask_b32_e64 v2, 0, 1, s[26:27]
	s_and_b64 s[26:27], s[20:21], s[28:29]
	v_cmp_eq_u32_e64 s[24:25], v19, v29
	v_cmp_eq_u32_e64 s[34:35], 0, v4
	;; [unrolled: 1-line block ×5, first 2 shown]
	v_cndmask_b32_e64 v3, 0, 1, s[26:27]
	s_and_b64 s[26:27], s[22:23], s[30:31]
	v_cmp_eq_u32_e64 s[42:43], 1, v4
	v_cmp_eq_u32_e64 s[50:51], 2, v4
	;; [unrolled: 1-line block ×3, first 2 shown]
	v_cndmask_b32_e64 v4, 0, 1, s[26:27]
	s_and_b64 s[26:27], s[24:25], s[34:35]
	v_cmp_eq_u32_e64 s[38:39], 1, v5
	v_cmp_eq_u32_e64 s[46:47], 2, v5
	;; [unrolled: 1-line block ×3, first 2 shown]
	v_cndmask_b32_e64 v5, 0, 1, s[26:27]
	s_and_b64 s[26:27], s[2:3], s[36:37]
	v_cndmask_b32_e64 v16, 0, 1, s[26:27]
	s_and_b64 s[26:27], s[20:21], s[38:39]
	;; [unrolled: 2-line block ×5, first 2 shown]
	s_and_b64 s[2:3], s[2:3], s[52:53]
	v_cndmask_b32_e64 v43, 0, 1, s[26:27]
	s_and_b64 s[26:27], s[20:21], s[46:47]
	v_cndmask_b32_e64 v47, 0, 1, s[2:3]
	;; [unrolled: 2-line block ×7, first 2 shown]
	v_cndmask_b32_e64 v50, 0, 1, s[2:3]
	v_cmp_ne_u32_e64 s[2:3], 0, v2
	v_cmp_ne_u32_e64 s[20:21], 0, v3
	;; [unrolled: 1-line block ×11, first 2 shown]
	s_bcnt1_i32_b64 s2, s[2:3]
	s_bcnt1_i32_b64 s3, s[20:21]
	;; [unrolled: 1-line block ×8, first 2 shown]
	v_cmp_ne_u32_e64 s[34:35], 0, v19
	v_cmp_ne_u32_e64 s[40:41], 0, v45
	;; [unrolled: 1-line block ×3, first 2 shown]
	s_bcnt1_i32_b64 s23, s[28:29]
	s_bcnt1_i32_b64 s27, s[38:39]
	;; [unrolled: 1-line block ×3, first 2 shown]
	s_add_i32 s2, s94, s2
	s_add_i32 s22, s95, s22
	s_add_i32 s26, s96, s26
	s_add_i32 s30, s97, s30
	v_cmp_ne_u32_e64 s[42:43], 0, v46
	v_cmp_ne_u32_e64 s[50:51], 0, v50
	s_bcnt1_i32_b64 s25, s[34:35]
	s_bcnt1_i32_b64 s28, s[40:41]
	;; [unrolled: 1-line block ×3, first 2 shown]
	s_add_i32 s22, s22, s23
	s_add_i32 s2, s2, s3
	s_add_i32 s3, s30, s31
	s_add_i32 s23, s26, s27
	s_bcnt1_i32_b64 s29, s[42:43]
	s_bcnt1_i32_b64 s35, s[50:51]
	s_add_i32 s2, s2, s20
	s_add_i32 s20, s22, s24
	;; [unrolled: 1-line block ×8, first 2 shown]
	s_or_b64 s[76:77], vcc, s[76:77]
	v_mov_b64_e32 v[2:3], s[94:95]
	v_mov_b64_e32 v[4:5], s[96:97]
	s_andn2_b64 exec, exec, s[76:77]
	s_cbranch_execnz .LBB58_48
; %bb.49:                               ;   in Loop: Header=BB58_7 Depth=1
	s_or_b64 exec, exec, s[76:77]
	s_or_b64 exec, exec, s[72:73]
	v_mov_b32_e32 v18, 0
	s_and_saveexec_b64 s[2:3], s[12:13]
	s_cbranch_execz .LBB58_46
.LBB58_50:                              ;   in Loop: Header=BB58_7 Depth=1
	global_load_ushort v18, v[14:15], off
	s_or_b64 exec, exec, s[2:3]
	s_and_saveexec_b64 s[20:21], s[14:15]
	s_cbranch_execz .LBB58_56
.LBB58_51:                              ;   in Loop: Header=BB58_7 Depth=1
	s_mov_b64 s[22:23], 0
	v_mov_b32_e32 v16, v30
	v_mov_b32_e32 v8, v24
	s_branch .LBB58_53
.LBB58_52:                              ;   in Loop: Header=BB58_53 Depth=2
	s_or_b64 exec, exec, s[2:3]
	s_waitcnt vmcnt(0)
	v_cmp_lt_i16_e32 vcc, -1, v18
	v_add_u32_e32 v16, s98, v16
	s_nop 0
	v_cndmask_b32_e32 v19, v33, v35, vcc
	v_xor_b32_sdwa v19, v19, v18 dst_sel:DWORD dst_unused:UNUSED_PAD src0_sel:DWORD src1_sel:WORD_0
	v_cmp_o_f16_e32 vcc, v18, v18
	s_nop 1
	v_cndmask_b32_e32 v18, v33, v19, vcc
	v_and_b32_e32 v19, v18, v39
	v_bfe_u32 v18, v18, v34, 2
	v_cmp_eq_u32_e32 vcc, v19, v29
	v_cmp_eq_u32_e64 s[2:3], 0, v18
	s_and_b64 s[2:3], vcc, s[2:3]
	s_nop 0
	v_cndmask_b32_e64 v19, 0, 1, s[2:3]
	v_cmp_ne_u32_e64 s[2:3], 0, v19
	s_bcnt1_i32_b64 s6, s[2:3]
	v_cmp_eq_u32_e64 s[2:3], 1, v18
	s_and_b64 s[2:3], vcc, s[2:3]
	v_add_u32_e32 v2, s6, v2
	v_cndmask_b32_e64 v19, 0, 1, s[2:3]
	v_cmp_ne_u32_e64 s[2:3], 0, v19
	s_bcnt1_i32_b64 s2, s[2:3]
	s_nop 0
	v_add_u32_e32 v3, s2, v3
	v_cmp_eq_u32_e64 s[2:3], 2, v18
	s_and_b64 s[2:3], vcc, s[2:3]
	s_nop 0
	v_cndmask_b32_e64 v19, 0, 1, s[2:3]
	v_cmp_ne_u32_e64 s[2:3], 0, v19
	s_bcnt1_i32_b64 s6, s[2:3]
	v_cmp_eq_u32_e64 s[2:3], 3, v18
	s_and_b64 s[2:3], vcc, s[2:3]
	v_add_u32_e32 v4, s6, v4
	v_cndmask_b32_e64 v18, 0, 1, s[2:3]
	v_cmp_ne_u32_e32 vcc, 0, v18
	s_bcnt1_i32_b64 s2, vcc
	v_cmp_le_i32_e32 vcc, s68, v8
	v_add_u32_e32 v5, s2, v5
	s_or_b64 s[22:23], vcc, s[22:23]
	v_mov_b32_e32 v18, v17
	s_andn2_b64 exec, exec, s[22:23]
	s_cbranch_execz .LBB58_55
.LBB58_53:                              ;   Parent Loop BB58_7 Depth=1
                                        ; =>  This Inner Loop Header: Depth=2
	v_add_u32_e32 v8, s70, v8
	v_cmp_gt_u32_e32 vcc, s68, v8
	v_mov_b32_e32 v17, 0
	s_and_saveexec_b64 s[2:3], vcc
	s_cbranch_execz .LBB58_52
; %bb.54:                               ;   in Loop: Header=BB58_53 Depth=2
	v_ashrrev_i32_e32 v17, 31, v16
	v_lshl_add_u64 v[44:45], v[16:17], 1, s[80:81]
	global_load_ushort v17, v[44:45], off
	s_branch .LBB58_52
.LBB58_55:                              ;   in Loop: Header=BB58_7 Depth=1
	s_or_b64 exec, exec, s[22:23]
.LBB58_56:                              ;   in Loop: Header=BB58_7 Depth=1
	s_or_b64 exec, exec, s[20:21]
	s_branch .LBB58_36
.LBB58_57:                              ;   in Loop: Header=BB58_7 Depth=1
	s_mul_hi_u32 s2, s17, s7
	s_mul_i32 s2, s2, s33
	s_sub_i32 s2, s17, s2
	s_sub_i32 s3, s2, s33
	s_cmp_ge_u32 s2, s33
	s_cselect_b32 s2, s3, s2
	s_sub_i32 s3, s2, s33
	s_cmp_ge_u32 s2, s33
	s_cselect_b32 s2, s3, s2
	s_sub_i32 s6, s17, s2
	v_mov_b32_e32 v8, v9
	v_cmp_gt_u32_e32 vcc, s6, v13
	v_mov_b64_e32 v[4:5], v[8:9]
	s_waitcnt vmcnt(0)
	v_mov_b64_e32 v[2:3], v[8:9]
	s_and_saveexec_b64 s[72:73], vcc
	s_cbranch_execz .LBB58_61
; %bb.58:                               ;   in Loop: Header=BB58_7 Depth=1
	s_mov_b32 s94, 0
	s_mov_b64 s[76:77], 0
	v_mov_b32_e32 v8, v31
	v_mov_b32_e32 v16, v13
	s_mov_b32 s95, s94
	s_mov_b32 s96, s94
	;; [unrolled: 1-line block ×3, first 2 shown]
.LBB58_59:                              ;   Parent Loop BB58_7 Depth=1
                                        ; =>  This Inner Loop Header: Depth=2
	ds_read_b64 v[2:3], v8
	v_add_u32_e32 v16, s33, v16
	v_cmp_le_i32_e32 vcc, s6, v16
	v_add_u32_e32 v8, s90, v8
	s_waitcnt lgkmcnt(0)
	v_cmp_lt_i16_e64 s[2:3], -1, v2
	v_cmp_o_f16_e64 s[20:21], v3, v3
	s_nop 0
	v_cndmask_b32_e64 v4, v33, v35, s[2:3]
	v_cmp_gt_i16_sdwa s[2:3], v2, v36 src0_sel:WORD_1 src1_sel:DWORD
	v_cmp_o_f16_sdwa s[22:23], v3, v3 src0_sel:WORD_1 src1_sel:WORD_1
	v_cmp_o_f16_e64 s[24:25], v2, v2
	v_cndmask_b32_e64 v5, v33, v35, s[2:3]
	v_cmp_lt_i16_e64 s[2:3], -1, v3
	v_xor_b32_sdwa v5, v5, v2 dst_sel:DWORD dst_unused:UNUSED_PAD src0_sel:DWORD src1_sel:WORD_1
	s_nop 0
	v_cndmask_b32_e64 v17, v33, v35, s[2:3]
	v_cmp_gt_i16_sdwa s[2:3], v3, v36 src0_sel:WORD_1 src1_sel:DWORD
	v_bitop3_b32 v17, v17, v3, s99 bitop3:0x78
	s_nop 0
	v_cndmask_b32_e64 v18, v33, v35, s[2:3]
	v_xor_b32_sdwa v18, v18, v3 dst_sel:DWORD dst_unused:UNUSED_PAD src0_sel:DWORD src1_sel:WORD_1
	v_bitop3_b32 v3, v4, v2, s99 bitop3:0x78
	v_cmp_o_f16_sdwa s[2:3], v2, v2 src0_sel:WORD_1 src1_sel:WORD_1
	v_cndmask_b32_e64 v2, v33, v3, s[24:25]
	v_cndmask_b32_e64 v4, v33, v17, s[20:21]
	;; [unrolled: 1-line block ×3, first 2 shown]
	v_and_b32_e32 v17, v2, v39
	v_bfe_u32 v2, v2, v34, 2
	v_cndmask_b32_e64 v5, v33, v18, s[22:23]
	v_and_b32_e32 v18, v3, v39
	v_bfe_u32 v3, v3, v34, 2
	v_cmp_eq_u32_e64 s[2:3], v17, v29
	v_cmp_eq_u32_e64 s[26:27], 0, v2
	v_and_b32_e32 v19, v4, v39
	v_bfe_u32 v4, v4, v34, 2
	v_cmp_eq_u32_e64 s[20:21], v18, v29
	v_cmp_eq_u32_e64 s[28:29], 0, v3
	s_and_b64 s[26:27], s[2:3], s[26:27]
	v_and_b32_e32 v43, v5, v39
	v_bfe_u32 v5, v5, v34, 2
	v_cmp_eq_u32_e64 s[22:23], v19, v29
	v_cmp_eq_u32_e64 s[30:31], 0, v4
	;; [unrolled: 1-line block ×5, first 2 shown]
	v_cndmask_b32_e64 v2, 0, 1, s[26:27]
	s_and_b64 s[26:27], s[20:21], s[28:29]
	v_cmp_eq_u32_e64 s[24:25], v43, v29
	v_cmp_eq_u32_e64 s[34:35], 0, v5
	;; [unrolled: 1-line block ×5, first 2 shown]
	v_cndmask_b32_e64 v3, 0, 1, s[26:27]
	s_and_b64 s[26:27], s[22:23], s[30:31]
	v_cmp_eq_u32_e64 s[40:41], 1, v4
	v_cmp_eq_u32_e64 s[48:49], 2, v4
	;; [unrolled: 1-line block ×3, first 2 shown]
	v_cndmask_b32_e64 v4, 0, 1, s[26:27]
	s_and_b64 s[26:27], s[24:25], s[34:35]
	v_cmp_eq_u32_e64 s[42:43], 1, v5
	v_cmp_eq_u32_e64 s[50:51], 2, v5
	;; [unrolled: 1-line block ×3, first 2 shown]
	v_cndmask_b32_e64 v5, 0, 1, s[26:27]
	s_and_b64 s[26:27], s[2:3], s[36:37]
	v_cndmask_b32_e64 v17, 0, 1, s[26:27]
	s_and_b64 s[26:27], s[20:21], s[38:39]
	;; [unrolled: 2-line block ×5, first 2 shown]
	s_and_b64 s[2:3], s[2:3], s[52:53]
	v_cndmask_b32_e64 v44, 0, 1, s[26:27]
	s_and_b64 s[26:27], s[20:21], s[46:47]
	v_cndmask_b32_e64 v48, 0, 1, s[2:3]
	;; [unrolled: 2-line block ×7, first 2 shown]
	v_cndmask_b32_e64 v51, 0, 1, s[2:3]
	v_cmp_ne_u32_e64 s[2:3], 0, v2
	v_cmp_ne_u32_e64 s[20:21], 0, v3
	;; [unrolled: 1-line block ×11, first 2 shown]
	s_bcnt1_i32_b64 s2, s[2:3]
	s_bcnt1_i32_b64 s3, s[20:21]
	;; [unrolled: 1-line block ×8, first 2 shown]
	v_cmp_ne_u32_e64 s[34:35], 0, v43
	v_cmp_ne_u32_e64 s[40:41], 0, v46
	;; [unrolled: 1-line block ×3, first 2 shown]
	s_bcnt1_i32_b64 s23, s[28:29]
	s_bcnt1_i32_b64 s27, s[38:39]
	;; [unrolled: 1-line block ×3, first 2 shown]
	s_add_i32 s2, s94, s2
	s_add_i32 s22, s95, s22
	;; [unrolled: 1-line block ×4, first 2 shown]
	v_cmp_ne_u32_e64 s[42:43], 0, v47
	v_cmp_ne_u32_e64 s[50:51], 0, v51
	s_bcnt1_i32_b64 s25, s[34:35]
	s_bcnt1_i32_b64 s28, s[40:41]
	;; [unrolled: 1-line block ×3, first 2 shown]
	s_add_i32 s22, s22, s23
	s_add_i32 s2, s2, s3
	;; [unrolled: 1-line block ×4, first 2 shown]
	s_bcnt1_i32_b64 s29, s[42:43]
	s_bcnt1_i32_b64 s35, s[50:51]
	s_add_i32 s2, s2, s20
	s_add_i32 s20, s22, s24
	;; [unrolled: 1-line block ×8, first 2 shown]
	s_or_b64 s[76:77], vcc, s[76:77]
	v_mov_b64_e32 v[2:3], s[94:95]
	v_mov_b64_e32 v[4:5], s[96:97]
	s_andn2_b64 exec, exec, s[76:77]
	s_cbranch_execnz .LBB58_59
; %bb.60:                               ;   in Loop: Header=BB58_7 Depth=1
	s_or_b64 exec, exec, s[76:77]
.LBB58_61:                              ;   in Loop: Header=BB58_7 Depth=1
	s_or_b64 exec, exec, s[72:73]
	v_add_u32_e32 v8, s6, v0
	v_cmp_gt_i32_e32 vcc, s17, v8
	s_and_saveexec_b64 s[28:29], vcc
	s_cbranch_execz .LBB58_65
; %bb.62:                               ;   in Loop: Header=BB58_7 Depth=1
	v_lshlrev_b32_e32 v16, 1, v8
	s_mov_b64 s[30:31], 0
.LBB58_63:                              ;   Parent Loop BB58_7 Depth=1
                                        ; =>  This Inner Loop Header: Depth=2
	ds_read_u16 v17, v16
	v_add_u32_e32 v8, s70, v8
	v_cmp_le_i32_e32 vcc, s17, v8
	v_add_u32_e32 v16, s91, v16
	s_waitcnt lgkmcnt(0)
	v_cmp_lt_i16_e64 s[2:3], -1, v17
	s_nop 1
	v_cndmask_b32_e64 v18, v33, v35, s[2:3]
	v_xor_b32_sdwa v18, v18, v17 dst_sel:DWORD dst_unused:UNUSED_PAD src0_sel:DWORD src1_sel:WORD_0
	v_cmp_o_f16_e64 s[2:3], v17, v17
	s_nop 1
	v_cndmask_b32_e64 v17, v33, v18, s[2:3]
	v_and_b32_e32 v18, v17, v39
	v_bfe_u32 v17, v17, v34, 2
	v_cmp_eq_u32_e64 s[2:3], v18, v29
	v_cmp_eq_u32_e64 s[20:21], 0, v17
	;; [unrolled: 1-line block ×3, first 2 shown]
	s_and_b64 s[20:21], s[2:3], s[20:21]
	v_cmp_eq_u32_e64 s[24:25], 2, v17
	v_cmp_eq_u32_e64 s[26:27], 3, v17
	v_cndmask_b32_e64 v17, 0, 1, s[20:21]
	s_and_b64 s[20:21], s[2:3], s[22:23]
	v_cndmask_b32_e64 v18, 0, 1, s[20:21]
	s_and_b64 s[20:21], s[2:3], s[24:25]
	s_and_b64 s[2:3], s[2:3], s[26:27]
	v_cndmask_b32_e64 v19, 0, 1, s[20:21]
	v_cndmask_b32_e64 v43, 0, 1, s[2:3]
	v_cmp_ne_u32_e64 s[2:3], 0, v17
	v_cmp_ne_u32_e64 s[20:21], 0, v18
	;; [unrolled: 1-line block ×4, first 2 shown]
	s_bcnt1_i32_b64 s2, s[2:3]
	s_bcnt1_i32_b64 s3, s[20:21]
	;; [unrolled: 1-line block ×4, first 2 shown]
	v_add_u32_e32 v3, s3, v3
	v_add_u32_e32 v2, s2, v2
	;; [unrolled: 1-line block ×3, first 2 shown]
	s_or_b64 s[30:31], vcc, s[30:31]
	v_add_u32_e32 v4, s6, v4
	s_andn2_b64 exec, exec, s[30:31]
	s_cbranch_execnz .LBB58_63
; %bb.64:                               ;   in Loop: Header=BB58_7 Depth=1
	s_or_b64 exec, exec, s[30:31]
.LBB58_65:                              ;   in Loop: Header=BB58_7 Depth=1
	s_or_b64 exec, exec, s[28:29]
	s_lshl_b32 s6, s16, 6
	s_and_saveexec_b64 s[2:3], s[18:19]
	s_cbranch_execnz .LBB58_37
	s_branch .LBB58_38
.LBB58_66:                              ;   in Loop: Header=BB58_7 Depth=1
	s_or_b64 exec, exec, s[22:23]
	s_waitcnt lgkmcnt(0)
	s_barrier
	s_and_saveexec_b64 s[2:3], s[0:1]
	s_cbranch_execz .LBB58_68
; %bb.67:                               ;   in Loop: Header=BB58_7 Depth=1
	ds_read_b32 v2, v9 offset:4104
	s_waitcnt lgkmcnt(0)
	ds_write_b32 v9, v2 offset:4096
.LBB58_68:                              ;   in Loop: Header=BB58_7 Depth=1
	s_or_b64 exec, exec, s[2:3]
	s_waitcnt lgkmcnt(0)
	s_barrier
	s_mov_b64 s[2:3], -1
	s_and_b64 vcc, exec, s[20:21]
	s_cbranch_vccnz .LBB58_22
	s_branch .LBB58_32
.LBB58_69:                              ;   in Loop: Header=BB58_7 Depth=1
	v_mov_b32_e32 v2, 0
	s_mov_b32 s17, 0
	s_cbranch_execnz .LBB58_74
	s_branch .LBB58_76
.LBB58_70:                              ;   in Loop: Header=BB58_7 Depth=1
	v_mov_b32_e32 v8, v9
	s_mov_b32 s20, 0
	v_mov_b64_e32 v[2:3], v[8:9]
	s_mov_b32 s21, 1
.LBB58_71:                              ;   in Loop: Header=BB58_7 Depth=1
	v_readlane_b32 s22, v56, 42
	v_readlane_b32 s23, v56, 43
	s_andn2_b64 vcc, exec, s[22:23]
	v_readlane_b32 s17, v56, 41
	s_cbranch_vccnz .LBB58_73
.LBB58_72:                              ;   Parent Loop BB58_7 Depth=1
                                        ; =>  This Inner Loop Header: Depth=2
	v_lshl_add_u32 v8, s20, 4, v5
	v_lshl_add_u32 v16, s21, 4, v5
	ds_read_b32 v16, v16
	ds_read_b32 v8, v8
	s_add_i32 s21, s21, 2
	s_add_i32 s20, s20, 2
	s_add_i32 s17, s17, -1
	s_cmp_lg_u32 s17, 0
	s_waitcnt lgkmcnt(1)
	v_add_u32_e32 v3, v16, v3
	s_waitcnt lgkmcnt(0)
	v_add_u32_e32 v2, v8, v2
	s_cbranch_scc1 .LBB58_72
.LBB58_73:                              ;   in Loop: Header=BB58_7 Depth=1
	v_readlane_b32 s20, v56, 46
	v_add_u32_e32 v2, v2, v3
	v_readlane_b32 s17, v56, 45
	v_readlane_b32 s21, v56, 47
	s_and_b64 vcc, exec, s[20:21]
	s_cbranch_vccz .LBB58_76
.LBB58_74:                              ;   in Loop: Header=BB58_7 Depth=1
	s_lshl_b32 s20, s16, 8
	s_lshl_b32 s21, s17, 4
	s_add_i32 s20, s20, s21
	v_add_u32_e32 v3, s20, v32
	v_readlane_b32 s20, v56, 44
	s_sub_i32 s17, s20, s17
.LBB58_75:                              ;   Parent Loop BB58_7 Depth=1
                                        ; =>  This Inner Loop Header: Depth=2
	ds_read_b32 v5, v3
	s_add_i32 s17, s17, -1
	v_add_u32_e32 v3, 16, v3
	s_cmp_eq_u32 s17, 0
	s_waitcnt lgkmcnt(0)
	v_add_u32_e32 v2, v5, v2
	s_cbranch_scc0 .LBB58_75
.LBB58_76:                              ;   in Loop: Header=BB58_7 Depth=1
	v_lshlrev_b32_e32 v3, 2, v4
	ds_write_b32 v3, v2 offset:3072
.LBB58_77:                              ;   in Loop: Header=BB58_7 Depth=1
	s_or_b64 exec, exec, s[2:3]
	s_lshl_b32 s2, s6, 2
	s_waitcnt vmcnt(0)
	v_mov_b32_e32 v2, s2
	s_waitcnt lgkmcnt(0)
	s_barrier
	ds_read_b128 v[2:5], v2 offset:3072
	v_cmp_eq_u32_e32 vcc, 1, v41
	s_mov_b64 s[20:21], -1
	s_mov_b64 s[28:29], -1
                                        ; implicit-def: $sgpr26_sgpr27
                                        ; implicit-def: $sgpr24_sgpr25
	s_waitcnt lgkmcnt(0)
	v_readfirstlane_b32 s42, v2
	s_cmp_eq_u32 s42, 1
	v_readfirstlane_b32 s54, v4
	v_lshlrev_b32_e64 v4, v34, 3
	s_cselect_b64 s[2:3], -1, 0
	v_readfirstlane_b32 s46, v3
	v_readfirstlane_b32 s17, v5
	v_not_b32_e32 v8, v4
	s_and_b64 s[22:23], s[2:3], vcc
	s_and_saveexec_b64 s[2:3], s[22:23]
	s_cbranch_execz .LBB58_105
; %bb.78:                               ;   in Loop: Header=BB58_7 Depth=1
	ds_read_b32 v2, v9 offset:4096
	s_waitcnt lgkmcnt(0)
	s_barrier
	v_readfirstlane_b32 s6, v2
	s_and_saveexec_b64 s[24:25], s[4:5]
; %bb.79:                               ;   in Loop: Header=BB58_7 Depth=1
	ds_write_b16 v22, v9
; %bb.80:                               ;   in Loop: Header=BB58_7 Depth=1
	s_or_b64 exec, exec, s[24:25]
	v_and_b32_e32 v29, v29, v8
	v_or_b32_e32 v39, v39, v4
	s_mov_b64 s[24:25], -1
	s_mov_b64 s[26:27], 0
	s_cmp_lt_i32 s6, 1
	s_mov_b64 s[28:29], 0
	s_mov_b64 s[30:31], -1
	s_waitcnt lgkmcnt(0)
	s_barrier
                                        ; implicit-def: $vgpr40
	s_cbranch_scc0 .LBB58_92
; %bb.81:                               ;   in Loop: Header=BB58_7 Depth=1
	s_mov_b64 s[30:31], 0
                                        ; implicit-def: $vgpr40
	s_mov_b64 s[34:35], exec
	v_readlane_b32 s36, v56, 48
	v_readlane_b32 s37, v56, 49
	s_and_b64 s[36:37], s[34:35], s[36:37]
	s_mov_b64 exec, s[36:37]
	s_cbranch_execz .LBB58_91
; %bb.82:                               ;   in Loop: Header=BB58_7 Depth=1
	v_mov_b32_e32 v2, v6
	v_mov_b32_e32 v5, v0
                                        ; implicit-def: $sgpr36_sgpr37
	s_branch .LBB58_86
.LBB58_83:                              ;   in Loop: Header=BB58_86 Depth=2
	s_or_b64 exec, exec, s[38:39]
	s_waitcnt lgkmcnt(0)
	s_barrier
	ds_read_b32 v3, v9 offset:3072
	s_waitcnt lgkmcnt(0)
	s_barrier
	v_cmp_neq_f16_e32 vcc, 0, v3
	s_cbranch_vccnz .LBB58_89
; %bb.84:                               ;   in Loop: Header=BB58_86 Depth=2
	v_add_u32_e32 v5, s70, v5
	v_cmp_le_i32_e32 vcc, s92, v5
	v_add_u32_e32 v2, s98, v2
	s_mov_b64 s[38:39], 0
	s_orn2_b64 s[40:41], vcc, exec
.LBB58_85:                              ;   in Loop: Header=BB58_86 Depth=2
	s_and_b64 s[40:41], exec, s[40:41]
	s_or_b64 s[28:29], s[40:41], s[28:29]
	s_andn2_b64 s[36:37], s[36:37], exec
	s_and_b64 s[38:39], s[38:39], exec
	s_or_b64 s[36:37], s[36:37], s[38:39]
	s_andn2_b64 exec, exec, s[28:29]
	s_cbranch_execz .LBB58_90
.LBB58_86:                              ;   Parent Loop BB58_7 Depth=1
                                        ; =>  This Inner Loop Header: Depth=2
	v_cmp_gt_i32_e32 vcc, s68, v5
	s_and_saveexec_b64 s[38:39], vcc
	s_cbranch_execz .LBB58_83
; %bb.87:                               ;   in Loop: Header=BB58_86 Depth=2
	v_ashrrev_i32_e32 v3, 31, v2
	v_lshl_add_u64 v[16:17], v[2:3], 1, s[80:81]
	global_load_ushort v3, v[16:17], off
	s_waitcnt vmcnt(0)
	v_cmp_lt_i16_e32 vcc, -1, v3
	s_nop 1
	v_cndmask_b32_e32 v16, v33, v35, vcc
	v_xor_b32_sdwa v16, v16, v3 dst_sel:DWORD dst_unused:UNUSED_PAD src0_sel:DWORD src1_sel:WORD_0
	v_cmp_o_f16_e32 vcc, v3, v3
	s_nop 1
	v_cndmask_b32_e32 v16, v33, v16, vcc
	v_and_b32_e32 v16, v16, v39
	v_cmp_eq_u32_e32 vcc, v16, v29
	s_and_b64 exec, exec, vcc
	s_cbranch_execz .LBB58_83
; %bb.88:                               ;   in Loop: Header=BB58_86 Depth=2
	v_perm_b32 v3, v3, s69, v38
	ds_write_b32 v9, v3 offset:3072
	s_branch .LBB58_83
.LBB58_89:                              ;   in Loop: Header=BB58_86 Depth=2
	s_mov_b64 s[40:41], -1
                                        ; implicit-def: $vgpr5
                                        ; implicit-def: $vgpr2
	s_mov_b64 s[38:39], -1
	s_branch .LBB58_85
.LBB58_90:                              ;   in Loop: Header=BB58_7 Depth=1
	s_or_b64 exec, exec, s[28:29]
	v_lshrrev_b32_e32 v40, 16, v3
	s_and_b64 s[28:29], s[36:37], exec
.LBB58_91:                              ;   in Loop: Header=BB58_7 Depth=1
	s_or_b64 exec, exec, s[34:35]
.LBB58_92:                              ;   in Loop: Header=BB58_7 Depth=1
	s_and_b64 vcc, exec, s[30:31]
	s_cbranch_vccz .LBB58_104
; %bb.93:                               ;   in Loop: Header=BB58_7 Depth=1
	v_readlane_b32 s24, v56, 29
	s_add_i32 s38, s6, s24
	s_abs_i32 s25, s38
	s_mul_hi_u32 s26, s25, s9
	s_mul_i32 s26, s26, s70
	s_sub_i32 s25, s25, s26
	s_ashr_i32 s24, s38, 31
	s_sub_i32 s26, s25, s70
	s_cmp_ge_u32 s25, s70
	s_cselect_b32 s25, s26, s25
	s_sub_i32 s26, s25, s70
	s_cmp_ge_u32 s25, s70
	s_cselect_b32 s25, s26, s25
	s_xor_b32 s25, s25, s24
	s_sub_i32 s24, s24, s25
	s_add_i32 s38, s38, s24
	v_cmp_gt_i32_e32 vcc, s38, v0
                                        ; implicit-def: $vgpr40
	s_and_saveexec_b64 s[24:25], vcc
	s_cbranch_execz .LBB58_103
; %bb.94:                               ;   in Loop: Header=BB58_7 Depth=1
	s_mov_b64 s[26:27], 0
	v_mov_b32_e32 v2, v21
	v_mov_b32_e32 v3, v0
                                        ; implicit-def: $sgpr30_sgpr31
	s_branch .LBB58_98
.LBB58_95:                              ;   in Loop: Header=BB58_98 Depth=2
	s_or_b64 exec, exec, s[34:35]
	s_waitcnt lgkmcnt(0)
	s_barrier
	ds_read_b32 v5, v9 offset:3072
	s_waitcnt lgkmcnt(0)
	s_barrier
	v_cmp_neq_f16_e32 vcc, 0, v5
	s_cbranch_vccnz .LBB58_101
; %bb.96:                               ;   in Loop: Header=BB58_98 Depth=2
	v_add_u32_e32 v3, s70, v3
	v_cmp_le_i32_e32 vcc, s38, v3
	v_add_u32_e32 v2, s91, v2
	s_mov_b64 s[34:35], 0
	s_orn2_b64 s[36:37], vcc, exec
.LBB58_97:                              ;   in Loop: Header=BB58_98 Depth=2
	s_and_b64 s[36:37], exec, s[36:37]
	s_or_b64 s[26:27], s[36:37], s[26:27]
	s_andn2_b64 s[30:31], s[30:31], exec
	s_and_b64 s[34:35], s[34:35], exec
	s_or_b64 s[30:31], s[30:31], s[34:35]
	s_andn2_b64 exec, exec, s[26:27]
	s_cbranch_execz .LBB58_102
.LBB58_98:                              ;   Parent Loop BB58_7 Depth=1
                                        ; =>  This Inner Loop Header: Depth=2
	v_cmp_gt_i32_e32 vcc, s6, v3
	s_and_saveexec_b64 s[34:35], vcc
	s_cbranch_execz .LBB58_95
; %bb.99:                               ;   in Loop: Header=BB58_98 Depth=2
	ds_read_u16 v5, v2
	s_waitcnt lgkmcnt(0)
	v_cmp_lt_i16_e32 vcc, -1, v5
	s_nop 1
	v_cndmask_b32_e32 v16, v33, v35, vcc
	v_xor_b32_sdwa v16, v16, v5 dst_sel:DWORD dst_unused:UNUSED_PAD src0_sel:DWORD src1_sel:WORD_0
	v_cmp_o_f16_e32 vcc, v5, v5
	s_nop 1
	v_cndmask_b32_e32 v16, v33, v16, vcc
	v_and_b32_e32 v16, v16, v39
	v_cmp_eq_u32_e32 vcc, v16, v29
	s_and_b64 exec, exec, vcc
	s_cbranch_execz .LBB58_95
; %bb.100:                              ;   in Loop: Header=BB58_98 Depth=2
	v_perm_b32 v5, v5, s69, v38
	ds_write_b32 v9, v5 offset:3072
	s_branch .LBB58_95
.LBB58_101:                             ;   in Loop: Header=BB58_98 Depth=2
	s_mov_b64 s[36:37], -1
                                        ; implicit-def: $vgpr3
                                        ; implicit-def: $vgpr2
	s_mov_b64 s[34:35], -1
	s_branch .LBB58_97
.LBB58_102:                             ;   in Loop: Header=BB58_7 Depth=1
	s_or_b64 exec, exec, s[26:27]
	s_andn2_b64 s[26:27], s[28:29], exec
	s_and_b64 s[28:29], s[30:31], exec
	v_lshrrev_b32_e32 v40, 16, v5
	s_or_b64 s[28:29], s[26:27], s[28:29]
.LBB58_103:                             ;   in Loop: Header=BB58_7 Depth=1
	s_or_b64 exec, exec, s[24:25]
	s_mov_b64 s[24:25], 0
	s_mov_b64 s[26:27], -1
.LBB58_104:                             ;   in Loop: Header=BB58_7 Depth=1
	s_orn2_b64 s[28:29], s[28:29], exec
.LBB58_105:                             ;   in Loop: Header=BB58_7 Depth=1
	s_or_b64 exec, exec, s[2:3]
	s_andn2_b64 s[2:3], s[82:83], exec
	s_and_b64 s[26:27], s[26:27], exec
	s_or_b64 s[82:83], s[2:3], s[26:27]
	s_andn2_b64 s[2:3], s[66:67], exec
	s_and_b64 s[24:25], s[24:25], exec
	v_readfirstlane_b32 s6, v0
	s_andn2_b64 s[64:65], s[64:65], exec
	s_or_b64 s[66:67], s[2:3], s[24:25]
                                        ; implicit-def: $vgpr16
	s_and_saveexec_b64 s[2:3], s[28:29]
	s_cbranch_execz .LBB58_6
; %bb.106:                              ;   in Loop: Header=BB58_7 Depth=1
	s_xor_b64 s[24:25], s[22:23], -1
	s_mov_b64 s[22:23], 0
	v_mov_b32_e32 v16, 1
	v_mov_b32_e32 v5, 1
	s_and_saveexec_b64 s[20:21], s[24:25]
	s_cbranch_execz .LBB58_115
; %bb.107:                              ;   in Loop: Header=BB58_7 Depth=1
	v_cmp_ge_i32_e32 vcc, s42, v41
	s_and_saveexec_b64 s[22:23], vcc
	s_xor_b64 s[22:23], exec, s[22:23]
	s_cbranch_execz .LBB58_112
; %bb.108:                              ;   in Loop: Header=BB58_7 Depth=1
	ds_read_b32 v2, v9 offset:4096
	v_and_b32_e32 v29, v29, v8
	v_or_b32_e32 v39, v39, v4
	s_waitcnt lgkmcnt(0)
	v_cmp_ne_u32_e32 vcc, 0, v2
	s_cbranch_vccnz .LBB58_112
; %bb.109:                              ;   in Loop: Header=BB58_7 Depth=1
	s_and_saveexec_b64 s[24:25], s[0:1]
; %bb.110:                              ;   in Loop: Header=BB58_7 Depth=1
	v_mov_b32_e32 v2, s42
	ds_write_b32 v9, v2 offset:4100
; %bb.111:                              ;   in Loop: Header=BB58_7 Depth=1
	s_or_b64 exec, exec, s[24:25]
	s_waitcnt lgkmcnt(0)
	s_barrier
.LBB58_112:                             ;   in Loop: Header=BB58_7 Depth=1
	s_or_saveexec_b64 s[22:23], s[22:23]
	s_mov_b64 s[24:25], 0
	v_mov_b32_e32 v5, 8
	s_xor_b64 exec, exec, s[22:23]
; %bb.113:                              ;   in Loop: Header=BB58_7 Depth=1
	s_mov_b64 s[24:25], exec
	v_subrev_u32_e32 v41, s42, v41
	v_mov_b32_e32 v5, 0
; %bb.114:                              ;   in Loop: Header=BB58_7 Depth=1
	s_or_b64 exec, exec, s[22:23]
	s_and_b64 s[22:23], s[24:25], exec
	v_mov_b32_e32 v16, v41
.LBB58_115:                             ;   in Loop: Header=BB58_7 Depth=1
	s_or_b64 exec, exec, s[20:21]
	s_mov_b64 s[20:21], -1
	s_mov_b64 s[28:29], -1
                                        ; implicit-def: $sgpr24_sgpr25
                                        ; implicit-def: $sgpr26_sgpr27
	s_and_saveexec_b64 s[30:31], s[22:23]
	s_xor_b64 s[22:23], exec, s[30:31]
	s_cbranch_execz .LBB58_238
; %bb.116:                              ;   in Loop: Header=BB58_7 Depth=1
	s_cmp_eq_u32 s46, 1
	s_cselect_b64 s[24:25], -1, 0
	v_cmp_eq_u32_e32 vcc, 1, v16
	s_and_b64 s[30:31], s[24:25], vcc
	s_mov_b64 s[34:35], -1
                                        ; implicit-def: $sgpr26_sgpr27
                                        ; implicit-def: $sgpr24_sgpr25
	s_and_saveexec_b64 s[28:29], s[30:31]
	s_cbranch_execz .LBB58_144
; %bb.117:                              ;   in Loop: Header=BB58_7 Depth=1
	ds_read_b32 v2, v9 offset:4096
	s_waitcnt lgkmcnt(0)
	s_barrier
	v_readfirstlane_b32 s6, v2
	s_and_saveexec_b64 s[24:25], s[4:5]
; %bb.118:                              ;   in Loop: Header=BB58_7 Depth=1
	ds_write_b16 v22, v9
; %bb.119:                              ;   in Loop: Header=BB58_7 Depth=1
	s_or_b64 exec, exec, s[24:25]
	v_and_b32_e32 v2, v29, v8
	v_lshl_or_b32 v29, 1, v34, v2
	v_or_b32_e32 v39, v39, v4
	s_mov_b64 s[24:25], -1
	s_mov_b64 s[26:27], 0
	s_cmp_gt_i32 s6, 0
	s_mov_b64 s[34:35], 0
	s_mov_b64 s[36:37], -1
	s_waitcnt lgkmcnt(0)
	s_barrier
                                        ; implicit-def: $vgpr40
	s_cbranch_scc1 .LBB58_131
; %bb.120:                              ;   in Loop: Header=BB58_7 Depth=1
	s_mov_b64 s[36:37], 0
                                        ; implicit-def: $vgpr40
	s_mov_b64 s[38:39], exec
	v_readlane_b32 s40, v56, 48
	v_readlane_b32 s41, v56, 49
	s_and_b64 s[40:41], s[38:39], s[40:41]
	s_mov_b64 exec, s[40:41]
	s_cbranch_execz .LBB58_130
; %bb.121:                              ;   in Loop: Header=BB58_7 Depth=1
	v_mov_b32_e32 v2, v6
	v_mov_b32_e32 v17, v0
                                        ; implicit-def: $sgpr40_sgpr41
	s_branch .LBB58_125
.LBB58_122:                             ;   in Loop: Header=BB58_125 Depth=2
	s_or_b64 exec, exec, s[42:43]
	s_waitcnt lgkmcnt(0)
	s_barrier
	ds_read_b32 v3, v9 offset:3072
	s_waitcnt lgkmcnt(0)
	s_barrier
	v_cmp_neq_f16_e32 vcc, 0, v3
	s_cbranch_vccnz .LBB58_128
; %bb.123:                              ;   in Loop: Header=BB58_125 Depth=2
	v_add_u32_e32 v17, s70, v17
	v_cmp_le_i32_e32 vcc, s92, v17
	v_add_u32_e32 v2, s98, v2
	s_mov_b64 s[42:43], 0
	s_orn2_b64 s[44:45], vcc, exec
.LBB58_124:                             ;   in Loop: Header=BB58_125 Depth=2
	s_and_b64 s[44:45], exec, s[44:45]
	s_or_b64 s[34:35], s[44:45], s[34:35]
	s_andn2_b64 s[40:41], s[40:41], exec
	s_and_b64 s[42:43], s[42:43], exec
	s_or_b64 s[40:41], s[40:41], s[42:43]
	s_andn2_b64 exec, exec, s[34:35]
	s_cbranch_execz .LBB58_129
.LBB58_125:                             ;   Parent Loop BB58_7 Depth=1
                                        ; =>  This Inner Loop Header: Depth=2
	v_cmp_gt_i32_e32 vcc, s68, v17
	s_and_saveexec_b64 s[42:43], vcc
	s_cbranch_execz .LBB58_122
; %bb.126:                              ;   in Loop: Header=BB58_125 Depth=2
	v_ashrrev_i32_e32 v3, 31, v2
	v_lshl_add_u64 v[18:19], v[2:3], 1, s[80:81]
	global_load_ushort v3, v[18:19], off
	s_waitcnt vmcnt(0)
	v_cmp_lt_i16_e32 vcc, -1, v3
	s_nop 1
	v_cndmask_b32_e32 v18, v33, v35, vcc
	v_xor_b32_sdwa v18, v18, v3 dst_sel:DWORD dst_unused:UNUSED_PAD src0_sel:DWORD src1_sel:WORD_0
	v_cmp_o_f16_e32 vcc, v3, v3
	s_nop 1
	v_cndmask_b32_e32 v18, v33, v18, vcc
	v_and_b32_e32 v18, v18, v39
	v_cmp_eq_u32_e32 vcc, v18, v29
	s_and_b64 exec, exec, vcc
	s_cbranch_execz .LBB58_122
; %bb.127:                              ;   in Loop: Header=BB58_125 Depth=2
	v_perm_b32 v3, v3, s69, v38
	ds_write_b32 v9, v3 offset:3072
	s_branch .LBB58_122
.LBB58_128:                             ;   in Loop: Header=BB58_125 Depth=2
	s_mov_b64 s[44:45], -1
                                        ; implicit-def: $vgpr17
                                        ; implicit-def: $vgpr2
	s_mov_b64 s[42:43], -1
	s_branch .LBB58_124
.LBB58_129:                             ;   in Loop: Header=BB58_7 Depth=1
	s_or_b64 exec, exec, s[34:35]
	v_lshrrev_b32_e32 v40, 16, v3
	s_and_b64 s[34:35], s[40:41], exec
.LBB58_130:                             ;   in Loop: Header=BB58_7 Depth=1
	s_or_b64 exec, exec, s[38:39]
.LBB58_131:                             ;   in Loop: Header=BB58_7 Depth=1
	s_and_b64 vcc, exec, s[36:37]
	s_cbranch_vccz .LBB58_143
; %bb.132:                              ;   in Loop: Header=BB58_7 Depth=1
	v_readlane_b32 s24, v56, 29
	s_add_i32 s42, s6, s24
	s_abs_i32 s25, s42
	s_mul_hi_u32 s26, s25, s9
	s_mul_i32 s26, s26, s70
	s_sub_i32 s25, s25, s26
	s_ashr_i32 s24, s42, 31
	s_sub_i32 s26, s25, s70
	s_cmp_ge_u32 s25, s70
	s_cselect_b32 s25, s26, s25
	s_sub_i32 s26, s25, s70
	s_cmp_ge_u32 s25, s70
	s_cselect_b32 s25, s26, s25
	s_xor_b32 s25, s25, s24
	s_sub_i32 s24, s24, s25
	s_add_i32 s42, s42, s24
	v_cmp_gt_i32_e32 vcc, s42, v0
                                        ; implicit-def: $vgpr40
	s_and_saveexec_b64 s[24:25], vcc
	s_cbranch_execz .LBB58_142
; %bb.133:                              ;   in Loop: Header=BB58_7 Depth=1
	s_mov_b64 s[26:27], 0
	v_mov_b32_e32 v2, v21
	v_mov_b32_e32 v3, v0
                                        ; implicit-def: $sgpr36_sgpr37
	s_branch .LBB58_137
.LBB58_134:                             ;   in Loop: Header=BB58_137 Depth=2
	s_or_b64 exec, exec, s[38:39]
	s_waitcnt lgkmcnt(0)
	s_barrier
	ds_read_b32 v17, v9 offset:3072
	s_waitcnt lgkmcnt(0)
	s_barrier
	v_cmp_eq_f16_e32 vcc, 0, v17
	s_cbranch_vccz .LBB58_140
; %bb.135:                              ;   in Loop: Header=BB58_137 Depth=2
	v_add_u32_e32 v3, s70, v3
	v_cmp_le_i32_e32 vcc, s42, v3
	v_add_u32_e32 v2, s91, v2
	s_mov_b64 s[38:39], 0
	s_orn2_b64 s[40:41], vcc, exec
.LBB58_136:                             ;   in Loop: Header=BB58_137 Depth=2
	s_and_b64 s[40:41], exec, s[40:41]
	s_or_b64 s[26:27], s[40:41], s[26:27]
	s_andn2_b64 s[36:37], s[36:37], exec
	s_and_b64 s[38:39], s[38:39], exec
	s_or_b64 s[36:37], s[36:37], s[38:39]
	s_andn2_b64 exec, exec, s[26:27]
	s_cbranch_execz .LBB58_141
.LBB58_137:                             ;   Parent Loop BB58_7 Depth=1
                                        ; =>  This Inner Loop Header: Depth=2
	v_cmp_gt_i32_e32 vcc, s6, v3
	s_and_saveexec_b64 s[38:39], vcc
	s_cbranch_execz .LBB58_134
; %bb.138:                              ;   in Loop: Header=BB58_137 Depth=2
	ds_read_u16 v17, v2
	s_waitcnt lgkmcnt(0)
	v_cmp_lt_i16_e32 vcc, -1, v17
	s_nop 1
	v_cndmask_b32_e32 v18, v33, v35, vcc
	v_xor_b32_sdwa v18, v18, v17 dst_sel:DWORD dst_unused:UNUSED_PAD src0_sel:DWORD src1_sel:WORD_0
	v_cmp_o_f16_e32 vcc, v17, v17
	s_nop 1
	v_cndmask_b32_e32 v18, v33, v18, vcc
	v_and_b32_e32 v18, v18, v39
	v_cmp_eq_u32_e32 vcc, v18, v29
	s_and_b64 exec, exec, vcc
	s_cbranch_execz .LBB58_134
; %bb.139:                              ;   in Loop: Header=BB58_137 Depth=2
	v_perm_b32 v17, v17, s69, v38
	ds_write_b32 v9, v17 offset:3072
	s_branch .LBB58_134
.LBB58_140:                             ;   in Loop: Header=BB58_137 Depth=2
	s_mov_b64 s[40:41], -1
                                        ; implicit-def: $vgpr3
                                        ; implicit-def: $vgpr2
	s_mov_b64 s[38:39], -1
	s_branch .LBB58_136
.LBB58_141:                             ;   in Loop: Header=BB58_7 Depth=1
	s_or_b64 exec, exec, s[26:27]
	s_andn2_b64 s[26:27], s[34:35], exec
	s_and_b64 s[34:35], s[36:37], exec
	v_lshrrev_b32_e32 v40, 16, v17
	s_or_b64 s[34:35], s[26:27], s[34:35]
.LBB58_142:                             ;   in Loop: Header=BB58_7 Depth=1
	s_or_b64 exec, exec, s[24:25]
	s_mov_b64 s[24:25], 0
	s_mov_b64 s[26:27], -1
.LBB58_143:                             ;   in Loop: Header=BB58_7 Depth=1
	s_orn2_b64 s[34:35], s[34:35], exec
.LBB58_144:                             ;   in Loop: Header=BB58_7 Depth=1
	s_or_b64 exec, exec, s[28:29]
	s_mov_b64 s[36:37], 0
	s_and_saveexec_b64 s[28:29], s[34:35]
	s_cbranch_execz .LBB58_237
; %bb.145:                              ;   in Loop: Header=BB58_7 Depth=1
	s_xor_b64 s[34:35], s[30:31], -1
	s_mov_b64 s[40:41], 0
	v_mov_b32_e32 v17, 1
	v_mov_b32_e32 v5, 1
	s_and_saveexec_b64 s[30:31], s[34:35]
	s_cbranch_execz .LBB58_154
; %bb.146:                              ;   in Loop: Header=BB58_7 Depth=1
	v_cmp_ge_i32_e32 vcc, s46, v16
	s_and_saveexec_b64 s[34:35], vcc
	s_xor_b64 s[34:35], exec, s[34:35]
	s_cbranch_execz .LBB58_151
; %bb.147:                              ;   in Loop: Header=BB58_7 Depth=1
	ds_read_b32 v2, v9 offset:4096
	v_and_b32_e32 v3, v29, v8
	v_lshl_or_b32 v29, 1, v34, v3
	v_or_b32_e32 v39, v39, v4
	s_waitcnt lgkmcnt(0)
	v_cmp_ne_u32_e32 vcc, 0, v2
	s_cbranch_vccnz .LBB58_151
; %bb.148:                              ;   in Loop: Header=BB58_7 Depth=1
	s_and_saveexec_b64 s[36:37], s[0:1]
; %bb.149:                              ;   in Loop: Header=BB58_7 Depth=1
	v_mov_b32_e32 v2, s46
	ds_write_b32 v9, v2 offset:4100
; %bb.150:                              ;   in Loop: Header=BB58_7 Depth=1
	s_or_b64 exec, exec, s[36:37]
	s_waitcnt lgkmcnt(0)
	s_barrier
.LBB58_151:                             ;   in Loop: Header=BB58_7 Depth=1
	s_or_saveexec_b64 s[34:35], s[34:35]
	s_mov_b64 s[36:37], 0
	v_mov_b32_e32 v5, 8
	s_xor_b64 exec, exec, s[34:35]
; %bb.152:                              ;   in Loop: Header=BB58_7 Depth=1
	s_mov_b64 s[36:37], exec
	v_subrev_u32_e32 v16, s46, v16
	v_mov_b32_e32 v5, 0
; %bb.153:                              ;   in Loop: Header=BB58_7 Depth=1
	s_or_b64 exec, exec, s[34:35]
	s_and_b64 s[40:41], s[36:37], exec
	v_mov_b32_e32 v17, v16
.LBB58_154:                             ;   in Loop: Header=BB58_7 Depth=1
	s_or_b64 exec, exec, s[30:31]
	s_mov_b64 s[38:39], -1
                                        ; implicit-def: $sgpr34_sgpr35
                                        ; implicit-def: $sgpr36_sgpr37
	s_and_saveexec_b64 s[30:31], s[40:41]
	s_cbranch_execz .LBB58_236
; %bb.155:                              ;   in Loop: Header=BB58_7 Depth=1
	s_cmp_eq_u32 s54, 1
	s_cselect_b64 s[34:35], -1, 0
	v_cmp_eq_u32_e32 vcc, 1, v17
	s_and_b64 s[40:41], s[34:35], vcc
	s_mov_b64 s[42:43], -1
                                        ; implicit-def: $sgpr36_sgpr37
                                        ; implicit-def: $sgpr34_sgpr35
	s_and_saveexec_b64 s[38:39], s[40:41]
	s_cbranch_execz .LBB58_183
; %bb.156:                              ;   in Loop: Header=BB58_7 Depth=1
	ds_read_b32 v2, v9 offset:4096
	s_waitcnt lgkmcnt(0)
	s_barrier
	v_readfirstlane_b32 s6, v2
	s_and_saveexec_b64 s[34:35], s[4:5]
; %bb.157:                              ;   in Loop: Header=BB58_7 Depth=1
	ds_write_b16 v22, v9
; %bb.158:                              ;   in Loop: Header=BB58_7 Depth=1
	s_or_b64 exec, exec, s[34:35]
	v_and_b32_e32 v2, v29, v8
	v_lshl_or_b32 v29, 2, v34, v2
	v_or_b32_e32 v39, v39, v4
	s_mov_b64 s[34:35], -1
	s_mov_b64 s[36:37], 0
	s_cmp_gt_i32 s6, 0
	s_mov_b64 s[42:43], 0
	s_mov_b64 s[44:45], -1
	s_waitcnt lgkmcnt(0)
	s_barrier
                                        ; implicit-def: $vgpr40
	s_cbranch_scc1 .LBB58_170
; %bb.159:                              ;   in Loop: Header=BB58_7 Depth=1
	s_mov_b64 s[44:45], 0
                                        ; implicit-def: $vgpr40
	s_mov_b64 s[46:47], exec
	v_readlane_b32 s48, v56, 48
	v_readlane_b32 s49, v56, 49
	s_and_b64 s[48:49], s[46:47], s[48:49]
	s_mov_b64 exec, s[48:49]
	s_cbranch_execz .LBB58_169
; %bb.160:                              ;   in Loop: Header=BB58_7 Depth=1
	v_mov_b32_e32 v2, v6
	v_mov_b32_e32 v16, v0
                                        ; implicit-def: $sgpr48_sgpr49
	s_branch .LBB58_164
.LBB58_161:                             ;   in Loop: Header=BB58_164 Depth=2
	s_or_b64 exec, exec, s[50:51]
	s_waitcnt lgkmcnt(0)
	s_barrier
	ds_read_b32 v3, v9 offset:3072
	s_waitcnt lgkmcnt(0)
	s_barrier
	v_cmp_neq_f16_e32 vcc, 0, v3
	s_cbranch_vccnz .LBB58_167
; %bb.162:                              ;   in Loop: Header=BB58_164 Depth=2
	v_add_u32_e32 v16, s70, v16
	v_cmp_le_i32_e32 vcc, s92, v16
	v_add_u32_e32 v2, s98, v2
	s_mov_b64 s[50:51], 0
	s_orn2_b64 s[52:53], vcc, exec
.LBB58_163:                             ;   in Loop: Header=BB58_164 Depth=2
	s_and_b64 s[52:53], exec, s[52:53]
	s_or_b64 s[42:43], s[52:53], s[42:43]
	s_andn2_b64 s[48:49], s[48:49], exec
	s_and_b64 s[50:51], s[50:51], exec
	s_or_b64 s[48:49], s[48:49], s[50:51]
	s_andn2_b64 exec, exec, s[42:43]
	s_cbranch_execz .LBB58_168
.LBB58_164:                             ;   Parent Loop BB58_7 Depth=1
                                        ; =>  This Inner Loop Header: Depth=2
	v_cmp_gt_i32_e32 vcc, s68, v16
	s_and_saveexec_b64 s[50:51], vcc
	s_cbranch_execz .LBB58_161
; %bb.165:                              ;   in Loop: Header=BB58_164 Depth=2
	v_ashrrev_i32_e32 v3, 31, v2
	v_lshl_add_u64 v[18:19], v[2:3], 1, s[80:81]
	global_load_ushort v3, v[18:19], off
	s_waitcnt vmcnt(0)
	v_cmp_lt_i16_e32 vcc, -1, v3
	s_nop 1
	v_cndmask_b32_e32 v18, v33, v35, vcc
	v_xor_b32_sdwa v18, v18, v3 dst_sel:DWORD dst_unused:UNUSED_PAD src0_sel:DWORD src1_sel:WORD_0
	v_cmp_o_f16_e32 vcc, v3, v3
	s_nop 1
	v_cndmask_b32_e32 v18, v33, v18, vcc
	v_and_b32_e32 v18, v18, v39
	v_cmp_eq_u32_e32 vcc, v18, v29
	s_and_b64 exec, exec, vcc
	s_cbranch_execz .LBB58_161
; %bb.166:                              ;   in Loop: Header=BB58_164 Depth=2
	v_perm_b32 v3, v3, s69, v38
	ds_write_b32 v9, v3 offset:3072
	s_branch .LBB58_161
.LBB58_167:                             ;   in Loop: Header=BB58_164 Depth=2
	s_mov_b64 s[52:53], -1
                                        ; implicit-def: $vgpr16
                                        ; implicit-def: $vgpr2
	s_mov_b64 s[50:51], -1
	s_branch .LBB58_163
.LBB58_168:                             ;   in Loop: Header=BB58_7 Depth=1
	s_or_b64 exec, exec, s[42:43]
	v_lshrrev_b32_e32 v40, 16, v3
	s_and_b64 s[42:43], s[48:49], exec
.LBB58_169:                             ;   in Loop: Header=BB58_7 Depth=1
	s_or_b64 exec, exec, s[46:47]
.LBB58_170:                             ;   in Loop: Header=BB58_7 Depth=1
	s_and_b64 vcc, exec, s[44:45]
	s_cbranch_vccz .LBB58_182
; %bb.171:                              ;   in Loop: Header=BB58_7 Depth=1
	v_readlane_b32 s34, v56, 29
	s_add_i32 s50, s6, s34
	s_abs_i32 s35, s50
	s_mul_hi_u32 s36, s35, s9
	s_mul_i32 s36, s36, s70
	s_sub_i32 s35, s35, s36
	s_ashr_i32 s34, s50, 31
	s_sub_i32 s36, s35, s70
	s_cmp_ge_u32 s35, s70
	s_cselect_b32 s35, s36, s35
	s_sub_i32 s36, s35, s70
	s_cmp_ge_u32 s35, s70
	s_cselect_b32 s35, s36, s35
	s_xor_b32 s35, s35, s34
	s_sub_i32 s34, s34, s35
	s_add_i32 s50, s50, s34
	v_cmp_gt_i32_e32 vcc, s50, v0
                                        ; implicit-def: $vgpr40
	s_and_saveexec_b64 s[34:35], vcc
	s_cbranch_execz .LBB58_181
; %bb.172:                              ;   in Loop: Header=BB58_7 Depth=1
	s_mov_b64 s[36:37], 0
	v_mov_b32_e32 v2, v21
	v_mov_b32_e32 v3, v0
                                        ; implicit-def: $sgpr44_sgpr45
	s_branch .LBB58_176
.LBB58_173:                             ;   in Loop: Header=BB58_176 Depth=2
	s_or_b64 exec, exec, s[46:47]
	s_waitcnt lgkmcnt(0)
	s_barrier
	ds_read_b32 v16, v9 offset:3072
	s_waitcnt lgkmcnt(0)
	s_barrier
	v_cmp_eq_f16_e32 vcc, 0, v16
	s_cbranch_vccz .LBB58_179
; %bb.174:                              ;   in Loop: Header=BB58_176 Depth=2
	v_add_u32_e32 v3, s70, v3
	v_cmp_le_i32_e32 vcc, s50, v3
	v_add_u32_e32 v2, s91, v2
	s_mov_b64 s[46:47], 0
	s_orn2_b64 s[48:49], vcc, exec
.LBB58_175:                             ;   in Loop: Header=BB58_176 Depth=2
	s_and_b64 s[48:49], exec, s[48:49]
	s_or_b64 s[36:37], s[48:49], s[36:37]
	s_andn2_b64 s[44:45], s[44:45], exec
	s_and_b64 s[46:47], s[46:47], exec
	s_or_b64 s[44:45], s[44:45], s[46:47]
	s_andn2_b64 exec, exec, s[36:37]
	s_cbranch_execz .LBB58_180
.LBB58_176:                             ;   Parent Loop BB58_7 Depth=1
                                        ; =>  This Inner Loop Header: Depth=2
	v_cmp_gt_i32_e32 vcc, s6, v3
	s_and_saveexec_b64 s[46:47], vcc
	s_cbranch_execz .LBB58_173
; %bb.177:                              ;   in Loop: Header=BB58_176 Depth=2
	ds_read_u16 v16, v2
	s_waitcnt lgkmcnt(0)
	v_cmp_lt_i16_e32 vcc, -1, v16
	s_nop 1
	v_cndmask_b32_e32 v18, v33, v35, vcc
	v_xor_b32_sdwa v18, v18, v16 dst_sel:DWORD dst_unused:UNUSED_PAD src0_sel:DWORD src1_sel:WORD_0
	v_cmp_o_f16_e32 vcc, v16, v16
	s_nop 1
	v_cndmask_b32_e32 v18, v33, v18, vcc
	v_and_b32_e32 v18, v18, v39
	v_cmp_eq_u32_e32 vcc, v18, v29
	s_and_b64 exec, exec, vcc
	s_cbranch_execz .LBB58_173
; %bb.178:                              ;   in Loop: Header=BB58_176 Depth=2
	v_perm_b32 v16, v16, s69, v38
	ds_write_b32 v9, v16 offset:3072
	s_branch .LBB58_173
.LBB58_179:                             ;   in Loop: Header=BB58_176 Depth=2
	s_mov_b64 s[48:49], -1
                                        ; implicit-def: $vgpr3
                                        ; implicit-def: $vgpr2
	s_mov_b64 s[46:47], -1
	s_branch .LBB58_175
.LBB58_180:                             ;   in Loop: Header=BB58_7 Depth=1
	s_or_b64 exec, exec, s[36:37]
	s_andn2_b64 s[36:37], s[42:43], exec
	s_and_b64 s[42:43], s[44:45], exec
	v_lshrrev_b32_e32 v40, 16, v16
	s_or_b64 s[42:43], s[36:37], s[42:43]
.LBB58_181:                             ;   in Loop: Header=BB58_7 Depth=1
	s_or_b64 exec, exec, s[34:35]
	s_mov_b64 s[34:35], 0
	s_mov_b64 s[36:37], -1
.LBB58_182:                             ;   in Loop: Header=BB58_7 Depth=1
	s_orn2_b64 s[42:43], s[42:43], exec
.LBB58_183:                             ;   in Loop: Header=BB58_7 Depth=1
	s_or_b64 exec, exec, s[38:39]
	s_mov_b64 s[44:45], 0
	s_and_saveexec_b64 s[38:39], s[42:43]
	s_cbranch_execz .LBB58_235
; %bb.184:                              ;   in Loop: Header=BB58_7 Depth=1
	s_xor_b64 s[42:43], s[40:41], -1
	s_mov_b64 s[48:49], 0
	v_mov_b32_e32 v16, 1
	v_mov_b32_e32 v5, 1
	s_and_saveexec_b64 s[40:41], s[42:43]
	s_cbranch_execz .LBB58_193
; %bb.185:                              ;   in Loop: Header=BB58_7 Depth=1
	v_cmp_ge_i32_e32 vcc, s54, v17
	s_and_saveexec_b64 s[42:43], vcc
	s_xor_b64 s[42:43], exec, s[42:43]
	s_cbranch_execz .LBB58_190
; %bb.186:                              ;   in Loop: Header=BB58_7 Depth=1
	ds_read_b32 v2, v9 offset:4096
	v_and_b32_e32 v3, v29, v8
	v_lshl_or_b32 v29, 2, v34, v3
	v_or_b32_e32 v39, v39, v4
	s_waitcnt lgkmcnt(0)
	v_cmp_ne_u32_e32 vcc, 0, v2
	s_cbranch_vccnz .LBB58_190
; %bb.187:                              ;   in Loop: Header=BB58_7 Depth=1
	s_and_saveexec_b64 s[44:45], s[0:1]
; %bb.188:                              ;   in Loop: Header=BB58_7 Depth=1
	v_mov_b32_e32 v2, s54
	ds_write_b32 v9, v2 offset:4100
; %bb.189:                              ;   in Loop: Header=BB58_7 Depth=1
	s_or_b64 exec, exec, s[44:45]
	s_waitcnt lgkmcnt(0)
	s_barrier
.LBB58_190:                             ;   in Loop: Header=BB58_7 Depth=1
	s_or_saveexec_b64 s[42:43], s[42:43]
	s_mov_b64 s[44:45], 0
	v_mov_b32_e32 v5, 8
	s_xor_b64 exec, exec, s[42:43]
; %bb.191:                              ;   in Loop: Header=BB58_7 Depth=1
	s_mov_b64 s[44:45], exec
	v_subrev_u32_e32 v17, s54, v17
	v_mov_b32_e32 v5, 0
; %bb.192:                              ;   in Loop: Header=BB58_7 Depth=1
	s_or_b64 exec, exec, s[42:43]
	s_and_b64 s[48:49], s[44:45], exec
	v_mov_b32_e32 v16, v17
.LBB58_193:                             ;   in Loop: Header=BB58_7 Depth=1
	s_or_b64 exec, exec, s[40:41]
	s_mov_b64 s[42:43], -1
                                        ; implicit-def: $sgpr46_sgpr47
                                        ; implicit-def: $sgpr44_sgpr45
	s_and_saveexec_b64 s[40:41], s[48:49]
	s_cbranch_execz .LBB58_234
; %bb.194:                              ;   in Loop: Header=BB58_7 Depth=1
	s_cmp_eq_u32 s17, 1
	s_cselect_b64 s[42:43], -1, 0
	v_cmp_eq_u32_e32 vcc, 1, v16
	s_and_b64 s[42:43], s[42:43], vcc
	s_mov_b64 s[50:51], -1
                                        ; implicit-def: $sgpr46_sgpr47
                                        ; implicit-def: $sgpr44_sgpr45
	s_and_saveexec_b64 s[48:49], s[42:43]
	s_cbranch_execz .LBB58_222
; %bb.195:                              ;   in Loop: Header=BB58_7 Depth=1
	ds_read_b32 v2, v9 offset:4096
	s_waitcnt lgkmcnt(0)
	s_barrier
	v_readfirstlane_b32 s6, v2
	s_and_saveexec_b64 s[44:45], s[4:5]
; %bb.196:                              ;   in Loop: Header=BB58_7 Depth=1
	ds_write_b16 v22, v9
; %bb.197:                              ;   in Loop: Header=BB58_7 Depth=1
	s_or_b64 exec, exec, s[44:45]
	v_or_b32_e32 v29, v29, v4
	v_or_b32_e32 v39, v39, v4
	s_mov_b64 s[44:45], -1
	s_mov_b64 s[46:47], 0
	s_cmp_gt_i32 s6, 0
	s_mov_b64 s[50:51], 0
	s_mov_b64 s[52:53], -1
	s_waitcnt lgkmcnt(0)
	s_barrier
                                        ; implicit-def: $vgpr40
	s_cbranch_scc1 .LBB58_209
; %bb.198:                              ;   in Loop: Header=BB58_7 Depth=1
	s_mov_b64 s[52:53], 0
                                        ; implicit-def: $vgpr40
	s_mov_b64 s[54:55], exec
	v_readlane_b32 s56, v56, 48
	v_readlane_b32 s57, v56, 49
	s_and_b64 s[56:57], s[54:55], s[56:57]
	s_mov_b64 exec, s[56:57]
	s_cbranch_execz .LBB58_208
; %bb.199:                              ;   in Loop: Header=BB58_7 Depth=1
	v_mov_b32_e32 v2, v6
	v_mov_b32_e32 v8, v0
                                        ; implicit-def: $sgpr56_sgpr57
	s_branch .LBB58_203
.LBB58_200:                             ;   in Loop: Header=BB58_203 Depth=2
	s_or_b64 exec, exec, s[58:59]
	s_waitcnt lgkmcnt(0)
	s_barrier
	ds_read_b32 v3, v9 offset:3072
	s_waitcnt lgkmcnt(0)
	s_barrier
	v_cmp_neq_f16_e32 vcc, 0, v3
	s_cbranch_vccnz .LBB58_206
; %bb.201:                              ;   in Loop: Header=BB58_203 Depth=2
	v_add_u32_e32 v8, s70, v8
	v_cmp_le_i32_e32 vcc, s92, v8
	v_add_u32_e32 v2, s98, v2
	s_mov_b64 s[58:59], 0
	s_orn2_b64 s[72:73], vcc, exec
.LBB58_202:                             ;   in Loop: Header=BB58_203 Depth=2
	s_and_b64 s[72:73], exec, s[72:73]
	s_or_b64 s[50:51], s[72:73], s[50:51]
	s_andn2_b64 s[56:57], s[56:57], exec
	s_and_b64 s[58:59], s[58:59], exec
	s_or_b64 s[56:57], s[56:57], s[58:59]
	s_andn2_b64 exec, exec, s[50:51]
	s_cbranch_execz .LBB58_207
.LBB58_203:                             ;   Parent Loop BB58_7 Depth=1
                                        ; =>  This Inner Loop Header: Depth=2
	v_cmp_gt_i32_e32 vcc, s68, v8
	s_and_saveexec_b64 s[58:59], vcc
	s_cbranch_execz .LBB58_200
; %bb.204:                              ;   in Loop: Header=BB58_203 Depth=2
	v_ashrrev_i32_e32 v3, 31, v2
	v_lshl_add_u64 v[18:19], v[2:3], 1, s[80:81]
	global_load_ushort v3, v[18:19], off
	s_waitcnt vmcnt(0)
	v_cmp_lt_i16_e32 vcc, -1, v3
	s_nop 1
	v_cndmask_b32_e32 v17, v33, v35, vcc
	v_xor_b32_sdwa v17, v17, v3 dst_sel:DWORD dst_unused:UNUSED_PAD src0_sel:DWORD src1_sel:WORD_0
	v_cmp_o_f16_e32 vcc, v3, v3
	s_nop 1
	v_cndmask_b32_e32 v17, v33, v17, vcc
	v_and_b32_e32 v17, v17, v39
	v_cmp_eq_u32_e32 vcc, v17, v29
	s_and_b64 exec, exec, vcc
	s_cbranch_execz .LBB58_200
; %bb.205:                              ;   in Loop: Header=BB58_203 Depth=2
	v_perm_b32 v3, v3, s69, v38
	ds_write_b32 v9, v3 offset:3072
	s_branch .LBB58_200
.LBB58_206:                             ;   in Loop: Header=BB58_203 Depth=2
	s_mov_b64 s[72:73], -1
                                        ; implicit-def: $vgpr8
                                        ; implicit-def: $vgpr2
	s_mov_b64 s[58:59], -1
	s_branch .LBB58_202
.LBB58_207:                             ;   in Loop: Header=BB58_7 Depth=1
	s_or_b64 exec, exec, s[50:51]
	v_lshrrev_b32_e32 v40, 16, v3
	s_and_b64 s[50:51], s[56:57], exec
.LBB58_208:                             ;   in Loop: Header=BB58_7 Depth=1
	s_or_b64 exec, exec, s[54:55]
.LBB58_209:                             ;   in Loop: Header=BB58_7 Depth=1
	s_and_b64 vcc, exec, s[52:53]
	s_cbranch_vccz .LBB58_221
; %bb.210:                              ;   in Loop: Header=BB58_7 Depth=1
	v_readlane_b32 s44, v56, 29
	s_add_i32 s58, s6, s44
	s_abs_i32 s45, s58
	s_mul_hi_u32 s46, s45, s9
	s_mul_i32 s46, s46, s70
	s_sub_i32 s45, s45, s46
	s_ashr_i32 s44, s58, 31
	s_sub_i32 s46, s45, s70
	s_cmp_ge_u32 s45, s70
	s_cselect_b32 s45, s46, s45
	s_sub_i32 s46, s45, s70
	s_cmp_ge_u32 s45, s70
	s_cselect_b32 s45, s46, s45
	s_xor_b32 s45, s45, s44
	s_sub_i32 s44, s44, s45
	s_add_i32 s58, s58, s44
	v_cmp_gt_i32_e32 vcc, s58, v0
                                        ; implicit-def: $vgpr40
	s_and_saveexec_b64 s[44:45], vcc
	s_cbranch_execz .LBB58_220
; %bb.211:                              ;   in Loop: Header=BB58_7 Depth=1
	s_mov_b64 s[46:47], 0
	v_mov_b32_e32 v2, v21
	v_mov_b32_e32 v3, v0
                                        ; implicit-def: $sgpr52_sgpr53
	s_branch .LBB58_215
.LBB58_212:                             ;   in Loop: Header=BB58_215 Depth=2
	s_or_b64 exec, exec, s[54:55]
	s_waitcnt lgkmcnt(0)
	s_barrier
	ds_read_b32 v8, v9 offset:3072
	s_waitcnt lgkmcnt(0)
	s_barrier
	v_cmp_eq_f16_e32 vcc, 0, v8
	s_cbranch_vccz .LBB58_218
; %bb.213:                              ;   in Loop: Header=BB58_215 Depth=2
	v_add_u32_e32 v3, s70, v3
	v_cmp_le_i32_e32 vcc, s58, v3
	v_add_u32_e32 v2, s91, v2
	s_mov_b64 s[54:55], 0
	s_orn2_b64 s[56:57], vcc, exec
.LBB58_214:                             ;   in Loop: Header=BB58_215 Depth=2
	s_and_b64 s[56:57], exec, s[56:57]
	s_or_b64 s[46:47], s[56:57], s[46:47]
	s_andn2_b64 s[52:53], s[52:53], exec
	s_and_b64 s[54:55], s[54:55], exec
	s_or_b64 s[52:53], s[52:53], s[54:55]
	s_andn2_b64 exec, exec, s[46:47]
	s_cbranch_execz .LBB58_219
.LBB58_215:                             ;   Parent Loop BB58_7 Depth=1
                                        ; =>  This Inner Loop Header: Depth=2
	v_cmp_gt_i32_e32 vcc, s6, v3
	s_and_saveexec_b64 s[54:55], vcc
	s_cbranch_execz .LBB58_212
; %bb.216:                              ;   in Loop: Header=BB58_215 Depth=2
	ds_read_u16 v8, v2
	s_waitcnt lgkmcnt(0)
	v_cmp_lt_i16_e32 vcc, -1, v8
	s_nop 1
	v_cndmask_b32_e32 v17, v33, v35, vcc
	v_xor_b32_sdwa v17, v17, v8 dst_sel:DWORD dst_unused:UNUSED_PAD src0_sel:DWORD src1_sel:WORD_0
	v_cmp_o_f16_e32 vcc, v8, v8
	s_nop 1
	v_cndmask_b32_e32 v17, v33, v17, vcc
	v_and_b32_e32 v17, v17, v39
	v_cmp_eq_u32_e32 vcc, v17, v29
	s_and_b64 exec, exec, vcc
	s_cbranch_execz .LBB58_212
; %bb.217:                              ;   in Loop: Header=BB58_215 Depth=2
	v_perm_b32 v8, v8, s69, v38
	ds_write_b32 v9, v8 offset:3072
	s_branch .LBB58_212
.LBB58_218:                             ;   in Loop: Header=BB58_215 Depth=2
	s_mov_b64 s[56:57], -1
                                        ; implicit-def: $vgpr3
                                        ; implicit-def: $vgpr2
	s_mov_b64 s[54:55], -1
	s_branch .LBB58_214
.LBB58_219:                             ;   in Loop: Header=BB58_7 Depth=1
	s_or_b64 exec, exec, s[46:47]
	s_andn2_b64 s[46:47], s[50:51], exec
	s_and_b64 s[50:51], s[52:53], exec
	v_lshrrev_b32_e32 v40, 16, v8
	s_or_b64 s[50:51], s[46:47], s[50:51]
.LBB58_220:                             ;   in Loop: Header=BB58_7 Depth=1
	s_or_b64 exec, exec, s[44:45]
	s_mov_b64 s[44:45], 0
	s_mov_b64 s[46:47], -1
.LBB58_221:                             ;   in Loop: Header=BB58_7 Depth=1
	s_orn2_b64 s[50:51], s[50:51], exec
.LBB58_222:                             ;   in Loop: Header=BB58_7 Depth=1
	s_or_b64 exec, exec, s[48:49]
	s_mov_b64 s[52:53], 0
	s_and_saveexec_b64 s[48:49], s[50:51]
	s_cbranch_execz .LBB58_233
; %bb.223:                              ;   in Loop: Header=BB58_7 Depth=1
	s_xor_b64 s[50:51], s[42:43], -1
	v_mov_b32_e32 v5, 1
	v_mov_b32_e32 v2, 1
	s_and_saveexec_b64 s[42:43], s[50:51]
	s_cbranch_execz .LBB58_232
; %bb.224:                              ;   in Loop: Header=BB58_7 Depth=1
	v_cmp_ge_i32_e32 vcc, s17, v16
	s_and_saveexec_b64 s[50:51], vcc
	s_xor_b64 s[50:51], exec, s[50:51]
	s_cbranch_execz .LBB58_229
; %bb.225:                              ;   in Loop: Header=BB58_7 Depth=1
	ds_read_b32 v2, v9 offset:4096
	v_or_b32_e32 v29, v29, v4
	v_or_b32_e32 v39, v39, v4
	s_waitcnt lgkmcnt(0)
	v_cmp_ne_u32_e32 vcc, 0, v2
	s_cbranch_vccnz .LBB58_229
; %bb.226:                              ;   in Loop: Header=BB58_7 Depth=1
	s_and_saveexec_b64 s[52:53], s[0:1]
; %bb.227:                              ;   in Loop: Header=BB58_7 Depth=1
	v_mov_b32_e32 v2, s17
	ds_write_b32 v9, v2 offset:4100
; %bb.228:                              ;   in Loop: Header=BB58_7 Depth=1
	s_or_b64 exec, exec, s[52:53]
	s_waitcnt lgkmcnt(0)
	s_barrier
.LBB58_229:                             ;   in Loop: Header=BB58_7 Depth=1
	s_andn2_saveexec_b64 s[50:51], s[50:51]
; %bb.230:                              ;   in Loop: Header=BB58_7 Depth=1
	v_subrev_u32_e32 v16, s17, v16
; %bb.231:                              ;   in Loop: Header=BB58_7 Depth=1
	s_or_b64 exec, exec, s[50:51]
	v_mov_b32_e32 v5, 8
	v_mov_b32_e32 v2, v16
.LBB58_232:                             ;   in Loop: Header=BB58_7 Depth=1
	s_or_b64 exec, exec, s[42:43]
	s_mov_b64 s[52:53], exec
	v_mov_b32_e32 v16, v2
.LBB58_233:                             ;   in Loop: Header=BB58_7 Depth=1
	s_or_b64 exec, exec, s[48:49]
	s_orn2_b64 s[42:43], s[52:53], exec
.LBB58_234:                             ;   in Loop: Header=BB58_7 Depth=1
	s_or_b64 exec, exec, s[40:41]
	s_andn2_b64 s[36:37], s[36:37], exec
	s_and_b64 s[40:41], s[46:47], exec
	s_or_b64 s[36:37], s[36:37], s[40:41]
	s_andn2_b64 s[34:35], s[34:35], exec
	s_and_b64 s[40:41], s[44:45], exec
	s_or_b64 s[34:35], s[34:35], s[40:41]
	s_and_b64 s[44:45], s[42:43], exec
	v_mov_b32_e32 v17, v16
.LBB58_235:                             ;   in Loop: Header=BB58_7 Depth=1
	s_or_b64 exec, exec, s[38:39]
	s_orn2_b64 s[38:39], s[44:45], exec
.LBB58_236:                             ;   in Loop: Header=BB58_7 Depth=1
	s_or_b64 exec, exec, s[30:31]
	s_andn2_b64 s[26:27], s[26:27], exec
	s_and_b64 s[30:31], s[36:37], exec
	s_or_b64 s[26:27], s[26:27], s[30:31]
	s_andn2_b64 s[24:25], s[24:25], exec
	s_and_b64 s[30:31], s[34:35], exec
	s_or_b64 s[24:25], s[24:25], s[30:31]
	s_and_b64 s[36:37], s[38:39], exec
	v_mov_b32_e32 v16, v17
.LBB58_237:                             ;   in Loop: Header=BB58_7 Depth=1
	s_or_b64 exec, exec, s[28:29]
	s_orn2_b64 s[28:29], s[36:37], exec
.LBB58_238:                             ;   in Loop: Header=BB58_7 Depth=1
	s_or_b64 exec, exec, s[22:23]
	s_mov_b64 s[30:31], 0
                                        ; implicit-def: $sgpr6
	s_and_saveexec_b64 s[22:23], s[28:29]
	s_xor_b64 s[22:23], exec, s[22:23]
	s_cbranch_execz .LBB58_5
; %bb.239:                              ;   in Loop: Header=BB58_7 Depth=1
	v_and_b32_e32 v2, 7, v5
	v_cmp_eq_u32_e32 vcc, 0, v2
	s_mov_b64 s[20:21], -1
	s_mov_b64 s[28:29], -1
                                        ; implicit-def: $sgpr6
	s_and_saveexec_b64 s[30:31], vcc
	s_cbranch_execz .LBB58_4
; %bb.240:                              ;   in Loop: Header=BB58_7 Depth=1
	v_add_u32_e32 v2, -2, v34
	v_cmp_eq_u32_e32 vcc, 0, v34
	s_xor_b32 s6, s16, 1
	s_xor_b64 s[28:29], exec, -1
	s_orn2_b64 s[20:21], vcc, exec
	v_mov_b32_e32 v34, v2
	s_branch .LBB58_4
.LBB58_241:
	s_or_b64 exec, exec, s[74:75]
	s_xor_b64 s[6:7], s[60:61], -1
	s_xor_b64 s[4:5], s[78:79], -1
	;; [unrolled: 1-line block ×3, first 2 shown]
	s_mov_b64 s[2:3], 0
	s_and_saveexec_b64 s[10:11], s[4:5]
	s_xor_b64 s[4:5], exec, s[10:11]
	s_cbranch_execnz .LBB58_246
; %bb.242:
	s_andn2_saveexec_b64 s[0:1], s[4:5]
	s_cbranch_execnz .LBB58_266
.LBB58_243:
	s_or_b64 exec, exec, s[0:1]
	s_and_saveexec_b64 s[0:1], s[2:3]
.LBB58_244:
	; divergent unreachable
.LBB58_245:
	s_endpgm
.LBB58_246:
	s_and_saveexec_b64 s[2:3], s[6:7]
	s_xor_b64 s[6:7], exec, s[2:3]
	s_cbranch_execz .LBB58_264
; %bb.247:
	s_and_saveexec_b64 s[2:3], s[8:9]
	s_xor_b64 s[2:3], exec, s[2:3]
; %bb.248:
	v_and_b32_e32 v1, 0x8000, v29
	v_mov_b32_e32 v2, 0x8000
	v_mov_b32_e32 v3, 0xffff
	v_cmp_eq_u32_e32 vcc, 0, v1
	s_nop 1
	v_cndmask_b32_e32 v1, v2, v3, vcc
	v_xor_b32_e32 v40, v1, v29
; %bb.249:
	s_or_b64 exec, exec, s[2:3]
	s_and_saveexec_b64 s[2:3], s[0:1]
	v_readlane_b32 s24, v56, 20
	v_readlane_b32 s26, v56, 25
	v_readlane_b32 s22, v56, 28
	v_readlane_b32 s25, v56, 21
	v_readlane_b32 s27, v56, 26
	v_readlane_b32 s23, v56, 18
	v_readlane_b32 s28, v56, 23
; %bb.250:
	v_mov_b32_e32 v1, 0
	v_mov_b32_e32 v2, s68
	ds_write_b32 v1, v2 offset:4108
; %bb.251:
	s_or_b64 exec, exec, s[2:3]
	v_mov_b32_e32 v1, 0
	s_waitcnt lgkmcnt(0)
	s_barrier
	ds_read_b32 v1, v1 offset:4108
	s_waitcnt lgkmcnt(0)
	v_min_i32_e32 v2, s68, v1
	v_cmp_lt_i32_e32 vcc, v0, v2
	s_and_saveexec_b64 s[8:9], vcc
	s_cbranch_execz .LBB58_261
; %bb.252:
	v_cmp_u_f16_e32 vcc, v40, v40
	s_mov_b64 s[10:11], 0
	s_xor_b64 s[14:15], vcc, -1
                                        ; implicit-def: $sgpr12_sgpr13
                                        ; implicit-def: $sgpr18_sgpr19
                                        ; implicit-def: $sgpr16_sgpr17
	s_branch .LBB58_254
.LBB58_253:                             ;   in Loop: Header=BB58_254 Depth=1
	s_or_b64 exec, exec, s[2:3]
	s_and_b64 s[2:3], exec, s[18:19]
	s_or_b64 s[10:11], s[2:3], s[10:11]
	s_andn2_b64 s[2:3], s[12:13], exec
	s_and_b64 s[12:13], s[16:17], exec
	s_or_b64 s[12:13], s[2:3], s[12:13]
	s_andn2_b64 exec, exec, s[10:11]
	s_cbranch_execz .LBB58_256
.LBB58_254:                             ; =>This Inner Loop Header: Depth=1
	v_ashrrev_i32_e32 v7, 31, v6
	v_lshl_add_u64 v[4:5], v[6:7], 1, s[80:81]
	global_load_ushort v3, v[4:5], off
	v_mov_b32_e32 v1, v0
	s_or_b64 s[16:17], s[16:17], exec
	s_or_b64 s[18:19], s[18:19], exec
                                        ; implicit-def: $vgpr0
	s_waitcnt vmcnt(0)
	v_cmp_o_f16_e64 s[2:3], v3, v3
	v_cmp_neq_f16_e32 vcc, v3, v40
	s_or_b64 s[2:3], s[14:15], s[2:3]
	s_and_b64 s[20:21], vcc, s[2:3]
	s_and_saveexec_b64 s[2:3], s[20:21]
	s_cbranch_execz .LBB58_253
; %bb.255:                              ;   in Loop: Header=BB58_254 Depth=1
	v_add_u32_e32 v0, s70, v1
	v_cmp_ge_i32_e32 vcc, v0, v2
	s_andn2_b64 s[18:19], s[18:19], exec
	s_and_b64 s[20:21], vcc, exec
	v_add_u32_e32 v6, s98, v6
	s_andn2_b64 s[16:17], s[16:17], exec
	s_or_b64 s[18:19], s[18:19], s[20:21]
	s_branch .LBB58_253
.LBB58_256:
	s_or_b64 exec, exec, s[10:11]
	s_and_saveexec_b64 s[2:3], s[12:13]
	s_xor_b64 s[2:3], exec, s[2:3]
	s_cbranch_execz .LBB58_261
; %bb.257:
	s_mov_b64 s[2:3], exec
	s_brev_b32 s10, -2
.LBB58_258:                             ; =>This Inner Loop Header: Depth=1
	s_ff1_i32_b64 s11, s[2:3]
	v_readlane_b32 s14, v1, s11
	s_lshl_b64 s[12:13], 1, s11
	s_min_i32 s10, s10, s14
	s_andn2_b64 s[2:3], s[2:3], s[12:13]
	s_cmp_lg_u64 s[2:3], 0
	s_cbranch_scc1 .LBB58_258
; %bb.259:
	v_mbcnt_lo_u32_b32 v0, exec_lo, 0
	v_mbcnt_hi_u32_b32 v0, exec_hi, v0
	v_cmp_eq_u32_e32 vcc, 0, v0
	s_and_saveexec_b64 s[2:3], vcc
	s_xor_b64 s[2:3], exec, s[2:3]
; %bb.260:
	v_mov_b32_e32 v0, 0
	v_mov_b32_e32 v1, s10
	ds_min_i32 v0, v1 offset:4108
.LBB58_261:
	s_or_b64 exec, exec, s[8:9]
	s_waitcnt lgkmcnt(0)
	s_barrier
	s_and_saveexec_b64 s[2:3], s[0:1]
	s_cbranch_execz .LBB58_263
; %bb.262:
	v_readlane_b32 s8, v56, 0
	s_mul_i32 s0, s23, s25
	v_readlane_b32 s10, v56, 2
	s_sub_i32 s0, s22, s0
	v_readlane_b32 s9, v56, 1
	v_readlane_b32 s11, v56, 3
	s_mov_b32 s14, s10
	s_mov_b64 s[12:13], s[8:9]
	s_mul_i32 s0, s0, s14
	v_readlane_b32 s1, v56, 19
	v_readlane_b32 s8, v56, 22
	;; [unrolled: 1-line block ×4, first 2 shown]
	s_xor_b32 s1, s1, s8
	s_mul_i32 s8, s14, s11
	v_readlane_b32 s9, v56, 13
	s_sub_i32 s8, s9, s8
	s_add_i32 s9, s14, 1
	s_sub_i32 s10, s8, s11
	s_cmp_ge_u32 s8, s11
	s_cselect_b32 s9, s9, s14
	s_cselect_b32 s8, s10, s8
	s_add_i32 s10, s9, 1
	s_cmp_ge_u32 s8, s11
	s_cselect_b32 s8, s10, s9
	s_xor_b32 s8, s8, s1
	s_sub_i32 s1, s8, s1
	s_mul_i32 s8, s1, s24
	s_sub_i32 s8, s23, s8
	s_mul_i32 s8, s8, s13
	s_add_i32 s0, s8, s0
	s_mul_i32 s1, s1, s12
	v_readlane_b32 s8, v56, 4
	s_add_i32 s0, s0, s1
	s_mul_i32 s1, s28, s27
	v_readlane_b32 s10, v56, 6
	s_sub_i32 s1, s22, s1
	v_readlane_b32 s9, v56, 5
	s_mov_b32 s14, s10
	s_mov_b64 s[12:13], s[8:9]
	s_mul_i32 s1, s1, s14
	v_readlane_b32 s8, v56, 24
	v_readlane_b32 s9, v56, 27
	;; [unrolled: 1-line block ×4, first 2 shown]
	s_xor_b32 s8, s8, s9
	s_mul_i32 s9, s15, s14
	v_readlane_b32 s10, v56, 16
	v_readlane_b32 s11, v56, 7
	s_sub_i32 s9, s10, s9
	s_add_i32 s10, s15, 1
	s_sub_i32 s11, s9, s14
	s_cmp_ge_u32 s9, s14
	s_cselect_b32 s10, s10, s15
	s_cselect_b32 s9, s11, s9
	s_add_i32 s11, s10, 1
	s_cmp_ge_u32 s9, s14
	s_cselect_b32 s9, s11, s10
	s_xor_b32 s9, s9, s8
	s_sub_i32 s8, s9, s8
	s_mul_i32 s9, s8, s26
	s_sub_i32 s9, s28, s9
	s_mul_i32 s9, s9, s13
	s_add_i32 s1, s9, s1
	s_mul_i32 s8, s8, s12
	s_add_i32 s8, s1, s8
	s_ashr_i32 s1, s0, 31
	v_mov_b32_e32 v2, 0
	s_lshl_b64 s[0:1], s[0:1], 1
	v_readlane_b32 s10, v56, 11
	ds_read_b32 v0, v2 offset:4108
	v_readlane_b32 s11, v56, 12
	s_add_u32 s0, s10, s0
	s_addc_u32 s1, s11, s1
	s_ashr_i32 s9, s8, 31
	s_lshl_b64 s[8:9], s[8:9], 3
	v_readlane_b32 s10, v56, 8
	v_readlane_b32 s11, v56, 9
	s_add_u32 s8, s10, s8
	s_addc_u32 s9, s11, s9
	s_waitcnt lgkmcnt(0)
	v_ashrrev_i32_e32 v1, 31, v0
	global_store_dwordx2 v2, v[0:1], s[8:9]
	global_store_short v2, v40, s[0:1]
.LBB58_263:
	s_or_b64 exec, exec, s[2:3]
.LBB58_264:
	s_or_saveexec_b64 s[0:1], s[6:7]
	s_mov_b64 s[2:3], 0
	s_xor_b64 exec, exec, s[0:1]
	s_cbranch_execnz .LBB58_267
.LBB58_265:
	s_or_b64 exec, exec, s[0:1]
	s_and_b64 s[2:3], s[2:3], exec
	s_andn2_saveexec_b64 s[0:1], s[4:5]
	s_cbranch_execz .LBB58_243
.LBB58_266:
	s_or_b64 s[2:3], s[2:3], exec
	s_trap 2
	s_or_b64 exec, exec, s[0:1]
	s_and_saveexec_b64 s[0:1], s[2:3]
	s_cbranch_execnz .LBB58_244
	s_branch .LBB58_245
.LBB58_267:
	s_mov_b64 s[2:3], exec
	s_trap 2
	s_branch .LBB58_265
	.section	.rodata,"a",@progbits
	.p2align	6, 0x0
	.amdhsa_kernel _ZN2at6native12_GLOBAL__N_114gatherKthValueIN3c104HalfEiLi3EEEvNS_4cuda6detail10TensorInfoIKT_T0_EESA_SA_SA_SA_NS7_IS8_SA_EENS7_IlSA_EE
		.amdhsa_group_segment_fixed_size 4112
		.amdhsa_private_segment_fixed_size 0
		.amdhsa_kernarg_size 920
		.amdhsa_user_sgpr_count 2
		.amdhsa_user_sgpr_dispatch_ptr 0
		.amdhsa_user_sgpr_queue_ptr 0
		.amdhsa_user_sgpr_kernarg_segment_ptr 1
		.amdhsa_user_sgpr_dispatch_id 0
		.amdhsa_user_sgpr_kernarg_preload_length 0
		.amdhsa_user_sgpr_kernarg_preload_offset 0
		.amdhsa_user_sgpr_private_segment_size 0
		.amdhsa_uses_dynamic_stack 0
		.amdhsa_enable_private_segment 0
		.amdhsa_system_sgpr_workgroup_id_x 1
		.amdhsa_system_sgpr_workgroup_id_y 1
		.amdhsa_system_sgpr_workgroup_id_z 1
		.amdhsa_system_sgpr_workgroup_info 0
		.amdhsa_system_vgpr_workitem_id 0
		.amdhsa_next_free_vgpr 57
		.amdhsa_next_free_sgpr 100
		.amdhsa_accum_offset 60
		.amdhsa_reserve_vcc 1
		.amdhsa_float_round_mode_32 0
		.amdhsa_float_round_mode_16_64 0
		.amdhsa_float_denorm_mode_32 3
		.amdhsa_float_denorm_mode_16_64 3
		.amdhsa_dx10_clamp 1
		.amdhsa_ieee_mode 1
		.amdhsa_fp16_overflow 0
		.amdhsa_tg_split 0
		.amdhsa_exception_fp_ieee_invalid_op 0
		.amdhsa_exception_fp_denorm_src 0
		.amdhsa_exception_fp_ieee_div_zero 0
		.amdhsa_exception_fp_ieee_overflow 0
		.amdhsa_exception_fp_ieee_underflow 0
		.amdhsa_exception_fp_ieee_inexact 0
		.amdhsa_exception_int_div_zero 0
	.end_amdhsa_kernel
	.section	.text._ZN2at6native12_GLOBAL__N_114gatherKthValueIN3c104HalfEiLi3EEEvNS_4cuda6detail10TensorInfoIKT_T0_EESA_SA_SA_SA_NS7_IS8_SA_EENS7_IlSA_EE,"axG",@progbits,_ZN2at6native12_GLOBAL__N_114gatherKthValueIN3c104HalfEiLi3EEEvNS_4cuda6detail10TensorInfoIKT_T0_EESA_SA_SA_SA_NS7_IS8_SA_EENS7_IlSA_EE,comdat
.Lfunc_end58:
	.size	_ZN2at6native12_GLOBAL__N_114gatherKthValueIN3c104HalfEiLi3EEEvNS_4cuda6detail10TensorInfoIKT_T0_EESA_SA_SA_SA_NS7_IS8_SA_EENS7_IlSA_EE, .Lfunc_end58-_ZN2at6native12_GLOBAL__N_114gatherKthValueIN3c104HalfEiLi3EEEvNS_4cuda6detail10TensorInfoIKT_T0_EESA_SA_SA_SA_NS7_IS8_SA_EENS7_IlSA_EE
                                        ; -- End function
	.set _ZN2at6native12_GLOBAL__N_114gatherKthValueIN3c104HalfEiLi3EEEvNS_4cuda6detail10TensorInfoIKT_T0_EESA_SA_SA_SA_NS7_IS8_SA_EENS7_IlSA_EE.num_vgpr, 57
	.set _ZN2at6native12_GLOBAL__N_114gatherKthValueIN3c104HalfEiLi3EEEvNS_4cuda6detail10TensorInfoIKT_T0_EESA_SA_SA_SA_NS7_IS8_SA_EENS7_IlSA_EE.num_agpr, 0
	.set _ZN2at6native12_GLOBAL__N_114gatherKthValueIN3c104HalfEiLi3EEEvNS_4cuda6detail10TensorInfoIKT_T0_EESA_SA_SA_SA_NS7_IS8_SA_EENS7_IlSA_EE.numbered_sgpr, 100
	.set _ZN2at6native12_GLOBAL__N_114gatherKthValueIN3c104HalfEiLi3EEEvNS_4cuda6detail10TensorInfoIKT_T0_EESA_SA_SA_SA_NS7_IS8_SA_EENS7_IlSA_EE.num_named_barrier, 0
	.set _ZN2at6native12_GLOBAL__N_114gatherKthValueIN3c104HalfEiLi3EEEvNS_4cuda6detail10TensorInfoIKT_T0_EESA_SA_SA_SA_NS7_IS8_SA_EENS7_IlSA_EE.private_seg_size, 0
	.set _ZN2at6native12_GLOBAL__N_114gatherKthValueIN3c104HalfEiLi3EEEvNS_4cuda6detail10TensorInfoIKT_T0_EESA_SA_SA_SA_NS7_IS8_SA_EENS7_IlSA_EE.uses_vcc, 1
	.set _ZN2at6native12_GLOBAL__N_114gatherKthValueIN3c104HalfEiLi3EEEvNS_4cuda6detail10TensorInfoIKT_T0_EESA_SA_SA_SA_NS7_IS8_SA_EENS7_IlSA_EE.uses_flat_scratch, 0
	.set _ZN2at6native12_GLOBAL__N_114gatherKthValueIN3c104HalfEiLi3EEEvNS_4cuda6detail10TensorInfoIKT_T0_EESA_SA_SA_SA_NS7_IS8_SA_EENS7_IlSA_EE.has_dyn_sized_stack, 0
	.set _ZN2at6native12_GLOBAL__N_114gatherKthValueIN3c104HalfEiLi3EEEvNS_4cuda6detail10TensorInfoIKT_T0_EESA_SA_SA_SA_NS7_IS8_SA_EENS7_IlSA_EE.has_recursion, 0
	.set _ZN2at6native12_GLOBAL__N_114gatherKthValueIN3c104HalfEiLi3EEEvNS_4cuda6detail10TensorInfoIKT_T0_EESA_SA_SA_SA_NS7_IS8_SA_EENS7_IlSA_EE.has_indirect_call, 0
	.section	.AMDGPU.csdata,"",@progbits
; Kernel info:
; codeLenInByte = 10856
; TotalNumSgprs: 106
; NumVgprs: 57
; NumAgprs: 0
; TotalNumVgprs: 57
; ScratchSize: 0
; MemoryBound: 0
; FloatMode: 240
; IeeeMode: 1
; LDSByteSize: 4112 bytes/workgroup (compile time only)
; SGPRBlocks: 13
; VGPRBlocks: 7
; NumSGPRsForWavesPerEU: 106
; NumVGPRsForWavesPerEU: 57
; AccumOffset: 60
; Occupancy: 7
; WaveLimiterHint : 1
; COMPUTE_PGM_RSRC2:SCRATCH_EN: 0
; COMPUTE_PGM_RSRC2:USER_SGPR: 2
; COMPUTE_PGM_RSRC2:TRAP_HANDLER: 0
; COMPUTE_PGM_RSRC2:TGID_X_EN: 1
; COMPUTE_PGM_RSRC2:TGID_Y_EN: 1
; COMPUTE_PGM_RSRC2:TGID_Z_EN: 1
; COMPUTE_PGM_RSRC2:TIDIG_COMP_CNT: 0
; COMPUTE_PGM_RSRC3_GFX90A:ACCUM_OFFSET: 14
; COMPUTE_PGM_RSRC3_GFX90A:TG_SPLIT: 0
	.section	.text._ZN2at6native12_GLOBAL__N_114gatherKthValueIN3c104HalfEiLin1EEEvNS_4cuda6detail10TensorInfoIKT_T0_EESA_SA_SA_SA_NS7_IS8_SA_EENS7_IlSA_EE,"axG",@progbits,_ZN2at6native12_GLOBAL__N_114gatherKthValueIN3c104HalfEiLin1EEEvNS_4cuda6detail10TensorInfoIKT_T0_EESA_SA_SA_SA_NS7_IS8_SA_EENS7_IlSA_EE,comdat
	.globl	_ZN2at6native12_GLOBAL__N_114gatherKthValueIN3c104HalfEiLin1EEEvNS_4cuda6detail10TensorInfoIKT_T0_EESA_SA_SA_SA_NS7_IS8_SA_EENS7_IlSA_EE ; -- Begin function _ZN2at6native12_GLOBAL__N_114gatherKthValueIN3c104HalfEiLin1EEEvNS_4cuda6detail10TensorInfoIKT_T0_EESA_SA_SA_SA_NS7_IS8_SA_EENS7_IlSA_EE
	.p2align	8
	.type	_ZN2at6native12_GLOBAL__N_114gatherKthValueIN3c104HalfEiLin1EEEvNS_4cuda6detail10TensorInfoIKT_T0_EESA_SA_SA_SA_NS7_IS8_SA_EENS7_IlSA_EE,@function
_ZN2at6native12_GLOBAL__N_114gatherKthValueIN3c104HalfEiLin1EEEvNS_4cuda6detail10TensorInfoIKT_T0_EESA_SA_SA_SA_NS7_IS8_SA_EENS7_IlSA_EE: ; @_ZN2at6native12_GLOBAL__N_114gatherKthValueIN3c104HalfEiLin1EEEvNS_4cuda6detail10TensorInfoIKT_T0_EESA_SA_SA_SA_NS7_IS8_SA_EENS7_IlSA_EE
; %bb.0:
	s_load_dwordx2 s[12:13], s[0:1], 0x298
	s_load_dwordx4 s[60:63], s[0:1], 0xd8
	s_add_u32 s10, s0, 0x298
	s_addc_u32 s11, s1, 0
	s_waitcnt lgkmcnt(0)
	s_mul_i32 s4, s13, s4
	s_add_i32 s3, s4, s3
	s_mul_i32 s3, s3, s12
	s_add_i32 s33, s3, s2
	s_cmp_ge_i32 s33, s62
	s_cbranch_scc1 .LBB59_254
; %bb.1:
	s_load_dword s4, s[0:1], 0xd0
	s_mov_b32 s5, 0
	s_mov_b32 s3, s33
	s_waitcnt lgkmcnt(0)
	s_cmp_lt_i32 s4, 2
	s_cbranch_scc1 .LBB59_4
; %bb.2:
	s_add_i32 s8, s4, 1
	s_add_i32 s4, s4, -1
	s_lshl_b64 s[6:7], s[4:5], 2
	s_add_u32 s3, s0, s6
	s_addc_u32 s4, s1, s7
	s_add_u32 s6, s3, 8
	s_addc_u32 s7, s4, 0
	s_mov_b32 s3, s33
.LBB59_3:                               ; =>This Inner Loop Header: Depth=1
	s_load_dword s4, s[6:7], 0x0
	s_load_dword s13, s[6:7], 0x64
	s_mov_b32 s9, s3
	s_abs_i32 s3, s3
	s_waitcnt lgkmcnt(0)
	s_abs_i32 s15, s4
	v_cvt_f32_u32_e32 v1, s15
	s_sub_i32 s16, 0, s15
	s_xor_b32 s14, s9, s4
	s_ashr_i32 s14, s14, 31
	v_rcp_iflag_f32_e32 v1, v1
	s_nop 0
	v_mul_f32_e32 v1, 0x4f7ffffe, v1
	v_cvt_u32_f32_e32 v1, v1
	s_nop 0
	v_readfirstlane_b32 s17, v1
	s_mul_i32 s16, s16, s17
	s_mul_hi_u32 s16, s17, s16
	s_add_i32 s17, s17, s16
	s_mul_hi_u32 s16, s3, s17
	s_mul_i32 s17, s16, s15
	s_sub_i32 s3, s3, s17
	s_add_i32 s18, s16, 1
	s_sub_i32 s17, s3, s15
	s_cmp_ge_u32 s3, s15
	s_cselect_b32 s16, s18, s16
	s_cselect_b32 s3, s17, s3
	s_add_i32 s17, s16, 1
	s_cmp_ge_u32 s3, s15
	s_cselect_b32 s3, s17, s16
	s_xor_b32 s3, s3, s14
	s_sub_i32 s3, s3, s14
	s_mul_i32 s4, s3, s4
	s_sub_i32 s4, s9, s4
	s_mul_i32 s4, s13, s4
	s_add_i32 s8, s8, -1
	s_add_i32 s5, s4, s5
	s_add_u32 s6, s6, -4
	s_addc_u32 s7, s7, -1
	s_cmp_gt_u32 s8, 2
	s_cbranch_scc1 .LBB59_3
.LBB59_4:
	s_load_dword s8, s[0:1], 0x1b8
	s_add_u32 s6, s0, 0xe8
	s_addc_u32 s7, s1, 0
	s_mov_b32 s65, 0
	s_mov_b32 s62, s33
	s_waitcnt lgkmcnt(0)
	s_cmp_lt_i32 s8, 2
	s_cbranch_scc1 .LBB59_7
; %bb.5:
	s_add_i32 s64, s8, -1
	s_add_i32 s4, s8, 1
	s_lshl_b64 s[8:9], s[64:65], 2
	s_add_u32 s8, s6, s8
	s_addc_u32 s9, s7, s9
	s_add_u32 s8, s8, 8
	s_addc_u32 s9, s9, 0
	s_mov_b32 s62, s33
.LBB59_6:                               ; =>This Inner Loop Header: Depth=1
	s_load_dword s13, s[8:9], 0x0
	s_load_dword s15, s[8:9], 0x64
	s_abs_i32 s16, s62
	s_mov_b32 s14, s62
	s_waitcnt lgkmcnt(0)
	s_abs_i32 s18, s13
	v_cvt_f32_u32_e32 v1, s18
	s_sub_i32 s19, 0, s18
	s_xor_b32 s17, s62, s13
	s_ashr_i32 s17, s17, 31
	v_rcp_iflag_f32_e32 v1, v1
	s_nop 0
	v_mul_f32_e32 v1, 0x4f7ffffe, v1
	v_cvt_u32_f32_e32 v1, v1
	s_nop 0
	v_readfirstlane_b32 s20, v1
	s_mul_i32 s19, s19, s20
	s_mul_hi_u32 s19, s20, s19
	s_add_i32 s20, s20, s19
	s_mul_hi_u32 s19, s16, s20
	s_mul_i32 s20, s19, s18
	s_sub_i32 s16, s16, s20
	s_add_i32 s21, s19, 1
	s_sub_i32 s20, s16, s18
	s_cmp_ge_u32 s16, s18
	s_cselect_b32 s19, s21, s19
	s_cselect_b32 s16, s20, s16
	s_add_i32 s20, s19, 1
	s_cmp_ge_u32 s16, s18
	s_cselect_b32 s16, s20, s19
	s_xor_b32 s16, s16, s17
	s_sub_i32 s62, s16, s17
	s_mul_i32 s13, s62, s13
	s_sub_i32 s13, s14, s13
	s_mul_i32 s13, s15, s13
	s_add_i32 s4, s4, -1
	s_add_i32 s65, s13, s65
	s_add_u32 s8, s8, -4
	s_addc_u32 s9, s9, -1
	s_cmp_gt_u32 s4, 2
	s_cbranch_scc1 .LBB59_6
.LBB59_7:
	s_load_dword s4, s[0:1], 0x6c
	s_load_dword s14, s[0:1], 0x290
	s_add_u32 s8, s0, 0x1c0
	s_addc_u32 s9, s1, 0
	s_mov_b32 s67, 0
	s_waitcnt lgkmcnt(0)
	s_cmp_lt_i32 s14, 2
	s_cbranch_scc1 .LBB59_10
; %bb.8:
	s_add_i32 s66, s14, -1
	s_add_i32 s13, s14, 1
	s_lshl_b64 s[14:15], s[66:67], 2
	s_add_u32 s8, s8, s14
	s_addc_u32 s9, s9, s15
	s_add_u32 s8, s8, 8
	s_addc_u32 s9, s9, 0
.LBB59_9:                               ; =>This Inner Loop Header: Depth=1
	s_load_dword s14, s[8:9], 0x0
	s_load_dword s16, s[8:9], 0x64
	s_abs_i32 s17, s33
	s_mov_b32 s15, s33
	s_waitcnt lgkmcnt(0)
	s_abs_i32 s19, s14
	v_cvt_f32_u32_e32 v1, s19
	s_sub_i32 s20, 0, s19
	s_xor_b32 s18, s33, s14
	s_ashr_i32 s18, s18, 31
	v_rcp_iflag_f32_e32 v1, v1
	s_nop 0
	v_mul_f32_e32 v1, 0x4f7ffffe, v1
	v_cvt_u32_f32_e32 v1, v1
	s_nop 0
	v_readfirstlane_b32 s21, v1
	s_mul_i32 s20, s20, s21
	s_mul_hi_u32 s20, s21, s20
	s_add_i32 s21, s21, s20
	s_mul_hi_u32 s20, s17, s21
	s_mul_i32 s21, s20, s19
	s_sub_i32 s17, s17, s21
	s_add_i32 s22, s20, 1
	s_sub_i32 s21, s17, s19
	s_cmp_ge_u32 s17, s19
	s_cselect_b32 s20, s22, s20
	s_cselect_b32 s17, s21, s17
	s_add_i32 s21, s20, 1
	s_cmp_ge_u32 s17, s19
	s_cselect_b32 s17, s21, s20
	s_xor_b32 s17, s17, s18
	s_sub_i32 s33, s17, s18
	s_mul_i32 s14, s33, s14
	s_sub_i32 s14, s15, s14
	s_mul_i32 s14, s16, s14
	s_add_i32 s13, s13, -1
	s_add_i32 s67, s14, s67
	s_add_u32 s8, s8, -4
	s_addc_u32 s9, s9, -1
	s_cmp_gt_u32 s13, 2
	s_cbranch_scc1 .LBB59_9
.LBB59_10:
	s_load_dword s6, s[6:7], 0x6c
                                        ; implicit-def: $vgpr56 : SGPR spill to VGPR lane
	v_cmp_eq_u32_e64 s[14:15], 0, v0
	s_waitcnt lgkmcnt(0)
	v_writelane_b32 v56, s6, 0
	s_load_dwordx2 s[6:7], s[0:1], 0x0
	s_load_dwordx2 s[8:9], s[0:1], 0xe8
	s_waitcnt lgkmcnt(0)
	v_writelane_b32 v56, s8, 1
	s_nop 1
	v_writelane_b32 v56, s9, 2
	s_load_dwordx2 s[8:9], s[0:1], 0x1c0
	s_waitcnt lgkmcnt(0)
	v_writelane_b32 v56, s8, 3
	s_nop 1
	v_writelane_b32 v56, s9, 4
	s_mov_b64 s[8:9], exec
	v_writelane_b32 v56, s14, 5
	s_nop 1
	v_writelane_b32 v56, s15, 6
	s_and_b64 s[14:15], s[8:9], s[14:15]
	s_mov_b64 exec, s[14:15]
; %bb.11:
	v_mov_b32_e32 v2, 0
	v_mov_b32_e32 v3, s60
	;; [unrolled: 1-line block ×3, first 2 shown]
	ds_write_b96 v2, v[2:4] offset:4096
; %bb.12:
	s_or_b64 exec, exec, s[8:9]
	s_load_dword s0, s[0:1], 0x22c
	s_waitcnt lgkmcnt(0)
	s_barrier
	v_mbcnt_lo_u32_b32 v1, -1, 0
	v_writelane_b32 v56, s0, 7
	s_mul_i32 s0, s4, s3
	s_load_dword s3, s[10:11], 0xc
	s_add_i32 s0, s0, s5
	s_ashr_i32 s1, s0, 31
	s_lshl_b64 s[0:1], s[0:1], 1
	s_add_u32 s72, s6, s0
	s_addc_u32 s73, s7, s1
	s_waitcnt lgkmcnt(0)
	s_and_b32 s64, s3, 0xffff
	v_mbcnt_hi_u32_b32 v20, -1, v1
	v_cmp_gt_u32_e32 vcc, 64, v0
	v_cmp_gt_i32_e64 s[4:5], 4, v20
	s_add_i32 s6, s64, -1
	s_lshl_b32 s9, s64, 2
	s_and_b64 s[76:77], vcc, s[4:5]
	s_add_i32 s16, s6, s60
	s_cmpk_gt_i32 s60, 0x600
	v_writelane_b32 v56, s6, 8
	s_cselect_b64 s[6:7], -1, 0
	v_writelane_b32 v56, s6, 9
	s_cmp_gt_u32 s64, 63
	s_cselect_b64 s[80:81], -1, 0
	v_writelane_b32 v56, s7, 10
	v_cmp_gt_u32_e64 s[6:7], s60, v0
	s_cmp_lt_u32 s2, s12
	s_cselect_b32 s2, 12, 18
	v_writelane_b32 v56, s6, 11
	v_lshlrev_b64 v[2:3], v20, -1
	v_not_b32_e32 v12, v2
	v_writelane_b32 v56, s7, 12
	v_cmp_gt_i32_e64 s[6:7], s60, v0
	v_lshrrev_b32_e32 v2, 2, v0
	v_and_b32_e32 v2, 0xf0, v2
	v_writelane_b32 v56, s6, 13
	v_or_b32_e32 v23, 0xc00, v2
	v_cvt_f32_u32_e32 v2, s9
	v_writelane_b32 v56, s7, 14
	s_add_u32 s6, s10, s2
	s_addc_u32 s7, s11, 0
	v_writelane_b32 v56, s6, 15
	v_rcp_iflag_f32_e32 v2, v2
	v_not_b32_e32 v1, v3
	v_writelane_b32 v56, s7, 16
	s_bfe_u32 s6, s3, 0xa0006
	s_add_i32 s2, s6, -2
	s_lshr_b32 s3, s2, 1
	s_add_i32 s3, s3, 1
	s_cmpk_gt_u32 s64, 0x7f
	s_cselect_b64 s[10:11], -1, 0
	v_writelane_b32 v56, s10, 17
	s_and_b32 s7, s6, 0x3fe
	v_mul_f32_e32 v2, 0x4f7ffffe, v2
	v_writelane_b32 v56, s11, 18
	s_and_b32 s10, s3, 7
	s_cmp_gt_u32 s2, 13
	s_cselect_b64 s[12:13], -1, 0
	v_writelane_b32 v56, s12, 19
	s_and_b32 s2, s3, -8
	s_cmp_lg_u32 s10, 0
	v_writelane_b32 v56, s13, 20
	v_writelane_b32 v56, s2, 21
	v_writelane_b32 v56, s10, 22
	s_cselect_b64 s[2:3], -1, 0
	v_writelane_b32 v56, s2, 23
	v_cvt_u32_f32_e32 v2, v2
	s_cmp_lg_u32 s7, s6
	v_writelane_b32 v56, s3, 24
	v_writelane_b32 v56, s6, 25
	;; [unrolled: 1-line block ×3, first 2 shown]
	s_cselect_b64 s[2:3], -1, 0
	v_writelane_b32 v56, s2, 27
	v_cvt_f32_u32_e32 v3, s64
	v_lshlrev_b32_e32 v13, 2, v0
	v_writelane_b32 v56, s3, 28
	s_sub_i32 s2, 0, s9
	v_readfirstlane_b32 s3, v2
	s_mul_i32 s2, s2, s3
	s_mul_hi_u32 s2, s3, s2
	s_add_i32 s85, s3, s2
	s_mul_hi_u32 s2, s60, s85
	s_mul_i32 s2, s2, s9
	s_sub_i32 s2, s60, s2
	s_sub_i32 s3, s2, s9
	s_cmp_ge_u32 s2, s9
	s_cselect_b32 s2, s3, s2
	s_sub_i32 s3, s2, s9
	s_cmp_ge_u32 s2, s9
	s_cselect_b32 s2, s3, s2
	s_sub_i32 s82, s60, s2
	v_rcp_iflag_f32_e32 v5, v3
	v_add_u32_e32 v24, s82, v0
	v_mul_lo_u32 v2, v24, s63
	v_ashrrev_i32_e32 v3, 31, v2
	v_lshl_add_u64 v[14:15], v[2:3], 1, s[72:73]
	v_mul_f32_e32 v2, 0x4f7ffffe, v5
	v_cvt_u32_f32_e32 v2, v2
	s_sub_i32 s7, 0, s64
	s_abs_i32 s6, s16
	s_ashr_i32 s3, s16, 31
	v_readfirstlane_b32 s17, v2
	s_mul_i32 s7, s7, s17
	s_mul_hi_u32 s7, s17, s7
	s_add_i32 s7, s17, s7
	s_mov_b32 s79, s7
	s_mul_hi_u32 s7, s6, s7
	s_mul_i32 s7, s7, s64
	s_sub_i32 s6, s6, s7
	s_sub_i32 s7, s6, s64
	s_cmp_ge_u32 s6, s64
	s_cselect_b32 s6, s7, s6
	s_sub_i32 s7, s6, s64
	s_cmp_ge_u32 s6, s64
	s_cselect_b32 s6, s7, s6
	s_xor_b32 s6, s6, s3
	s_sub_i32 s3, s3, s6
	v_mul_lo_u32 v2, s63, v13
	s_add_i32 s16, s16, s3
	v_add_u32_e32 v25, s63, v2
	v_or_b32_e32 v2, 2, v13
	v_cmp_gt_i32_e64 s[6:7], s16, v0
	v_mul_lo_u32 v26, s63, v2
	v_or_b32_e32 v2, 3, v13
	s_add_i32 s3, s64, s60
	v_mov_b32_e32 v9, 0
	v_writelane_b32 v56, s6, 29
	v_mul_lo_u32 v27, s63, v2
	v_add_u32_e32 v2, s3, v0
	s_mov_b32 s18, 0
	s_mov_b32 s19, 1
	v_lshlrev_b32_e32 v21, 1, v0
	v_mul_lo_u32 v6, s63, v0
	v_mov_b32_e32 v7, v9
	v_lshlrev_b32_e32 v4, 2, v20
	v_writelane_b32 v56, s7, 30
	s_mul_i32 s66, s63, s64
	v_subrev_u32_e32 v2, s2, v2
	s_mov_b32 s8, 0xffff
	v_cmp_eq_u32_e64 s[0:1], 0, v20
	v_cmp_gt_u32_e64 s[4:5], 2, v0
	v_add_u32_e32 v22, 0xc00, v21
	v_lshl_add_u64 v[10:11], v[6:7], 1, s[72:73]
	v_and_b32_e32 v7, 0x100, v4
	v_cmp_gt_i32_e64 s[10:11], s82, v13
	v_cmp_gt_u32_e64 s[12:13], s60, v24
	v_cmp_gt_i32_e64 s[14:15], s60, v24
	s_lshl_b32 s17, s66, 2
	v_lshlrev_b32_e32 v28, 2, v6
	v_mul_lo_u32 v30, s63, v2
	v_lshlrev_b32_e32 v31, 3, v0
	s_lshl_b32 s84, s64, 3
	s_lshl_b32 s83, s64, 1
	v_or_b32_e32 v32, 0xc00, v4
	s_mov_b64 s[92:93], 0
	v_mov_b32_e32 v34, 14
	v_mov_b32_e32 v41, s61
	;; [unrolled: 1-line block ×3, first 2 shown]
	s_movk_i32 s61, 0x3c00
	v_mov_b32_e32 v33, 0xffff
	v_mov_b32_e32 v35, 0x8000
	v_mov_b32_e32 v36, -1
	v_mov_b32_e32 v37, 0xc00
	v_mov_b32_e32 v38, 0x5040100
	;; [unrolled: 1-line block ×3, first 2 shown]
	v_writelane_b32 v56, s18, 31
	v_mov_b32_e32 v29, 0
	v_mov_b32_e32 v39, 0
                                        ; implicit-def: $sgpr94_sgpr95
                                        ; implicit-def: $sgpr98_sgpr99
                                        ; implicit-def: $sgpr96_sgpr97
                                        ; implicit-def: $sgpr70_sgpr71
                                        ; implicit-def: $sgpr86_sgpr87
                                        ; implicit-def: $sgpr68_sgpr69
	v_writelane_b32 v56, s19, 32
	s_branch .LBB59_16
.LBB59_13:                              ;   in Loop: Header=BB59_16 Depth=1
	s_or_b64 exec, exec, s[28:29]
	s_and_b64 s[22:23], s[22:23], exec
	s_andn2_b64 s[26:27], s[26:27], exec
	s_andn2_b64 s[24:25], s[24:25], exec
	s_orn2_b64 s[20:21], s[20:21], exec
.LBB59_14:                              ;   in Loop: Header=BB59_16 Depth=1
	s_or_b64 exec, exec, s[6:7]
	s_andn2_b64 s[6:7], s[68:69], exec
	s_and_b64 s[18:19], s[22:23], exec
	s_or_b64 s[68:69], s[6:7], s[18:19]
	s_andn2_b64 s[6:7], s[86:87], exec
	s_and_b64 s[18:19], s[26:27], exec
	s_or_b64 s[86:87], s[6:7], s[18:19]
	s_andn2_b64 s[6:7], s[70:71], exec
	s_and_b64 s[18:19], s[24:25], exec
	s_or_b64 s[70:71], s[6:7], s[18:19]
	s_orn2_b64 s[20:21], s[20:21], exec
.LBB59_15:                              ;   in Loop: Header=BB59_16 Depth=1
	s_or_b64 exec, exec, s[2:3]
	s_and_b64 s[2:3], exec, s[20:21]
	s_or_b64 s[92:93], s[2:3], s[92:93]
	s_andn2_b64 s[2:3], s[96:97], exec
	s_and_b64 s[6:7], s[68:69], exec
	s_or_b64 s[96:97], s[2:3], s[6:7]
	s_andn2_b64 s[2:3], s[98:99], exec
	s_and_b64 s[6:7], s[86:87], exec
	;; [unrolled: 3-line block ×3, first 2 shown]
	s_or_b64 s[94:95], s[2:3], s[6:7]
	s_mov_b32 s18, s30
	v_mov_b32_e32 v41, v16
	s_andn2_b64 exec, exec, s[92:93]
	s_cbranch_execz .LBB59_250
.LBB59_16:                              ; =>This Loop Header: Depth=1
                                        ;     Child Loop BB59_21 Depth 2
                                        ;     Child Loop BB59_36 Depth 2
	;; [unrolled: 1-line block ×17, first 2 shown]
	ds_read_b64 v[2:3], v9 offset:4096
	s_waitcnt lgkmcnt(0)
	v_readfirstlane_b32 s19, v2
	s_cmp_gt_i32 s19, 0
	s_cbranch_scc1 .LBB59_43
; %bb.17:                               ;   in Loop: Header=BB59_16 Depth=1
	v_readlane_b32 s2, v56, 9
	v_readlane_b32 s3, v56, 10
	s_and_b64 vcc, exec, s[2:3]
	s_cbranch_vccz .LBB59_29
; %bb.18:                               ;   in Loop: Header=BB59_16 Depth=1
	s_movk_i32 s2, 0x601
	v_cmp_gt_i32_e32 vcc, s2, v3
	s_mov_b64 s[6:7], 0
	s_mov_b64 s[2:3], 0
	s_cbranch_vccz .LBB59_30
; %bb.19:                               ;   in Loop: Header=BB59_16 Depth=1
	v_readlane_b32 s2, v56, 15
	v_readlane_b32 s3, v56, 16
	s_nop 4
	global_load_ushort v2, v9, s[2:3]
	global_load_ushort v4, v[10:11], off
	s_mov_b64 s[20:21], 0
	s_waitcnt vmcnt(1)
	v_add_u32_e32 v5, v0, v2
	v_mul_lo_u32 v3, s63, v2
	v_mul_lo_u32 v8, s63, v5
	v_mov_b32_e32 v5, v0
	s_branch .LBB59_21
.LBB59_20:                              ;   in Loop: Header=BB59_21 Depth=2
	s_or_b64 exec, exec, s[2:3]
	v_cmp_le_i32_e32 vcc, s60, v5
	v_add_u32_e32 v8, v8, v3
	s_or_b64 s[20:21], vcc, s[20:21]
	v_mov_b32_e32 v4, v16
	s_andn2_b64 exec, exec, s[20:21]
	s_cbranch_execz .LBB59_75
.LBB59_21:                              ;   Parent Loop BB59_16 Depth=1
                                        ; =>  This Inner Loop Header: Depth=2
	v_add_u32_e32 v5, v5, v2
	v_cmp_gt_u32_e32 vcc, s60, v5
	s_waitcnt lgkmcnt(0)
	v_mov_b32_e32 v17, 0
	v_mov_b32_e32 v16, 0
	s_and_saveexec_b64 s[2:3], vcc
	s_cbranch_execz .LBB59_23
; %bb.22:                               ;   in Loop: Header=BB59_21 Depth=2
	v_lshl_add_u64 v[18:19], v[8:9], 1, s[72:73]
	global_load_ushort v16, v[18:19], off
.LBB59_23:                              ;   in Loop: Header=BB59_21 Depth=2
	s_or_b64 exec, exec, s[2:3]
	s_waitcnt vmcnt(0)
	v_cmp_lt_i16_e32 vcc, -1, v4
	s_nop 1
	v_cndmask_b32_e32 v18, v33, v35, vcc
	v_xor_b32_sdwa v18, v18, v4 dst_sel:DWORD dst_unused:UNUSED_PAD src0_sel:DWORD src1_sel:WORD_0
	v_cmp_o_f16_e32 vcc, v4, v4
	s_nop 1
	v_cndmask_b32_e32 v18, v33, v18, vcc
	v_and_b32_e32 v18, v18, v39
	v_cmp_eq_u32_e32 vcc, v18, v29
	s_cmp_lg_u64 vcc, 0
	s_cselect_b64 s[2:3], -1, 0
	s_and_b64 s[2:3], s[0:1], s[2:3]
	s_and_saveexec_b64 s[22:23], s[2:3]
	s_cbranch_execz .LBB59_27
; %bb.24:                               ;   in Loop: Header=BB59_21 Depth=2
	s_mov_b64 s[26:27], exec
	v_mbcnt_lo_u32_b32 v17, s26, 0
	v_mbcnt_hi_u32_b32 v17, s27, v17
	s_bcnt1_i32_b64 s28, vcc
	v_cmp_eq_u32_e64 s[2:3], 0, v17
                                        ; implicit-def: $vgpr18
	s_and_saveexec_b64 s[24:25], s[2:3]
; %bb.25:                               ;   in Loop: Header=BB59_21 Depth=2
	s_bcnt1_i32_b64 s2, s[26:27]
	s_mul_i32 s2, s28, s2
	v_mov_b32_e32 v18, s2
	ds_add_rtn_u32 v18, v9, v18 offset:4104
; %bb.26:                               ;   in Loop: Header=BB59_21 Depth=2
	s_or_b64 exec, exec, s[24:25]
	s_waitcnt lgkmcnt(0)
	v_readfirstlane_b32 s2, v18
	s_nop 1
	v_mov_b32_e32 v18, s2
	v_mad_u32_u24 v17, s28, v17, v18
.LBB59_27:                              ;   in Loop: Header=BB59_21 Depth=2
	s_or_b64 exec, exec, s[22:23]
	ds_bpermute_b32 v17, v7, v17
	s_and_saveexec_b64 s[2:3], vcc
	s_cbranch_execz .LBB59_20
; %bb.28:                               ;   in Loop: Header=BB59_21 Depth=2
	v_and_b32_e32 v19, vcc_lo, v12
	v_and_b32_e32 v18, vcc_hi, v1
	v_bcnt_u32_b32 v19, v19, 0
	v_bcnt_u32_b32 v18, v18, v19
	v_lshlrev_b32_e32 v18, 1, v18
	s_waitcnt lgkmcnt(0)
	v_lshl_add_u32 v17, v17, 1, v18
	ds_write_b16 v17, v4
	s_branch .LBB59_20
.LBB59_29:                              ;   in Loop: Header=BB59_16 Depth=1
	s_mov_b64 s[6:7], -1
	s_mov_b64 s[2:3], 0
.LBB59_30:                              ;   in Loop: Header=BB59_16 Depth=1
	s_and_b64 vcc, exec, s[6:7]
	s_cbranch_vccz .LBB59_41
.LBB59_31:                              ;   in Loop: Header=BB59_16 Depth=1
	v_mov_b32_e32 v2, 0
	s_mov_b64 s[2:3], exec
	v_readlane_b32 s6, v56, 11
	v_readlane_b32 s7, v56, 12
	s_and_b64 s[6:7], s[2:3], s[6:7]
	s_mov_b64 exec, s[6:7]
	s_cbranch_execz .LBB59_33
; %bb.32:                               ;   in Loop: Header=BB59_16 Depth=1
	global_load_ushort v2, v[10:11], off
.LBB59_33:                              ;   in Loop: Header=BB59_16 Depth=1
	s_or_b64 exec, exec, s[2:3]
	s_mov_b64 s[2:3], exec
	v_readlane_b32 s6, v56, 13
	v_readlane_b32 s7, v56, 14
	s_and_b64 s[6:7], s[2:3], s[6:7]
	s_mov_b64 exec, s[6:7]
	s_cbranch_execz .LBB59_38
; %bb.34:                               ;   in Loop: Header=BB59_16 Depth=1
	v_readlane_b32 s6, v56, 15
	v_readlane_b32 s7, v56, 16
	v_mov_b32_e32 v4, v21
	v_mov_b32_e32 v17, v0
	s_nop 2
	global_load_ushort v3, v9, s[6:7]
	s_mov_b64 s[6:7], 0
	s_waitcnt vmcnt(0)
	v_add_u32_e32 v8, v0, v3
	v_lshlrev_b32_e32 v5, 1, v3
	v_mul_lo_u32 v16, s63, v3
	v_mul_lo_u32 v8, s63, v8
	s_branch .LBB59_36
.LBB59_35:                              ;   in Loop: Header=BB59_36 Depth=2
	s_or_b64 exec, exec, s[20:21]
	v_cmp_le_i32_e32 vcc, s60, v17
	ds_write_b16 v4, v2
	v_add_u32_e32 v4, v4, v5
	v_add_u32_e32 v8, v8, v16
	s_or_b64 s[6:7], vcc, s[6:7]
	s_waitcnt vmcnt(0)
	v_mov_b32_e32 v2, v18
	s_andn2_b64 exec, exec, s[6:7]
	s_cbranch_execz .LBB59_38
.LBB59_36:                              ;   Parent Loop BB59_16 Depth=1
                                        ; =>  This Inner Loop Header: Depth=2
	v_add_u32_e32 v17, v17, v3
	v_cmp_gt_u32_e32 vcc, s60, v17
	v_mov_b32_e32 v18, 0
	s_and_saveexec_b64 s[20:21], vcc
	s_cbranch_execz .LBB59_35
; %bb.37:                               ;   in Loop: Header=BB59_36 Depth=2
	v_lshl_add_u64 v[18:19], v[8:9], 1, s[72:73]
	global_load_ushort v18, v[18:19], off
	s_branch .LBB59_35
.LBB59_38:                              ;   in Loop: Header=BB59_16 Depth=1
	s_or_b64 exec, exec, s[2:3]
	s_waitcnt lgkmcnt(0)
	s_barrier
	s_mov_b64 s[2:3], exec
	v_readlane_b32 s6, v56, 5
	v_readlane_b32 s7, v56, 6
	s_and_b64 s[6:7], s[2:3], s[6:7]
	s_mov_b64 exec, s[6:7]
; %bb.39:                               ;   in Loop: Header=BB59_16 Depth=1
	ds_write_b32 v9, v42 offset:4096
; %bb.40:                               ;   in Loop: Header=BB59_16 Depth=1
	s_or_b64 exec, exec, s[2:3]
	s_mov_b64 s[2:3], -1
	s_waitcnt lgkmcnt(0)
	s_barrier
.LBB59_41:                              ;   in Loop: Header=BB59_16 Depth=1
	s_and_b64 vcc, exec, s[2:3]
	s_cbranch_vccz .LBB59_43
; %bb.42:                               ;   in Loop: Header=BB59_16 Depth=1
	s_waitcnt vmcnt(0)
	ds_read_b32 v2, v9 offset:4096
	s_waitcnt lgkmcnt(0)
	v_readfirstlane_b32 s19, v2
.LBB59_43:                              ;   in Loop: Header=BB59_16 Depth=1
	s_cmp_lt_i32 s19, 1
	s_mov_b64 s[2:3], -1
                                        ; implicit-def: $vgpr4_vgpr5
	s_cbranch_scc1 .LBB59_53
; %bb.44:                               ;   in Loop: Header=BB59_16 Depth=1
	s_and_b64 vcc, exec, s[2:3]
	s_cbranch_vccnz .LBB59_66
.LBB59_45:                              ;   in Loop: Header=BB59_16 Depth=1
	s_lshl_b32 s19, s18, 6
	s_and_saveexec_b64 s[2:3], s[0:1]
	s_cbranch_execz .LBB59_47
.LBB59_46:                              ;   in Loop: Header=BB59_16 Depth=1
	v_lshl_add_u32 v8, s19, 2, v23
	s_waitcnt vmcnt(0)
	ds_write_b128 v8, v[2:5]
.LBB59_47:                              ;   in Loop: Header=BB59_16 Depth=1
	s_or_b64 exec, exec, s[2:3]
	s_waitcnt lgkmcnt(0)
	s_barrier
	s_and_saveexec_b64 s[2:3], s[76:77]
	s_cbranch_execz .LBB59_86
; %bb.48:                               ;   in Loop: Header=BB59_16 Depth=1
	v_add_u32_e32 v4, s19, v20
	s_andn2_b64 vcc, exec, s[80:81]
	s_waitcnt vmcnt(0)
	v_mov_b32_e32 v2, 0
	s_cbranch_vccnz .LBB59_85
; %bb.49:                               ;   in Loop: Header=BB59_16 Depth=1
	v_readlane_b32 s6, v56, 17
	v_readlane_b32 s7, v56, 18
	s_andn2_b64 vcc, exec, s[6:7]
	s_cbranch_vccnz .LBB59_78
; %bb.50:                               ;   in Loop: Header=BB59_16 Depth=1
	v_readlane_b32 s6, v56, 19
	v_readlane_b32 s7, v56, 20
	s_andn2_b64 vcc, exec, s[6:7]
	v_lshl_add_u32 v5, v4, 2, v37
	s_cbranch_vccnz .LBB59_79
; %bb.51:                               ;   in Loop: Header=BB59_16 Depth=1
	s_mov_b32 s7, 1
	s_mov_b32 s6, 0
	v_mov_b32_e32 v2, 0
	v_mov_b32_e32 v3, 0
	v_readlane_b32 s20, v56, 21
.LBB59_52:                              ;   Parent Loop BB59_16 Depth=1
                                        ; =>  This Inner Loop Header: Depth=2
	v_lshl_add_u32 v8, s6, 4, v5
	v_lshl_add_u32 v43, s7, 4, v5
	ds_read2_b32 v[16:17], v8 offset1:8
	ds_read2_b32 v[18:19], v43 offset1:8
	ds_read2_b32 v[44:45], v8 offset0:16 offset1:24
	ds_read2_b32 v[46:47], v43 offset0:16 offset1:24
	;; [unrolled: 1-line block ×6, first 2 shown]
	s_waitcnt lgkmcnt(7)
	v_add3_u32 v2, v16, v2, v17
	s_waitcnt lgkmcnt(6)
	v_add3_u32 v3, v18, v3, v19
	;; [unrolled: 2-line block ×3, first 2 shown]
	v_add3_u32 v2, v44, v2, v45
	s_add_i32 s7, s7, 16
	s_add_i32 s6, s6, 16
	s_add_i32 s20, s20, -8
	s_waitcnt lgkmcnt(3)
	v_add3_u32 v2, v48, v2, v49
	s_waitcnt lgkmcnt(2)
	v_add3_u32 v3, v50, v3, v51
	s_cmp_lg_u32 s20, 0
	s_waitcnt lgkmcnt(0)
	v_add3_u32 v3, v54, v3, v55
	v_add3_u32 v2, v52, v2, v53
	s_cbranch_scc1 .LBB59_52
	s_branch .LBB59_80
.LBB59_53:                              ;   in Loop: Header=BB59_16 Depth=1
	v_mov_b32_e32 v8, v9
	v_mov_b64_e32 v[4:5], v[8:9]
	s_waitcnt vmcnt(0)
	v_mov_b64_e32 v[2:3], v[8:9]
	s_and_saveexec_b64 s[88:89], s[10:11]
	s_cbranch_execnz .LBB59_56
; %bb.54:                               ;   in Loop: Header=BB59_16 Depth=1
	s_or_b64 exec, exec, s[88:89]
	v_mov_b32_e32 v18, 0
	s_and_saveexec_b64 s[2:3], s[12:13]
	s_cbranch_execnz .LBB59_59
.LBB59_55:                              ;   in Loop: Header=BB59_16 Depth=1
	s_or_b64 exec, exec, s[2:3]
	s_and_saveexec_b64 s[6:7], s[14:15]
	s_cbranch_execnz .LBB59_60
	s_branch .LBB59_65
.LBB59_56:                              ;   in Loop: Header=BB59_16 Depth=1
	s_mov_b32 s78, 0
	s_mov_b64 s[90:91], 0
	v_mov_b32_e32 v8, v13
	s_mov_b32 s74, 0
	s_mov_b32 s75, s78
	;; [unrolled: 1-line block ×4, first 2 shown]
.LBB59_57:                              ;   Parent Loop BB59_16 Depth=1
                                        ; =>  This Inner Loop Header: Depth=2
	v_add_u32_e32 v2, s78, v28
	v_add_u32_e32 v4, s78, v25
	;; [unrolled: 1-line block ×4, first 2 shown]
	v_ashrrev_i32_e32 v3, 31, v2
	v_ashrrev_i32_e32 v5, 31, v4
	;; [unrolled: 1-line block ×4, first 2 shown]
	v_lshl_add_u64 v[2:3], v[2:3], 1, s[72:73]
	v_lshl_add_u64 v[4:5], v[4:5], 1, s[72:73]
	;; [unrolled: 1-line block ×4, first 2 shown]
	global_load_ushort v2, v[2:3], off
	s_nop 0
	global_load_ushort v3, v[4:5], off
	s_nop 0
	global_load_ushort v4, v[16:17], off
	global_load_ushort v5, v[18:19], off
	v_add_u32_e32 v8, s9, v8
	s_add_i32 s78, s78, s17
	v_cmp_le_i32_e32 vcc, s82, v8
	s_waitcnt vmcnt(3)
	v_cmp_lt_i16_e64 s[2:3], -1, v2
	s_nop 1
	v_cndmask_b32_e64 v16, v33, v35, s[2:3]
	s_waitcnt vmcnt(2)
	v_cmp_lt_i16_e64 s[2:3], -1, v3
	s_waitcnt vmcnt(1)
	v_cmp_o_f16_e64 s[20:21], v4, v4
	s_waitcnt vmcnt(0)
	v_cmp_o_f16_e64 s[22:23], v5, v5
	v_cndmask_b32_e64 v17, v33, v35, s[2:3]
	v_cmp_lt_i16_e64 s[2:3], -1, v4
	v_xor_b32_sdwa v17, v17, v3 dst_sel:DWORD dst_unused:UNUSED_PAD src0_sel:DWORD src1_sel:WORD_0
	v_cmp_o_f16_e64 s[24:25], v2, v2
	v_cndmask_b32_e64 v18, v33, v35, s[2:3]
	v_cmp_lt_i16_e64 s[2:3], -1, v5
	s_nop 1
	v_cndmask_b32_e64 v19, v33, v35, s[2:3]
	v_cmp_o_f16_e64 s[2:3], v3, v3
	v_xor_b32_sdwa v3, v18, v4 dst_sel:DWORD dst_unused:UNUSED_PAD src0_sel:DWORD src1_sel:WORD_0
	v_xor_b32_sdwa v4, v19, v5 dst_sel:DWORD dst_unused:UNUSED_PAD src0_sel:DWORD src1_sel:WORD_0
	;; [unrolled: 1-line block ×3, first 2 shown]
	v_cndmask_b32_e64 v2, v33, v5, s[24:25]
	v_cndmask_b32_e64 v5, v33, v17, s[2:3]
	v_and_b32_e32 v16, v2, v39
	v_bfe_u32 v2, v2, v34, 2
	v_cndmask_b32_e64 v3, v33, v3, s[20:21]
	v_and_b32_e32 v17, v5, v39
	v_bfe_u32 v5, v5, v34, 2
	v_cmp_eq_u32_e64 s[2:3], v16, v29
	v_cmp_eq_u32_e64 s[26:27], 0, v2
	v_cndmask_b32_e64 v4, v33, v4, s[22:23]
	v_and_b32_e32 v18, v3, v39
	v_bfe_u32 v3, v3, v34, 2
	v_cmp_eq_u32_e64 s[20:21], v17, v29
	v_cmp_eq_u32_e64 s[28:29], 0, v5
	s_and_b64 s[26:27], s[2:3], s[26:27]
	v_and_b32_e32 v19, v4, v39
	v_bfe_u32 v4, v4, v34, 2
	v_cmp_eq_u32_e64 s[22:23], v18, v29
	v_cmp_eq_u32_e64 s[30:31], 0, v3
	;; [unrolled: 1-line block ×5, first 2 shown]
	v_cndmask_b32_e64 v2, 0, 1, s[26:27]
	s_and_b64 s[26:27], s[20:21], s[28:29]
	v_cmp_eq_u32_e64 s[24:25], v19, v29
	v_cmp_eq_u32_e64 s[34:35], 0, v4
	;; [unrolled: 1-line block ×5, first 2 shown]
	v_cndmask_b32_e64 v3, 0, 1, s[26:27]
	s_and_b64 s[26:27], s[22:23], s[30:31]
	v_cmp_eq_u32_e64 s[42:43], 1, v4
	v_cmp_eq_u32_e64 s[50:51], 2, v4
	v_cmp_eq_u32_e64 s[58:59], 3, v4
	v_cndmask_b32_e64 v4, 0, 1, s[26:27]
	s_and_b64 s[26:27], s[24:25], s[34:35]
	v_cmp_eq_u32_e64 s[38:39], 1, v5
	v_cmp_eq_u32_e64 s[46:47], 2, v5
	;; [unrolled: 1-line block ×3, first 2 shown]
	v_cndmask_b32_e64 v5, 0, 1, s[26:27]
	s_and_b64 s[26:27], s[2:3], s[36:37]
	v_cndmask_b32_e64 v16, 0, 1, s[26:27]
	s_and_b64 s[26:27], s[20:21], s[38:39]
	;; [unrolled: 2-line block ×5, first 2 shown]
	s_and_b64 s[2:3], s[2:3], s[52:53]
	v_cndmask_b32_e64 v43, 0, 1, s[26:27]
	s_and_b64 s[26:27], s[20:21], s[46:47]
	v_cndmask_b32_e64 v47, 0, 1, s[2:3]
	;; [unrolled: 2-line block ×7, first 2 shown]
	v_cndmask_b32_e64 v50, 0, 1, s[2:3]
	v_cmp_ne_u32_e64 s[2:3], 0, v2
	v_cmp_ne_u32_e64 s[20:21], 0, v3
	;; [unrolled: 1-line block ×11, first 2 shown]
	s_bcnt1_i32_b64 s2, s[2:3]
	s_bcnt1_i32_b64 s3, s[20:21]
	;; [unrolled: 1-line block ×8, first 2 shown]
	v_cmp_ne_u32_e64 s[34:35], 0, v19
	v_cmp_ne_u32_e64 s[40:41], 0, v45
	;; [unrolled: 1-line block ×3, first 2 shown]
	s_bcnt1_i32_b64 s23, s[28:29]
	s_bcnt1_i32_b64 s27, s[38:39]
	;; [unrolled: 1-line block ×3, first 2 shown]
	s_add_i32 s2, s74, s2
	s_add_i32 s22, s75, s22
	;; [unrolled: 1-line block ×4, first 2 shown]
	v_cmp_ne_u32_e64 s[42:43], 0, v46
	v_cmp_ne_u32_e64 s[50:51], 0, v50
	s_bcnt1_i32_b64 s25, s[34:35]
	s_bcnt1_i32_b64 s28, s[40:41]
	;; [unrolled: 1-line block ×3, first 2 shown]
	s_add_i32 s22, s22, s23
	s_add_i32 s2, s2, s3
	;; [unrolled: 1-line block ×4, first 2 shown]
	s_bcnt1_i32_b64 s29, s[42:43]
	s_bcnt1_i32_b64 s35, s[50:51]
	s_add_i32 s2, s2, s20
	s_add_i32 s7, s22, s24
	s_add_i32 s6, s6, s28
	s_add_i32 s3, s3, s34
	s_add_i32 s75, s7, s25
	s_add_i32 s74, s2, s21
	s_add_i32 s7, s3, s35
	s_add_i32 s6, s6, s29
	s_or_b64 s[90:91], vcc, s[90:91]
	v_mov_b64_e32 v[2:3], s[74:75]
	v_mov_b64_e32 v[4:5], s[6:7]
	s_andn2_b64 exec, exec, s[90:91]
	s_cbranch_execnz .LBB59_57
; %bb.58:                               ;   in Loop: Header=BB59_16 Depth=1
	s_or_b64 exec, exec, s[90:91]
	s_or_b64 exec, exec, s[88:89]
	v_mov_b32_e32 v18, 0
	s_and_saveexec_b64 s[2:3], s[12:13]
	s_cbranch_execz .LBB59_55
.LBB59_59:                              ;   in Loop: Header=BB59_16 Depth=1
	global_load_ushort v18, v[14:15], off
	s_or_b64 exec, exec, s[2:3]
	s_and_saveexec_b64 s[6:7], s[14:15]
	s_cbranch_execz .LBB59_65
.LBB59_60:                              ;   in Loop: Header=BB59_16 Depth=1
	s_mov_b64 s[20:21], 0
	v_mov_b32_e32 v16, v30
	v_mov_b32_e32 v8, v24
	s_branch .LBB59_62
.LBB59_61:                              ;   in Loop: Header=BB59_62 Depth=2
	s_or_b64 exec, exec, s[2:3]
	s_waitcnt vmcnt(0)
	v_cmp_lt_i16_e32 vcc, -1, v18
	v_add_u32_e32 v16, s66, v16
	s_nop 0
	v_cndmask_b32_e32 v19, v33, v35, vcc
	v_xor_b32_sdwa v19, v19, v18 dst_sel:DWORD dst_unused:UNUSED_PAD src0_sel:DWORD src1_sel:WORD_0
	v_cmp_o_f16_e32 vcc, v18, v18
	s_nop 1
	v_cndmask_b32_e32 v18, v33, v19, vcc
	v_and_b32_e32 v19, v18, v39
	v_bfe_u32 v18, v18, v34, 2
	v_cmp_eq_u32_e32 vcc, v19, v29
	v_cmp_eq_u32_e64 s[2:3], 0, v18
	s_and_b64 s[2:3], vcc, s[2:3]
	s_nop 0
	v_cndmask_b32_e64 v19, 0, 1, s[2:3]
	v_cmp_ne_u32_e64 s[2:3], 0, v19
	s_bcnt1_i32_b64 s22, s[2:3]
	v_cmp_eq_u32_e64 s[2:3], 1, v18
	s_and_b64 s[2:3], vcc, s[2:3]
	v_add_u32_e32 v2, s22, v2
	v_cndmask_b32_e64 v19, 0, 1, s[2:3]
	v_cmp_ne_u32_e64 s[2:3], 0, v19
	s_bcnt1_i32_b64 s2, s[2:3]
	s_nop 0
	v_add_u32_e32 v3, s2, v3
	v_cmp_eq_u32_e64 s[2:3], 2, v18
	s_and_b64 s[2:3], vcc, s[2:3]
	s_nop 0
	v_cndmask_b32_e64 v19, 0, 1, s[2:3]
	v_cmp_ne_u32_e64 s[2:3], 0, v19
	s_bcnt1_i32_b64 s22, s[2:3]
	v_cmp_eq_u32_e64 s[2:3], 3, v18
	s_and_b64 s[2:3], vcc, s[2:3]
	v_add_u32_e32 v4, s22, v4
	v_cndmask_b32_e64 v18, 0, 1, s[2:3]
	v_cmp_ne_u32_e32 vcc, 0, v18
	s_bcnt1_i32_b64 s2, vcc
	v_cmp_le_i32_e32 vcc, s60, v8
	v_add_u32_e32 v5, s2, v5
	s_or_b64 s[20:21], vcc, s[20:21]
	v_mov_b32_e32 v18, v17
	s_andn2_b64 exec, exec, s[20:21]
	s_cbranch_execz .LBB59_64
.LBB59_62:                              ;   Parent Loop BB59_16 Depth=1
                                        ; =>  This Inner Loop Header: Depth=2
	v_add_u32_e32 v8, s64, v8
	v_cmp_gt_u32_e32 vcc, s60, v8
	v_mov_b32_e32 v17, 0
	s_and_saveexec_b64 s[2:3], vcc
	s_cbranch_execz .LBB59_61
; %bb.63:                               ;   in Loop: Header=BB59_62 Depth=2
	v_ashrrev_i32_e32 v17, 31, v16
	v_lshl_add_u64 v[44:45], v[16:17], 1, s[72:73]
	global_load_ushort v17, v[44:45], off
	s_branch .LBB59_61
.LBB59_64:                              ;   in Loop: Header=BB59_16 Depth=1
	s_or_b64 exec, exec, s[20:21]
.LBB59_65:                              ;   in Loop: Header=BB59_16 Depth=1
	s_or_b64 exec, exec, s[6:7]
	s_branch .LBB59_45
.LBB59_66:                              ;   in Loop: Header=BB59_16 Depth=1
	s_mul_hi_u32 s2, s19, s85
	s_mul_i32 s2, s2, s9
	s_sub_i32 s2, s19, s2
	s_sub_i32 s3, s2, s9
	s_cmp_ge_u32 s2, s9
	s_cselect_b32 s2, s3, s2
	s_sub_i32 s3, s2, s9
	s_cmp_ge_u32 s2, s9
	s_cselect_b32 s2, s3, s2
	s_sub_i32 s78, s19, s2
	v_mov_b32_e32 v8, v9
	v_cmp_gt_u32_e32 vcc, s78, v13
	v_mov_b64_e32 v[4:5], v[8:9]
	s_waitcnt vmcnt(0)
	v_mov_b64_e32 v[2:3], v[8:9]
	s_and_saveexec_b64 s[6:7], vcc
	s_cbranch_execz .LBB59_70
; %bb.67:                               ;   in Loop: Header=BB59_16 Depth=1
	s_mov_b32 s88, 0
	s_mov_b64 s[74:75], 0
	v_mov_b32_e32 v8, v31
	v_mov_b32_e32 v16, v13
	s_mov_b32 s89, s88
	s_mov_b32 s90, s88
	;; [unrolled: 1-line block ×3, first 2 shown]
.LBB59_68:                              ;   Parent Loop BB59_16 Depth=1
                                        ; =>  This Inner Loop Header: Depth=2
	ds_read_b64 v[2:3], v8
	v_add_u32_e32 v16, s9, v16
	v_cmp_le_i32_e32 vcc, s78, v16
	v_add_u32_e32 v8, s84, v8
	s_waitcnt lgkmcnt(0)
	v_cmp_lt_i16_e64 s[2:3], -1, v2
	v_cmp_o_f16_e64 s[20:21], v3, v3
	s_nop 0
	v_cndmask_b32_e64 v4, v33, v35, s[2:3]
	v_cmp_gt_i16_sdwa s[2:3], v2, v36 src0_sel:WORD_1 src1_sel:DWORD
	v_cmp_o_f16_sdwa s[22:23], v3, v3 src0_sel:WORD_1 src1_sel:WORD_1
	v_cmp_o_f16_e64 s[24:25], v2, v2
	v_cndmask_b32_e64 v5, v33, v35, s[2:3]
	v_cmp_lt_i16_e64 s[2:3], -1, v3
	v_xor_b32_sdwa v5, v5, v2 dst_sel:DWORD dst_unused:UNUSED_PAD src0_sel:DWORD src1_sel:WORD_1
	s_nop 0
	v_cndmask_b32_e64 v17, v33, v35, s[2:3]
	v_cmp_gt_i16_sdwa s[2:3], v3, v36 src0_sel:WORD_1 src1_sel:DWORD
	v_bitop3_b32 v17, v17, v3, s8 bitop3:0x78
	s_nop 0
	v_cndmask_b32_e64 v18, v33, v35, s[2:3]
	v_xor_b32_sdwa v18, v18, v3 dst_sel:DWORD dst_unused:UNUSED_PAD src0_sel:DWORD src1_sel:WORD_1
	v_bitop3_b32 v3, v4, v2, s8 bitop3:0x78
	v_cmp_o_f16_sdwa s[2:3], v2, v2 src0_sel:WORD_1 src1_sel:WORD_1
	v_cndmask_b32_e64 v2, v33, v3, s[24:25]
	v_cndmask_b32_e64 v4, v33, v17, s[20:21]
	;; [unrolled: 1-line block ×3, first 2 shown]
	v_and_b32_e32 v17, v2, v39
	v_bfe_u32 v2, v2, v34, 2
	v_cndmask_b32_e64 v5, v33, v18, s[22:23]
	v_and_b32_e32 v18, v3, v39
	v_bfe_u32 v3, v3, v34, 2
	v_cmp_eq_u32_e64 s[2:3], v17, v29
	v_cmp_eq_u32_e64 s[26:27], 0, v2
	v_and_b32_e32 v19, v4, v39
	v_bfe_u32 v4, v4, v34, 2
	v_cmp_eq_u32_e64 s[20:21], v18, v29
	v_cmp_eq_u32_e64 s[28:29], 0, v3
	s_and_b64 s[26:27], s[2:3], s[26:27]
	v_and_b32_e32 v43, v5, v39
	v_bfe_u32 v5, v5, v34, 2
	v_cmp_eq_u32_e64 s[22:23], v19, v29
	v_cmp_eq_u32_e64 s[30:31], 0, v4
	;; [unrolled: 1-line block ×5, first 2 shown]
	v_cndmask_b32_e64 v2, 0, 1, s[26:27]
	s_and_b64 s[26:27], s[20:21], s[28:29]
	v_cmp_eq_u32_e64 s[24:25], v43, v29
	v_cmp_eq_u32_e64 s[34:35], 0, v5
	;; [unrolled: 1-line block ×5, first 2 shown]
	v_cndmask_b32_e64 v3, 0, 1, s[26:27]
	s_and_b64 s[26:27], s[22:23], s[30:31]
	v_cmp_eq_u32_e64 s[40:41], 1, v4
	v_cmp_eq_u32_e64 s[48:49], 2, v4
	;; [unrolled: 1-line block ×3, first 2 shown]
	v_cndmask_b32_e64 v4, 0, 1, s[26:27]
	s_and_b64 s[26:27], s[24:25], s[34:35]
	v_cmp_eq_u32_e64 s[42:43], 1, v5
	v_cmp_eq_u32_e64 s[50:51], 2, v5
	;; [unrolled: 1-line block ×3, first 2 shown]
	v_cndmask_b32_e64 v5, 0, 1, s[26:27]
	s_and_b64 s[26:27], s[2:3], s[36:37]
	v_cndmask_b32_e64 v17, 0, 1, s[26:27]
	s_and_b64 s[26:27], s[20:21], s[38:39]
	;; [unrolled: 2-line block ×5, first 2 shown]
	s_and_b64 s[2:3], s[2:3], s[52:53]
	v_cndmask_b32_e64 v44, 0, 1, s[26:27]
	s_and_b64 s[26:27], s[20:21], s[46:47]
	v_cndmask_b32_e64 v48, 0, 1, s[2:3]
	;; [unrolled: 2-line block ×7, first 2 shown]
	v_cndmask_b32_e64 v51, 0, 1, s[2:3]
	v_cmp_ne_u32_e64 s[2:3], 0, v2
	v_cmp_ne_u32_e64 s[20:21], 0, v3
	;; [unrolled: 1-line block ×11, first 2 shown]
	s_bcnt1_i32_b64 s2, s[2:3]
	s_bcnt1_i32_b64 s3, s[20:21]
	s_bcnt1_i32_b64 s20, s[22:23]
	s_bcnt1_i32_b64 s21, s[24:25]
	s_bcnt1_i32_b64 s22, s[26:27]
	s_bcnt1_i32_b64 s24, s[30:31]
	s_bcnt1_i32_b64 s26, s[36:37]
	s_bcnt1_i32_b64 s30, s[44:45]
	v_cmp_ne_u32_e64 s[34:35], 0, v43
	v_cmp_ne_u32_e64 s[40:41], 0, v46
	;; [unrolled: 1-line block ×3, first 2 shown]
	s_bcnt1_i32_b64 s23, s[28:29]
	s_bcnt1_i32_b64 s27, s[38:39]
	;; [unrolled: 1-line block ×3, first 2 shown]
	s_add_i32 s2, s88, s2
	s_add_i32 s22, s89, s22
	;; [unrolled: 1-line block ×4, first 2 shown]
	v_cmp_ne_u32_e64 s[42:43], 0, v47
	v_cmp_ne_u32_e64 s[50:51], 0, v51
	s_bcnt1_i32_b64 s25, s[34:35]
	s_bcnt1_i32_b64 s28, s[40:41]
	s_bcnt1_i32_b64 s34, s[48:49]
	s_add_i32 s22, s22, s23
	s_add_i32 s2, s2, s3
	;; [unrolled: 1-line block ×4, first 2 shown]
	s_bcnt1_i32_b64 s29, s[42:43]
	s_bcnt1_i32_b64 s35, s[50:51]
	s_add_i32 s2, s2, s20
	s_add_i32 s20, s22, s24
	;; [unrolled: 1-line block ×8, first 2 shown]
	s_or_b64 s[74:75], vcc, s[74:75]
	v_mov_b64_e32 v[2:3], s[88:89]
	v_mov_b64_e32 v[4:5], s[90:91]
	s_andn2_b64 exec, exec, s[74:75]
	s_cbranch_execnz .LBB59_68
; %bb.69:                               ;   in Loop: Header=BB59_16 Depth=1
	s_or_b64 exec, exec, s[74:75]
.LBB59_70:                              ;   in Loop: Header=BB59_16 Depth=1
	s_or_b64 exec, exec, s[6:7]
	v_add_u32_e32 v8, s78, v0
	v_cmp_gt_i32_e32 vcc, s19, v8
	s_and_saveexec_b64 s[6:7], vcc
	s_cbranch_execz .LBB59_74
; %bb.71:                               ;   in Loop: Header=BB59_16 Depth=1
	v_lshlrev_b32_e32 v16, 1, v8
	s_mov_b64 s[28:29], 0
.LBB59_72:                              ;   Parent Loop BB59_16 Depth=1
                                        ; =>  This Inner Loop Header: Depth=2
	ds_read_u16 v17, v16
	v_add_u32_e32 v8, s64, v8
	v_cmp_le_i32_e32 vcc, s19, v8
	v_add_u32_e32 v16, s83, v16
	s_waitcnt lgkmcnt(0)
	v_cmp_lt_i16_e64 s[2:3], -1, v17
	s_nop 1
	v_cndmask_b32_e64 v18, v33, v35, s[2:3]
	v_xor_b32_sdwa v18, v18, v17 dst_sel:DWORD dst_unused:UNUSED_PAD src0_sel:DWORD src1_sel:WORD_0
	v_cmp_o_f16_e64 s[2:3], v17, v17
	s_nop 1
	v_cndmask_b32_e64 v17, v33, v18, s[2:3]
	v_and_b32_e32 v18, v17, v39
	v_bfe_u32 v17, v17, v34, 2
	v_cmp_eq_u32_e64 s[2:3], v18, v29
	v_cmp_eq_u32_e64 s[20:21], 0, v17
	;; [unrolled: 1-line block ×3, first 2 shown]
	s_and_b64 s[20:21], s[2:3], s[20:21]
	v_cmp_eq_u32_e64 s[24:25], 2, v17
	v_cmp_eq_u32_e64 s[26:27], 3, v17
	v_cndmask_b32_e64 v17, 0, 1, s[20:21]
	s_and_b64 s[20:21], s[2:3], s[22:23]
	v_cndmask_b32_e64 v18, 0, 1, s[20:21]
	s_and_b64 s[20:21], s[2:3], s[24:25]
	s_and_b64 s[2:3], s[2:3], s[26:27]
	v_cndmask_b32_e64 v19, 0, 1, s[20:21]
	v_cndmask_b32_e64 v43, 0, 1, s[2:3]
	v_cmp_ne_u32_e64 s[2:3], 0, v17
	v_cmp_ne_u32_e64 s[20:21], 0, v18
	;; [unrolled: 1-line block ×4, first 2 shown]
	s_bcnt1_i32_b64 s2, s[2:3]
	s_bcnt1_i32_b64 s3, s[20:21]
	;; [unrolled: 1-line block ×4, first 2 shown]
	v_add_u32_e32 v3, s3, v3
	v_add_u32_e32 v2, s2, v2
	;; [unrolled: 1-line block ×3, first 2 shown]
	s_or_b64 s[28:29], vcc, s[28:29]
	v_add_u32_e32 v4, s20, v4
	s_andn2_b64 exec, exec, s[28:29]
	s_cbranch_execnz .LBB59_72
; %bb.73:                               ;   in Loop: Header=BB59_16 Depth=1
	s_or_b64 exec, exec, s[28:29]
.LBB59_74:                              ;   in Loop: Header=BB59_16 Depth=1
	s_or_b64 exec, exec, s[6:7]
	s_lshl_b32 s19, s18, 6
	s_and_saveexec_b64 s[2:3], s[0:1]
	s_cbranch_execnz .LBB59_46
	s_branch .LBB59_47
.LBB59_75:                              ;   in Loop: Header=BB59_16 Depth=1
	s_or_b64 exec, exec, s[20:21]
	s_waitcnt lgkmcnt(0)
	s_barrier
	s_mov_b64 s[2:3], exec
	v_readlane_b32 s20, v56, 5
	v_readlane_b32 s21, v56, 6
	s_and_b64 s[20:21], s[2:3], s[20:21]
	s_mov_b64 exec, s[20:21]
	s_cbranch_execz .LBB59_77
; %bb.76:                               ;   in Loop: Header=BB59_16 Depth=1
	ds_read_b32 v2, v9 offset:4104
	s_waitcnt lgkmcnt(0)
	ds_write_b32 v9, v2 offset:4096
.LBB59_77:                              ;   in Loop: Header=BB59_16 Depth=1
	s_or_b64 exec, exec, s[2:3]
	s_waitcnt lgkmcnt(0)
	s_barrier
	s_mov_b64 s[2:3], -1
	s_and_b64 vcc, exec, s[6:7]
	s_cbranch_vccnz .LBB59_31
	s_branch .LBB59_41
.LBB59_78:                              ;   in Loop: Header=BB59_16 Depth=1
	v_mov_b32_e32 v2, 0
	s_mov_b32 s20, 0
	s_cbranch_execnz .LBB59_83
	s_branch .LBB59_85
.LBB59_79:                              ;   in Loop: Header=BB59_16 Depth=1
	v_mov_b32_e32 v8, v9
	v_readlane_b32 s6, v56, 31
	v_mov_b64_e32 v[2:3], v[8:9]
	v_readlane_b32 s7, v56, 32
.LBB59_80:                              ;   in Loop: Header=BB59_16 Depth=1
	v_readlane_b32 s20, v56, 23
	v_readlane_b32 s21, v56, 24
	s_andn2_b64 vcc, exec, s[20:21]
	v_readlane_b32 s20, v56, 22
	s_cbranch_vccnz .LBB59_82
.LBB59_81:                              ;   Parent Loop BB59_16 Depth=1
                                        ; =>  This Inner Loop Header: Depth=2
	v_lshl_add_u32 v8, s6, 4, v5
	v_lshl_add_u32 v16, s7, 4, v5
	ds_read_b32 v16, v16
	ds_read_b32 v8, v8
	s_add_i32 s7, s7, 2
	s_add_i32 s6, s6, 2
	s_add_i32 s20, s20, -1
	s_cmp_lg_u32 s20, 0
	s_waitcnt lgkmcnt(1)
	v_add_u32_e32 v3, v16, v3
	s_waitcnt lgkmcnt(0)
	v_add_u32_e32 v2, v8, v2
	s_cbranch_scc1 .LBB59_81
.LBB59_82:                              ;   in Loop: Header=BB59_16 Depth=1
	v_readlane_b32 s6, v56, 27
	v_add_u32_e32 v2, v2, v3
	v_readlane_b32 s20, v56, 26
	v_readlane_b32 s7, v56, 28
	s_and_b64 vcc, exec, s[6:7]
	s_cbranch_vccz .LBB59_85
.LBB59_83:                              ;   in Loop: Header=BB59_16 Depth=1
	s_lshl_b32 s6, s18, 8
	s_lshl_b32 s7, s20, 4
	s_add_i32 s6, s6, s7
	v_add_u32_e32 v3, s6, v32
	v_readlane_b32 s6, v56, 25
	s_sub_i32 s6, s6, s20
.LBB59_84:                              ;   Parent Loop BB59_16 Depth=1
                                        ; =>  This Inner Loop Header: Depth=2
	ds_read_b32 v5, v3
	s_add_i32 s6, s6, -1
	v_add_u32_e32 v3, 16, v3
	s_cmp_eq_u32 s6, 0
	s_waitcnt lgkmcnt(0)
	v_add_u32_e32 v2, v5, v2
	s_cbranch_scc0 .LBB59_84
.LBB59_85:                              ;   in Loop: Header=BB59_16 Depth=1
	v_lshlrev_b32_e32 v3, 2, v4
	ds_write_b32 v3, v2 offset:3072
.LBB59_86:                              ;   in Loop: Header=BB59_16 Depth=1
	s_or_b64 exec, exec, s[2:3]
	s_lshl_b32 s2, s19, 2
	s_waitcnt vmcnt(0)
	v_mov_b32_e32 v2, s2
	s_waitcnt lgkmcnt(0)
	s_barrier
	ds_read_b128 v[2:5], v2 offset:3072
	v_cmp_eq_u32_e32 vcc, 1, v41
	s_mov_b64 s[20:21], -1
	s_mov_b64 s[26:27], -1
                                        ; implicit-def: $sgpr24_sgpr25
                                        ; implicit-def: $sgpr22_sgpr23
	s_waitcnt lgkmcnt(0)
	v_readfirstlane_b32 s40, v2
	s_cmp_eq_u32 s40, 1
	v_readfirstlane_b32 s52, v4
	v_lshlrev_b32_e64 v4, v34, 3
	s_cselect_b64 s[2:3], -1, 0
	v_readfirstlane_b32 s44, v3
	v_readfirstlane_b32 s19, v5
	v_not_b32_e32 v8, v4
	s_and_b64 s[6:7], s[2:3], vcc
	s_and_saveexec_b64 s[2:3], s[6:7]
	s_cbranch_execz .LBB59_114
; %bb.87:                               ;   in Loop: Header=BB59_16 Depth=1
	ds_read_b32 v2, v9 offset:4096
	s_waitcnt lgkmcnt(0)
	s_barrier
	v_readfirstlane_b32 s41, v2
	s_and_saveexec_b64 s[22:23], s[4:5]
; %bb.88:                               ;   in Loop: Header=BB59_16 Depth=1
	ds_write_b16 v22, v9
; %bb.89:                               ;   in Loop: Header=BB59_16 Depth=1
	s_or_b64 exec, exec, s[22:23]
	v_and_b32_e32 v29, v29, v8
	v_or_b32_e32 v39, v39, v4
	s_mov_b64 s[22:23], -1
	s_mov_b64 s[24:25], 0
	s_cmp_lt_i32 s41, 1
	s_mov_b64 s[26:27], 0
	s_mov_b64 s[28:29], -1
	s_waitcnt lgkmcnt(0)
	s_barrier
                                        ; implicit-def: $vgpr40
	s_cbranch_scc0 .LBB59_101
; %bb.90:                               ;   in Loop: Header=BB59_16 Depth=1
	s_mov_b64 s[28:29], 0
                                        ; implicit-def: $vgpr40
	s_mov_b64 s[30:31], exec
	v_readlane_b32 s34, v56, 29
	v_readlane_b32 s35, v56, 30
	s_and_b64 s[34:35], s[30:31], s[34:35]
	s_mov_b64 exec, s[34:35]
	s_cbranch_execz .LBB59_100
; %bb.91:                               ;   in Loop: Header=BB59_16 Depth=1
	v_mov_b32_e32 v2, v6
	v_mov_b32_e32 v5, v0
                                        ; implicit-def: $sgpr34_sgpr35
	s_branch .LBB59_95
.LBB59_92:                              ;   in Loop: Header=BB59_95 Depth=2
	s_or_b64 exec, exec, s[36:37]
	s_waitcnt lgkmcnt(0)
	s_barrier
	ds_read_b32 v3, v9 offset:3072
	s_waitcnt lgkmcnt(0)
	s_barrier
	v_cmp_neq_f16_e32 vcc, 0, v3
	s_cbranch_vccnz .LBB59_98
; %bb.93:                               ;   in Loop: Header=BB59_95 Depth=2
	v_add_u32_e32 v5, s64, v5
	v_cmp_le_i32_e32 vcc, s16, v5
	v_add_u32_e32 v2, s66, v2
	s_mov_b64 s[36:37], 0
	s_orn2_b64 s[38:39], vcc, exec
.LBB59_94:                              ;   in Loop: Header=BB59_95 Depth=2
	s_and_b64 s[38:39], exec, s[38:39]
	s_or_b64 s[26:27], s[38:39], s[26:27]
	s_andn2_b64 s[34:35], s[34:35], exec
	s_and_b64 s[36:37], s[36:37], exec
	s_or_b64 s[34:35], s[34:35], s[36:37]
	s_andn2_b64 exec, exec, s[26:27]
	s_cbranch_execz .LBB59_99
.LBB59_95:                              ;   Parent Loop BB59_16 Depth=1
                                        ; =>  This Inner Loop Header: Depth=2
	v_cmp_gt_i32_e32 vcc, s60, v5
	s_and_saveexec_b64 s[36:37], vcc
	s_cbranch_execz .LBB59_92
; %bb.96:                               ;   in Loop: Header=BB59_95 Depth=2
	v_ashrrev_i32_e32 v3, 31, v2
	v_lshl_add_u64 v[16:17], v[2:3], 1, s[72:73]
	global_load_ushort v3, v[16:17], off
	s_waitcnt vmcnt(0)
	v_cmp_lt_i16_e32 vcc, -1, v3
	s_nop 1
	v_cndmask_b32_e32 v16, v33, v35, vcc
	v_xor_b32_sdwa v16, v16, v3 dst_sel:DWORD dst_unused:UNUSED_PAD src0_sel:DWORD src1_sel:WORD_0
	v_cmp_o_f16_e32 vcc, v3, v3
	s_nop 1
	v_cndmask_b32_e32 v16, v33, v16, vcc
	v_and_b32_e32 v16, v16, v39
	v_cmp_eq_u32_e32 vcc, v16, v29
	s_and_b64 exec, exec, vcc
	s_cbranch_execz .LBB59_92
; %bb.97:                               ;   in Loop: Header=BB59_95 Depth=2
	v_perm_b32 v3, v3, s61, v38
	ds_write_b32 v9, v3 offset:3072
	s_branch .LBB59_92
.LBB59_98:                              ;   in Loop: Header=BB59_95 Depth=2
	s_mov_b64 s[38:39], -1
                                        ; implicit-def: $vgpr5
                                        ; implicit-def: $vgpr2
	s_mov_b64 s[36:37], -1
	s_branch .LBB59_94
.LBB59_99:                              ;   in Loop: Header=BB59_16 Depth=1
	s_or_b64 exec, exec, s[26:27]
	v_lshrrev_b32_e32 v40, 16, v3
	s_and_b64 s[26:27], s[34:35], exec
.LBB59_100:                             ;   in Loop: Header=BB59_16 Depth=1
	s_or_b64 exec, exec, s[30:31]
.LBB59_101:                             ;   in Loop: Header=BB59_16 Depth=1
	s_and_b64 vcc, exec, s[28:29]
	s_cbranch_vccz .LBB59_113
; %bb.102:                              ;   in Loop: Header=BB59_16 Depth=1
	v_readlane_b32 s22, v56, 8
	s_add_i32 s36, s41, s22
	s_abs_i32 s23, s36
	s_mul_hi_u32 s24, s23, s79
	s_mul_i32 s24, s24, s64
	s_sub_i32 s23, s23, s24
	s_ashr_i32 s22, s36, 31
	s_sub_i32 s24, s23, s64
	s_cmp_ge_u32 s23, s64
	s_cselect_b32 s23, s24, s23
	s_sub_i32 s24, s23, s64
	s_cmp_ge_u32 s23, s64
	s_cselect_b32 s23, s24, s23
	s_xor_b32 s23, s23, s22
	s_sub_i32 s22, s22, s23
	s_add_i32 s36, s36, s22
	v_cmp_gt_i32_e32 vcc, s36, v0
                                        ; implicit-def: $vgpr40
	s_and_saveexec_b64 s[22:23], vcc
	s_cbranch_execz .LBB59_112
; %bb.103:                              ;   in Loop: Header=BB59_16 Depth=1
	s_mov_b64 s[24:25], 0
	v_mov_b32_e32 v2, v21
	v_mov_b32_e32 v3, v0
                                        ; implicit-def: $sgpr28_sgpr29
	s_branch .LBB59_107
.LBB59_104:                             ;   in Loop: Header=BB59_107 Depth=2
	s_or_b64 exec, exec, s[30:31]
	s_waitcnt lgkmcnt(0)
	s_barrier
	ds_read_b32 v5, v9 offset:3072
	s_waitcnt lgkmcnt(0)
	s_barrier
	v_cmp_neq_f16_e32 vcc, 0, v5
	s_cbranch_vccnz .LBB59_110
; %bb.105:                              ;   in Loop: Header=BB59_107 Depth=2
	v_add_u32_e32 v3, s64, v3
	v_cmp_le_i32_e32 vcc, s36, v3
	v_add_u32_e32 v2, s83, v2
	s_mov_b64 s[30:31], 0
	s_orn2_b64 s[34:35], vcc, exec
.LBB59_106:                             ;   in Loop: Header=BB59_107 Depth=2
	s_and_b64 s[34:35], exec, s[34:35]
	s_or_b64 s[24:25], s[34:35], s[24:25]
	s_andn2_b64 s[28:29], s[28:29], exec
	s_and_b64 s[30:31], s[30:31], exec
	s_or_b64 s[28:29], s[28:29], s[30:31]
	s_andn2_b64 exec, exec, s[24:25]
	s_cbranch_execz .LBB59_111
.LBB59_107:                             ;   Parent Loop BB59_16 Depth=1
                                        ; =>  This Inner Loop Header: Depth=2
	v_cmp_gt_i32_e32 vcc, s41, v3
	s_and_saveexec_b64 s[30:31], vcc
	s_cbranch_execz .LBB59_104
; %bb.108:                              ;   in Loop: Header=BB59_107 Depth=2
	ds_read_u16 v5, v2
	s_waitcnt lgkmcnt(0)
	v_cmp_lt_i16_e32 vcc, -1, v5
	s_nop 1
	v_cndmask_b32_e32 v16, v33, v35, vcc
	v_xor_b32_sdwa v16, v16, v5 dst_sel:DWORD dst_unused:UNUSED_PAD src0_sel:DWORD src1_sel:WORD_0
	v_cmp_o_f16_e32 vcc, v5, v5
	s_nop 1
	v_cndmask_b32_e32 v16, v33, v16, vcc
	v_and_b32_e32 v16, v16, v39
	v_cmp_eq_u32_e32 vcc, v16, v29
	s_and_b64 exec, exec, vcc
	s_cbranch_execz .LBB59_104
; %bb.109:                              ;   in Loop: Header=BB59_107 Depth=2
	v_perm_b32 v5, v5, s61, v38
	ds_write_b32 v9, v5 offset:3072
	s_branch .LBB59_104
.LBB59_110:                             ;   in Loop: Header=BB59_107 Depth=2
	s_mov_b64 s[34:35], -1
                                        ; implicit-def: $vgpr3
                                        ; implicit-def: $vgpr2
	s_mov_b64 s[30:31], -1
	s_branch .LBB59_106
.LBB59_111:                             ;   in Loop: Header=BB59_16 Depth=1
	s_or_b64 exec, exec, s[24:25]
	s_andn2_b64 s[24:25], s[26:27], exec
	s_and_b64 s[26:27], s[28:29], exec
	v_lshrrev_b32_e32 v40, 16, v5
	s_or_b64 s[26:27], s[24:25], s[26:27]
.LBB59_112:                             ;   in Loop: Header=BB59_16 Depth=1
	s_or_b64 exec, exec, s[22:23]
	s_mov_b64 s[22:23], 0
	s_mov_b64 s[24:25], -1
.LBB59_113:                             ;   in Loop: Header=BB59_16 Depth=1
	s_orn2_b64 s[26:27], s[26:27], exec
.LBB59_114:                             ;   in Loop: Header=BB59_16 Depth=1
	s_or_b64 exec, exec, s[2:3]
	s_andn2_b64 s[2:3], s[86:87], exec
	s_and_b64 s[24:25], s[24:25], exec
	s_or_b64 s[86:87], s[2:3], s[24:25]
	s_andn2_b64 s[2:3], s[70:71], exec
	s_and_b64 s[22:23], s[22:23], exec
	v_readfirstlane_b32 s30, v0
	s_andn2_b64 s[68:69], s[68:69], exec
	s_or_b64 s[70:71], s[2:3], s[22:23]
                                        ; implicit-def: $vgpr16
	s_and_saveexec_b64 s[2:3], s[26:27]
	s_cbranch_execz .LBB59_15
; %bb.115:                              ;   in Loop: Header=BB59_16 Depth=1
	s_xor_b64 s[20:21], s[6:7], -1
	s_mov_b64 s[22:23], 0
	v_mov_b32_e32 v16, 1
	v_mov_b32_e32 v5, 1
	s_and_saveexec_b64 s[6:7], s[20:21]
	s_cbranch_execz .LBB59_124
; %bb.116:                              ;   in Loop: Header=BB59_16 Depth=1
	v_cmp_ge_i32_e32 vcc, s40, v41
	s_and_saveexec_b64 s[20:21], vcc
	s_xor_b64 s[20:21], exec, s[20:21]
	s_cbranch_execz .LBB59_121
; %bb.117:                              ;   in Loop: Header=BB59_16 Depth=1
	ds_read_b32 v2, v9 offset:4096
	v_and_b32_e32 v29, v29, v8
	v_or_b32_e32 v39, v39, v4
	s_waitcnt lgkmcnt(0)
	v_cmp_ne_u32_e32 vcc, 0, v2
	s_cbranch_vccnz .LBB59_121
; %bb.118:                              ;   in Loop: Header=BB59_16 Depth=1
	s_mov_b64 s[22:23], exec
	v_readlane_b32 s24, v56, 5
	v_readlane_b32 s25, v56, 6
	s_and_b64 s[24:25], s[22:23], s[24:25]
	s_mov_b64 exec, s[24:25]
; %bb.119:                              ;   in Loop: Header=BB59_16 Depth=1
	v_mov_b32_e32 v2, s40
	ds_write_b32 v9, v2 offset:4100
; %bb.120:                              ;   in Loop: Header=BB59_16 Depth=1
	s_or_b64 exec, exec, s[22:23]
	s_waitcnt lgkmcnt(0)
	s_barrier
.LBB59_121:                             ;   in Loop: Header=BB59_16 Depth=1
	s_or_saveexec_b64 s[20:21], s[20:21]
	s_mov_b64 s[22:23], 0
	v_mov_b32_e32 v5, 8
	s_xor_b64 exec, exec, s[20:21]
; %bb.122:                              ;   in Loop: Header=BB59_16 Depth=1
	s_mov_b64 s[22:23], exec
	v_subrev_u32_e32 v41, s40, v41
	v_mov_b32_e32 v5, 0
; %bb.123:                              ;   in Loop: Header=BB59_16 Depth=1
	s_or_b64 exec, exec, s[20:21]
	s_and_b64 s[22:23], s[22:23], exec
	v_mov_b32_e32 v16, v41
.LBB59_124:                             ;   in Loop: Header=BB59_16 Depth=1
	s_or_b64 exec, exec, s[6:7]
	s_mov_b64 s[20:21], -1
	s_mov_b64 s[6:7], -1
                                        ; implicit-def: $sgpr24_sgpr25
                                        ; implicit-def: $sgpr26_sgpr27
	s_and_saveexec_b64 s[28:29], s[22:23]
	s_xor_b64 s[22:23], exec, s[28:29]
	s_cbranch_execz .LBB59_247
; %bb.125:                              ;   in Loop: Header=BB59_16 Depth=1
	s_cmp_eq_u32 s44, 1
	s_cselect_b64 s[6:7], -1, 0
	v_cmp_eq_u32_e32 vcc, 1, v16
	s_and_b64 s[6:7], s[6:7], vcc
	s_mov_b64 s[30:31], -1
                                        ; implicit-def: $sgpr26_sgpr27
                                        ; implicit-def: $sgpr24_sgpr25
	s_and_saveexec_b64 s[28:29], s[6:7]
	s_cbranch_execz .LBB59_153
; %bb.126:                              ;   in Loop: Header=BB59_16 Depth=1
	ds_read_b32 v2, v9 offset:4096
	s_waitcnt lgkmcnt(0)
	s_barrier
	v_readfirstlane_b32 s45, v2
	s_and_saveexec_b64 s[24:25], s[4:5]
; %bb.127:                              ;   in Loop: Header=BB59_16 Depth=1
	ds_write_b16 v22, v9
; %bb.128:                              ;   in Loop: Header=BB59_16 Depth=1
	s_or_b64 exec, exec, s[24:25]
	v_and_b32_e32 v2, v29, v8
	v_lshl_or_b32 v29, 1, v34, v2
	v_or_b32_e32 v39, v39, v4
	s_mov_b64 s[24:25], -1
	s_mov_b64 s[26:27], 0
	s_cmp_gt_i32 s45, 0
	s_mov_b64 s[30:31], 0
	s_mov_b64 s[34:35], -1
	s_waitcnt lgkmcnt(0)
	s_barrier
                                        ; implicit-def: $vgpr40
	s_cbranch_scc1 .LBB59_140
; %bb.129:                              ;   in Loop: Header=BB59_16 Depth=1
	s_mov_b64 s[34:35], 0
                                        ; implicit-def: $vgpr40
	s_mov_b64 s[36:37], exec
	v_readlane_b32 s38, v56, 29
	v_readlane_b32 s39, v56, 30
	s_and_b64 s[38:39], s[36:37], s[38:39]
	s_mov_b64 exec, s[38:39]
	s_cbranch_execz .LBB59_139
; %bb.130:                              ;   in Loop: Header=BB59_16 Depth=1
	v_mov_b32_e32 v2, v6
	v_mov_b32_e32 v17, v0
                                        ; implicit-def: $sgpr38_sgpr39
	s_branch .LBB59_134
.LBB59_131:                             ;   in Loop: Header=BB59_134 Depth=2
	s_or_b64 exec, exec, s[40:41]
	s_waitcnt lgkmcnt(0)
	s_barrier
	ds_read_b32 v3, v9 offset:3072
	s_waitcnt lgkmcnt(0)
	s_barrier
	v_cmp_neq_f16_e32 vcc, 0, v3
	s_cbranch_vccnz .LBB59_137
; %bb.132:                              ;   in Loop: Header=BB59_134 Depth=2
	v_add_u32_e32 v17, s64, v17
	v_cmp_le_i32_e32 vcc, s16, v17
	v_add_u32_e32 v2, s66, v2
	s_mov_b64 s[40:41], 0
	s_orn2_b64 s[42:43], vcc, exec
.LBB59_133:                             ;   in Loop: Header=BB59_134 Depth=2
	s_and_b64 s[42:43], exec, s[42:43]
	s_or_b64 s[30:31], s[42:43], s[30:31]
	s_andn2_b64 s[38:39], s[38:39], exec
	s_and_b64 s[40:41], s[40:41], exec
	s_or_b64 s[38:39], s[38:39], s[40:41]
	s_andn2_b64 exec, exec, s[30:31]
	s_cbranch_execz .LBB59_138
.LBB59_134:                             ;   Parent Loop BB59_16 Depth=1
                                        ; =>  This Inner Loop Header: Depth=2
	v_cmp_gt_i32_e32 vcc, s60, v17
	s_and_saveexec_b64 s[40:41], vcc
	s_cbranch_execz .LBB59_131
; %bb.135:                              ;   in Loop: Header=BB59_134 Depth=2
	v_ashrrev_i32_e32 v3, 31, v2
	v_lshl_add_u64 v[18:19], v[2:3], 1, s[72:73]
	global_load_ushort v3, v[18:19], off
	s_waitcnt vmcnt(0)
	v_cmp_lt_i16_e32 vcc, -1, v3
	s_nop 1
	v_cndmask_b32_e32 v18, v33, v35, vcc
	v_xor_b32_sdwa v18, v18, v3 dst_sel:DWORD dst_unused:UNUSED_PAD src0_sel:DWORD src1_sel:WORD_0
	v_cmp_o_f16_e32 vcc, v3, v3
	s_nop 1
	v_cndmask_b32_e32 v18, v33, v18, vcc
	v_and_b32_e32 v18, v18, v39
	v_cmp_eq_u32_e32 vcc, v18, v29
	s_and_b64 exec, exec, vcc
	s_cbranch_execz .LBB59_131
; %bb.136:                              ;   in Loop: Header=BB59_134 Depth=2
	v_perm_b32 v3, v3, s61, v38
	ds_write_b32 v9, v3 offset:3072
	s_branch .LBB59_131
.LBB59_137:                             ;   in Loop: Header=BB59_134 Depth=2
	s_mov_b64 s[42:43], -1
                                        ; implicit-def: $vgpr17
                                        ; implicit-def: $vgpr2
	s_mov_b64 s[40:41], -1
	s_branch .LBB59_133
.LBB59_138:                             ;   in Loop: Header=BB59_16 Depth=1
	s_or_b64 exec, exec, s[30:31]
	v_lshrrev_b32_e32 v40, 16, v3
	s_and_b64 s[30:31], s[38:39], exec
.LBB59_139:                             ;   in Loop: Header=BB59_16 Depth=1
	s_or_b64 exec, exec, s[36:37]
.LBB59_140:                             ;   in Loop: Header=BB59_16 Depth=1
	s_and_b64 vcc, exec, s[34:35]
	s_cbranch_vccz .LBB59_152
; %bb.141:                              ;   in Loop: Header=BB59_16 Depth=1
	v_readlane_b32 s24, v56, 8
	s_add_i32 s40, s45, s24
	s_abs_i32 s25, s40
	s_mul_hi_u32 s26, s25, s79
	s_mul_i32 s26, s26, s64
	s_sub_i32 s25, s25, s26
	s_ashr_i32 s24, s40, 31
	s_sub_i32 s26, s25, s64
	s_cmp_ge_u32 s25, s64
	s_cselect_b32 s25, s26, s25
	s_sub_i32 s26, s25, s64
	s_cmp_ge_u32 s25, s64
	s_cselect_b32 s25, s26, s25
	s_xor_b32 s25, s25, s24
	s_sub_i32 s24, s24, s25
	s_add_i32 s40, s40, s24
	v_cmp_gt_i32_e32 vcc, s40, v0
                                        ; implicit-def: $vgpr40
	s_and_saveexec_b64 s[24:25], vcc
	s_cbranch_execz .LBB59_151
; %bb.142:                              ;   in Loop: Header=BB59_16 Depth=1
	s_mov_b64 s[26:27], 0
	v_mov_b32_e32 v2, v21
	v_mov_b32_e32 v3, v0
                                        ; implicit-def: $sgpr34_sgpr35
	s_branch .LBB59_146
.LBB59_143:                             ;   in Loop: Header=BB59_146 Depth=2
	s_or_b64 exec, exec, s[36:37]
	s_waitcnt lgkmcnt(0)
	s_barrier
	ds_read_b32 v17, v9 offset:3072
	s_waitcnt lgkmcnt(0)
	s_barrier
	v_cmp_eq_f16_e32 vcc, 0, v17
	s_cbranch_vccz .LBB59_149
; %bb.144:                              ;   in Loop: Header=BB59_146 Depth=2
	v_add_u32_e32 v3, s64, v3
	v_cmp_le_i32_e32 vcc, s40, v3
	v_add_u32_e32 v2, s83, v2
	s_mov_b64 s[36:37], 0
	s_orn2_b64 s[38:39], vcc, exec
.LBB59_145:                             ;   in Loop: Header=BB59_146 Depth=2
	s_and_b64 s[38:39], exec, s[38:39]
	s_or_b64 s[26:27], s[38:39], s[26:27]
	s_andn2_b64 s[34:35], s[34:35], exec
	s_and_b64 s[36:37], s[36:37], exec
	s_or_b64 s[34:35], s[34:35], s[36:37]
	s_andn2_b64 exec, exec, s[26:27]
	s_cbranch_execz .LBB59_150
.LBB59_146:                             ;   Parent Loop BB59_16 Depth=1
                                        ; =>  This Inner Loop Header: Depth=2
	v_cmp_gt_i32_e32 vcc, s45, v3
	s_and_saveexec_b64 s[36:37], vcc
	s_cbranch_execz .LBB59_143
; %bb.147:                              ;   in Loop: Header=BB59_146 Depth=2
	ds_read_u16 v17, v2
	s_waitcnt lgkmcnt(0)
	v_cmp_lt_i16_e32 vcc, -1, v17
	s_nop 1
	v_cndmask_b32_e32 v18, v33, v35, vcc
	v_xor_b32_sdwa v18, v18, v17 dst_sel:DWORD dst_unused:UNUSED_PAD src0_sel:DWORD src1_sel:WORD_0
	v_cmp_o_f16_e32 vcc, v17, v17
	s_nop 1
	v_cndmask_b32_e32 v18, v33, v18, vcc
	v_and_b32_e32 v18, v18, v39
	v_cmp_eq_u32_e32 vcc, v18, v29
	s_and_b64 exec, exec, vcc
	s_cbranch_execz .LBB59_143
; %bb.148:                              ;   in Loop: Header=BB59_146 Depth=2
	v_perm_b32 v17, v17, s61, v38
	ds_write_b32 v9, v17 offset:3072
	s_branch .LBB59_143
.LBB59_149:                             ;   in Loop: Header=BB59_146 Depth=2
	s_mov_b64 s[38:39], -1
                                        ; implicit-def: $vgpr3
                                        ; implicit-def: $vgpr2
	s_mov_b64 s[36:37], -1
	s_branch .LBB59_145
.LBB59_150:                             ;   in Loop: Header=BB59_16 Depth=1
	s_or_b64 exec, exec, s[26:27]
	s_andn2_b64 s[26:27], s[30:31], exec
	s_and_b64 s[30:31], s[34:35], exec
	v_lshrrev_b32_e32 v40, 16, v17
	s_or_b64 s[30:31], s[26:27], s[30:31]
.LBB59_151:                             ;   in Loop: Header=BB59_16 Depth=1
	s_or_b64 exec, exec, s[24:25]
	s_mov_b64 s[24:25], 0
	s_mov_b64 s[26:27], -1
.LBB59_152:                             ;   in Loop: Header=BB59_16 Depth=1
	s_orn2_b64 s[30:31], s[30:31], exec
.LBB59_153:                             ;   in Loop: Header=BB59_16 Depth=1
	s_or_b64 exec, exec, s[28:29]
	s_mov_b64 s[34:35], 0
	s_and_saveexec_b64 s[28:29], s[30:31]
	s_cbranch_execz .LBB59_246
; %bb.154:                              ;   in Loop: Header=BB59_16 Depth=1
	s_xor_b64 s[30:31], s[6:7], -1
	s_mov_b64 s[38:39], 0
	v_mov_b32_e32 v17, 1
	v_mov_b32_e32 v5, 1
	s_and_saveexec_b64 s[6:7], s[30:31]
	s_cbranch_execz .LBB59_163
; %bb.155:                              ;   in Loop: Header=BB59_16 Depth=1
	v_cmp_ge_i32_e32 vcc, s44, v16
	s_and_saveexec_b64 s[30:31], vcc
	s_xor_b64 s[30:31], exec, s[30:31]
	s_cbranch_execz .LBB59_160
; %bb.156:                              ;   in Loop: Header=BB59_16 Depth=1
	ds_read_b32 v2, v9 offset:4096
	v_and_b32_e32 v3, v29, v8
	v_lshl_or_b32 v29, 1, v34, v3
	v_or_b32_e32 v39, v39, v4
	s_waitcnt lgkmcnt(0)
	v_cmp_ne_u32_e32 vcc, 0, v2
	s_cbranch_vccnz .LBB59_160
; %bb.157:                              ;   in Loop: Header=BB59_16 Depth=1
	s_mov_b64 s[34:35], exec
	v_readlane_b32 s36, v56, 5
	v_readlane_b32 s37, v56, 6
	s_and_b64 s[36:37], s[34:35], s[36:37]
	s_mov_b64 exec, s[36:37]
; %bb.158:                              ;   in Loop: Header=BB59_16 Depth=1
	v_mov_b32_e32 v2, s44
	ds_write_b32 v9, v2 offset:4100
; %bb.159:                              ;   in Loop: Header=BB59_16 Depth=1
	s_or_b64 exec, exec, s[34:35]
	s_waitcnt lgkmcnt(0)
	s_barrier
.LBB59_160:                             ;   in Loop: Header=BB59_16 Depth=1
	s_or_saveexec_b64 s[30:31], s[30:31]
	s_mov_b64 s[34:35], 0
	v_mov_b32_e32 v5, 8
	s_xor_b64 exec, exec, s[30:31]
; %bb.161:                              ;   in Loop: Header=BB59_16 Depth=1
	s_mov_b64 s[34:35], exec
	v_subrev_u32_e32 v16, s44, v16
	v_mov_b32_e32 v5, 0
; %bb.162:                              ;   in Loop: Header=BB59_16 Depth=1
	s_or_b64 exec, exec, s[30:31]
	s_and_b64 s[38:39], s[34:35], exec
	v_mov_b32_e32 v17, v16
.LBB59_163:                             ;   in Loop: Header=BB59_16 Depth=1
	s_or_b64 exec, exec, s[6:7]
	s_mov_b64 s[6:7], -1
                                        ; implicit-def: $sgpr34_sgpr35
                                        ; implicit-def: $sgpr36_sgpr37
	s_and_saveexec_b64 s[30:31], s[38:39]
	s_cbranch_execz .LBB59_245
; %bb.164:                              ;   in Loop: Header=BB59_16 Depth=1
	s_cmp_eq_u32 s52, 1
	s_cselect_b64 s[6:7], -1, 0
	v_cmp_eq_u32_e32 vcc, 1, v17
	s_and_b64 s[6:7], s[6:7], vcc
	s_mov_b64 s[40:41], -1
                                        ; implicit-def: $sgpr36_sgpr37
                                        ; implicit-def: $sgpr34_sgpr35
	s_and_saveexec_b64 s[38:39], s[6:7]
	s_cbranch_execz .LBB59_192
; %bb.165:                              ;   in Loop: Header=BB59_16 Depth=1
	ds_read_b32 v2, v9 offset:4096
	s_waitcnt lgkmcnt(0)
	s_barrier
	v_readfirstlane_b32 s53, v2
	s_and_saveexec_b64 s[34:35], s[4:5]
; %bb.166:                              ;   in Loop: Header=BB59_16 Depth=1
	ds_write_b16 v22, v9
; %bb.167:                              ;   in Loop: Header=BB59_16 Depth=1
	s_or_b64 exec, exec, s[34:35]
	v_and_b32_e32 v2, v29, v8
	v_lshl_or_b32 v29, 2, v34, v2
	v_or_b32_e32 v39, v39, v4
	s_mov_b64 s[34:35], -1
	s_mov_b64 s[36:37], 0
	s_cmp_gt_i32 s53, 0
	s_mov_b64 s[40:41], 0
	s_mov_b64 s[42:43], -1
	s_waitcnt lgkmcnt(0)
	s_barrier
                                        ; implicit-def: $vgpr40
	s_cbranch_scc1 .LBB59_179
; %bb.168:                              ;   in Loop: Header=BB59_16 Depth=1
	s_mov_b64 s[42:43], 0
                                        ; implicit-def: $vgpr40
	s_mov_b64 s[44:45], exec
	v_readlane_b32 s46, v56, 29
	v_readlane_b32 s47, v56, 30
	s_and_b64 s[46:47], s[44:45], s[46:47]
	s_mov_b64 exec, s[46:47]
	s_cbranch_execz .LBB59_178
; %bb.169:                              ;   in Loop: Header=BB59_16 Depth=1
	v_mov_b32_e32 v2, v6
	v_mov_b32_e32 v16, v0
                                        ; implicit-def: $sgpr46_sgpr47
	s_branch .LBB59_173
.LBB59_170:                             ;   in Loop: Header=BB59_173 Depth=2
	s_or_b64 exec, exec, s[48:49]
	s_waitcnt lgkmcnt(0)
	s_barrier
	ds_read_b32 v3, v9 offset:3072
	s_waitcnt lgkmcnt(0)
	s_barrier
	v_cmp_neq_f16_e32 vcc, 0, v3
	s_cbranch_vccnz .LBB59_176
; %bb.171:                              ;   in Loop: Header=BB59_173 Depth=2
	v_add_u32_e32 v16, s64, v16
	v_cmp_le_i32_e32 vcc, s16, v16
	v_add_u32_e32 v2, s66, v2
	s_mov_b64 s[48:49], 0
	s_orn2_b64 s[50:51], vcc, exec
.LBB59_172:                             ;   in Loop: Header=BB59_173 Depth=2
	s_and_b64 s[50:51], exec, s[50:51]
	s_or_b64 s[40:41], s[50:51], s[40:41]
	s_andn2_b64 s[46:47], s[46:47], exec
	s_and_b64 s[48:49], s[48:49], exec
	s_or_b64 s[46:47], s[46:47], s[48:49]
	s_andn2_b64 exec, exec, s[40:41]
	s_cbranch_execz .LBB59_177
.LBB59_173:                             ;   Parent Loop BB59_16 Depth=1
                                        ; =>  This Inner Loop Header: Depth=2
	v_cmp_gt_i32_e32 vcc, s60, v16
	s_and_saveexec_b64 s[48:49], vcc
	s_cbranch_execz .LBB59_170
; %bb.174:                              ;   in Loop: Header=BB59_173 Depth=2
	v_ashrrev_i32_e32 v3, 31, v2
	v_lshl_add_u64 v[18:19], v[2:3], 1, s[72:73]
	global_load_ushort v3, v[18:19], off
	s_waitcnt vmcnt(0)
	v_cmp_lt_i16_e32 vcc, -1, v3
	s_nop 1
	v_cndmask_b32_e32 v18, v33, v35, vcc
	v_xor_b32_sdwa v18, v18, v3 dst_sel:DWORD dst_unused:UNUSED_PAD src0_sel:DWORD src1_sel:WORD_0
	v_cmp_o_f16_e32 vcc, v3, v3
	s_nop 1
	v_cndmask_b32_e32 v18, v33, v18, vcc
	v_and_b32_e32 v18, v18, v39
	v_cmp_eq_u32_e32 vcc, v18, v29
	s_and_b64 exec, exec, vcc
	s_cbranch_execz .LBB59_170
; %bb.175:                              ;   in Loop: Header=BB59_173 Depth=2
	v_perm_b32 v3, v3, s61, v38
	ds_write_b32 v9, v3 offset:3072
	s_branch .LBB59_170
.LBB59_176:                             ;   in Loop: Header=BB59_173 Depth=2
	s_mov_b64 s[50:51], -1
                                        ; implicit-def: $vgpr16
                                        ; implicit-def: $vgpr2
	s_mov_b64 s[48:49], -1
	s_branch .LBB59_172
.LBB59_177:                             ;   in Loop: Header=BB59_16 Depth=1
	s_or_b64 exec, exec, s[40:41]
	v_lshrrev_b32_e32 v40, 16, v3
	s_and_b64 s[40:41], s[46:47], exec
.LBB59_178:                             ;   in Loop: Header=BB59_16 Depth=1
	s_or_b64 exec, exec, s[44:45]
.LBB59_179:                             ;   in Loop: Header=BB59_16 Depth=1
	s_and_b64 vcc, exec, s[42:43]
	s_cbranch_vccz .LBB59_191
; %bb.180:                              ;   in Loop: Header=BB59_16 Depth=1
	v_readlane_b32 s34, v56, 8
	s_add_i32 s48, s53, s34
	s_abs_i32 s35, s48
	s_mul_hi_u32 s36, s35, s79
	s_mul_i32 s36, s36, s64
	s_sub_i32 s35, s35, s36
	s_ashr_i32 s34, s48, 31
	s_sub_i32 s36, s35, s64
	s_cmp_ge_u32 s35, s64
	s_cselect_b32 s35, s36, s35
	s_sub_i32 s36, s35, s64
	s_cmp_ge_u32 s35, s64
	s_cselect_b32 s35, s36, s35
	s_xor_b32 s35, s35, s34
	s_sub_i32 s34, s34, s35
	s_add_i32 s48, s48, s34
	v_cmp_gt_i32_e32 vcc, s48, v0
                                        ; implicit-def: $vgpr40
	s_and_saveexec_b64 s[34:35], vcc
	s_cbranch_execz .LBB59_190
; %bb.181:                              ;   in Loop: Header=BB59_16 Depth=1
	s_mov_b64 s[36:37], 0
	v_mov_b32_e32 v2, v21
	v_mov_b32_e32 v3, v0
                                        ; implicit-def: $sgpr42_sgpr43
	s_branch .LBB59_185
.LBB59_182:                             ;   in Loop: Header=BB59_185 Depth=2
	s_or_b64 exec, exec, s[44:45]
	s_waitcnt lgkmcnt(0)
	s_barrier
	ds_read_b32 v16, v9 offset:3072
	s_waitcnt lgkmcnt(0)
	s_barrier
	v_cmp_eq_f16_e32 vcc, 0, v16
	s_cbranch_vccz .LBB59_188
; %bb.183:                              ;   in Loop: Header=BB59_185 Depth=2
	v_add_u32_e32 v3, s64, v3
	v_cmp_le_i32_e32 vcc, s48, v3
	v_add_u32_e32 v2, s83, v2
	s_mov_b64 s[44:45], 0
	s_orn2_b64 s[46:47], vcc, exec
.LBB59_184:                             ;   in Loop: Header=BB59_185 Depth=2
	s_and_b64 s[46:47], exec, s[46:47]
	s_or_b64 s[36:37], s[46:47], s[36:37]
	s_andn2_b64 s[42:43], s[42:43], exec
	s_and_b64 s[44:45], s[44:45], exec
	s_or_b64 s[42:43], s[42:43], s[44:45]
	s_andn2_b64 exec, exec, s[36:37]
	s_cbranch_execz .LBB59_189
.LBB59_185:                             ;   Parent Loop BB59_16 Depth=1
                                        ; =>  This Inner Loop Header: Depth=2
	v_cmp_gt_i32_e32 vcc, s53, v3
	s_and_saveexec_b64 s[44:45], vcc
	s_cbranch_execz .LBB59_182
; %bb.186:                              ;   in Loop: Header=BB59_185 Depth=2
	ds_read_u16 v16, v2
	s_waitcnt lgkmcnt(0)
	v_cmp_lt_i16_e32 vcc, -1, v16
	s_nop 1
	v_cndmask_b32_e32 v18, v33, v35, vcc
	v_xor_b32_sdwa v18, v18, v16 dst_sel:DWORD dst_unused:UNUSED_PAD src0_sel:DWORD src1_sel:WORD_0
	v_cmp_o_f16_e32 vcc, v16, v16
	s_nop 1
	v_cndmask_b32_e32 v18, v33, v18, vcc
	v_and_b32_e32 v18, v18, v39
	v_cmp_eq_u32_e32 vcc, v18, v29
	s_and_b64 exec, exec, vcc
	s_cbranch_execz .LBB59_182
; %bb.187:                              ;   in Loop: Header=BB59_185 Depth=2
	v_perm_b32 v16, v16, s61, v38
	ds_write_b32 v9, v16 offset:3072
	s_branch .LBB59_182
.LBB59_188:                             ;   in Loop: Header=BB59_185 Depth=2
	s_mov_b64 s[46:47], -1
                                        ; implicit-def: $vgpr3
                                        ; implicit-def: $vgpr2
	s_mov_b64 s[44:45], -1
	s_branch .LBB59_184
.LBB59_189:                             ;   in Loop: Header=BB59_16 Depth=1
	s_or_b64 exec, exec, s[36:37]
	s_andn2_b64 s[36:37], s[40:41], exec
	s_and_b64 s[40:41], s[42:43], exec
	v_lshrrev_b32_e32 v40, 16, v16
	s_or_b64 s[40:41], s[36:37], s[40:41]
.LBB59_190:                             ;   in Loop: Header=BB59_16 Depth=1
	s_or_b64 exec, exec, s[34:35]
	s_mov_b64 s[34:35], 0
	s_mov_b64 s[36:37], -1
.LBB59_191:                             ;   in Loop: Header=BB59_16 Depth=1
	s_orn2_b64 s[40:41], s[40:41], exec
.LBB59_192:                             ;   in Loop: Header=BB59_16 Depth=1
	s_or_b64 exec, exec, s[38:39]
	s_mov_b64 s[42:43], 0
	s_and_saveexec_b64 s[38:39], s[40:41]
	s_cbranch_execz .LBB59_244
; %bb.193:                              ;   in Loop: Header=BB59_16 Depth=1
	s_xor_b64 s[40:41], s[6:7], -1
	s_mov_b64 s[46:47], 0
	v_mov_b32_e32 v16, 1
	v_mov_b32_e32 v5, 1
	s_and_saveexec_b64 s[6:7], s[40:41]
	s_cbranch_execz .LBB59_202
; %bb.194:                              ;   in Loop: Header=BB59_16 Depth=1
	v_cmp_ge_i32_e32 vcc, s52, v17
	s_and_saveexec_b64 s[40:41], vcc
	s_xor_b64 s[40:41], exec, s[40:41]
	s_cbranch_execz .LBB59_199
; %bb.195:                              ;   in Loop: Header=BB59_16 Depth=1
	ds_read_b32 v2, v9 offset:4096
	v_and_b32_e32 v3, v29, v8
	v_lshl_or_b32 v29, 2, v34, v3
	v_or_b32_e32 v39, v39, v4
	s_waitcnt lgkmcnt(0)
	v_cmp_ne_u32_e32 vcc, 0, v2
	s_cbranch_vccnz .LBB59_199
; %bb.196:                              ;   in Loop: Header=BB59_16 Depth=1
	s_mov_b64 s[42:43], exec
	v_readlane_b32 s44, v56, 5
	v_readlane_b32 s45, v56, 6
	s_and_b64 s[44:45], s[42:43], s[44:45]
	s_mov_b64 exec, s[44:45]
; %bb.197:                              ;   in Loop: Header=BB59_16 Depth=1
	v_mov_b32_e32 v2, s52
	ds_write_b32 v9, v2 offset:4100
; %bb.198:                              ;   in Loop: Header=BB59_16 Depth=1
	s_or_b64 exec, exec, s[42:43]
	s_waitcnt lgkmcnt(0)
	s_barrier
.LBB59_199:                             ;   in Loop: Header=BB59_16 Depth=1
	s_or_saveexec_b64 s[40:41], s[40:41]
	s_mov_b64 s[42:43], 0
	v_mov_b32_e32 v5, 8
	s_xor_b64 exec, exec, s[40:41]
; %bb.200:                              ;   in Loop: Header=BB59_16 Depth=1
	s_mov_b64 s[42:43], exec
	v_subrev_u32_e32 v17, s52, v17
	v_mov_b32_e32 v5, 0
; %bb.201:                              ;   in Loop: Header=BB59_16 Depth=1
	s_or_b64 exec, exec, s[40:41]
	s_and_b64 s[46:47], s[42:43], exec
	v_mov_b32_e32 v16, v17
.LBB59_202:                             ;   in Loop: Header=BB59_16 Depth=1
	s_or_b64 exec, exec, s[6:7]
	s_mov_b64 s[6:7], -1
                                        ; implicit-def: $sgpr44_sgpr45
                                        ; implicit-def: $sgpr42_sgpr43
	s_and_saveexec_b64 s[40:41], s[46:47]
	s_cbranch_execz .LBB59_243
; %bb.203:                              ;   in Loop: Header=BB59_16 Depth=1
	s_cmp_eq_u32 s19, 1
	s_cselect_b64 s[6:7], -1, 0
	v_cmp_eq_u32_e32 vcc, 1, v16
	s_and_b64 s[6:7], s[6:7], vcc
	s_mov_b64 s[48:49], -1
                                        ; implicit-def: $sgpr44_sgpr45
                                        ; implicit-def: $sgpr42_sgpr43
	s_and_saveexec_b64 s[46:47], s[6:7]
	s_cbranch_execz .LBB59_231
; %bb.204:                              ;   in Loop: Header=BB59_16 Depth=1
	ds_read_b32 v2, v9 offset:4096
	s_waitcnt lgkmcnt(0)
	s_barrier
	v_readfirstlane_b32 s74, v2
	s_and_saveexec_b64 s[42:43], s[4:5]
; %bb.205:                              ;   in Loop: Header=BB59_16 Depth=1
	ds_write_b16 v22, v9
; %bb.206:                              ;   in Loop: Header=BB59_16 Depth=1
	s_or_b64 exec, exec, s[42:43]
	v_or_b32_e32 v29, v29, v4
	v_or_b32_e32 v39, v39, v4
	s_mov_b64 s[42:43], -1
	s_mov_b64 s[44:45], 0
	s_cmp_gt_i32 s74, 0
	s_mov_b64 s[48:49], 0
	s_mov_b64 s[50:51], -1
	s_waitcnt lgkmcnt(0)
	s_barrier
                                        ; implicit-def: $vgpr40
	s_cbranch_scc1 .LBB59_218
; %bb.207:                              ;   in Loop: Header=BB59_16 Depth=1
	s_mov_b64 s[50:51], 0
                                        ; implicit-def: $vgpr40
	s_mov_b64 s[52:53], exec
	v_readlane_b32 s54, v56, 29
	v_readlane_b32 s55, v56, 30
	s_and_b64 s[54:55], s[52:53], s[54:55]
	s_mov_b64 exec, s[54:55]
	s_cbranch_execz .LBB59_217
; %bb.208:                              ;   in Loop: Header=BB59_16 Depth=1
	v_mov_b32_e32 v2, v6
	v_mov_b32_e32 v8, v0
                                        ; implicit-def: $sgpr54_sgpr55
	s_branch .LBB59_212
.LBB59_209:                             ;   in Loop: Header=BB59_212 Depth=2
	s_or_b64 exec, exec, s[56:57]
	s_waitcnt lgkmcnt(0)
	s_barrier
	ds_read_b32 v3, v9 offset:3072
	s_waitcnt lgkmcnt(0)
	s_barrier
	v_cmp_neq_f16_e32 vcc, 0, v3
	s_cbranch_vccnz .LBB59_215
; %bb.210:                              ;   in Loop: Header=BB59_212 Depth=2
	v_add_u32_e32 v8, s64, v8
	v_cmp_le_i32_e32 vcc, s16, v8
	v_add_u32_e32 v2, s66, v2
	s_mov_b64 s[56:57], 0
	s_orn2_b64 s[58:59], vcc, exec
.LBB59_211:                             ;   in Loop: Header=BB59_212 Depth=2
	s_and_b64 s[58:59], exec, s[58:59]
	s_or_b64 s[48:49], s[58:59], s[48:49]
	s_andn2_b64 s[54:55], s[54:55], exec
	s_and_b64 s[56:57], s[56:57], exec
	s_or_b64 s[54:55], s[54:55], s[56:57]
	s_andn2_b64 exec, exec, s[48:49]
	s_cbranch_execz .LBB59_216
.LBB59_212:                             ;   Parent Loop BB59_16 Depth=1
                                        ; =>  This Inner Loop Header: Depth=2
	v_cmp_gt_i32_e32 vcc, s60, v8
	s_and_saveexec_b64 s[56:57], vcc
	s_cbranch_execz .LBB59_209
; %bb.213:                              ;   in Loop: Header=BB59_212 Depth=2
	v_ashrrev_i32_e32 v3, 31, v2
	v_lshl_add_u64 v[18:19], v[2:3], 1, s[72:73]
	global_load_ushort v3, v[18:19], off
	s_waitcnt vmcnt(0)
	v_cmp_lt_i16_e32 vcc, -1, v3
	s_nop 1
	v_cndmask_b32_e32 v17, v33, v35, vcc
	v_xor_b32_sdwa v17, v17, v3 dst_sel:DWORD dst_unused:UNUSED_PAD src0_sel:DWORD src1_sel:WORD_0
	v_cmp_o_f16_e32 vcc, v3, v3
	s_nop 1
	v_cndmask_b32_e32 v17, v33, v17, vcc
	v_and_b32_e32 v17, v17, v39
	v_cmp_eq_u32_e32 vcc, v17, v29
	s_and_b64 exec, exec, vcc
	s_cbranch_execz .LBB59_209
; %bb.214:                              ;   in Loop: Header=BB59_212 Depth=2
	v_perm_b32 v3, v3, s61, v38
	ds_write_b32 v9, v3 offset:3072
	s_branch .LBB59_209
.LBB59_215:                             ;   in Loop: Header=BB59_212 Depth=2
	s_mov_b64 s[58:59], -1
                                        ; implicit-def: $vgpr8
                                        ; implicit-def: $vgpr2
	s_mov_b64 s[56:57], -1
	s_branch .LBB59_211
.LBB59_216:                             ;   in Loop: Header=BB59_16 Depth=1
	s_or_b64 exec, exec, s[48:49]
	v_lshrrev_b32_e32 v40, 16, v3
	s_and_b64 s[48:49], s[54:55], exec
.LBB59_217:                             ;   in Loop: Header=BB59_16 Depth=1
	s_or_b64 exec, exec, s[52:53]
.LBB59_218:                             ;   in Loop: Header=BB59_16 Depth=1
	s_and_b64 vcc, exec, s[50:51]
	s_cbranch_vccz .LBB59_230
; %bb.219:                              ;   in Loop: Header=BB59_16 Depth=1
	v_readlane_b32 s42, v56, 8
	s_add_i32 s56, s74, s42
	s_abs_i32 s43, s56
	s_mul_hi_u32 s44, s43, s79
	s_mul_i32 s44, s44, s64
	s_sub_i32 s43, s43, s44
	s_ashr_i32 s42, s56, 31
	s_sub_i32 s44, s43, s64
	s_cmp_ge_u32 s43, s64
	s_cselect_b32 s43, s44, s43
	s_sub_i32 s44, s43, s64
	s_cmp_ge_u32 s43, s64
	s_cselect_b32 s43, s44, s43
	s_xor_b32 s43, s43, s42
	s_sub_i32 s42, s42, s43
	s_add_i32 s56, s56, s42
	v_cmp_gt_i32_e32 vcc, s56, v0
                                        ; implicit-def: $vgpr40
	s_and_saveexec_b64 s[42:43], vcc
	s_cbranch_execz .LBB59_229
; %bb.220:                              ;   in Loop: Header=BB59_16 Depth=1
	s_mov_b64 s[44:45], 0
	v_mov_b32_e32 v2, v21
	v_mov_b32_e32 v3, v0
                                        ; implicit-def: $sgpr50_sgpr51
	s_branch .LBB59_224
.LBB59_221:                             ;   in Loop: Header=BB59_224 Depth=2
	s_or_b64 exec, exec, s[52:53]
	s_waitcnt lgkmcnt(0)
	s_barrier
	ds_read_b32 v8, v9 offset:3072
	s_waitcnt lgkmcnt(0)
	s_barrier
	v_cmp_eq_f16_e32 vcc, 0, v8
	s_cbranch_vccz .LBB59_227
; %bb.222:                              ;   in Loop: Header=BB59_224 Depth=2
	v_add_u32_e32 v3, s64, v3
	v_cmp_le_i32_e32 vcc, s56, v3
	v_add_u32_e32 v2, s83, v2
	s_mov_b64 s[52:53], 0
	s_orn2_b64 s[54:55], vcc, exec
.LBB59_223:                             ;   in Loop: Header=BB59_224 Depth=2
	s_and_b64 s[54:55], exec, s[54:55]
	s_or_b64 s[44:45], s[54:55], s[44:45]
	s_andn2_b64 s[50:51], s[50:51], exec
	s_and_b64 s[52:53], s[52:53], exec
	s_or_b64 s[50:51], s[50:51], s[52:53]
	s_andn2_b64 exec, exec, s[44:45]
	s_cbranch_execz .LBB59_228
.LBB59_224:                             ;   Parent Loop BB59_16 Depth=1
                                        ; =>  This Inner Loop Header: Depth=2
	v_cmp_gt_i32_e32 vcc, s74, v3
	s_and_saveexec_b64 s[52:53], vcc
	s_cbranch_execz .LBB59_221
; %bb.225:                              ;   in Loop: Header=BB59_224 Depth=2
	ds_read_u16 v8, v2
	s_waitcnt lgkmcnt(0)
	v_cmp_lt_i16_e32 vcc, -1, v8
	s_nop 1
	v_cndmask_b32_e32 v17, v33, v35, vcc
	v_xor_b32_sdwa v17, v17, v8 dst_sel:DWORD dst_unused:UNUSED_PAD src0_sel:DWORD src1_sel:WORD_0
	v_cmp_o_f16_e32 vcc, v8, v8
	s_nop 1
	v_cndmask_b32_e32 v17, v33, v17, vcc
	v_and_b32_e32 v17, v17, v39
	v_cmp_eq_u32_e32 vcc, v17, v29
	s_and_b64 exec, exec, vcc
	s_cbranch_execz .LBB59_221
; %bb.226:                              ;   in Loop: Header=BB59_224 Depth=2
	v_perm_b32 v8, v8, s61, v38
	ds_write_b32 v9, v8 offset:3072
	s_branch .LBB59_221
.LBB59_227:                             ;   in Loop: Header=BB59_224 Depth=2
	s_mov_b64 s[54:55], -1
                                        ; implicit-def: $vgpr3
                                        ; implicit-def: $vgpr2
	s_mov_b64 s[52:53], -1
	s_branch .LBB59_223
.LBB59_228:                             ;   in Loop: Header=BB59_16 Depth=1
	s_or_b64 exec, exec, s[44:45]
	s_andn2_b64 s[44:45], s[48:49], exec
	s_and_b64 s[48:49], s[50:51], exec
	v_lshrrev_b32_e32 v40, 16, v8
	s_or_b64 s[48:49], s[44:45], s[48:49]
.LBB59_229:                             ;   in Loop: Header=BB59_16 Depth=1
	s_or_b64 exec, exec, s[42:43]
	s_mov_b64 s[42:43], 0
	s_mov_b64 s[44:45], -1
.LBB59_230:                             ;   in Loop: Header=BB59_16 Depth=1
	s_orn2_b64 s[48:49], s[48:49], exec
.LBB59_231:                             ;   in Loop: Header=BB59_16 Depth=1
	s_or_b64 exec, exec, s[46:47]
	s_mov_b64 s[50:51], 0
	s_and_saveexec_b64 s[46:47], s[48:49]
	s_cbranch_execz .LBB59_242
; %bb.232:                              ;   in Loop: Header=BB59_16 Depth=1
	s_xor_b64 s[48:49], s[6:7], -1
	v_mov_b32_e32 v5, 1
	v_mov_b32_e32 v2, 1
	s_and_saveexec_b64 s[6:7], s[48:49]
	s_cbranch_execz .LBB59_241
; %bb.233:                              ;   in Loop: Header=BB59_16 Depth=1
	v_cmp_ge_i32_e32 vcc, s19, v16
	s_and_saveexec_b64 s[48:49], vcc
	s_xor_b64 s[48:49], exec, s[48:49]
	s_cbranch_execz .LBB59_238
; %bb.234:                              ;   in Loop: Header=BB59_16 Depth=1
	ds_read_b32 v2, v9 offset:4096
	v_or_b32_e32 v29, v29, v4
	v_or_b32_e32 v39, v39, v4
	s_waitcnt lgkmcnt(0)
	v_cmp_ne_u32_e32 vcc, 0, v2
	s_cbranch_vccnz .LBB59_238
; %bb.235:                              ;   in Loop: Header=BB59_16 Depth=1
	s_mov_b64 s[50:51], exec
	v_readlane_b32 s52, v56, 5
	v_readlane_b32 s53, v56, 6
	s_and_b64 s[52:53], s[50:51], s[52:53]
	s_mov_b64 exec, s[52:53]
; %bb.236:                              ;   in Loop: Header=BB59_16 Depth=1
	v_mov_b32_e32 v2, s19
	ds_write_b32 v9, v2 offset:4100
; %bb.237:                              ;   in Loop: Header=BB59_16 Depth=1
	s_or_b64 exec, exec, s[50:51]
	s_waitcnt lgkmcnt(0)
	s_barrier
.LBB59_238:                             ;   in Loop: Header=BB59_16 Depth=1
	s_andn2_saveexec_b64 s[48:49], s[48:49]
; %bb.239:                              ;   in Loop: Header=BB59_16 Depth=1
	v_subrev_u32_e32 v16, s19, v16
; %bb.240:                              ;   in Loop: Header=BB59_16 Depth=1
	s_or_b64 exec, exec, s[48:49]
	v_mov_b32_e32 v5, 8
	v_mov_b32_e32 v2, v16
.LBB59_241:                             ;   in Loop: Header=BB59_16 Depth=1
	s_or_b64 exec, exec, s[6:7]
	s_mov_b64 s[50:51], exec
	v_mov_b32_e32 v16, v2
.LBB59_242:                             ;   in Loop: Header=BB59_16 Depth=1
	s_or_b64 exec, exec, s[46:47]
	s_orn2_b64 s[6:7], s[50:51], exec
.LBB59_243:                             ;   in Loop: Header=BB59_16 Depth=1
	s_or_b64 exec, exec, s[40:41]
	s_andn2_b64 s[36:37], s[36:37], exec
	s_and_b64 s[40:41], s[44:45], exec
	s_or_b64 s[36:37], s[36:37], s[40:41]
	s_andn2_b64 s[34:35], s[34:35], exec
	s_and_b64 s[40:41], s[42:43], exec
	s_or_b64 s[34:35], s[34:35], s[40:41]
	s_and_b64 s[42:43], s[6:7], exec
	v_mov_b32_e32 v17, v16
.LBB59_244:                             ;   in Loop: Header=BB59_16 Depth=1
	s_or_b64 exec, exec, s[38:39]
	s_orn2_b64 s[6:7], s[42:43], exec
.LBB59_245:                             ;   in Loop: Header=BB59_16 Depth=1
	s_or_b64 exec, exec, s[30:31]
	s_andn2_b64 s[26:27], s[26:27], exec
	s_and_b64 s[30:31], s[36:37], exec
	s_or_b64 s[26:27], s[26:27], s[30:31]
	s_andn2_b64 s[24:25], s[24:25], exec
	s_and_b64 s[30:31], s[34:35], exec
	s_or_b64 s[24:25], s[24:25], s[30:31]
	s_and_b64 s[34:35], s[6:7], exec
	v_mov_b32_e32 v16, v17
.LBB59_246:                             ;   in Loop: Header=BB59_16 Depth=1
	s_or_b64 exec, exec, s[28:29]
	s_orn2_b64 s[6:7], s[34:35], exec
.LBB59_247:                             ;   in Loop: Header=BB59_16 Depth=1
	s_or_b64 exec, exec, s[22:23]
	s_mov_b64 s[22:23], 0
                                        ; implicit-def: $sgpr30
	s_and_saveexec_b64 s[28:29], s[6:7]
	s_xor_b64 s[6:7], exec, s[28:29]
	s_cbranch_execz .LBB59_14
; %bb.248:                              ;   in Loop: Header=BB59_16 Depth=1
	v_and_b32_e32 v2, 7, v5
	v_cmp_eq_u32_e32 vcc, 0, v2
	s_mov_b64 s[20:21], -1
	s_mov_b64 s[22:23], -1
                                        ; implicit-def: $sgpr30
	s_and_saveexec_b64 s[28:29], vcc
	s_cbranch_execz .LBB59_13
; %bb.249:                              ;   in Loop: Header=BB59_16 Depth=1
	v_add_u32_e32 v2, -2, v34
	v_cmp_eq_u32_e32 vcc, 0, v34
	s_xor_b32 s30, s18, 1
	s_xor_b64 s[22:23], exec, -1
	s_orn2_b64 s[20:21], vcc, exec
	v_mov_b32_e32 v34, v2
	s_branch .LBB59_13
.LBB59_250:
	s_or_b64 exec, exec, s[92:93]
	s_xor_b64 s[4:5], s[98:99], -1
	s_xor_b64 s[2:3], s[94:95], -1
	;; [unrolled: 1-line block ×3, first 2 shown]
	s_mov_b64 s[0:1], 0
	s_and_saveexec_b64 s[8:9], s[2:3]
	s_xor_b64 s[2:3], exec, s[8:9]
	s_cbranch_execnz .LBB59_255
; %bb.251:
	s_andn2_saveexec_b64 s[2:3], s[2:3]
	s_cbranch_execnz .LBB59_275
.LBB59_252:
	s_or_b64 exec, exec, s[2:3]
	s_and_saveexec_b64 s[2:3], s[0:1]
.LBB59_253:
	; divergent unreachable
.LBB59_254:
	s_endpgm
.LBB59_255:
	s_and_saveexec_b64 s[0:1], s[4:5]
	s_xor_b64 s[4:5], exec, s[0:1]
	s_cbranch_execz .LBB59_273
; %bb.256:
	s_and_saveexec_b64 s[0:1], s[6:7]
	s_xor_b64 s[0:1], exec, s[0:1]
; %bb.257:
	v_and_b32_e32 v1, 0x8000, v29
	v_mov_b32_e32 v2, 0x8000
	v_mov_b32_e32 v3, 0xffff
	v_cmp_eq_u32_e32 vcc, 0, v1
	s_nop 1
	v_cndmask_b32_e32 v1, v2, v3, vcc
	v_xor_b32_e32 v40, v1, v29
; %bb.258:
	s_or_b64 exec, exec, s[0:1]
	s_mov_b64 s[0:1], exec
	v_readlane_b32 s6, v56, 5
	v_readlane_b32 s7, v56, 6
	s_and_b64 s[6:7], s[0:1], s[6:7]
	s_mov_b64 exec, s[6:7]
; %bb.259:
	v_mov_b32_e32 v1, 0
	v_mov_b32_e32 v2, s60
	ds_write_b32 v1, v2 offset:4108
; %bb.260:
	s_or_b64 exec, exec, s[0:1]
	v_mov_b32_e32 v1, 0
	s_waitcnt lgkmcnt(0)
	s_barrier
	ds_read_b32 v1, v1 offset:4108
	s_waitcnt lgkmcnt(0)
	v_min_i32_e32 v2, s60, v1
	v_cmp_lt_i32_e32 vcc, v0, v2
	s_and_saveexec_b64 s[6:7], vcc
	s_cbranch_execz .LBB59_270
; %bb.261:
	v_cmp_u_f16_e32 vcc, v40, v40
	s_mov_b64 s[8:9], 0
	s_xor_b64 s[12:13], vcc, -1
                                        ; implicit-def: $sgpr10_sgpr11
                                        ; implicit-def: $sgpr16_sgpr17
                                        ; implicit-def: $sgpr14_sgpr15
	s_branch .LBB59_263
.LBB59_262:                             ;   in Loop: Header=BB59_263 Depth=1
	s_or_b64 exec, exec, s[0:1]
	s_and_b64 s[0:1], exec, s[16:17]
	s_or_b64 s[8:9], s[0:1], s[8:9]
	s_andn2_b64 s[0:1], s[10:11], exec
	s_and_b64 s[10:11], s[14:15], exec
	s_or_b64 s[10:11], s[0:1], s[10:11]
	s_andn2_b64 exec, exec, s[8:9]
	s_cbranch_execz .LBB59_265
.LBB59_263:                             ; =>This Inner Loop Header: Depth=1
	v_ashrrev_i32_e32 v7, 31, v6
	v_lshl_add_u64 v[4:5], v[6:7], 1, s[72:73]
	global_load_ushort v3, v[4:5], off
	v_mov_b32_e32 v1, v0
	s_or_b64 s[14:15], s[14:15], exec
	s_or_b64 s[16:17], s[16:17], exec
                                        ; implicit-def: $vgpr0
	s_waitcnt vmcnt(0)
	v_cmp_o_f16_e64 s[0:1], v3, v3
	v_cmp_neq_f16_e32 vcc, v3, v40
	s_or_b64 s[0:1], s[12:13], s[0:1]
	s_and_b64 s[18:19], vcc, s[0:1]
	s_and_saveexec_b64 s[0:1], s[18:19]
	s_cbranch_execz .LBB59_262
; %bb.264:                              ;   in Loop: Header=BB59_263 Depth=1
	v_add_u32_e32 v0, s64, v1
	v_cmp_ge_i32_e32 vcc, v0, v2
	s_andn2_b64 s[16:17], s[16:17], exec
	s_and_b64 s[18:19], vcc, exec
	v_add_u32_e32 v6, s66, v6
	s_andn2_b64 s[14:15], s[14:15], exec
	s_or_b64 s[16:17], s[16:17], s[18:19]
	s_branch .LBB59_262
.LBB59_265:
	s_or_b64 exec, exec, s[8:9]
	s_and_saveexec_b64 s[0:1], s[10:11]
	s_xor_b64 s[0:1], exec, s[0:1]
	s_cbranch_execz .LBB59_270
; %bb.266:
	s_mov_b64 s[0:1], exec
	s_brev_b32 s8, -2
.LBB59_267:                             ; =>This Inner Loop Header: Depth=1
	s_ff1_i32_b64 s9, s[0:1]
	v_readlane_b32 s12, v1, s9
	s_lshl_b64 s[10:11], 1, s9
	s_min_i32 s8, s8, s12
	s_andn2_b64 s[0:1], s[0:1], s[10:11]
	s_cmp_lg_u64 s[0:1], 0
	s_cbranch_scc1 .LBB59_267
; %bb.268:
	v_mbcnt_lo_u32_b32 v0, exec_lo, 0
	v_mbcnt_hi_u32_b32 v0, exec_hi, v0
	v_cmp_eq_u32_e32 vcc, 0, v0
	s_and_saveexec_b64 s[0:1], vcc
	s_xor_b64 s[0:1], exec, s[0:1]
; %bb.269:
	v_mov_b32_e32 v0, 0
	v_mov_b32_e32 v1, s8
	ds_min_i32 v0, v1 offset:4108
.LBB59_270:
	s_or_b64 exec, exec, s[6:7]
	s_waitcnt lgkmcnt(0)
	s_barrier
	s_mov_b64 s[0:1], exec
	v_readlane_b32 s6, v56, 5
	v_readlane_b32 s7, v56, 6
	s_and_b64 s[6:7], s[0:1], s[6:7]
	s_mov_b64 exec, s[6:7]
	s_cbranch_execz .LBB59_272
; %bb.271:
	v_readlane_b32 s6, v56, 0
	s_mul_i32 s6, s6, s62
	v_readlane_b32 s7, v56, 7
	s_add_i32 s6, s6, s65
	s_mul_i32 s7, s7, s33
	s_add_i32 s8, s7, s67
	s_ashr_i32 s7, s6, 31
	v_mov_b32_e32 v2, 0
	s_lshl_b64 s[6:7], s[6:7], 1
	v_readlane_b32 s10, v56, 1
	ds_read_b32 v0, v2 offset:4108
	v_readlane_b32 s11, v56, 2
	s_add_u32 s6, s10, s6
	s_addc_u32 s7, s11, s7
	s_ashr_i32 s9, s8, 31
	s_lshl_b64 s[8:9], s[8:9], 3
	v_readlane_b32 s10, v56, 3
	v_readlane_b32 s11, v56, 4
	s_add_u32 s8, s10, s8
	s_addc_u32 s9, s11, s9
	s_waitcnt lgkmcnt(0)
	v_ashrrev_i32_e32 v1, 31, v0
	global_store_dwordx2 v2, v[0:1], s[8:9]
	global_store_short v2, v40, s[6:7]
.LBB59_272:
	s_or_b64 exec, exec, s[0:1]
.LBB59_273:
	s_or_saveexec_b64 s[0:1], s[4:5]
	s_mov_b64 s[4:5], 0
	s_xor_b64 exec, exec, s[0:1]
	s_cbranch_execnz .LBB59_276
.LBB59_274:
	s_or_b64 exec, exec, s[0:1]
	s_and_b64 s[0:1], s[4:5], exec
	s_andn2_saveexec_b64 s[2:3], s[2:3]
	s_cbranch_execz .LBB59_252
.LBB59_275:
	s_or_b64 s[0:1], s[0:1], exec
	s_trap 2
	s_or_b64 exec, exec, s[2:3]
	s_and_saveexec_b64 s[2:3], s[0:1]
	s_cbranch_execnz .LBB59_253
	s_branch .LBB59_254
.LBB59_276:
	s_mov_b64 s[4:5], exec
	s_trap 2
	s_branch .LBB59_274
	.section	.rodata,"a",@progbits
	.p2align	6, 0x0
	.amdhsa_kernel _ZN2at6native12_GLOBAL__N_114gatherKthValueIN3c104HalfEiLin1EEEvNS_4cuda6detail10TensorInfoIKT_T0_EESA_SA_SA_SA_NS7_IS8_SA_EENS7_IlSA_EE
		.amdhsa_group_segment_fixed_size 4112
		.amdhsa_private_segment_fixed_size 0
		.amdhsa_kernarg_size 920
		.amdhsa_user_sgpr_count 2
		.amdhsa_user_sgpr_dispatch_ptr 0
		.amdhsa_user_sgpr_queue_ptr 0
		.amdhsa_user_sgpr_kernarg_segment_ptr 1
		.amdhsa_user_sgpr_dispatch_id 0
		.amdhsa_user_sgpr_kernarg_preload_length 0
		.amdhsa_user_sgpr_kernarg_preload_offset 0
		.amdhsa_user_sgpr_private_segment_size 0
		.amdhsa_uses_dynamic_stack 0
		.amdhsa_enable_private_segment 0
		.amdhsa_system_sgpr_workgroup_id_x 1
		.amdhsa_system_sgpr_workgroup_id_y 1
		.amdhsa_system_sgpr_workgroup_id_z 1
		.amdhsa_system_sgpr_workgroup_info 0
		.amdhsa_system_vgpr_workitem_id 0
		.amdhsa_next_free_vgpr 57
		.amdhsa_next_free_sgpr 100
		.amdhsa_accum_offset 60
		.amdhsa_reserve_vcc 1
		.amdhsa_float_round_mode_32 0
		.amdhsa_float_round_mode_16_64 0
		.amdhsa_float_denorm_mode_32 3
		.amdhsa_float_denorm_mode_16_64 3
		.amdhsa_dx10_clamp 1
		.amdhsa_ieee_mode 1
		.amdhsa_fp16_overflow 0
		.amdhsa_tg_split 0
		.amdhsa_exception_fp_ieee_invalid_op 0
		.amdhsa_exception_fp_denorm_src 0
		.amdhsa_exception_fp_ieee_div_zero 0
		.amdhsa_exception_fp_ieee_overflow 0
		.amdhsa_exception_fp_ieee_underflow 0
		.amdhsa_exception_fp_ieee_inexact 0
		.amdhsa_exception_int_div_zero 0
	.end_amdhsa_kernel
	.section	.text._ZN2at6native12_GLOBAL__N_114gatherKthValueIN3c104HalfEiLin1EEEvNS_4cuda6detail10TensorInfoIKT_T0_EESA_SA_SA_SA_NS7_IS8_SA_EENS7_IlSA_EE,"axG",@progbits,_ZN2at6native12_GLOBAL__N_114gatherKthValueIN3c104HalfEiLin1EEEvNS_4cuda6detail10TensorInfoIKT_T0_EESA_SA_SA_SA_NS7_IS8_SA_EENS7_IlSA_EE,comdat
.Lfunc_end59:
	.size	_ZN2at6native12_GLOBAL__N_114gatherKthValueIN3c104HalfEiLin1EEEvNS_4cuda6detail10TensorInfoIKT_T0_EESA_SA_SA_SA_NS7_IS8_SA_EENS7_IlSA_EE, .Lfunc_end59-_ZN2at6native12_GLOBAL__N_114gatherKthValueIN3c104HalfEiLin1EEEvNS_4cuda6detail10TensorInfoIKT_T0_EESA_SA_SA_SA_NS7_IS8_SA_EENS7_IlSA_EE
                                        ; -- End function
	.set _ZN2at6native12_GLOBAL__N_114gatherKthValueIN3c104HalfEiLin1EEEvNS_4cuda6detail10TensorInfoIKT_T0_EESA_SA_SA_SA_NS7_IS8_SA_EENS7_IlSA_EE.num_vgpr, 57
	.set _ZN2at6native12_GLOBAL__N_114gatherKthValueIN3c104HalfEiLin1EEEvNS_4cuda6detail10TensorInfoIKT_T0_EESA_SA_SA_SA_NS7_IS8_SA_EENS7_IlSA_EE.num_agpr, 0
	.set _ZN2at6native12_GLOBAL__N_114gatherKthValueIN3c104HalfEiLin1EEEvNS_4cuda6detail10TensorInfoIKT_T0_EESA_SA_SA_SA_NS7_IS8_SA_EENS7_IlSA_EE.numbered_sgpr, 100
	.set _ZN2at6native12_GLOBAL__N_114gatherKthValueIN3c104HalfEiLin1EEEvNS_4cuda6detail10TensorInfoIKT_T0_EESA_SA_SA_SA_NS7_IS8_SA_EENS7_IlSA_EE.num_named_barrier, 0
	.set _ZN2at6native12_GLOBAL__N_114gatherKthValueIN3c104HalfEiLin1EEEvNS_4cuda6detail10TensorInfoIKT_T0_EESA_SA_SA_SA_NS7_IS8_SA_EENS7_IlSA_EE.private_seg_size, 0
	.set _ZN2at6native12_GLOBAL__N_114gatherKthValueIN3c104HalfEiLin1EEEvNS_4cuda6detail10TensorInfoIKT_T0_EESA_SA_SA_SA_NS7_IS8_SA_EENS7_IlSA_EE.uses_vcc, 1
	.set _ZN2at6native12_GLOBAL__N_114gatherKthValueIN3c104HalfEiLin1EEEvNS_4cuda6detail10TensorInfoIKT_T0_EESA_SA_SA_SA_NS7_IS8_SA_EENS7_IlSA_EE.uses_flat_scratch, 0
	.set _ZN2at6native12_GLOBAL__N_114gatherKthValueIN3c104HalfEiLin1EEEvNS_4cuda6detail10TensorInfoIKT_T0_EESA_SA_SA_SA_NS7_IS8_SA_EENS7_IlSA_EE.has_dyn_sized_stack, 0
	.set _ZN2at6native12_GLOBAL__N_114gatherKthValueIN3c104HalfEiLin1EEEvNS_4cuda6detail10TensorInfoIKT_T0_EESA_SA_SA_SA_NS7_IS8_SA_EENS7_IlSA_EE.has_recursion, 0
	.set _ZN2at6native12_GLOBAL__N_114gatherKthValueIN3c104HalfEiLin1EEEvNS_4cuda6detail10TensorInfoIKT_T0_EESA_SA_SA_SA_NS7_IS8_SA_EENS7_IlSA_EE.has_indirect_call, 0
	.section	.AMDGPU.csdata,"",@progbits
; Kernel info:
; codeLenInByte = 10700
; TotalNumSgprs: 106
; NumVgprs: 57
; NumAgprs: 0
; TotalNumVgprs: 57
; ScratchSize: 0
; MemoryBound: 0
; FloatMode: 240
; IeeeMode: 1
; LDSByteSize: 4112 bytes/workgroup (compile time only)
; SGPRBlocks: 13
; VGPRBlocks: 7
; NumSGPRsForWavesPerEU: 106
; NumVGPRsForWavesPerEU: 57
; AccumOffset: 60
; Occupancy: 7
; WaveLimiterHint : 1
; COMPUTE_PGM_RSRC2:SCRATCH_EN: 0
; COMPUTE_PGM_RSRC2:USER_SGPR: 2
; COMPUTE_PGM_RSRC2:TRAP_HANDLER: 0
; COMPUTE_PGM_RSRC2:TGID_X_EN: 1
; COMPUTE_PGM_RSRC2:TGID_Y_EN: 1
; COMPUTE_PGM_RSRC2:TGID_Z_EN: 1
; COMPUTE_PGM_RSRC2:TIDIG_COMP_CNT: 0
; COMPUTE_PGM_RSRC3_GFX90A:ACCUM_OFFSET: 14
; COMPUTE_PGM_RSRC3_GFX90A:TG_SPLIT: 0
	.section	.text._ZN2at6native12_GLOBAL__N_114gatherKthValueIN3c104HalfElLi1EEEvNS_4cuda6detail10TensorInfoIKT_T0_EESA_SA_SA_SA_NS7_IS8_SA_EENS7_IlSA_EE,"axG",@progbits,_ZN2at6native12_GLOBAL__N_114gatherKthValueIN3c104HalfElLi1EEEvNS_4cuda6detail10TensorInfoIKT_T0_EESA_SA_SA_SA_NS7_IS8_SA_EENS7_IlSA_EE,comdat
	.globl	_ZN2at6native12_GLOBAL__N_114gatherKthValueIN3c104HalfElLi1EEEvNS_4cuda6detail10TensorInfoIKT_T0_EESA_SA_SA_SA_NS7_IS8_SA_EENS7_IlSA_EE ; -- Begin function _ZN2at6native12_GLOBAL__N_114gatherKthValueIN3c104HalfElLi1EEEvNS_4cuda6detail10TensorInfoIKT_T0_EESA_SA_SA_SA_NS7_IS8_SA_EENS7_IlSA_EE
	.p2align	8
	.type	_ZN2at6native12_GLOBAL__N_114gatherKthValueIN3c104HalfElLi1EEEvNS_4cuda6detail10TensorInfoIKT_T0_EESA_SA_SA_SA_NS7_IS8_SA_EENS7_IlSA_EE,@function
_ZN2at6native12_GLOBAL__N_114gatherKthValueIN3c104HalfElLi1EEEvNS_4cuda6detail10TensorInfoIKT_T0_EESA_SA_SA_SA_NS7_IS8_SA_EENS7_IlSA_EE: ; @_ZN2at6native12_GLOBAL__N_114gatherKthValueIN3c104HalfElLi1EEEvNS_4cuda6detail10TensorInfoIKT_T0_EESA_SA_SA_SA_NS7_IS8_SA_EENS7_IlSA_EE
; %bb.0:
	s_load_dwordx2 s[10:11], s[0:1], 0x500
	s_load_dwordx8 s[56:63], s[0:1], 0x1a0
	s_add_u32 s8, s0, 0x500
	s_addc_u32 s9, s1, 0
	s_mov_b32 s15, 0
	s_waitcnt lgkmcnt(0)
	s_mul_i32 s4, s11, s4
	s_add_i32 s3, s4, s3
	s_mul_i32 s3, s3, s10
	s_add_i32 s14, s3, s2
	v_mov_b64_e32 v[2:3], s[14:15]
	v_cmp_le_i64_e32 vcc, s[60:61], v[2:3]
	s_cbranch_vccnz .LBB60_282
; %bb.1:
	s_load_dwordx2 s[4:5], s[0:1], 0x430
                                        ; implicit-def: $vgpr70 : SGPR spill to VGPR lane
	v_cmp_eq_u32_e64 s[12:13], 0, v0
	s_waitcnt lgkmcnt(0)
	v_writelane_b32 v70, s4, 0
	s_nop 1
	v_writelane_b32 v70, s5, 1
	s_load_dwordx2 s[4:5], s[0:1], 0x360
	s_waitcnt lgkmcnt(0)
	v_writelane_b32 v70, s4, 2
	s_nop 1
	v_writelane_b32 v70, s5, 3
	s_load_dwordx2 s[4:5], s[0:1], 0x290
	;; [unrolled: 5-line block ×4, first 2 shown]
	s_load_dwordx2 s[4:5], s[0:1], 0x0
	s_mov_b64 s[0:1], exec
	v_writelane_b32 v70, s12, 8
	s_nop 1
	v_writelane_b32 v70, s13, 9
	s_and_b64 s[12:13], s[0:1], s[12:13]
	s_mov_b64 exec, s[12:13]
	s_cbranch_execz .LBB60_3
; %bb.2:
	v_mov_b32_e32 v2, 0
	v_mov_b32_e32 v4, s56
	;; [unrolled: 1-line block ×4, first 2 shown]
	ds_write_b32 v2, v2 offset:5136
	ds_write_b128 v2, v[2:5] offset:5120
.LBB60_3:
	s_or_b64 exec, exec, s[0:1]
	s_waitcnt lgkmcnt(0)
	s_mul_i32 s0, s7, s14
	s_mul_hi_u32 s1, s6, s14
	s_add_i32 s1, s1, s0
	s_mov_b32 s0, s14
	v_writelane_b32 v70, s0, 10
	v_mbcnt_lo_u32_b32 v1, -1, 0
	v_mbcnt_hi_u32_b32 v40, -1, v1
	v_writelane_b32 v70, s1, 11
	s_mul_i32 s0, s6, s14
	s_lshl_b64 s[0:1], s[0:1], 1
	s_add_u32 s0, s4, s0
	v_cmp_gt_u32_e32 vcc, 64, v0
	v_cmp_gt_i32_e64 s[6:7], 4, v40
	s_addc_u32 s1, s5, s1
	s_and_b64 s[76:77], vcc, s[6:7]
	v_cmp_gt_u32_e64 s[6:7], 2, v0
	v_mov_b64_e32 v[4:5], 0x600
	s_nop 0
	v_writelane_b32 v70, s6, 12
	s_barrier
	s_nop 0
	v_writelane_b32 v70, s7, 13
	v_cmp_gt_i64_e64 s[6:7], s[56:57], v[4:5]
	s_load_dword s3, s[8:9], 0xc
	v_mov_b32_e32 v3, 0
	v_writelane_b32 v70, s6, 14
	v_mov_b32_e32 v1, v3
	v_mov_b32_e32 v19, -1
	v_writelane_b32 v70, s7, 15
	v_mad_u64_u32 v[4:5], s[6:7], s62, v0, 0
	v_mov_b32_e32 v2, v5
	v_mad_u64_u32 v[6:7], s[6:7], s63, v0, v[2:3]
	v_cmp_gt_i64_e64 s[6:7], s[56:57], v[0:1]
	v_lshlrev_b32_e32 v2, 2, v40
	s_waitcnt lgkmcnt(0)
	s_and_b32 s72, s3, 0xffff
	s_bfe_u32 s3, s3, 0xa0006
	v_writelane_b32 v70, s6, 16
	v_and_b32_e32 v43, 0x100, v2
	s_cmp_gt_u32 s72, 63
	v_lshrrev_b32_e32 v2, 1, v0
	v_writelane_b32 v70, s7, 17
	s_cselect_b64 s[6:7], -1, 0
	v_and_b32_e32 v2, 0x1e0, v2
	v_mov_b32_e32 v5, v6
	v_lshlrev_b64 v[6:7], v40, -1
	v_writelane_b32 v70, s6, 18
	v_or_b32_e32 v44, 0xc00, v2
	v_add_u32_e32 v2, 2, v0
	v_not_b32_e32 v16, v6
	v_writelane_b32 v70, s7, 19
	s_add_u32 s6, s72, -1
	v_mov_b32_e32 v6, s57
	v_cmp_gt_i64_e32 vcc, s[56:57], v[2:3]
	v_not_b32_e32 v17, v7
	s_addc_u32 s7, 0, -1
	v_cndmask_b32_e32 v7, 0, v6, vcc
	v_mov_b32_e32 v6, s56
	s_add_u32 s85, s6, s56
	v_cndmask_b32_e32 v6, v2, v6, vcc
	v_not_b32_e32 v18, v0
	v_writelane_b32 v70, s6, 20
	s_addc_u32 s91, s7, s57
	v_lshl_add_u64 v[6:7], v[6:7], 0, v[18:19]
	v_writelane_b32 v70, s7, 21
	s_cmp_lt_u32 s2, s10
	v_cmp_lt_u64_e64 s[6:7], 3, v[6:7]
	s_cselect_b32 s2, 12, 18
	v_and_b32_e32 v20, -4, v6
	v_writelane_b32 v70, s6, 22
	v_mov_b32_e32 v21, v7
	s_add_u32 s80, s8, s2
	v_writelane_b32 v70, s7, 23
	v_cmp_ne_u64_e64 s[6:7], v[6:7], v[20:21]
	s_addc_u32 s81, s9, 0
	s_add_i32 s2, s3, -1
	v_writelane_b32 v70, s6, 24
	s_and_b32 s2, s2, 0xffff
	v_lshlrev_b32_e32 v18, 3, v0
	v_writelane_b32 v70, s7, 25
	s_bfe_u32 s6, s72, 0x30006
	s_cmp_gt_u32 s2, 6
	s_cselect_b64 s[8:9], -1, 0
	v_writelane_b32 v70, s8, 26
	s_and_b32 s86, s3, 0x3f8
	s_cmp_lg_u32 s6, 0
	v_writelane_b32 v70, s9, 27
	v_writelane_b32 v70, s6, 28
	s_cselect_b64 s[2:3], -1, 0
	v_writelane_b32 v70, s2, 29
	v_or_b32_e32 v6, 6, v18
	s_mov_b32 s65, s62
	v_writelane_b32 v70, s3, 30
	s_lshl_b64 s[2:3], s[62:63], 1
	v_writelane_b32 v70, s2, 31
	s_mov_b32 s82, s63
	s_mov_b32 s83, s62
	v_writelane_b32 v70, s3, 32
	v_mad_u64_u32 v[24:25], s[2:3], s62, v6, 0
	v_mov_b32_e32 v2, v25
	v_mad_u64_u32 v[6:7], s[2:3], s63, v6, v[2:3]
	v_mov_b32_e32 v25, v6
	v_or_b32_e32 v6, 4, v18
	v_mad_u64_u32 v[26:27], s[2:3], s62, v6, 0
	v_mov_b32_e32 v2, v27
	v_mad_u64_u32 v[6:7], s[2:3], s63, v6, v[2:3]
	v_mov_b32_e32 v27, v6
	v_or_b32_e32 v6, 2, v18
	v_writelane_b32 v70, s76, 33
	v_mad_u64_u32 v[28:29], s[2:3], s62, v6, 0
	s_nop 0
	v_writelane_b32 v70, s77, 34
	v_mov_b32_e32 v2, v29
	v_writelane_b32 v70, s80, 35
	v_mad_u64_u32 v[6:7], s[2:3], s63, v6, v[2:3]
	s_nop 0
	v_writelane_b32 v70, s81, 36
	s_mul_i32 s2, s63, s72
	s_mul_hi_u32 s3, s62, s72
	v_writelane_b32 v70, s65, 37
	s_add_i32 s3, s3, s2
	s_mul_i32 s2, s62, s72
	v_writelane_b32 v70, s82, 38
	s_lshl_b64 s[74:75], s[2:3], 1
	v_writelane_b32 v70, s83, 39
	v_writelane_b32 v70, s74, 40
	s_mov_b32 s51, s63
	s_mov_b32 s52, s62
	v_writelane_b32 v70, s75, 41
	v_writelane_b32 v70, s51, 42
	s_mov_b32 s79, 0
	v_lshlrev_b32_e32 v41, 1, v0
	s_mov_b32 s53, s63
	v_mov_b32_e32 v2, 0xc00
	v_writelane_b32 v70, s52, 43
	v_cmp_eq_u32_e64 s[4:5], 0, v40
	v_add_u32_e32 v42, 0xc00, v41
	v_lshl_add_u64 v[12:13], v[4:5], 1, s[0:1]
	v_lshlrev_b32_e32 v14, 2, v0
	v_mov_b32_e32 v15, v3
	s_mov_b32 s33, 0xffff
	s_mov_b32 s73, s79
	v_lshl_add_u64 v[22:23], v[20:21], 0, v[0:1]
	s_mov_b32 s93, s63
	s_mov_b32 s89, s62
	s_lshl_b64 s[94:95], s[62:63], 3
	v_mov_b32_e32 v29, v6
	v_lshlrev_b64 v[30:31], 3, v[4:5]
	v_lshl_add_u64 v[32:33], s[56:57], 0, v[0:1]
	v_lshl_or_b32 v46, v40, 3, v2
	s_lshl_b32 s55, s72, 1
	s_mov_b32 s84, 14
	s_mov_b64 s[96:97], 0
	v_mov_b64_e32 v[34:35], s[58:59]
	s_mov_b32 s50, 0x5040100
	v_mov_b64_e32 v[54:55], s[56:57]
	s_movk_i32 s45, 0x3c00
	v_mov_b32_e32 v47, 0xffff
	v_mov_b32_e32 v48, 0x8000
	;; [unrolled: 1-line block ×6, first 2 shown]
	s_mov_b32 s46, 0
	v_writelane_b32 v70, s53, 44
                                        ; implicit-def: $sgpr58_sgpr59
                                        ; implicit-def: $sgpr60_sgpr61
                                        ; implicit-def: $sgpr98_sgpr99
                                        ; implicit-def: $sgpr66_sgpr67
                                        ; implicit-def: $sgpr70_sgpr71
                                        ; implicit-def: $sgpr68_sgpr69
	v_writelane_b32 v70, s55, 45
	s_branch .LBB60_7
.LBB60_4:                               ;   in Loop: Header=BB60_7 Depth=1
	s_or_b64 exec, exec, s[12:13]
	s_and_b64 s[8:9], s[8:9], exec
	s_andn2_b64 s[24:25], s[24:25], exec
	s_andn2_b64 s[2:3], s[2:3], exec
	s_orn2_b64 s[18:19], s[10:11], exec
.LBB60_5:                               ;   in Loop: Header=BB60_7 Depth=1
	s_or_b64 exec, exec, s[6:7]
	s_andn2_b64 s[6:7], s[68:69], exec
	s_and_b64 s[8:9], s[8:9], exec
	s_or_b64 s[68:69], s[6:7], s[8:9]
	s_andn2_b64 s[6:7], s[70:71], exec
	s_and_b64 s[8:9], s[24:25], exec
	s_or_b64 s[70:71], s[6:7], s[8:9]
	;; [unrolled: 3-line block ×3, first 2 shown]
	s_orn2_b64 s[2:3], s[18:19], exec
.LBB60_6:                               ;   in Loop: Header=BB60_7 Depth=1
	s_or_b64 exec, exec, s[16:17]
	s_and_b64 s[2:3], exec, s[2:3]
	s_or_b64 s[96:97], s[2:3], s[96:97]
	s_andn2_b64 s[2:3], s[98:99], exec
	s_and_b64 s[6:7], s[68:69], exec
	s_or_b64 s[98:99], s[2:3], s[6:7]
	s_andn2_b64 s[2:3], s[60:61], exec
	s_and_b64 s[6:7], s[70:71], exec
	;; [unrolled: 3-line block ×3, first 2 shown]
	s_or_b64 s[58:59], s[2:3], s[6:7]
	v_mov_b64_e32 v[34:35], v[8:9]
	s_andn2_b64 exec, exec, s[96:97]
	s_cbranch_execz .LBB60_278
.LBB60_7:                               ; =>This Loop Header: Depth=1
                                        ;     Child Loop BB60_12 Depth 2
                                        ;     Child Loop BB60_26 Depth 2
                                        ;     Child Loop BB60_30 Depth 2
                                        ;     Child Loop BB60_65 Depth 2
                                        ;     Child Loop BB60_69 Depth 2
                                        ;     Child Loop BB60_54 Depth 2
                                        ;     Child Loop BB60_59 Depth 2
                                        ;     Child Loop BB60_47 Depth 2
                                        ;     Child Loop BB60_79 Depth 2
                                        ;     Child Loop BB60_93 Depth 2
                                        ;     Child Loop BB60_108 Depth 2
                                        ;     Child Loop BB60_138 Depth 2
                                        ;     Child Loop BB60_155 Depth 2
                                        ;     Child Loop BB60_186 Depth 2
                                        ;     Child Loop BB60_203 Depth 2
                                        ;     Child Loop BB60_233 Depth 2
                                        ;     Child Loop BB60_250 Depth 2
	ds_read_b128 v[4:7], v3 offset:5120
	s_waitcnt lgkmcnt(0)
	v_readfirstlane_b32 s13, v5
	v_readfirstlane_b32 s12, v4
	s_nop 1
	v_cmp_gt_i64_e64 s[2:3], s[12:13], 0
	s_and_b64 vcc, exec, s[2:3]
	s_cbranch_vccnz .LBB60_39
; %bb.8:                                ;   in Loop: Header=BB60_7 Depth=1
	v_readlane_b32 s2, v70, 14
	v_readlane_b32 s3, v70, 15
	s_and_b64 vcc, exec, s[2:3]
	s_cbranch_vccz .LBB60_20
; %bb.9:                                ;   in Loop: Header=BB60_7 Depth=1
	s_mov_b64 s[2:3], 0x601
	v_cmp_gt_i64_e32 vcc, s[2:3], v[6:7]
	s_mov_b64 s[6:7], 0
	s_mov_b64 s[2:3], 0
	s_cbranch_vccz .LBB60_21
; %bb.10:                               ;   in Loop: Header=BB60_7 Depth=1
	global_load_ushort v6, v3, s[80:81]
	global_load_ushort v8, v[12:13], off
	v_mov_b64_e32 v[4:5], s[0:1]
	v_readlane_b32 s14, v70, 31
	v_readlane_b32 s15, v70, 32
	s_mov_b64 s[8:9], 0
	s_waitcnt vmcnt(1)
	v_and_b32_e32 v2, 0xffff, v6
	v_readfirstlane_b32 s2, v6
	v_lshl_add_u64 v[6:7], v[0:1], 0, v[2:3]
	s_and_b32 s10, 0xffff, s2
	v_mad_u64_u32 v[4:5], s[2:3], s14, v6, v[4:5]
	v_mul_lo_u32 v7, s14, v7
	v_mul_lo_u32 v9, s15, v6
	s_mul_i32 s2, s15, s10
	s_mul_hi_u32 s3, s14, s10
	s_mul_i32 s10, s14, s10
	v_add3_u32 v5, v9, v5, v7
	s_add_i32 s11, s3, s2
	v_mov_b64_e32 v[6:7], v[0:1]
	s_branch .LBB60_12
.LBB60_11:                              ;   in Loop: Header=BB60_12 Depth=2
	s_or_b64 exec, exec, s[2:3]
	v_lshl_add_u64 v[4:5], v[4:5], 0, s[10:11]
	v_mov_b32_e32 v8, v9
	s_andn2_b64 exec, exec, s[8:9]
	s_cbranch_execz .LBB60_73
.LBB60_12:                              ;   Parent Loop BB60_7 Depth=1
                                        ; =>  This Inner Loop Header: Depth=2
	v_lshl_add_u64 v[6:7], v[6:7], 0, v[2:3]
	v_cmp_gt_i64_e64 s[2:3], s[56:57], v[6:7]
	v_cmp_le_i64_e32 vcc, s[56:57], v[6:7]
	s_waitcnt lgkmcnt(0)
	v_mov_b32_e32 v10, 0
	v_mov_b32_e32 v9, 0
	s_and_saveexec_b64 s[14:15], s[2:3]
	s_cbranch_execz .LBB60_14
; %bb.13:                               ;   in Loop: Header=BB60_12 Depth=2
	global_load_ushort v9, v[4:5], off
.LBB60_14:                              ;   in Loop: Header=BB60_12 Depth=2
	s_or_b64 exec, exec, s[14:15]
	s_waitcnt vmcnt(0)
	v_cmp_lt_i16_e64 s[2:3], -1, v8
	s_nop 1
	v_cndmask_b32_e64 v11, v47, v48, s[2:3]
	v_xor_b32_sdwa v11, v11, v8 dst_sel:DWORD dst_unused:UNUSED_PAD src0_sel:DWORD src1_sel:WORD_0
	v_cmp_o_f16_e64 s[2:3], v8, v8
	s_nop 1
	v_cndmask_b32_e64 v11, v47, v11, s[2:3]
	v_and_b32_e32 v11, v11, v50
	v_cmp_eq_u32_e64 s[14:15], v11, v45
	s_cmp_lg_u64 s[14:15], 0
	s_cselect_b64 s[2:3], -1, 0
	s_and_b64 s[2:3], s[4:5], s[2:3]
	s_and_saveexec_b64 s[16:17], s[2:3]
	s_cbranch_execz .LBB60_18
; %bb.15:                               ;   in Loop: Header=BB60_12 Depth=2
	s_mov_b64 s[20:21], exec
	v_mbcnt_lo_u32_b32 v10, s20, 0
	v_mbcnt_hi_u32_b32 v10, s21, v10
	s_bcnt1_i32_b64 s13, s[14:15]
	v_cmp_eq_u32_e64 s[2:3], 0, v10
                                        ; implicit-def: $vgpr11
	s_and_saveexec_b64 s[18:19], s[2:3]
; %bb.16:                               ;   in Loop: Header=BB60_12 Depth=2
	s_bcnt1_i32_b64 s2, s[20:21]
	s_mul_i32 s2, s13, s2
	v_mov_b32_e32 v11, s2
	ds_add_rtn_u32 v11, v3, v11 offset:5136
; %bb.17:                               ;   in Loop: Header=BB60_12 Depth=2
	s_or_b64 exec, exec, s[18:19]
	s_waitcnt lgkmcnt(0)
	v_readfirstlane_b32 s2, v11
	s_nop 1
	v_mov_b32_e32 v11, s2
	v_mad_u32_u24 v10, s13, v10, v11
.LBB60_18:                              ;   in Loop: Header=BB60_12 Depth=2
	s_or_b64 exec, exec, s[16:17]
	ds_bpermute_b32 v10, v43, v10
	s_and_b64 s[2:3], exec, vcc
	s_or_b64 s[8:9], s[2:3], s[8:9]
	s_and_saveexec_b64 s[2:3], s[14:15]
	s_cbranch_execz .LBB60_11
; %bb.19:                               ;   in Loop: Header=BB60_12 Depth=2
	v_and_b32_e32 v36, s14, v16
	v_and_b32_e32 v11, s15, v17
	v_bcnt_u32_b32 v36, v36, 0
	v_bcnt_u32_b32 v11, v11, v36
	v_lshlrev_b32_e32 v11, 1, v11
	s_waitcnt lgkmcnt(0)
	v_lshl_add_u32 v10, v10, 1, v11
	ds_write_b16 v10, v8
	s_branch .LBB60_11
.LBB60_20:                              ;   in Loop: Header=BB60_7 Depth=1
	s_mov_b64 s[6:7], -1
	s_mov_b64 s[2:3], 0
.LBB60_21:                              ;   in Loop: Header=BB60_7 Depth=1
	s_and_b64 vcc, exec, s[6:7]
	s_cbranch_vccz .LBB60_37
.LBB60_22:                              ;   in Loop: Header=BB60_7 Depth=1
	s_mov_b64 s[2:3], exec
	v_readlane_b32 s6, v70, 16
	v_readlane_b32 s7, v70, 17
	s_and_b64 s[6:7], s[2:3], s[6:7]
	s_mov_b64 exec, s[6:7]
	s_cbranch_execz .LBB60_34
; %bb.23:                               ;   in Loop: Header=BB60_7 Depth=1
	global_load_ushort v2, v3, s[80:81]
	global_load_ushort v38, v[12:13], off
	v_mov_b32_e32 v8, v0
	s_waitcnt vmcnt(1)
	v_readfirstlane_b32 s8, v2
	v_add_u32_sdwa v2, v2, v0 dst_sel:DWORD dst_unused:UNUSED_PAD src0_sel:WORD_0 src1_sel:DWORD
	v_cmp_gt_i64_e32 vcc, s[56:57], v[2:3]
	s_and_saveexec_b64 s[6:7], vcc
	s_cbranch_execz .LBB60_33
; %bb.24:                               ;   in Loop: Header=BB60_7 Depth=1
	s_and_b32 s78, s8, 0xffff
	s_cmp_eq_u32 s78, 1
	v_readlane_b32 s10, v70, 22
	s_cselect_b64 s[8:9], -1, 0
	v_readlane_b32 s11, v70, 23
	s_and_b64 s[14:15], s[10:11], s[8:9]
	s_mov_b64 s[10:11], -1
	v_mov_b64_e32 v[6:7], v[0:1]
	v_mov_b64_e32 v[4:5], v[2:3]
                                        ; implicit-def: $vgpr8_vgpr9
	s_and_saveexec_b64 s[8:9], s[14:15]
	s_cbranch_execz .LBB60_28
; %bb.25:                               ;   in Loop: Header=BB60_7 Depth=1
	v_lshl_add_u64 v[8:9], v[2:3], 0, 3
	v_lshl_add_u64 v[6:7], v[2:3], 0, 2
	;; [unrolled: 1-line block ×3, first 2 shown]
	v_mov_b64_e32 v[10:11], v[8:9]
	s_waitcnt vmcnt(0)
	v_lshlrev_b32_e32 v52, 16, v38
	s_mov_b64 s[10:11], 0
	v_mov_b64_e32 v[36:37], v[20:21]
	v_mov_b32_e32 v39, v41
	v_mov_b64_e32 v[8:9], v[6:7]
	v_mov_b64_e32 v[6:7], v[4:5]
	;; [unrolled: 1-line block ×3, first 2 shown]
.LBB60_26:                              ;   Parent Loop BB60_7 Depth=1
                                        ; =>  This Inner Loop Header: Depth=2
	v_mul_lo_u32 v38, v11, s52
	v_mul_lo_u32 v53, v10, s53
	v_mad_u64_u32 v[56:57], s[14:15], v10, s52, 0
	v_mul_lo_u32 v64, v9, s89
	v_mul_lo_u32 v65, v8, s51
	v_mad_u64_u32 v[58:59], s[14:15], v8, s89, 0
	v_mul_lo_u32 v66, v7, s83
	v_mul_lo_u32 v67, v6, s93
	v_mad_u64_u32 v[60:61], s[14:15], v6, s83, 0
	v_mul_lo_u32 v68, v5, s65
	v_mul_lo_u32 v69, v4, s82
	v_mad_u64_u32 v[62:63], s[14:15], v4, s65, 0
	v_add3_u32 v57, v57, v53, v38
	v_add3_u32 v59, v59, v65, v64
	;; [unrolled: 1-line block ×4, first 2 shown]
	v_lshl_add_u64 v[58:59], v[58:59], 1, s[0:1]
	v_lshl_add_u64 v[56:57], v[56:57], 1, s[0:1]
	;; [unrolled: 1-line block ×4, first 2 shown]
	global_load_ushort v53, v[58:59], off
	global_load_ushort v38, v[56:57], off
	s_nop 0
	global_load_ushort v56, v[60:61], off
	global_load_ushort v57, v[62:63], off
	v_lshl_add_u64 v[36:37], v[36:37], 0, -4
	v_cmp_eq_u64_e32 vcc, 0, v[36:37]
	v_lshl_add_u64 v[10:11], v[10:11], 0, 4
	v_lshl_add_u64 v[8:9], v[8:9], 0, 4
	v_lshl_add_u64 v[6:7], v[6:7], 0, 4
	v_lshl_add_u64 v[4:5], v[4:5], 0, 4
	s_or_b64 s[10:11], vcc, s[10:11]
	s_waitcnt vmcnt(2)
	v_perm_b32 v58, v38, v53, s50
	s_waitcnt vmcnt(1)
	v_perm_b32 v53, v53, v56, s50
	s_waitcnt vmcnt(0)
	v_alignbit_b32 v52, v57, v52, 16
	ds_write_b64 v39, v[52:53]
	v_add_u32_e32 v39, 8, v39
	v_mov_b32_e32 v52, v58
	s_andn2_b64 exec, exec, s[10:11]
	s_cbranch_execnz .LBB60_26
; %bb.27:                               ;   in Loop: Header=BB60_7 Depth=1
	s_or_b64 exec, exec, s[10:11]
	v_readlane_b32 s10, v70, 24
	v_lshl_add_u64 v[4:5], v[2:3], 0, v[20:21]
	v_readlane_b32 s11, v70, 25
	v_lshl_add_u64 v[8:9], v[4:5], 0, -1
	s_orn2_b64 s[10:11], s[10:11], exec
	v_mov_b64_e32 v[6:7], v[22:23]
.LBB60_28:                              ;   in Loop: Header=BB60_7 Depth=1
	s_or_b64 exec, exec, s[8:9]
	s_and_saveexec_b64 s[8:9], s[10:11]
	s_cbranch_execz .LBB60_32
; %bb.29:                               ;   in Loop: Header=BB60_7 Depth=1
	v_mov_b64_e32 v[8:9], s[0:1]
	v_readlane_b32 s18, v70, 31
	v_readlane_b32 s19, v70, 32
	s_sub_u32 s10, 0, s78
	v_mad_u64_u32 v[8:9], s[16:17], s18, v4, v[8:9]
	v_mul_lo_u32 v2, s18, v5
	v_mul_lo_u32 v7, s19, v4
	s_mul_i32 s13, s19, s78
	s_mul_hi_u32 s16, s18, s78
	s_mov_b64 s[14:15], 0
	s_subb_u32 s11, 0, 0
	v_add3_u32 v9, v7, v9, v2
	s_add_i32 s17, s16, s13
	s_mul_i32 s16, s18, s78
.LBB60_30:                              ;   Parent Loop BB60_7 Depth=1
                                        ; =>  This Inner Loop Header: Depth=2
	s_waitcnt vmcnt(0)
	v_mov_b32_e32 v2, v38
	global_load_ushort v38, v[8:9], off
	v_mov_b64_e32 v[10:11], v[4:5]
	v_lshlrev_b32_e32 v4, 1, v6
	ds_write_b16 v4, v2
	v_lshl_add_u64 v[4:5], v[10:11], 0, s[78:79]
	v_cmp_le_i64_e32 vcc, s[56:57], v[4:5]
	v_lshl_add_u64 v[8:9], v[8:9], 0, s[16:17]
	s_or_b64 s[14:15], vcc, s[14:15]
	v_mov_b64_e32 v[6:7], v[10:11]
	s_andn2_b64 exec, exec, s[14:15]
	s_cbranch_execnz .LBB60_30
; %bb.31:                               ;   in Loop: Header=BB60_7 Depth=1
	s_or_b64 exec, exec, s[14:15]
	v_lshl_add_u64 v[8:9], s[10:11], 0, v[4:5]
.LBB60_32:                              ;   in Loop: Header=BB60_7 Depth=1
	s_or_b64 exec, exec, s[8:9]
.LBB60_33:                              ;   in Loop: Header=BB60_7 Depth=1
	s_or_b64 exec, exec, s[6:7]
	v_lshlrev_b32_e32 v2, 1, v8
	s_waitcnt vmcnt(0)
	ds_write_b16 v2, v38
.LBB60_34:                              ;   in Loop: Header=BB60_7 Depth=1
	s_or_b64 exec, exec, s[2:3]
	s_waitcnt lgkmcnt(0)
	s_barrier
	s_mov_b64 s[2:3], exec
	v_readlane_b32 s6, v70, 8
	v_readlane_b32 s7, v70, 9
	s_and_b64 s[6:7], s[2:3], s[6:7]
	s_mov_b64 exec, s[6:7]
; %bb.35:                               ;   in Loop: Header=BB60_7 Depth=1
	ds_write_b64 v3, v[54:55] offset:5120
; %bb.36:                               ;   in Loop: Header=BB60_7 Depth=1
	s_or_b64 exec, exec, s[2:3]
	s_mov_b64 s[2:3], -1
	s_waitcnt lgkmcnt(0)
	s_barrier
.LBB60_37:                              ;   in Loop: Header=BB60_7 Depth=1
	s_and_b64 vcc, exec, s[2:3]
	s_cbranch_vccz .LBB60_39
; %bb.38:                               ;   in Loop: Header=BB60_7 Depth=1
	ds_read_b64 v[4:5], v3 offset:5120
	s_waitcnt lgkmcnt(0)
	v_readfirstlane_b32 s12, v4
.LBB60_39:                              ;   in Loop: Header=BB60_7 Depth=1
	s_cmp_lt_i32 s12, 1
	s_mov_b64 s[2:3], -1
                                        ; implicit-def: $vgpr4_vgpr5
                                        ; implicit-def: $vgpr8_vgpr9
	s_cbranch_scc1 .LBB60_49
; %bb.40:                               ;   in Loop: Header=BB60_7 Depth=1
	s_and_b64 vcc, exec, s[2:3]
	s_cbranch_vccnz .LBB60_63
.LBB60_41:                              ;   in Loop: Header=BB60_7 Depth=1
	s_lshl_b32 s6, s46, 6
	s_and_saveexec_b64 s[2:3], s[4:5]
	s_cbranch_execz .LBB60_43
.LBB60_42:                              ;   in Loop: Header=BB60_7 Depth=1
	v_lshl_add_u32 v2, s6, 3, v44
	ds_write_b128 v2, v[4:7]
	ds_write_b128 v2, v[8:11] offset:16
.LBB60_43:                              ;   in Loop: Header=BB60_7 Depth=1
	s_or_b64 exec, exec, s[2:3]
	s_waitcnt lgkmcnt(0)
	s_barrier
	s_and_saveexec_b64 s[2:3], s[76:77]
	s_cbranch_execz .LBB60_81
; %bb.44:                               ;   in Loop: Header=BB60_7 Depth=1
	v_readlane_b32 s8, v70, 18
	v_readlane_b32 s9, v70, 19
	s_andn2_b64 vcc, exec, s[8:9]
	v_mov_b64_e32 v[4:5], 0
	s_cbranch_vccnz .LBB60_80
; %bb.45:                               ;   in Loop: Header=BB60_7 Depth=1
	v_readlane_b32 s8, v70, 26
	v_readlane_b32 s9, v70, 27
	s_andn2_b64 vcc, exec, s[8:9]
	s_cbranch_vccnz .LBB60_76
; %bb.46:                               ;   in Loop: Header=BB60_7 Depth=1
	v_lshl_add_u32 v2, s46, 9, v46
	v_mov_b64_e32 v[4:5], 0
	s_mov_b32 s7, 0
.LBB60_47:                              ;   Parent Loop BB60_7 Depth=1
                                        ; =>  This Inner Loop Header: Depth=2
	ds_read2_b64 v[6:9], v2 offset1:4
	ds_read2_b64 v[36:39], v2 offset0:8 offset1:12
	ds_read2_b64 v[56:59], v2 offset0:16 offset1:20
	;; [unrolled: 1-line block ×3, first 2 shown]
	s_add_i32 s7, s7, 8
	s_waitcnt lgkmcnt(3)
	v_lshl_add_u64 v[4:5], v[6:7], 0, v[4:5]
	v_lshl_add_u64 v[4:5], v[8:9], 0, v[4:5]
	s_waitcnt lgkmcnt(2)
	v_lshl_add_u64 v[4:5], v[36:37], 0, v[4:5]
	v_lshl_add_u64 v[4:5], v[38:39], 0, v[4:5]
	;; [unrolled: 3-line block ×3, first 2 shown]
	s_waitcnt lgkmcnt(0)
	v_lshl_add_u64 v[4:5], v[60:61], 0, v[4:5]
	v_add_u32_e32 v2, 0x100, v2
	s_cmp_eq_u32 s86, s7
	v_lshl_add_u64 v[4:5], v[62:63], 0, v[4:5]
	s_cbranch_scc0 .LBB60_47
; %bb.48:                               ;   in Loop: Header=BB60_7 Depth=1
	s_mov_b32 s7, s86
	s_branch .LBB60_77
.LBB60_49:                              ;   in Loop: Header=BB60_7 Depth=1
	global_load_ushort v2, v3, s[80:81]
	s_mov_b32 s2, s79
	s_mov_b32 s87, s89
	s_waitcnt vmcnt(0)
	v_readfirstlane_b32 s3, v2
	s_and_b32 s10, s3, 0xffff
	s_lshl_b32 s78, s10, 2
	s_mov_b32 s3, s57
	s_cmp_lg_u64 s[2:3], 0
	s_cbranch_scc0 .LBB60_72
; %bb.50:                               ;   in Loop: Header=BB60_7 Depth=1
	s_add_u32 s2, s78, 0
	s_addc_u32 s3, 0, 0
	s_xor_b64 s[2:3], s[2:3], 0
	v_cvt_f32_u32_e32 v2, s2
	v_cvt_f32_u32_e32 v4, s3
	s_sub_u32 s8, 0, s2
	s_subb_u32 s9, 0, s3
	v_fmac_f32_e32 v2, 0x4f800000, v4
	v_rcp_f32_e32 v2, v2
	s_nop 0
	v_mul_f32_e32 v2, 0x5f7ffffc, v2
	v_mul_f32_e32 v4, 0x2f800000, v2
	v_trunc_f32_e32 v4, v4
	v_fmac_f32_e32 v2, 0xcf800000, v4
	v_cvt_u32_f32_e32 v4, v4
	v_cvt_u32_f32_e32 v2, v2
	v_readfirstlane_b32 s11, v4
	v_readfirstlane_b32 s6, v2
	s_mul_i32 s7, s8, s11
	s_mul_hi_u32 s14, s8, s6
	s_mul_i32 s13, s9, s6
	s_add_i32 s7, s14, s7
	s_mul_i32 s15, s8, s6
	s_add_i32 s7, s7, s13
	s_mul_i32 s14, s6, s7
	s_mul_hi_u32 s16, s6, s15
	s_mul_hi_u32 s13, s6, s7
	s_add_u32 s14, s16, s14
	s_addc_u32 s13, 0, s13
	s_mul_hi_u32 s17, s11, s15
	s_mul_i32 s15, s11, s15
	s_add_u32 s14, s14, s15
	s_mul_hi_u32 s16, s11, s7
	s_addc_u32 s13, s13, s17
	s_addc_u32 s14, s16, 0
	s_mul_i32 s7, s11, s7
	s_add_u32 s7, s13, s7
	s_addc_u32 s13, 0, s14
	s_add_u32 s14, s6, s7
	s_cselect_b64 s[6:7], -1, 0
	s_cmp_lg_u64 s[6:7], 0
	s_addc_u32 s11, s11, s13
	s_mul_i32 s6, s8, s11
	s_mul_hi_u32 s7, s8, s14
	s_add_i32 s6, s7, s6
	s_mul_i32 s9, s9, s14
	s_add_i32 s6, s6, s9
	s_mul_i32 s8, s8, s14
	s_mul_hi_u32 s9, s11, s8
	s_mul_i32 s13, s11, s8
	s_mul_i32 s16, s14, s6
	s_mul_hi_u32 s8, s14, s8
	s_mul_hi_u32 s15, s14, s6
	s_add_u32 s8, s8, s16
	s_addc_u32 s15, 0, s15
	s_add_u32 s8, s8, s13
	s_mul_hi_u32 s7, s11, s6
	s_addc_u32 s8, s15, s9
	s_addc_u32 s7, s7, 0
	s_mul_i32 s6, s11, s6
	s_add_u32 s6, s8, s6
	s_addc_u32 s8, 0, s7
	s_add_u32 s13, s14, s6
	s_cselect_b64 s[6:7], -1, 0
	s_cmp_lg_u64 s[6:7], 0
	s_addc_u32 s11, s11, s8
	s_ashr_i32 s6, s57, 31
	s_add_u32 s8, s56, s6
	s_mov_b32 s7, s6
	s_addc_u32 s9, s57, s6
	s_xor_b64 s[8:9], s[8:9], s[6:7]
	s_mul_i32 s15, s8, s11
	s_mul_hi_u32 s16, s8, s13
	s_mul_hi_u32 s14, s8, s11
	s_add_u32 s15, s16, s15
	s_addc_u32 s14, 0, s14
	s_mul_hi_u32 s17, s9, s13
	s_mul_i32 s13, s9, s13
	s_add_u32 s13, s15, s13
	s_mul_hi_u32 s16, s9, s11
	s_addc_u32 s13, s14, s17
	s_addc_u32 s14, s16, 0
	s_mul_i32 s11, s9, s11
	s_add_u32 s11, s13, s11
	s_addc_u32 s13, 0, s14
	s_mul_i32 s13, s2, s13
	s_mul_hi_u32 s14, s2, s11
	s_add_i32 s13, s14, s13
	s_mul_i32 s14, s3, s11
	s_add_i32 s13, s13, s14
	s_sub_i32 s16, s9, s13
	s_mul_i32 s11, s2, s11
	s_sub_u32 s8, s8, s11
	s_cselect_b64 s[14:15], -1, 0
	s_cmp_lg_u64 s[14:15], 0
	s_subb_u32 s11, s16, s3
	s_sub_u32 s18, s8, s2
	s_cselect_b64 s[16:17], -1, 0
	s_cmp_lg_u64 s[16:17], 0
	s_subb_u32 s19, s11, 0
	s_cmp_ge_u32 s19, s3
	s_cselect_b32 s20, -1, 0
	s_cmp_ge_u32 s18, s2
	s_cselect_b32 s21, -1, 0
	s_cmp_eq_u32 s19, s3
	s_cselect_b32 s20, s21, s20
	s_cmp_lg_u64 s[16:17], 0
	s_subb_u32 s11, s11, s3
	s_sub_u32 s21, s18, s2
	s_cselect_b64 s[16:17], -1, 0
	s_cmp_lg_u64 s[16:17], 0
	s_subb_u32 s11, s11, 0
	s_cmp_lg_u32 s20, 0
	s_cselect_b32 s16, s21, s18
	s_cselect_b32 s11, s11, s19
	s_cmp_lg_u64 s[14:15], 0
	s_subb_u32 s9, s9, s13
	s_cmp_ge_u32 s9, s3
	s_cselect_b32 s13, -1, 0
	s_cmp_ge_u32 s8, s2
	s_cselect_b32 s2, -1, 0
	s_cmp_eq_u32 s9, s3
	s_cselect_b32 s2, s2, s13
	s_cmp_lg_u32 s2, 0
	s_cselect_b32 s3, s11, s9
	s_cselect_b32 s2, s16, s8
	s_xor_b64 s[2:3], s[2:3], s[6:7]
	s_sub_u32 s88, s2, s6
	s_subb_u32 s89, s3, s6
	s_mov_b32 s75, s91
	s_cbranch_execnz .LBB60_52
.LBB60_51:                              ;   in Loop: Header=BB60_7 Depth=1
	v_cvt_f32_u32_e32 v2, s78
	s_sub_i32 s2, 0, s78
	s_mov_b32 s89, s79
	v_rcp_iflag_f32_e32 v2, v2
	s_nop 0
	v_mul_f32_e32 v2, 0x4f7ffffe, v2
	v_cvt_u32_f32_e32 v2, v2
	s_nop 0
	v_readfirstlane_b32 s3, v2
	s_mul_i32 s2, s2, s3
	s_mul_hi_u32 s2, s3, s2
	s_add_i32 s3, s3, s2
	s_mul_hi_u32 s2, s56, s3
	s_mul_i32 s2, s2, s78
	s_sub_i32 s2, s56, s2
	s_sub_i32 s3, s2, s78
	s_cmp_ge_u32 s2, s78
	s_cselect_b32 s2, s3, s2
	s_sub_i32 s3, s2, s78
	s_cmp_ge_u32 s2, s78
	s_cselect_b32 s88, s3, s2
.LBB60_52:                              ;   in Loop: Header=BB60_7 Depth=1
	s_sub_u32 s90, s56, s88
	s_subb_u32 s91, s57, s89
	s_mov_b32 s11, s79
	v_cmp_gt_i64_e32 vcc, s[90:91], v[14:15]
	v_mov_b64_e32 v[4:5], 0
	v_mov_b64_e32 v[6:7], 0
	v_mov_b64_e32 v[8:9], 0
	v_mov_b64_e32 v[10:11], 0
	s_and_saveexec_b64 s[30:31], vcc
	s_cbranch_execz .LBB60_56
; %bb.53:                               ;   in Loop: Header=BB60_7 Depth=1
	s_mul_i32 s2, s95, s10
	s_mul_hi_u32 s3, s94, s10
	s_mov_b32 s74, s46
	s_mov_b32 s92, s85
	s_add_i32 s13, s3, s2
	s_mov_b64 s[64:65], 0
	s_mov_b64 s[76:77], s[0:1]
	;; [unrolled: 1-line block ×6, first 2 shown]
	v_mov_b64_e32 v[36:37], v[14:15]
.LBB60_54:                              ;   Parent Loop BB60_7 Depth=1
                                        ; =>  This Inner Loop Header: Depth=2
	v_lshl_add_u64 v[4:5], s[76:77], 0, v[30:31]
	v_lshl_add_u64 v[6:7], s[76:77], 0, v[28:29]
	;; [unrolled: 1-line block ×4, first 2 shown]
	global_load_ushort v2, v[4:5], off
	s_nop 0
	global_load_ushort v4, v[6:7], off
	global_load_ushort v5, v[8:9], off
	s_nop 0
	global_load_ushort v6, v[10:11], off
	s_mul_i32 s85, s94, s10
	v_lshl_add_u64 v[36:37], v[36:37], 0, s[78:79]
	v_cmp_le_i64_e32 vcc, s[90:91], v[36:37]
	s_waitcnt vmcnt(3)
	v_cmp_lt_i16_e64 s[2:3], -1, v2
	s_nop 1
	v_cndmask_b32_e64 v7, v47, v48, s[2:3]
	s_waitcnt vmcnt(2)
	v_cmp_lt_i16_e64 s[2:3], -1, v4
	s_waitcnt vmcnt(1)
	v_cmp_o_f16_e64 s[14:15], v5, v5
	s_waitcnt vmcnt(0)
	v_cmp_o_f16_e64 s[16:17], v6, v6
	v_cndmask_b32_e64 v8, v47, v48, s[2:3]
	v_cmp_lt_i16_e64 s[2:3], -1, v5
	v_xor_b32_sdwa v8, v8, v4 dst_sel:DWORD dst_unused:UNUSED_PAD src0_sel:DWORD src1_sel:WORD_0
	v_cmp_o_f16_e64 s[18:19], v2, v2
	v_cndmask_b32_e64 v9, v47, v48, s[2:3]
	v_cmp_lt_i16_e64 s[2:3], -1, v6
	s_nop 1
	v_cndmask_b32_e64 v10, v47, v48, s[2:3]
	v_cmp_o_f16_e64 s[2:3], v4, v4
	v_xor_b32_sdwa v4, v9, v5 dst_sel:DWORD dst_unused:UNUSED_PAD src0_sel:DWORD src1_sel:WORD_0
	v_xor_b32_sdwa v5, v10, v6 dst_sel:DWORD dst_unused:UNUSED_PAD src0_sel:DWORD src1_sel:WORD_0
	;; [unrolled: 1-line block ×3, first 2 shown]
	v_cndmask_b32_e64 v2, v47, v6, s[18:19]
	v_cndmask_b32_e64 v6, v47, v8, s[2:3]
	v_and_b32_e32 v7, v2, v50
	v_bfe_u32 v2, v2, s84, 2
	v_cndmask_b32_e64 v4, v47, v4, s[14:15]
	v_and_b32_e32 v8, v6, v50
	v_bfe_u32 v6, v6, s84, 2
	v_cmp_eq_u32_e64 s[2:3], v7, v45
	v_cmp_eq_u32_e64 s[20:21], 0, v2
	v_cndmask_b32_e64 v5, v47, v5, s[16:17]
	v_and_b32_e32 v9, v4, v50
	v_bfe_u32 v4, v4, s84, 2
	v_cmp_eq_u32_e64 s[14:15], v8, v45
	v_cmp_eq_u32_e64 s[22:23], 0, v6
	s_and_b64 s[20:21], s[2:3], s[20:21]
	v_and_b32_e32 v10, v5, v50
	v_bfe_u32 v5, v5, s84, 2
	v_cmp_eq_u32_e64 s[16:17], v9, v45
	v_cmp_eq_u32_e64 s[24:25], 0, v4
	;; [unrolled: 1-line block ×5, first 2 shown]
	v_cndmask_b32_e64 v2, 0, 1, s[20:21]
	s_and_b64 s[20:21], s[14:15], s[22:23]
	v_cmp_eq_u32_e64 s[18:19], v10, v45
	v_cmp_eq_u32_e64 s[26:27], 0, v5
	;; [unrolled: 1-line block ×5, first 2 shown]
	v_cndmask_b32_e64 v4, 0, 1, s[20:21]
	s_and_b64 s[20:21], s[16:17], s[24:25]
	v_cmp_eq_u32_e64 s[38:39], 1, v5
	v_cmp_eq_u32_e64 s[46:47], 2, v5
	v_cmp_eq_u32_e64 s[54:55], 3, v5
	v_cndmask_b32_e64 v5, 0, 1, s[20:21]
	s_and_b64 s[20:21], s[18:19], s[26:27]
	v_cmp_eq_u32_e64 s[34:35], 1, v6
	v_cmp_eq_u32_e64 s[42:43], 2, v6
	;; [unrolled: 1-line block ×3, first 2 shown]
	v_cndmask_b32_e64 v6, 0, 1, s[20:21]
	v_cmp_ne_u32_e64 s[20:21], 0, v2
	v_cmp_ne_u32_e64 s[22:23], 0, v4
	v_cmp_ne_u32_e64 s[24:25], 0, v5
	v_cmp_ne_u32_e64 s[26:27], 0, v6
	s_bcnt1_i32_b64 s20, s[20:21]
	s_bcnt1_i32_b64 s21, s[22:23]
	s_bcnt1_i32_b64 s22, s[24:25]
	s_bcnt1_i32_b64 s23, s[26:27]
	s_add_u32 s20, s20, s80
	s_addc_u32 s24, 0, s81
	s_add_u32 s20, s20, s21
	s_addc_u32 s21, s24, 0
	s_add_u32 s20, s20, s22
	s_addc_u32 s21, s21, 0
	s_add_u32 s80, s20, s23
	s_addc_u32 s81, s21, 0
	s_and_b64 s[20:21], s[2:3], s[28:29]
	v_cndmask_b32_e64 v2, 0, 1, s[20:21]
	s_and_b64 s[20:21], s[14:15], s[34:35]
	v_cndmask_b32_e64 v6, 0, 1, s[20:21]
	s_and_b64 s[20:21], s[16:17], s[36:37]
	v_cndmask_b32_e64 v7, 0, 1, s[20:21]
	s_and_b64 s[20:21], s[18:19], s[38:39]
	v_cndmask_b32_e64 v8, 0, 1, s[20:21]
	v_cmp_ne_u32_e64 s[20:21], 0, v2
	v_cmp_ne_u32_e64 s[22:23], 0, v6
	v_cmp_ne_u32_e64 s[24:25], 0, v7
	v_cmp_ne_u32_e64 s[26:27], 0, v8
	s_bcnt1_i32_b64 s20, s[20:21]
	s_bcnt1_i32_b64 s21, s[22:23]
	s_bcnt1_i32_b64 s22, s[24:25]
	s_bcnt1_i32_b64 s23, s[26:27]
	s_add_u32 s6, s20, s6
	s_addc_u32 s7, 0, s7
	s_add_u32 s6, s6, s21
	s_addc_u32 s7, s7, 0
	s_add_u32 s6, s6, s22
	s_addc_u32 s7, s7, 0
	s_add_u32 s6, s6, s23
	s_addc_u32 s7, s7, 0
	s_and_b64 s[20:21], s[2:3], s[40:41]
	v_cndmask_b32_e64 v2, 0, 1, s[20:21]
	s_and_b64 s[20:21], s[14:15], s[42:43]
	v_cndmask_b32_e64 v8, 0, 1, s[20:21]
	s_and_b64 s[20:21], s[16:17], s[44:45]
	v_cndmask_b32_e64 v9, 0, 1, s[20:21]
	s_and_b64 s[20:21], s[18:19], s[46:47]
	;; [unrolled: 24-line block ×3, first 2 shown]
	v_cndmask_b32_e64 v38, 0, 1, s[2:3]
	v_cmp_ne_u32_e64 s[2:3], 0, v2
	v_cmp_ne_u32_e64 s[14:15], 0, v10
	v_cmp_ne_u32_e64 s[16:17], 0, v11
	v_cmp_ne_u32_e64 s[18:19], 0, v38
	s_bcnt1_i32_b64 s2, s[2:3]
	s_bcnt1_i32_b64 s3, s[14:15]
	;; [unrolled: 1-line block ×4, first 2 shown]
	s_add_u32 s2, s2, s8
	s_addc_u32 s8, 0, s9
	s_add_u32 s2, s2, s3
	s_addc_u32 s3, s8, 0
	;; [unrolled: 2-line block ×5, first 2 shown]
	v_mov_b64_e32 v[4:5], s[80:81]
	v_mov_b64_e32 v[6:7], s[6:7]
	;; [unrolled: 1-line block ×3, first 2 shown]
	s_or_b64 s[64:65], vcc, s[64:65]
	v_mov_b64_e32 v[10:11], s[8:9]
	s_andn2_b64 exec, exec, s[64:65]
	s_cbranch_execnz .LBB60_54
; %bb.55:                               ;   in Loop: Header=BB60_7 Depth=1
	s_or_b64 exec, exec, s[64:65]
	v_readlane_b32 s76, v70, 33
	v_readlane_b32 s80, v70, 35
	;; [unrolled: 1-line block ×3, first 2 shown]
	s_mov_b32 s85, s92
	v_readlane_b32 s81, v70, 36
	v_readlane_b32 s65, v70, 37
	;; [unrolled: 1-line block ×8, first 2 shown]
	s_mov_b32 s50, 0x5040100
	s_movk_i32 s45, 0x3c00
	s_mov_b32 s46, s74
.LBB60_56:                              ;   in Loop: Header=BB60_7 Depth=1
	s_or_b64 exec, exec, s[30:31]
	v_lshl_add_u64 v[36:37], s[90:91], 0, v[0:1]
	v_cmp_gt_i64_e32 vcc, s[56:57], v[36:37]
	s_and_saveexec_b64 s[6:7], vcc
	s_mov_b32 s91, s75
	v_readlane_b32 s74, v70, 40
	v_readlane_b32 s75, v70, 41
	s_cbranch_execz .LBB60_62
; %bb.57:                               ;   in Loop: Header=BB60_7 Depth=1
	v_mul_lo_u32 v2, v37, s62
	v_mul_lo_u32 v52, v36, s63
	v_mad_u64_u32 v[38:39], s[2:3], v36, s62, 0
	v_add3_u32 v39, v39, v52, v2
	v_lshl_add_u64 v[38:39], v[38:39], 1, s[0:1]
	global_load_ushort v2, v[38:39], off
	v_lshl_add_u64 v[38:39], v[32:33], 0, s[10:11]
	v_mov_b32_e32 v52, s89
	v_subrev_co_u32_e32 v53, vcc, s88, v38
	v_readlane_b32 s8, v70, 31
	s_nop 0
	v_subb_co_u32_e32 v38, vcc, v39, v52, vcc
	v_mul_lo_u32 v52, s8, v38
	v_mov_b64_e32 v[38:39], s[0:1]
	v_readlane_b32 s9, v70, 32
	v_mad_u64_u32 v[38:39], s[2:3], s8, v53, v[38:39]
	s_nop 0
	v_mul_lo_u32 v56, s9, v53
	s_mul_i32 s2, s9, s10
	s_mul_hi_u32 s3, s8, s10
	v_add3_u32 v39, v56, v39, v52
	s_add_i32 s9, s3, s2
	s_mul_i32 s8, s8, s10
	s_mov_b64 s[14:15], 0
	s_branch .LBB60_59
.LBB60_58:                              ;   in Loop: Header=BB60_59 Depth=2
	s_or_b64 exec, exec, s[16:17]
	s_and_b64 s[2:3], exec, vcc
	s_waitcnt vmcnt(0)
	v_cmp_lt_i16_e32 vcc, -1, v2
	s_or_b64 s[14:15], s[2:3], s[14:15]
	v_lshl_add_u64 v[38:39], v[38:39], 0, s[8:9]
	v_cndmask_b32_e32 v53, v47, v48, vcc
	v_xor_b32_sdwa v53, v53, v2 dst_sel:DWORD dst_unused:UNUSED_PAD src0_sel:DWORD src1_sel:WORD_0
	v_cmp_o_f16_e32 vcc, v2, v2
	s_nop 1
	v_cndmask_b32_e32 v2, v47, v53, vcc
	v_and_b32_e32 v53, v2, v50
	v_bfe_u32 v2, v2, s84, 2
	v_cmp_eq_u32_e32 vcc, v53, v45
	v_cmp_eq_u32_e64 s[2:3], 0, v2
	s_and_b64 s[2:3], vcc, s[2:3]
	s_nop 0
	v_cndmask_b32_e64 v53, 0, 1, s[2:3]
	v_cmp_ne_u32_e64 s[2:3], 0, v53
	s_bcnt1_i32_b64 s78, s[2:3]
	v_cmp_eq_u32_e64 s[2:3], 1, v2
	s_and_b64 s[2:3], vcc, s[2:3]
	v_lshl_add_u64 v[4:5], s[78:79], 0, v[4:5]
	v_cndmask_b32_e64 v53, 0, 1, s[2:3]
	v_cmp_ne_u32_e64 s[2:3], 0, v53
	s_bcnt1_i32_b64 s78, s[2:3]
	v_cmp_eq_u32_e64 s[2:3], 2, v2
	s_and_b64 s[2:3], vcc, s[2:3]
	v_lshl_add_u64 v[6:7], s[78:79], 0, v[6:7]
	;; [unrolled: 6-line block ×3, first 2 shown]
	v_cndmask_b32_e64 v2, 0, 1, s[2:3]
	v_cmp_ne_u32_e32 vcc, 0, v2
	s_bcnt1_i32_b64 s78, vcc
	v_lshl_add_u64 v[10:11], s[78:79], 0, v[10:11]
	v_mov_b32_e32 v2, v52
	s_andn2_b64 exec, exec, s[14:15]
	s_cbranch_execz .LBB60_61
.LBB60_59:                              ;   Parent Loop BB60_7 Depth=1
                                        ; =>  This Inner Loop Header: Depth=2
	v_lshl_add_u64 v[36:37], v[36:37], 0, s[10:11]
	v_cmp_gt_i64_e64 s[2:3], s[56:57], v[36:37]
	v_cmp_le_i64_e32 vcc, s[56:57], v[36:37]
	v_mov_b32_e32 v52, 0
	s_and_saveexec_b64 s[16:17], s[2:3]
	s_cbranch_execz .LBB60_58
; %bb.60:                               ;   in Loop: Header=BB60_59 Depth=2
	global_load_ushort v52, v[38:39], off
	s_branch .LBB60_58
.LBB60_61:                              ;   in Loop: Header=BB60_7 Depth=1
	s_or_b64 exec, exec, s[14:15]
.LBB60_62:                              ;   in Loop: Header=BB60_7 Depth=1
	s_or_b64 exec, exec, s[6:7]
	s_mov_b32 s89, s87
	s_branch .LBB60_41
.LBB60_63:                              ;   in Loop: Header=BB60_7 Depth=1
	global_load_ushort v2, v3, s[80:81]
	v_mov_b64_e32 v[8:9], 0
	s_waitcnt vmcnt(0)
	v_readfirstlane_b32 s2, v2
	s_and_b32 s13, 0xffff, s2
	s_lshl_b32 s78, s13, 2
	v_cvt_f32_u32_e32 v4, s78
	s_sub_i32 s2, 0, s78
	v_rcp_iflag_f32_e32 v6, v4
	v_mov_b64_e32 v[4:5], 0
	v_mul_f32_e32 v6, 0x4f7ffffe, v6
	v_cvt_u32_f32_e32 v10, v6
	v_mov_b64_e32 v[6:7], 0
	v_readfirstlane_b32 s3, v10
	s_mul_i32 s2, s2, s3
	s_mul_hi_u32 s2, s3, s2
	s_add_i32 s3, s3, s2
	s_mul_hi_u32 s2, s12, s3
	s_mul_i32 s3, s2, s78
	s_sub_i32 s3, s12, s3
	s_add_i32 s6, s2, 1
	s_sub_i32 s7, s3, s78
	s_cmp_ge_u32 s3, s78
	s_cselect_b32 s2, s6, s2
	s_cselect_b32 s3, s7, s3
	s_add_i32 s6, s2, 1
	s_cmp_ge_u32 s3, s78
	s_cselect_b32 s2, s6, s2
	s_mul_hi_u32 s7, s13, s2
	s_mul_i32 s6, s13, s2
	s_lshl_b64 s[8:9], s[6:7], 2
	v_cmp_gt_u64_e32 vcc, s[8:9], v[14:15]
	v_mov_b64_e32 v[10:11], 0
	s_and_saveexec_b64 s[10:11], vcc
	s_cbranch_execz .LBB60_67
; %bb.64:                               ;   in Loop: Header=BB60_7 Depth=1
	s_mov_b32 s87, s46
	s_lshl_b32 s7, s13, 3
	s_mov_b64 s[30:31], 0
	v_mov_b32_e32 v38, v18
	s_mov_b64 s[64:65], 0
	s_mov_b64 s[76:77], 0
	;; [unrolled: 1-line block ×4, first 2 shown]
	v_mov_b64_e32 v[36:37], v[14:15]
.LBB60_65:                              ;   Parent Loop BB60_7 Depth=1
                                        ; =>  This Inner Loop Header: Depth=2
	ds_read_b64 v[4:5], v38
	v_lshl_add_u64 v[36:37], v[36:37], 0, s[78:79]
	v_cmp_le_u64_e32 vcc, s[8:9], v[36:37]
	v_add_u32_e32 v38, s7, v38
	s_waitcnt lgkmcnt(0)
	v_cmp_lt_i16_e64 s[2:3], -1, v4
	v_cmp_o_f16_e64 s[14:15], v5, v5
	s_nop 0
	v_cndmask_b32_e64 v6, v47, v48, s[2:3]
	v_cmp_gt_i16_sdwa s[2:3], v4, v19 src0_sel:WORD_1 src1_sel:DWORD
	v_cmp_o_f16_sdwa s[16:17], v5, v5 src0_sel:WORD_1 src1_sel:WORD_1
	v_cmp_o_f16_e64 s[18:19], v4, v4
	v_cndmask_b32_e64 v7, v47, v48, s[2:3]
	v_cmp_lt_i16_e64 s[2:3], -1, v5
	v_xor_b32_sdwa v7, v7, v4 dst_sel:DWORD dst_unused:UNUSED_PAD src0_sel:DWORD src1_sel:WORD_1
	s_nop 0
	v_cndmask_b32_e64 v8, v47, v48, s[2:3]
	v_cmp_gt_i16_sdwa s[2:3], v5, v19 src0_sel:WORD_1 src1_sel:DWORD
	v_bitop3_b32 v8, v8, v5, s33 bitop3:0x78
	s_nop 0
	v_cndmask_b32_e64 v9, v47, v48, s[2:3]
	v_xor_b32_sdwa v9, v9, v5 dst_sel:DWORD dst_unused:UNUSED_PAD src0_sel:DWORD src1_sel:WORD_1
	v_bitop3_b32 v5, v6, v4, s33 bitop3:0x78
	v_cmp_o_f16_sdwa s[2:3], v4, v4 src0_sel:WORD_1 src1_sel:WORD_1
	v_cndmask_b32_e64 v4, v47, v5, s[18:19]
	v_cndmask_b32_e64 v6, v47, v8, s[14:15]
	;; [unrolled: 1-line block ×3, first 2 shown]
	v_and_b32_e32 v8, v4, v50
	v_bfe_u32 v4, v4, s84, 2
	v_cndmask_b32_e64 v7, v47, v9, s[16:17]
	v_and_b32_e32 v9, v5, v50
	v_bfe_u32 v5, v5, s84, 2
	v_cmp_eq_u32_e64 s[20:21], v8, v45
	v_cmp_eq_u32_e64 s[2:3], 0, v4
	v_and_b32_e32 v10, v6, v50
	v_bfe_u32 v6, v6, s84, 2
	v_cmp_eq_u32_e64 s[18:19], v9, v45
	v_cmp_eq_u32_e64 s[34:35], 0, v5
	s_and_b64 s[2:3], s[20:21], s[2:3]
	v_and_b32_e32 v11, v7, v50
	v_bfe_u32 v7, v7, s84, 2
	v_cmp_eq_u32_e64 s[16:17], v10, v45
	v_cmp_eq_u32_e64 s[36:37], 0, v6
	;; [unrolled: 1-line block ×5, first 2 shown]
	v_cndmask_b32_e64 v4, 0, 1, s[2:3]
	s_and_b64 s[2:3], s[18:19], s[34:35]
	v_cmp_eq_u32_e64 s[14:15], v11, v45
	v_cmp_eq_u32_e64 s[38:39], 0, v7
	;; [unrolled: 1-line block ×5, first 2 shown]
	v_cndmask_b32_e64 v5, 0, 1, s[2:3]
	s_and_b64 s[2:3], s[16:17], s[36:37]
	v_cmp_eq_u32_e64 s[44:45], 1, v6
	v_cmp_eq_u32_e64 s[52:53], 2, v6
	;; [unrolled: 1-line block ×3, first 2 shown]
	v_cndmask_b32_e64 v6, 0, 1, s[2:3]
	s_and_b64 s[2:3], s[14:15], s[38:39]
	v_cmp_eq_u32_e64 s[46:47], 1, v7
	v_cmp_eq_u32_e64 s[54:55], 2, v7
	;; [unrolled: 1-line block ×3, first 2 shown]
	v_cndmask_b32_e64 v7, 0, 1, s[2:3]
	v_cmp_ne_u32_e64 s[2:3], 0, v4
	v_cmp_ne_u32_e64 s[34:35], 0, v5
	v_cmp_ne_u32_e64 s[36:37], 0, v6
	v_cmp_ne_u32_e64 s[38:39], 0, v7
	s_bcnt1_i32_b64 s2, s[2:3]
	s_bcnt1_i32_b64 s3, s[34:35]
	s_bcnt1_i32_b64 s34, s[36:37]
	s_bcnt1_i32_b64 s35, s[38:39]
	s_add_u32 s2, s2, s82
	s_addc_u32 s36, 0, s83
	s_add_u32 s2, s2, s3
	s_addc_u32 s3, s36, 0
	s_add_u32 s2, s2, s34
	s_addc_u32 s3, s3, 0
	s_add_u32 s82, s2, s35
	s_addc_u32 s83, s3, 0
	s_and_b64 s[2:3], s[20:21], s[40:41]
	v_cndmask_b32_e64 v6, 0, 1, s[2:3]
	s_and_b64 s[2:3], s[18:19], s[42:43]
	v_cndmask_b32_e64 v7, 0, 1, s[2:3]
	s_and_b64 s[2:3], s[16:17], s[44:45]
	v_cndmask_b32_e64 v8, 0, 1, s[2:3]
	s_and_b64 s[2:3], s[14:15], s[46:47]
	v_cndmask_b32_e64 v9, 0, 1, s[2:3]
	v_cmp_ne_u32_e64 s[2:3], 0, v6
	v_cmp_ne_u32_e64 s[34:35], 0, v7
	v_cmp_ne_u32_e64 s[36:37], 0, v8
	v_cmp_ne_u32_e64 s[38:39], 0, v9
	s_bcnt1_i32_b64 s2, s[2:3]
	s_bcnt1_i32_b64 s3, s[34:35]
	s_bcnt1_i32_b64 s34, s[36:37]
	s_bcnt1_i32_b64 s35, s[38:39]
	s_add_u32 s2, s2, s80
	s_addc_u32 s36, 0, s81
	s_add_u32 s2, s2, s3
	s_addc_u32 s3, s36, 0
	s_add_u32 s2, s2, s34
	s_addc_u32 s3, s3, 0
	s_add_u32 s80, s2, s35
	s_addc_u32 s81, s3, 0
	s_and_b64 s[2:3], s[20:21], s[48:49]
	v_cndmask_b32_e64 v8, 0, 1, s[2:3]
	s_and_b64 s[2:3], s[18:19], s[50:51]
	v_cndmask_b32_e64 v9, 0, 1, s[2:3]
	s_and_b64 s[2:3], s[16:17], s[52:53]
	v_cndmask_b32_e64 v10, 0, 1, s[2:3]
	s_and_b64 s[2:3], s[14:15], s[54:55]
	;; [unrolled: 24-line block ×3, first 2 shown]
	v_cndmask_b32_e64 v52, 0, 1, s[2:3]
	v_cmp_ne_u32_e64 s[2:3], 0, v10
	v_cmp_ne_u32_e64 s[14:15], 0, v11
	;; [unrolled: 1-line block ×4, first 2 shown]
	s_bcnt1_i32_b64 s2, s[2:3]
	s_bcnt1_i32_b64 s3, s[14:15]
	;; [unrolled: 1-line block ×4, first 2 shown]
	s_add_u32 s2, s2, s64
	s_addc_u32 s16, 0, s65
	s_add_u32 s2, s2, s3
	s_addc_u32 s3, s16, 0
	;; [unrolled: 2-line block ×4, first 2 shown]
	v_mov_b64_e32 v[4:5], s[82:83]
	v_mov_b64_e32 v[6:7], s[80:81]
	;; [unrolled: 1-line block ×3, first 2 shown]
	s_or_b64 s[30:31], vcc, s[30:31]
	v_mov_b64_e32 v[10:11], s[64:65]
	s_andn2_b64 exec, exec, s[30:31]
	s_cbranch_execnz .LBB60_65
; %bb.66:                               ;   in Loop: Header=BB60_7 Depth=1
	s_or_b64 exec, exec, s[30:31]
	v_readlane_b32 s76, v70, 33
	v_readlane_b32 s80, v70, 35
	;; [unrolled: 1-line block ×11, first 2 shown]
	s_mov_b32 s50, 0x5040100
	s_movk_i32 s45, 0x3c00
	s_mov_b32 s46, s87
.LBB60_67:                              ;   in Loop: Header=BB60_7 Depth=1
	s_or_b64 exec, exec, s[10:11]
	s_and_b32 s10, s12, 0x7fffffff
	s_mov_b32 s11, s79
	v_lshl_add_u64 v[36:37], s[8:9], 0, v[0:1]
	v_and_b32_e32 v2, 0xffff, v2
	v_cmp_gt_u64_e32 vcc, s[10:11], v[36:37]
	s_and_saveexec_b64 s[8:9], vcc
	s_cbranch_execz .LBB60_71
; %bb.68:                               ;   in Loop: Header=BB60_7 Depth=1
	v_lshl_add_u32 v38, s6, 3, v41
	s_lshl_b32 s12, s13, 1
	s_mov_b64 s[6:7], 0
.LBB60_69:                              ;   Parent Loop BB60_7 Depth=1
                                        ; =>  This Inner Loop Header: Depth=2
	ds_read_u16 v39, v38
	v_lshl_add_u64 v[36:37], v[36:37], 0, v[2:3]
	v_cmp_le_u64_e32 vcc, s[10:11], v[36:37]
	v_add_u32_e32 v38, s12, v38
	s_waitcnt lgkmcnt(0)
	v_cmp_lt_i16_e64 s[2:3], -1, v39
	s_nop 1
	v_cndmask_b32_e64 v52, v47, v48, s[2:3]
	v_xor_b32_sdwa v52, v52, v39 dst_sel:DWORD dst_unused:UNUSED_PAD src0_sel:DWORD src1_sel:WORD_0
	v_cmp_o_f16_e64 s[2:3], v39, v39
	s_nop 1
	v_cndmask_b32_e64 v39, v47, v52, s[2:3]
	v_and_b32_e32 v52, v39, v50
	v_bfe_u32 v39, v39, s84, 2
	v_cmp_eq_u32_e64 s[2:3], v52, v45
	v_cmp_eq_u32_e64 s[14:15], 0, v39
	v_cmp_eq_u32_e64 s[16:17], 1, v39
	s_and_b64 s[14:15], s[2:3], s[14:15]
	v_cmp_eq_u32_e64 s[18:19], 2, v39
	v_cmp_eq_u32_e64 s[20:21], 3, v39
	v_cndmask_b32_e64 v39, 0, 1, s[14:15]
	s_and_b64 s[14:15], s[2:3], s[16:17]
	v_cndmask_b32_e64 v52, 0, 1, s[14:15]
	s_and_b64 s[14:15], s[2:3], s[18:19]
	s_and_b64 s[2:3], s[2:3], s[20:21]
	v_cndmask_b32_e64 v56, 0, 1, s[2:3]
	v_cmp_ne_u32_e64 s[2:3], 0, v39
	v_cndmask_b32_e64 v53, 0, 1, s[14:15]
	v_cmp_ne_u32_e64 s[14:15], 0, v52
	s_bcnt1_i32_b64 s78, s[2:3]
	v_cmp_ne_u32_e64 s[16:17], 0, v53
	v_lshl_add_u64 v[4:5], s[78:79], 0, v[4:5]
	s_bcnt1_i32_b64 s78, s[14:15]
	v_cmp_ne_u32_e64 s[18:19], 0, v56
	v_lshl_add_u64 v[6:7], s[78:79], 0, v[6:7]
	s_bcnt1_i32_b64 s78, s[16:17]
	v_lshl_add_u64 v[8:9], s[78:79], 0, v[8:9]
	s_bcnt1_i32_b64 s78, s[18:19]
	s_or_b64 s[6:7], vcc, s[6:7]
	v_lshl_add_u64 v[10:11], s[78:79], 0, v[10:11]
	s_andn2_b64 exec, exec, s[6:7]
	s_cbranch_execnz .LBB60_69
; %bb.70:                               ;   in Loop: Header=BB60_7 Depth=1
	s_or_b64 exec, exec, s[6:7]
.LBB60_71:                              ;   in Loop: Header=BB60_7 Depth=1
	s_or_b64 exec, exec, s[8:9]
	s_lshl_b32 s6, s46, 6
	s_and_saveexec_b64 s[2:3], s[4:5]
	s_cbranch_execnz .LBB60_42
	s_branch .LBB60_43
.LBB60_72:                              ;   in Loop: Header=BB60_7 Depth=1
                                        ; implicit-def: $sgpr88_sgpr89
	s_mov_b32 s75, s91
	s_branch .LBB60_51
.LBB60_73:                              ;   in Loop: Header=BB60_7 Depth=1
	s_or_b64 exec, exec, s[8:9]
	s_waitcnt lgkmcnt(0)
	s_barrier
	s_mov_b64 s[2:3], exec
	v_readlane_b32 s8, v70, 8
	v_readlane_b32 s9, v70, 9
	s_and_b64 s[8:9], s[2:3], s[8:9]
	s_mov_b64 exec, s[8:9]
	s_cbranch_execz .LBB60_75
; %bb.74:                               ;   in Loop: Header=BB60_7 Depth=1
	ds_read_b32 v4, v3 offset:5136
	s_waitcnt lgkmcnt(0)
	v_ashrrev_i32_e32 v5, 31, v4
	ds_write_b64 v3, v[4:5] offset:5120
.LBB60_75:                              ;   in Loop: Header=BB60_7 Depth=1
	s_or_b64 exec, exec, s[2:3]
	s_waitcnt lgkmcnt(0)
	s_barrier
	s_mov_b64 s[2:3], -1
	s_and_b64 vcc, exec, s[6:7]
	s_cbranch_vccnz .LBB60_22
	s_branch .LBB60_37
.LBB60_76:                              ;   in Loop: Header=BB60_7 Depth=1
	s_mov_b32 s7, 0
	v_mov_b64_e32 v[4:5], 0
.LBB60_77:                              ;   in Loop: Header=BB60_7 Depth=1
	v_readlane_b32 s8, v70, 29
	v_readlane_b32 s9, v70, 30
	s_andn2_b64 vcc, exec, s[8:9]
	s_cbranch_vccnz .LBB60_80
; %bb.78:                               ;   in Loop: Header=BB60_7 Depth=1
	s_lshl_b32 s8, s46, 9
	s_lshl_b32 s7, s7, 5
	s_add_i32 s8, s8, s7
	v_add_u32_e32 v2, s8, v46
	v_readlane_b32 s7, v70, 28
.LBB60_79:                              ;   Parent Loop BB60_7 Depth=1
                                        ; =>  This Inner Loop Header: Depth=2
	ds_read_b64 v[6:7], v2
	s_add_i32 s7, s7, -1
	v_add_u32_e32 v2, 32, v2
	s_cmp_lg_u32 s7, 0
	s_waitcnt lgkmcnt(0)
	v_lshl_add_u64 v[4:5], v[6:7], 0, v[4:5]
	s_cbranch_scc1 .LBB60_79
.LBB60_80:                              ;   in Loop: Header=BB60_7 Depth=1
	v_add_lshl_u32 v2, s6, v40, 3
	ds_write_b64 v2, v[4:5] offset:3072
.LBB60_81:                              ;   in Loop: Header=BB60_7 Depth=1
	s_or_b64 exec, exec, s[2:3]
	s_lshl_b32 s2, s6, 3
	v_mov_b32_e32 v2, s2
	s_waitcnt lgkmcnt(0)
	s_barrier
	ds_read_b128 v[8:11], v2 offset:3088
	ds_read_b128 v[4:7], v2 offset:3072
	s_lshl_b32 s54, 3, s84
	v_cmp_eq_u64_e64 s[2:3], 1, v[34:35]
	s_not_b32 s48, s54
	s_waitcnt lgkmcnt(1)
	v_readfirstlane_b32 s22, v8
	s_waitcnt lgkmcnt(0)
	v_cmp_eq_u64_e32 vcc, 1, v[4:5]
	v_readfirstlane_b32 s23, v9
	v_readfirstlane_b32 s14, v10
	;; [unrolled: 1-line block ×3, first 2 shown]
	s_and_b64 s[10:11], vcc, s[2:3]
	s_mov_b64 s[2:3], -1
	s_mov_b64 s[18:19], -1
                                        ; implicit-def: $sgpr8_sgpr9
                                        ; implicit-def: $sgpr6_sgpr7
	s_and_saveexec_b64 s[12:13], s[10:11]
	s_cbranch_execz .LBB60_115
; %bb.82:                               ;   in Loop: Header=BB60_7 Depth=1
	ds_read_b64 v[8:9], v3 offset:5120
	s_waitcnt lgkmcnt(0)
	s_barrier
	v_readfirstlane_b32 s16, v8
	v_readfirstlane_b32 s17, v9
	s_mov_b64 s[6:7], exec
	v_readlane_b32 s8, v70, 12
	v_readlane_b32 s9, v70, 13
	s_and_b64 s[8:9], s[6:7], s[8:9]
	s_mov_b64 exec, s[8:9]
; %bb.83:                               ;   in Loop: Header=BB60_7 Depth=1
	ds_write_b16 v42, v3
; %bb.84:                               ;   in Loop: Header=BB60_7 Depth=1
	s_or_b64 exec, exec, s[6:7]
	v_cmp_lt_i64_e64 s[18:19], s[16:17], 1
	v_and_b32_e32 v45, s48, v45
	v_or_b32_e32 v50, s54, v50
	s_mov_b64 s[6:7], -1
	s_mov_b64 s[8:9], 0
	s_and_b64 vcc, exec, s[18:19]
	s_mov_b64 s[18:19], 0
	s_mov_b64 s[20:21], -1
	s_waitcnt lgkmcnt(0)
	s_barrier
                                        ; implicit-def: $vgpr51
	s_cbranch_vccz .LBB60_99
; %bb.85:                               ;   in Loop: Header=BB60_7 Depth=1
	s_mov_b32 s90, s79
	s_cmp_lg_u64 s[90:91], 0
	s_cbranch_scc0 .LBB60_142
; %bb.86:                               ;   in Loop: Header=BB60_7 Depth=1
	s_add_u32 s18, s72, 0
	s_addc_u32 s19, 0, 0
	s_xor_b64 s[18:19], s[18:19], 0
	v_cvt_f32_u32_e32 v2, s18
	v_cvt_f32_u32_e32 v8, s19
	s_sub_u32 s24, 0, s18
	s_subb_u32 s25, 0, s19
	v_fmac_f32_e32 v2, 0x4f800000, v8
	v_rcp_f32_e32 v2, v2
	s_nop 0
	v_mul_f32_e32 v2, 0x5f7ffffc, v2
	v_mul_f32_e32 v8, 0x2f800000, v2
	v_trunc_f32_e32 v8, v8
	v_fmac_f32_e32 v2, 0xcf800000, v8
	v_cvt_u32_f32_e32 v8, v8
	v_cvt_u32_f32_e32 v2, v2
	v_readfirstlane_b32 s26, v8
	v_readfirstlane_b32 s20, v2
	s_mul_i32 s21, s24, s26
	s_mul_hi_u32 s28, s24, s20
	s_mul_i32 s27, s25, s20
	s_add_i32 s21, s28, s21
	s_mul_i32 s29, s24, s20
	s_add_i32 s21, s21, s27
	s_mul_i32 s28, s20, s21
	s_mul_hi_u32 s30, s20, s29
	s_mul_hi_u32 s27, s20, s21
	s_add_u32 s28, s30, s28
	s_addc_u32 s27, 0, s27
	s_mul_hi_u32 s31, s26, s29
	s_mul_i32 s29, s26, s29
	s_add_u32 s28, s28, s29
	s_mul_hi_u32 s30, s26, s21
	s_addc_u32 s27, s27, s31
	s_addc_u32 s28, s30, 0
	s_mul_i32 s21, s26, s21
	s_add_u32 s21, s27, s21
	s_addc_u32 s27, 0, s28
	s_add_u32 s28, s20, s21
	s_cselect_b64 s[20:21], -1, 0
	s_cmp_lg_u64 s[20:21], 0
	s_addc_u32 s26, s26, s27
	s_mul_i32 s20, s24, s26
	s_mul_hi_u32 s21, s24, s28
	s_add_i32 s20, s21, s20
	s_mul_i32 s25, s25, s28
	s_add_i32 s20, s20, s25
	s_mul_i32 s24, s24, s28
	s_mul_hi_u32 s25, s26, s24
	s_mul_i32 s27, s26, s24
	s_mul_i32 s30, s28, s20
	s_mul_hi_u32 s24, s28, s24
	s_mul_hi_u32 s29, s28, s20
	s_add_u32 s24, s24, s30
	s_addc_u32 s29, 0, s29
	s_add_u32 s24, s24, s27
	s_mul_hi_u32 s21, s26, s20
	s_addc_u32 s24, s29, s25
	s_addc_u32 s21, s21, 0
	s_mul_i32 s20, s26, s20
	s_add_u32 s20, s24, s20
	s_addc_u32 s24, 0, s21
	s_add_u32 s27, s28, s20
	s_cselect_b64 s[20:21], -1, 0
	s_cmp_lg_u64 s[20:21], 0
	s_addc_u32 s26, s26, s24
	s_ashr_i32 s20, s91, 31
	s_add_u32 s24, s85, s20
	s_mov_b32 s21, s20
	s_addc_u32 s25, s91, s20
	s_xor_b64 s[24:25], s[24:25], s[20:21]
	s_mul_i32 s29, s24, s26
	s_mul_hi_u32 s30, s24, s27
	s_mul_hi_u32 s28, s24, s26
	s_add_u32 s29, s30, s29
	s_addc_u32 s28, 0, s28
	s_mul_hi_u32 s31, s25, s27
	s_mul_i32 s27, s25, s27
	s_add_u32 s27, s29, s27
	s_mul_hi_u32 s30, s25, s26
	s_addc_u32 s27, s28, s31
	s_addc_u32 s28, s30, 0
	s_mul_i32 s26, s25, s26
	s_add_u32 s26, s27, s26
	s_addc_u32 s27, 0, s28
	s_mul_i32 s27, s18, s27
	s_mul_hi_u32 s28, s18, s26
	s_add_i32 s27, s28, s27
	s_mul_i32 s28, s19, s26
	s_add_i32 s30, s27, s28
	s_sub_i32 s28, s25, s30
	s_mul_i32 s26, s18, s26
	s_sub_u32 s24, s24, s26
	s_cselect_b64 s[26:27], -1, 0
	s_cmp_lg_u64 s[26:27], 0
	s_subb_u32 s31, s28, s19
	s_sub_u32 s34, s24, s18
	s_cselect_b64 s[28:29], -1, 0
	s_cmp_lg_u64 s[28:29], 0
	s_subb_u32 s35, s31, 0
	s_cmp_ge_u32 s35, s19
	s_cselect_b32 s36, -1, 0
	s_cmp_ge_u32 s34, s18
	s_cselect_b32 s37, -1, 0
	s_cmp_eq_u32 s35, s19
	s_cselect_b32 s36, s37, s36
	s_cmp_lg_u64 s[28:29], 0
	s_subb_u32 s31, s31, s19
	s_sub_u32 s37, s34, s18
	s_cselect_b64 s[28:29], -1, 0
	s_cmp_lg_u64 s[28:29], 0
	s_subb_u32 s28, s31, 0
	s_cmp_lg_u32 s36, 0
	s_cselect_b32 s29, s37, s34
	s_cselect_b32 s28, s28, s35
	s_cmp_lg_u64 s[26:27], 0
	s_subb_u32 s25, s25, s30
	s_cmp_ge_u32 s25, s19
	s_cselect_b32 s26, -1, 0
	s_cmp_ge_u32 s24, s18
	s_cselect_b32 s18, -1, 0
	s_cmp_eq_u32 s25, s19
	s_cselect_b32 s18, s18, s26
	s_cmp_lg_u32 s18, 0
	s_cselect_b32 s19, s28, s25
	s_cselect_b32 s18, s29, s24
	s_xor_b64 s[18:19], s[18:19], s[20:21]
	s_sub_u32 s18, s18, s20
	s_subb_u32 s19, s19, s20
	s_cbranch_execnz .LBB60_88
.LBB60_87:                              ;   in Loop: Header=BB60_7 Depth=1
	v_cvt_f32_u32_e32 v2, s72
	s_sub_i32 s18, 0, s72
	v_rcp_iflag_f32_e32 v2, v2
	s_nop 0
	v_mul_f32_e32 v2, 0x4f7ffffe, v2
	v_cvt_u32_f32_e32 v2, v2
	s_nop 0
	v_readfirstlane_b32 s19, v2
	s_mul_i32 s18, s18, s19
	s_mul_hi_u32 s18, s19, s18
	s_add_i32 s19, s19, s18
	s_mul_hi_u32 s18, s85, s19
	s_mul_i32 s18, s18, s72
	s_sub_i32 s18, s85, s18
	s_sub_i32 s19, s18, s72
	s_cmp_ge_u32 s18, s72
	s_cselect_b32 s18, s19, s18
	s_sub_i32 s19, s18, s72
	s_cmp_ge_u32 s18, s72
	s_cselect_b32 s78, s19, s18
	s_mov_b64 s[18:19], s[78:79]
.LBB60_88:                              ;   in Loop: Header=BB60_7 Depth=1
	s_sub_u32 s26, s85, s18
	s_subb_u32 s27, s91, s19
	v_cmp_gt_i64_e32 vcc, s[26:27], v[0:1]
	s_mov_b64 s[20:21], 0
	s_mov_b64 s[18:19], 0
                                        ; implicit-def: $vgpr51
	s_and_saveexec_b64 s[24:25], vcc
	s_cbranch_execz .LBB60_98
; %bb.89:                               ;   in Loop: Header=BB60_7 Depth=1
	v_mov_b64_e32 v[8:9], v[12:13]
	v_mov_b64_e32 v[10:11], v[0:1]
                                        ; implicit-def: $sgpr28_sgpr29
	s_branch .LBB60_93
.LBB60_90:                              ;   in Loop: Header=BB60_93 Depth=2
	s_or_b64 exec, exec, s[30:31]
	s_waitcnt lgkmcnt(0)
	s_barrier
	ds_read_b32 v2, v3 offset:3072
	s_waitcnt lgkmcnt(0)
	s_barrier
	v_cmp_neq_f16_e32 vcc, 0, v2
	s_cbranch_vccnz .LBB60_96
; %bb.91:                               ;   in Loop: Header=BB60_93 Depth=2
	v_lshl_add_u64 v[10:11], v[10:11], 0, s[72:73]
	v_cmp_le_i64_e32 vcc, s[26:27], v[10:11]
	v_lshl_add_u64 v[8:9], v[8:9], 0, s[74:75]
	s_mov_b64 s[30:31], 0
	s_orn2_b64 s[34:35], vcc, exec
.LBB60_92:                              ;   in Loop: Header=BB60_93 Depth=2
	s_and_b64 s[34:35], exec, s[34:35]
	s_or_b64 s[18:19], s[34:35], s[18:19]
	s_andn2_b64 s[28:29], s[28:29], exec
	s_and_b64 s[30:31], s[30:31], exec
	s_or_b64 s[28:29], s[28:29], s[30:31]
	s_andn2_b64 exec, exec, s[18:19]
	s_cbranch_execz .LBB60_97
.LBB60_93:                              ;   Parent Loop BB60_7 Depth=1
                                        ; =>  This Inner Loop Header: Depth=2
	v_cmp_gt_i64_e32 vcc, s[56:57], v[10:11]
	s_and_saveexec_b64 s[30:31], vcc
	s_cbranch_execz .LBB60_90
; %bb.94:                               ;   in Loop: Header=BB60_93 Depth=2
	global_load_ushort v2, v[8:9], off
	s_waitcnt vmcnt(0)
	v_cmp_lt_i16_e32 vcc, -1, v2
	s_nop 1
	v_cndmask_b32_e32 v36, v47, v48, vcc
	v_xor_b32_sdwa v36, v36, v2 dst_sel:DWORD dst_unused:UNUSED_PAD src0_sel:DWORD src1_sel:WORD_0
	v_cmp_o_f16_e32 vcc, v2, v2
	s_nop 1
	v_cndmask_b32_e32 v36, v47, v36, vcc
	v_and_b32_e32 v36, v36, v50
	v_cmp_eq_u32_e32 vcc, v36, v45
	s_and_b64 exec, exec, vcc
	s_cbranch_execz .LBB60_90
; %bb.95:                               ;   in Loop: Header=BB60_93 Depth=2
	v_perm_b32 v2, v2, s45, v49
	ds_write_b32 v3, v2 offset:3072
	s_branch .LBB60_90
.LBB60_96:                              ;   in Loop: Header=BB60_93 Depth=2
	s_mov_b64 s[34:35], -1
                                        ; implicit-def: $vgpr10_vgpr11
                                        ; implicit-def: $vgpr8_vgpr9
	s_mov_b64 s[30:31], -1
	s_branch .LBB60_92
.LBB60_97:                              ;   in Loop: Header=BB60_7 Depth=1
	s_or_b64 exec, exec, s[18:19]
	v_lshrrev_b32_e32 v51, 16, v2
	s_and_b64 s[18:19], s[28:29], exec
.LBB60_98:                              ;   in Loop: Header=BB60_7 Depth=1
	s_or_b64 exec, exec, s[24:25]
.LBB60_99:                              ;   in Loop: Header=BB60_7 Depth=1
	s_and_b64 vcc, exec, s[20:21]
	s_cbranch_vccz .LBB60_114
; %bb.100:                              ;   in Loop: Header=BB60_7 Depth=1
	v_readlane_b32 s6, v70, 20
	s_add_u32 s24, s16, s6
	v_readlane_b32 s6, v70, 21
	s_addc_u32 s7, s17, s6
	s_mov_b32 s6, s79
	s_cmp_lg_u64 s[6:7], 0
	s_cbranch_scc0 .LBB60_143
; %bb.101:                              ;   in Loop: Header=BB60_7 Depth=1
	s_add_u32 s8, s72, 0
	s_addc_u32 s9, 0, 0
	s_xor_b64 s[8:9], s[8:9], 0
	v_cvt_f32_u32_e32 v2, s8
	v_cvt_f32_u32_e32 v8, s9
	s_sub_u32 s6, 0, s8
	s_subb_u32 s25, 0, s9
	v_fmac_f32_e32 v2, 0x4f800000, v8
	v_rcp_f32_e32 v2, v2
	s_nop 0
	v_mul_f32_e32 v2, 0x5f7ffffc, v2
	v_mul_f32_e32 v8, 0x2f800000, v2
	v_trunc_f32_e32 v8, v8
	v_fmac_f32_e32 v2, 0xcf800000, v8
	v_cvt_u32_f32_e32 v8, v8
	v_cvt_u32_f32_e32 v2, v2
	v_readfirstlane_b32 s26, v8
	v_readfirstlane_b32 s20, v2
	s_mul_i32 s21, s6, s26
	s_mul_hi_u32 s28, s6, s20
	s_mul_i32 s27, s25, s20
	s_add_i32 s21, s28, s21
	s_mul_i32 s29, s6, s20
	s_add_i32 s21, s21, s27
	s_mul_i32 s28, s20, s21
	s_mul_hi_u32 s30, s20, s29
	s_mul_hi_u32 s27, s20, s21
	s_add_u32 s28, s30, s28
	s_addc_u32 s27, 0, s27
	s_mul_hi_u32 s31, s26, s29
	s_mul_i32 s29, s26, s29
	s_add_u32 s28, s28, s29
	s_mul_hi_u32 s30, s26, s21
	s_addc_u32 s27, s27, s31
	s_addc_u32 s28, s30, 0
	s_mul_i32 s21, s26, s21
	s_add_u32 s21, s27, s21
	s_addc_u32 s27, 0, s28
	s_add_u32 s28, s20, s21
	s_cselect_b64 s[20:21], -1, 0
	s_cmp_lg_u64 s[20:21], 0
	s_addc_u32 s26, s26, s27
	s_mul_i32 s20, s6, s26
	s_mul_hi_u32 s21, s6, s28
	s_add_i32 s20, s21, s20
	s_mul_i32 s25, s25, s28
	s_add_i32 s20, s20, s25
	s_mul_i32 s6, s6, s28
	s_mul_hi_u32 s25, s26, s6
	s_mul_i32 s27, s26, s6
	s_mul_i32 s30, s28, s20
	s_mul_hi_u32 s6, s28, s6
	s_mul_hi_u32 s29, s28, s20
	s_add_u32 s6, s6, s30
	s_addc_u32 s29, 0, s29
	s_add_u32 s6, s6, s27
	s_mul_hi_u32 s21, s26, s20
	s_addc_u32 s6, s29, s25
	s_addc_u32 s21, s21, 0
	s_mul_i32 s20, s26, s20
	s_add_u32 s6, s6, s20
	s_addc_u32 s25, 0, s21
	s_add_u32 s6, s28, s6
	s_cselect_b64 s[20:21], -1, 0
	s_cmp_lg_u64 s[20:21], 0
	s_addc_u32 s25, s26, s25
	s_ashr_i32 s20, s7, 31
	s_add_u32 s26, s24, s20
	s_mov_b32 s21, s20
	s_addc_u32 s27, s7, s20
	s_xor_b64 s[26:27], s[26:27], s[20:21]
	s_mul_i32 s29, s26, s25
	s_mul_hi_u32 s30, s26, s6
	s_mul_hi_u32 s28, s26, s25
	s_add_u32 s29, s30, s29
	s_addc_u32 s28, 0, s28
	s_mul_hi_u32 s31, s27, s6
	s_mul_i32 s6, s27, s6
	s_add_u32 s6, s29, s6
	s_mul_hi_u32 s30, s27, s25
	s_addc_u32 s6, s28, s31
	s_addc_u32 s28, s30, 0
	s_mul_i32 s25, s27, s25
	s_add_u32 s6, s6, s25
	s_addc_u32 s25, 0, s28
	s_mul_i32 s25, s8, s25
	s_mul_hi_u32 s28, s8, s6
	s_add_i32 s25, s28, s25
	s_mul_i32 s28, s9, s6
	s_add_i32 s25, s25, s28
	s_sub_i32 s30, s27, s25
	s_mul_i32 s6, s8, s6
	s_sub_u32 s6, s26, s6
	s_cselect_b64 s[28:29], -1, 0
	s_cmp_lg_u64 s[28:29], 0
	s_subb_u32 s26, s30, s9
	s_sub_u32 s34, s6, s8
	s_cselect_b64 s[30:31], -1, 0
	s_cmp_lg_u64 s[30:31], 0
	s_subb_u32 s35, s26, 0
	s_cmp_ge_u32 s35, s9
	s_cselect_b32 s36, -1, 0
	s_cmp_ge_u32 s34, s8
	s_cselect_b32 s37, -1, 0
	s_cmp_eq_u32 s35, s9
	s_cselect_b32 s36, s37, s36
	s_cmp_lg_u64 s[30:31], 0
	s_subb_u32 s26, s26, s9
	s_sub_u32 s37, s34, s8
	s_cselect_b64 s[30:31], -1, 0
	s_cmp_lg_u64 s[30:31], 0
	s_subb_u32 s26, s26, 0
	s_cmp_lg_u32 s36, 0
	s_cselect_b32 s30, s37, s34
	s_cselect_b32 s26, s26, s35
	s_cmp_lg_u64 s[28:29], 0
	s_subb_u32 s25, s27, s25
	s_cmp_ge_u32 s25, s9
	s_cselect_b32 s27, -1, 0
	s_cmp_ge_u32 s6, s8
	s_cselect_b32 s8, -1, 0
	s_cmp_eq_u32 s25, s9
	s_cselect_b32 s8, s8, s27
	s_cmp_lg_u32 s8, 0
	s_cselect_b32 s9, s26, s25
	s_cselect_b32 s8, s30, s6
	s_xor_b64 s[8:9], s[8:9], s[20:21]
	s_sub_u32 s8, s8, s20
	s_subb_u32 s9, s9, s20
	s_cbranch_execnz .LBB60_103
.LBB60_102:                             ;   in Loop: Header=BB60_7 Depth=1
	v_cvt_f32_u32_e32 v2, s72
	s_sub_i32 s6, 0, s72
	v_rcp_iflag_f32_e32 v2, v2
	s_nop 0
	v_mul_f32_e32 v2, 0x4f7ffffe, v2
	v_cvt_u32_f32_e32 v2, v2
	s_nop 0
	v_readfirstlane_b32 s8, v2
	s_mul_i32 s6, s6, s8
	s_mul_hi_u32 s6, s8, s6
	s_add_i32 s8, s8, s6
	s_mul_hi_u32 s6, s24, s8
	s_mul_i32 s6, s6, s72
	s_sub_i32 s6, s24, s6
	s_sub_i32 s8, s6, s72
	s_cmp_ge_u32 s6, s72
	s_cselect_b32 s6, s8, s6
	s_sub_i32 s8, s6, s72
	s_cmp_ge_u32 s6, s72
	s_cselect_b32 s78, s8, s6
	s_mov_b64 s[8:9], s[78:79]
.LBB60_103:                             ;   in Loop: Header=BB60_7 Depth=1
	s_sub_u32 s8, s24, s8
	s_subb_u32 s9, s7, s9
	v_cmp_gt_i64_e32 vcc, s[8:9], v[0:1]
                                        ; implicit-def: $vgpr51
	s_and_saveexec_b64 s[6:7], vcc
	s_cbranch_execz .LBB60_113
; %bb.104:                              ;   in Loop: Header=BB60_7 Depth=1
	s_mov_b64 s[20:21], 0
	v_mov_b32_e32 v2, v41
	v_mov_b64_e32 v[8:9], v[0:1]
                                        ; implicit-def: $sgpr24_sgpr25
	s_branch .LBB60_108
.LBB60_105:                             ;   in Loop: Header=BB60_108 Depth=2
	s_or_b64 exec, exec, s[26:27]
	s_waitcnt lgkmcnt(0)
	s_barrier
	ds_read_b32 v10, v3 offset:3072
	s_waitcnt lgkmcnt(0)
	s_barrier
	v_cmp_neq_f16_e32 vcc, 0, v10
	s_cbranch_vccnz .LBB60_111
; %bb.106:                              ;   in Loop: Header=BB60_108 Depth=2
	v_lshl_add_u64 v[8:9], v[8:9], 0, s[72:73]
	v_cmp_le_i64_e32 vcc, s[8:9], v[8:9]
	v_add_u32_e32 v2, s55, v2
	s_mov_b64 s[26:27], 0
	s_orn2_b64 s[28:29], vcc, exec
.LBB60_107:                             ;   in Loop: Header=BB60_108 Depth=2
	s_and_b64 s[28:29], exec, s[28:29]
	s_or_b64 s[20:21], s[28:29], s[20:21]
	s_andn2_b64 s[24:25], s[24:25], exec
	s_and_b64 s[26:27], s[26:27], exec
	s_or_b64 s[24:25], s[24:25], s[26:27]
	s_andn2_b64 exec, exec, s[20:21]
	s_cbranch_execz .LBB60_112
.LBB60_108:                             ;   Parent Loop BB60_7 Depth=1
                                        ; =>  This Inner Loop Header: Depth=2
	v_cmp_gt_u64_e32 vcc, s[16:17], v[8:9]
	s_and_saveexec_b64 s[26:27], vcc
	s_cbranch_execz .LBB60_105
; %bb.109:                              ;   in Loop: Header=BB60_108 Depth=2
	ds_read_u16 v10, v2
	s_waitcnt lgkmcnt(0)
	v_cmp_lt_i16_e32 vcc, -1, v10
	s_nop 1
	v_cndmask_b32_e32 v11, v47, v48, vcc
	v_xor_b32_sdwa v11, v11, v10 dst_sel:DWORD dst_unused:UNUSED_PAD src0_sel:DWORD src1_sel:WORD_0
	v_cmp_o_f16_e32 vcc, v10, v10
	s_nop 1
	v_cndmask_b32_e32 v11, v47, v11, vcc
	v_and_b32_e32 v11, v11, v50
	v_cmp_eq_u32_e32 vcc, v11, v45
	s_and_b64 exec, exec, vcc
	s_cbranch_execz .LBB60_105
; %bb.110:                              ;   in Loop: Header=BB60_108 Depth=2
	v_perm_b32 v10, v10, s45, v49
	ds_write_b32 v3, v10 offset:3072
	s_branch .LBB60_105
.LBB60_111:                             ;   in Loop: Header=BB60_108 Depth=2
	s_mov_b64 s[28:29], -1
                                        ; implicit-def: $vgpr8_vgpr9
                                        ; implicit-def: $vgpr2
	s_mov_b64 s[26:27], -1
	s_branch .LBB60_107
.LBB60_112:                             ;   in Loop: Header=BB60_7 Depth=1
	s_or_b64 exec, exec, s[20:21]
	s_andn2_b64 s[8:9], s[18:19], exec
	s_and_b64 s[16:17], s[24:25], exec
	v_lshrrev_b32_e32 v51, 16, v10
	s_or_b64 s[18:19], s[8:9], s[16:17]
.LBB60_113:                             ;   in Loop: Header=BB60_7 Depth=1
	s_or_b64 exec, exec, s[6:7]
	s_mov_b64 s[6:7], 0
	s_mov_b64 s[8:9], -1
.LBB60_114:                             ;   in Loop: Header=BB60_7 Depth=1
	s_orn2_b64 s[18:19], s[18:19], exec
.LBB60_115:                             ;   in Loop: Header=BB60_7 Depth=1
	s_or_b64 exec, exec, s[12:13]
	s_andn2_b64 s[12:13], s[70:71], exec
	s_and_b64 s[8:9], s[8:9], exec
	s_or_b64 s[70:71], s[12:13], s[8:9]
	s_andn2_b64 s[8:9], s[66:67], exec
	s_and_b64 s[6:7], s[6:7], exec
	s_andn2_b64 s[68:69], s[68:69], exec
	s_or_b64 s[66:67], s[8:9], s[6:7]
                                        ; implicit-def: $vgpr8_vgpr9
	s_and_saveexec_b64 s[16:17], s[18:19]
	s_cbranch_execz .LBB60_6
; %bb.116:                              ;   in Loop: Header=BB60_7 Depth=1
	s_xor_b64 s[6:7], s[10:11], -1
	v_mov_b32_e32 v2, 1
	s_mov_b64 s[8:9], 0
	v_mov_b64_e32 v[8:9], 1
	s_and_saveexec_b64 s[2:3], s[6:7]
	s_cbranch_execz .LBB60_125
; %bb.117:                              ;   in Loop: Header=BB60_7 Depth=1
	v_cmp_le_i64_e32 vcc, v[34:35], v[4:5]
	s_and_saveexec_b64 s[6:7], vcc
	s_xor_b64 s[6:7], exec, s[6:7]
	s_cbranch_execz .LBB60_122
; %bb.118:                              ;   in Loop: Header=BB60_7 Depth=1
	ds_read_b64 v[8:9], v3 offset:5120
	v_and_b32_e32 v45, s48, v45
	v_or_b32_e32 v50, s54, v50
	s_waitcnt lgkmcnt(0)
	v_cmp_ne_u64_e32 vcc, 0, v[8:9]
	s_cbranch_vccnz .LBB60_122
; %bb.119:                              ;   in Loop: Header=BB60_7 Depth=1
	s_mov_b64 s[8:9], exec
	v_readlane_b32 s10, v70, 8
	v_readlane_b32 s11, v70, 9
	s_and_b64 s[10:11], s[8:9], s[10:11]
	s_mov_b64 exec, s[10:11]
; %bb.120:                              ;   in Loop: Header=BB60_7 Depth=1
	ds_write_b64 v3, v[4:5] offset:5128
; %bb.121:                              ;   in Loop: Header=BB60_7 Depth=1
	s_or_b64 exec, exec, s[8:9]
	s_waitcnt lgkmcnt(0)
	s_barrier
.LBB60_122:                             ;   in Loop: Header=BB60_7 Depth=1
	s_or_saveexec_b64 s[6:7], s[6:7]
	s_mov_b64 s[8:9], 0
	v_mov_b32_e32 v2, 8
	s_xor_b64 exec, exec, s[6:7]
; %bb.123:                              ;   in Loop: Header=BB60_7 Depth=1
	v_sub_co_u32_e32 v34, vcc, v34, v4
	s_mov_b64 s[8:9], exec
	s_nop 0
	v_subb_co_u32_e32 v35, vcc, v35, v5, vcc
	v_mov_b32_e32 v2, 0
; %bb.124:                              ;   in Loop: Header=BB60_7 Depth=1
	s_or_b64 exec, exec, s[6:7]
	s_and_b64 s[8:9], s[8:9], exec
	v_mov_b64_e32 v[8:9], v[34:35]
.LBB60_125:                             ;   in Loop: Header=BB60_7 Depth=1
	s_or_b64 exec, exec, s[2:3]
	s_mov_b64 s[18:19], -1
	s_mov_b64 s[6:7], -1
                                        ; implicit-def: $sgpr2_sgpr3
                                        ; implicit-def: $sgpr24_sgpr25
	s_and_saveexec_b64 s[10:11], s[8:9]
	s_xor_b64 s[20:21], exec, s[10:11]
	s_cbranch_execz .LBB60_273
; %bb.126:                              ;   in Loop: Header=BB60_7 Depth=1
	v_cmp_eq_u64_e32 vcc, 1, v[6:7]
	v_cmp_eq_u64_e64 s[2:3], 1, v[8:9]
	s_and_b64 s[10:11], vcc, s[2:3]
                                        ; implicit-def: $sgpr24_sgpr25
                                        ; implicit-def: $sgpr2_sgpr3
	s_and_saveexec_b64 s[12:13], s[10:11]
	s_cbranch_execz .LBB60_162
; %bb.127:                              ;   in Loop: Header=BB60_7 Depth=1
	ds_read_b64 v[4:5], v3 offset:5120
	s_waitcnt lgkmcnt(0)
	s_barrier
	v_readfirstlane_b32 s26, v4
	v_readfirstlane_b32 s27, v5
	s_mov_b64 s[2:3], exec
	v_readlane_b32 s6, v70, 12
	v_readlane_b32 s7, v70, 13
	s_and_b64 s[6:7], s[2:3], s[6:7]
	s_mov_b64 exec, s[6:7]
; %bb.128:                              ;   in Loop: Header=BB60_7 Depth=1
	ds_write_b16 v42, v3
; %bb.129:                              ;   in Loop: Header=BB60_7 Depth=1
	s_or_b64 exec, exec, s[2:3]
	v_and_b32_e32 v4, s48, v45
	v_cmp_gt_i64_e64 s[6:7], s[26:27], 0
	v_lshl_or_b32 v45, 1, s84, v4
	v_or_b32_e32 v50, s54, v50
	s_mov_b64 s[2:3], -1
	s_mov_b64 s[24:25], 0
	s_and_b64 vcc, exec, s[6:7]
	s_mov_b64 s[6:7], 0
	s_mov_b64 s[8:9], -1
	s_waitcnt lgkmcnt(0)
	s_barrier
                                        ; implicit-def: $vgpr51
	s_cbranch_vccnz .LBB60_146
; %bb.130:                              ;   in Loop: Header=BB60_7 Depth=1
	s_mov_b32 s90, s79
	s_cmp_lg_u64 s[90:91], 0
	s_cbranch_scc0 .LBB60_190
; %bb.131:                              ;   in Loop: Header=BB60_7 Depth=1
	s_add_u32 s6, s72, 0
	s_addc_u32 s7, 0, 0
	s_xor_b64 s[6:7], s[6:7], 0
	v_cvt_f32_u32_e32 v4, s6
	v_cvt_f32_u32_e32 v5, s7
	s_sub_u32 s28, 0, s6
	s_subb_u32 s29, 0, s7
	v_fmac_f32_e32 v4, 0x4f800000, v5
	v_rcp_f32_e32 v4, v4
	s_nop 0
	v_mul_f32_e32 v4, 0x5f7ffffc, v4
	v_mul_f32_e32 v5, 0x2f800000, v4
	v_trunc_f32_e32 v5, v5
	v_fmac_f32_e32 v4, 0xcf800000, v5
	v_cvt_u32_f32_e32 v5, v5
	v_cvt_u32_f32_e32 v4, v4
	v_readfirstlane_b32 s30, v5
	v_readfirstlane_b32 s8, v4
	s_mul_i32 s9, s28, s30
	s_mul_hi_u32 s34, s28, s8
	s_mul_i32 s31, s29, s8
	s_add_i32 s9, s34, s9
	s_mul_i32 s35, s28, s8
	s_add_i32 s9, s9, s31
	s_mul_i32 s34, s8, s9
	s_mul_hi_u32 s36, s8, s35
	s_mul_hi_u32 s31, s8, s9
	s_add_u32 s34, s36, s34
	s_addc_u32 s31, 0, s31
	s_mul_hi_u32 s37, s30, s35
	s_mul_i32 s35, s30, s35
	s_add_u32 s34, s34, s35
	s_mul_hi_u32 s36, s30, s9
	s_addc_u32 s31, s31, s37
	s_addc_u32 s34, s36, 0
	s_mul_i32 s9, s30, s9
	s_add_u32 s9, s31, s9
	s_addc_u32 s31, 0, s34
	s_add_u32 s34, s8, s9
	s_cselect_b64 s[8:9], -1, 0
	s_cmp_lg_u64 s[8:9], 0
	s_addc_u32 s30, s30, s31
	s_mul_i32 s8, s28, s30
	s_mul_hi_u32 s9, s28, s34
	s_add_i32 s8, s9, s8
	s_mul_i32 s29, s29, s34
	s_add_i32 s8, s8, s29
	s_mul_i32 s28, s28, s34
	s_mul_hi_u32 s29, s30, s28
	s_mul_i32 s31, s30, s28
	s_mul_i32 s36, s34, s8
	s_mul_hi_u32 s28, s34, s28
	s_mul_hi_u32 s35, s34, s8
	s_add_u32 s28, s28, s36
	s_addc_u32 s35, 0, s35
	s_add_u32 s28, s28, s31
	s_mul_hi_u32 s9, s30, s8
	s_addc_u32 s28, s35, s29
	s_addc_u32 s9, s9, 0
	s_mul_i32 s8, s30, s8
	s_add_u32 s8, s28, s8
	s_addc_u32 s28, 0, s9
	s_add_u32 s31, s34, s8
	s_cselect_b64 s[8:9], -1, 0
	s_cmp_lg_u64 s[8:9], 0
	s_addc_u32 s30, s30, s28
	s_ashr_i32 s8, s91, 31
	s_add_u32 s28, s85, s8
	s_mov_b32 s9, s8
	s_addc_u32 s29, s91, s8
	s_xor_b64 s[28:29], s[28:29], s[8:9]
	s_mul_i32 s35, s28, s30
	s_mul_hi_u32 s36, s28, s31
	s_mul_hi_u32 s34, s28, s30
	s_add_u32 s35, s36, s35
	s_addc_u32 s34, 0, s34
	s_mul_hi_u32 s37, s29, s31
	s_mul_i32 s31, s29, s31
	s_add_u32 s31, s35, s31
	s_mul_hi_u32 s36, s29, s30
	s_addc_u32 s31, s34, s37
	s_addc_u32 s34, s36, 0
	s_mul_i32 s30, s29, s30
	s_add_u32 s30, s31, s30
	s_addc_u32 s31, 0, s34
	s_mul_i32 s31, s6, s31
	s_mul_hi_u32 s34, s6, s30
	s_add_i32 s31, s34, s31
	s_mul_i32 s34, s7, s30
	s_add_i32 s36, s31, s34
	s_sub_i32 s34, s29, s36
	s_mul_i32 s30, s6, s30
	s_sub_u32 s28, s28, s30
	s_cselect_b64 s[30:31], -1, 0
	s_cmp_lg_u64 s[30:31], 0
	s_subb_u32 s37, s34, s7
	s_sub_u32 s38, s28, s6
	s_cselect_b64 s[34:35], -1, 0
	s_cmp_lg_u64 s[34:35], 0
	s_subb_u32 s39, s37, 0
	s_cmp_ge_u32 s39, s7
	s_cselect_b32 s40, -1, 0
	s_cmp_ge_u32 s38, s6
	s_cselect_b32 s41, -1, 0
	s_cmp_eq_u32 s39, s7
	s_cselect_b32 s40, s41, s40
	s_cmp_lg_u64 s[34:35], 0
	s_subb_u32 s37, s37, s7
	s_sub_u32 s41, s38, s6
	s_cselect_b64 s[34:35], -1, 0
	s_cmp_lg_u64 s[34:35], 0
	s_subb_u32 s34, s37, 0
	s_cmp_lg_u32 s40, 0
	s_cselect_b32 s35, s41, s38
	s_cselect_b32 s34, s34, s39
	s_cmp_lg_u64 s[30:31], 0
	s_subb_u32 s29, s29, s36
	s_cmp_ge_u32 s29, s7
	s_cselect_b32 s30, -1, 0
	s_cmp_ge_u32 s28, s6
	s_cselect_b32 s6, -1, 0
	s_cmp_eq_u32 s29, s7
	s_cselect_b32 s6, s6, s30
	s_cmp_lg_u32 s6, 0
	s_cselect_b32 s7, s34, s29
	s_cselect_b32 s6, s35, s28
	s_xor_b64 s[6:7], s[6:7], s[8:9]
	s_sub_u32 s6, s6, s8
	s_subb_u32 s7, s7, s8
	s_cbranch_execnz .LBB60_133
.LBB60_132:                             ;   in Loop: Header=BB60_7 Depth=1
	v_cvt_f32_u32_e32 v4, s72
	s_sub_i32 s6, 0, s72
	v_rcp_iflag_f32_e32 v4, v4
	s_nop 0
	v_mul_f32_e32 v4, 0x4f7ffffe, v4
	v_cvt_u32_f32_e32 v4, v4
	s_nop 0
	v_readfirstlane_b32 s7, v4
	s_mul_i32 s6, s6, s7
	s_mul_hi_u32 s6, s7, s6
	s_add_i32 s7, s7, s6
	s_mul_hi_u32 s6, s85, s7
	s_mul_i32 s6, s6, s72
	s_sub_i32 s6, s85, s6
	s_sub_i32 s7, s6, s72
	s_cmp_ge_u32 s6, s72
	s_cselect_b32 s6, s7, s6
	s_sub_i32 s7, s6, s72
	s_cmp_ge_u32 s6, s72
	s_cselect_b32 s78, s7, s6
	s_mov_b64 s[6:7], s[78:79]
.LBB60_133:                             ;   in Loop: Header=BB60_7 Depth=1
	s_sub_u32 s30, s85, s6
	s_subb_u32 s31, s91, s7
	v_cmp_gt_i64_e32 vcc, s[30:31], v[0:1]
	s_mov_b64 s[8:9], 0
	s_mov_b64 s[6:7], 0
                                        ; implicit-def: $vgpr51
	s_and_saveexec_b64 s[28:29], vcc
	s_cbranch_execz .LBB60_145
; %bb.134:                              ;   in Loop: Header=BB60_7 Depth=1
	v_mov_b64_e32 v[4:5], v[12:13]
	v_mov_b64_e32 v[10:11], v[0:1]
                                        ; implicit-def: $sgpr34_sgpr35
	s_branch .LBB60_138
.LBB60_135:                             ;   in Loop: Header=BB60_138 Depth=2
	s_or_b64 exec, exec, s[36:37]
	s_waitcnt lgkmcnt(0)
	s_barrier
	ds_read_b32 v34, v3 offset:3072
	s_waitcnt lgkmcnt(0)
	s_barrier
	v_cmp_neq_f16_e32 vcc, 0, v34
	s_cbranch_vccnz .LBB60_141
; %bb.136:                              ;   in Loop: Header=BB60_138 Depth=2
	v_lshl_add_u64 v[10:11], v[10:11], 0, s[72:73]
	v_cmp_le_i64_e32 vcc, s[30:31], v[10:11]
	v_lshl_add_u64 v[4:5], v[4:5], 0, s[74:75]
	s_mov_b64 s[36:37], 0
	s_orn2_b64 s[38:39], vcc, exec
.LBB60_137:                             ;   in Loop: Header=BB60_138 Depth=2
	s_and_b64 s[38:39], exec, s[38:39]
	s_or_b64 s[6:7], s[38:39], s[6:7]
	s_andn2_b64 s[34:35], s[34:35], exec
	s_and_b64 s[36:37], s[36:37], exec
	s_or_b64 s[34:35], s[34:35], s[36:37]
	s_andn2_b64 exec, exec, s[6:7]
	s_cbranch_execz .LBB60_144
.LBB60_138:                             ;   Parent Loop BB60_7 Depth=1
                                        ; =>  This Inner Loop Header: Depth=2
	v_cmp_gt_i64_e32 vcc, s[56:57], v[10:11]
	s_and_saveexec_b64 s[36:37], vcc
	s_cbranch_execz .LBB60_135
; %bb.139:                              ;   in Loop: Header=BB60_138 Depth=2
	global_load_ushort v34, v[4:5], off
	s_waitcnt vmcnt(0)
	v_cmp_lt_i16_e32 vcc, -1, v34
	s_nop 1
	v_cndmask_b32_e32 v35, v47, v48, vcc
	v_xor_b32_sdwa v35, v35, v34 dst_sel:DWORD dst_unused:UNUSED_PAD src0_sel:DWORD src1_sel:WORD_0
	v_cmp_o_f16_e32 vcc, v34, v34
	s_nop 1
	v_cndmask_b32_e32 v35, v47, v35, vcc
	v_and_b32_e32 v35, v35, v50
	v_cmp_eq_u32_e32 vcc, v35, v45
	s_and_b64 exec, exec, vcc
	s_cbranch_execz .LBB60_135
; %bb.140:                              ;   in Loop: Header=BB60_138 Depth=2
	v_perm_b32 v34, v34, s45, v49
	ds_write_b32 v3, v34 offset:3072
	s_branch .LBB60_135
.LBB60_141:                             ;   in Loop: Header=BB60_138 Depth=2
	s_mov_b64 s[38:39], -1
                                        ; implicit-def: $vgpr10_vgpr11
                                        ; implicit-def: $vgpr4_vgpr5
	s_mov_b64 s[36:37], -1
	s_branch .LBB60_137
.LBB60_142:                             ;   in Loop: Header=BB60_7 Depth=1
                                        ; implicit-def: $sgpr18_sgpr19
	s_andn2_b64 vcc, exec, s[20:21]
	s_cbranch_vccz .LBB60_87
	s_branch .LBB60_88
.LBB60_143:                             ;   in Loop: Header=BB60_7 Depth=1
                                        ; implicit-def: $sgpr8_sgpr9
	s_branch .LBB60_102
.LBB60_144:                             ;   in Loop: Header=BB60_7 Depth=1
	s_or_b64 exec, exec, s[6:7]
	v_lshrrev_b32_e32 v51, 16, v34
	s_and_b64 s[6:7], s[34:35], exec
.LBB60_145:                             ;   in Loop: Header=BB60_7 Depth=1
	s_or_b64 exec, exec, s[28:29]
.LBB60_146:                             ;   in Loop: Header=BB60_7 Depth=1
	s_and_b64 vcc, exec, s[8:9]
	s_cbranch_vccz .LBB60_161
; %bb.147:                              ;   in Loop: Header=BB60_7 Depth=1
	v_readlane_b32 s2, v70, 20
	s_add_u32 s28, s26, s2
	v_readlane_b32 s2, v70, 21
	s_addc_u32 s3, s27, s2
	s_mov_b32 s2, s79
	s_cmp_lg_u64 s[2:3], 0
	s_cbranch_scc0 .LBB60_191
; %bb.148:                              ;   in Loop: Header=BB60_7 Depth=1
	s_add_u32 s8, s72, 0
	s_addc_u32 s9, 0, 0
	s_xor_b64 s[8:9], s[8:9], 0
	v_cvt_f32_u32_e32 v4, s8
	v_cvt_f32_u32_e32 v5, s9
	s_sub_u32 s2, 0, s8
	s_subb_u32 s29, 0, s9
	v_fmac_f32_e32 v4, 0x4f800000, v5
	v_rcp_f32_e32 v4, v4
	s_nop 0
	v_mul_f32_e32 v4, 0x5f7ffffc, v4
	v_mul_f32_e32 v5, 0x2f800000, v4
	v_trunc_f32_e32 v5, v5
	v_fmac_f32_e32 v4, 0xcf800000, v5
	v_cvt_u32_f32_e32 v5, v5
	v_cvt_u32_f32_e32 v4, v4
	v_readfirstlane_b32 s30, v5
	v_readfirstlane_b32 s24, v4
	s_mul_i32 s25, s2, s30
	s_mul_hi_u32 s34, s2, s24
	s_mul_i32 s31, s29, s24
	s_add_i32 s25, s34, s25
	s_mul_i32 s35, s2, s24
	s_add_i32 s25, s25, s31
	s_mul_i32 s34, s24, s25
	s_mul_hi_u32 s36, s24, s35
	s_mul_hi_u32 s31, s24, s25
	s_add_u32 s34, s36, s34
	s_addc_u32 s31, 0, s31
	s_mul_hi_u32 s37, s30, s35
	s_mul_i32 s35, s30, s35
	s_add_u32 s34, s34, s35
	s_mul_hi_u32 s36, s30, s25
	s_addc_u32 s31, s31, s37
	s_addc_u32 s34, s36, 0
	s_mul_i32 s25, s30, s25
	s_add_u32 s25, s31, s25
	s_addc_u32 s31, 0, s34
	s_add_u32 s34, s24, s25
	s_cselect_b64 s[24:25], -1, 0
	s_cmp_lg_u64 s[24:25], 0
	s_addc_u32 s30, s30, s31
	s_mul_i32 s24, s2, s30
	s_mul_hi_u32 s25, s2, s34
	s_add_i32 s24, s25, s24
	s_mul_i32 s29, s29, s34
	s_add_i32 s24, s24, s29
	s_mul_i32 s2, s2, s34
	s_mul_hi_u32 s29, s30, s2
	s_mul_i32 s31, s30, s2
	s_mul_i32 s36, s34, s24
	s_mul_hi_u32 s2, s34, s2
	s_mul_hi_u32 s35, s34, s24
	s_add_u32 s2, s2, s36
	s_addc_u32 s35, 0, s35
	s_add_u32 s2, s2, s31
	s_mul_hi_u32 s25, s30, s24
	s_addc_u32 s2, s35, s29
	s_addc_u32 s25, s25, 0
	s_mul_i32 s24, s30, s24
	s_add_u32 s2, s2, s24
	s_addc_u32 s29, 0, s25
	s_add_u32 s2, s34, s2
	s_cselect_b64 s[24:25], -1, 0
	s_cmp_lg_u64 s[24:25], 0
	s_addc_u32 s29, s30, s29
	s_ashr_i32 s24, s3, 31
	s_add_u32 s30, s28, s24
	s_mov_b32 s25, s24
	s_addc_u32 s31, s3, s24
	s_xor_b64 s[30:31], s[30:31], s[24:25]
	s_mul_i32 s35, s30, s29
	s_mul_hi_u32 s36, s30, s2
	s_mul_hi_u32 s34, s30, s29
	s_add_u32 s35, s36, s35
	s_addc_u32 s34, 0, s34
	s_mul_hi_u32 s37, s31, s2
	s_mul_i32 s2, s31, s2
	s_add_u32 s2, s35, s2
	s_mul_hi_u32 s36, s31, s29
	s_addc_u32 s2, s34, s37
	s_addc_u32 s34, s36, 0
	s_mul_i32 s29, s31, s29
	s_add_u32 s2, s2, s29
	s_addc_u32 s29, 0, s34
	s_mul_i32 s29, s8, s29
	s_mul_hi_u32 s34, s8, s2
	s_add_i32 s29, s34, s29
	s_mul_i32 s34, s9, s2
	s_add_i32 s29, s29, s34
	s_sub_i32 s36, s31, s29
	s_mul_i32 s2, s8, s2
	s_sub_u32 s2, s30, s2
	s_cselect_b64 s[34:35], -1, 0
	s_cmp_lg_u64 s[34:35], 0
	s_subb_u32 s30, s36, s9
	s_sub_u32 s38, s2, s8
	s_cselect_b64 s[36:37], -1, 0
	s_cmp_lg_u64 s[36:37], 0
	s_subb_u32 s39, s30, 0
	s_cmp_ge_u32 s39, s9
	s_cselect_b32 s40, -1, 0
	s_cmp_ge_u32 s38, s8
	s_cselect_b32 s41, -1, 0
	s_cmp_eq_u32 s39, s9
	s_cselect_b32 s40, s41, s40
	s_cmp_lg_u64 s[36:37], 0
	s_subb_u32 s30, s30, s9
	s_sub_u32 s41, s38, s8
	s_cselect_b64 s[36:37], -1, 0
	s_cmp_lg_u64 s[36:37], 0
	s_subb_u32 s30, s30, 0
	s_cmp_lg_u32 s40, 0
	s_cselect_b32 s36, s41, s38
	s_cselect_b32 s30, s30, s39
	s_cmp_lg_u64 s[34:35], 0
	s_subb_u32 s29, s31, s29
	s_cmp_ge_u32 s29, s9
	s_cselect_b32 s31, -1, 0
	s_cmp_ge_u32 s2, s8
	s_cselect_b32 s8, -1, 0
	s_cmp_eq_u32 s29, s9
	s_cselect_b32 s8, s8, s31
	s_cmp_lg_u32 s8, 0
	s_cselect_b32 s9, s30, s29
	s_cselect_b32 s8, s36, s2
	s_xor_b64 s[8:9], s[8:9], s[24:25]
	s_sub_u32 s8, s8, s24
	s_subb_u32 s9, s9, s24
	s_cbranch_execnz .LBB60_150
.LBB60_149:                             ;   in Loop: Header=BB60_7 Depth=1
	v_cvt_f32_u32_e32 v4, s72
	s_sub_i32 s2, 0, s72
	v_rcp_iflag_f32_e32 v4, v4
	s_nop 0
	v_mul_f32_e32 v4, 0x4f7ffffe, v4
	v_cvt_u32_f32_e32 v4, v4
	s_nop 0
	v_readfirstlane_b32 s8, v4
	s_mul_i32 s2, s2, s8
	s_mul_hi_u32 s2, s8, s2
	s_add_i32 s8, s8, s2
	s_mul_hi_u32 s2, s28, s8
	s_mul_i32 s2, s2, s72
	s_sub_i32 s2, s28, s2
	s_sub_i32 s8, s2, s72
	s_cmp_ge_u32 s2, s72
	s_cselect_b32 s2, s8, s2
	s_sub_i32 s8, s2, s72
	s_cmp_ge_u32 s2, s72
	s_cselect_b32 s78, s8, s2
	s_mov_b64 s[8:9], s[78:79]
.LBB60_150:                             ;   in Loop: Header=BB60_7 Depth=1
	s_sub_u32 s8, s28, s8
	s_subb_u32 s9, s3, s9
	v_cmp_gt_i64_e32 vcc, s[8:9], v[0:1]
                                        ; implicit-def: $vgpr51
	s_and_saveexec_b64 s[2:3], vcc
	s_cbranch_execz .LBB60_160
; %bb.151:                              ;   in Loop: Header=BB60_7 Depth=1
	s_mov_b64 s[24:25], 0
	v_mov_b32_e32 v10, v41
	v_mov_b64_e32 v[4:5], v[0:1]
                                        ; implicit-def: $sgpr28_sgpr29
	s_branch .LBB60_155
.LBB60_152:                             ;   in Loop: Header=BB60_155 Depth=2
	s_or_b64 exec, exec, s[30:31]
	s_waitcnt lgkmcnt(0)
	s_barrier
	ds_read_b32 v11, v3 offset:3072
	s_waitcnt lgkmcnt(0)
	s_barrier
	v_cmp_eq_f16_e32 vcc, 0, v11
	s_cbranch_vccz .LBB60_158
; %bb.153:                              ;   in Loop: Header=BB60_155 Depth=2
	v_lshl_add_u64 v[4:5], v[4:5], 0, s[72:73]
	v_cmp_le_i64_e32 vcc, s[8:9], v[4:5]
	v_add_u32_e32 v10, s55, v10
	s_mov_b64 s[30:31], 0
	s_orn2_b64 s[34:35], vcc, exec
.LBB60_154:                             ;   in Loop: Header=BB60_155 Depth=2
	s_and_b64 s[34:35], exec, s[34:35]
	s_or_b64 s[24:25], s[34:35], s[24:25]
	s_andn2_b64 s[28:29], s[28:29], exec
	s_and_b64 s[30:31], s[30:31], exec
	s_or_b64 s[28:29], s[28:29], s[30:31]
	s_andn2_b64 exec, exec, s[24:25]
	s_cbranch_execz .LBB60_159
.LBB60_155:                             ;   Parent Loop BB60_7 Depth=1
                                        ; =>  This Inner Loop Header: Depth=2
	v_cmp_gt_u64_e32 vcc, s[26:27], v[4:5]
	s_and_saveexec_b64 s[30:31], vcc
	s_cbranch_execz .LBB60_152
; %bb.156:                              ;   in Loop: Header=BB60_155 Depth=2
	ds_read_u16 v11, v10
	s_waitcnt lgkmcnt(0)
	v_cmp_lt_i16_e32 vcc, -1, v11
	s_nop 1
	v_cndmask_b32_e32 v34, v47, v48, vcc
	v_xor_b32_sdwa v34, v34, v11 dst_sel:DWORD dst_unused:UNUSED_PAD src0_sel:DWORD src1_sel:WORD_0
	v_cmp_o_f16_e32 vcc, v11, v11
	s_nop 1
	v_cndmask_b32_e32 v34, v47, v34, vcc
	v_and_b32_e32 v34, v34, v50
	v_cmp_eq_u32_e32 vcc, v34, v45
	s_and_b64 exec, exec, vcc
	s_cbranch_execz .LBB60_152
; %bb.157:                              ;   in Loop: Header=BB60_155 Depth=2
	v_perm_b32 v11, v11, s45, v49
	ds_write_b32 v3, v11 offset:3072
	s_branch .LBB60_152
.LBB60_158:                             ;   in Loop: Header=BB60_155 Depth=2
	s_mov_b64 s[34:35], -1
                                        ; implicit-def: $vgpr4_vgpr5
                                        ; implicit-def: $vgpr10
	s_mov_b64 s[30:31], -1
	s_branch .LBB60_154
.LBB60_159:                             ;   in Loop: Header=BB60_7 Depth=1
	s_or_b64 exec, exec, s[24:25]
	s_andn2_b64 s[6:7], s[6:7], exec
	s_and_b64 s[8:9], s[28:29], exec
	v_lshrrev_b32_e32 v51, 16, v11
	s_or_b64 s[6:7], s[6:7], s[8:9]
.LBB60_160:                             ;   in Loop: Header=BB60_7 Depth=1
	s_or_b64 exec, exec, s[2:3]
	s_mov_b64 s[2:3], 0
	s_mov_b64 s[24:25], -1
.LBB60_161:                             ;   in Loop: Header=BB60_7 Depth=1
	s_orn2_b64 s[6:7], s[6:7], exec
.LBB60_162:                             ;   in Loop: Header=BB60_7 Depth=1
	s_or_b64 exec, exec, s[12:13]
	s_mov_b64 s[8:9], 0
	s_and_saveexec_b64 s[12:13], s[6:7]
	s_cbranch_execz .LBB60_272
; %bb.163:                              ;   in Loop: Header=BB60_7 Depth=1
	s_xor_b64 s[10:11], s[10:11], -1
	v_mov_b32_e32 v2, 1
	v_mov_b64_e32 v[4:5], 1
	s_and_saveexec_b64 s[6:7], s[10:11]
	s_cbranch_execz .LBB60_173
; %bb.164:                              ;   in Loop: Header=BB60_7 Depth=1
	v_cmp_le_i64_e32 vcc, v[8:9], v[6:7]
	s_and_saveexec_b64 s[8:9], vcc
	s_xor_b64 s[8:9], exec, s[8:9]
	s_cbranch_execz .LBB60_170
; %bb.165:                              ;   in Loop: Header=BB60_7 Depth=1
	ds_read_b64 v[4:5], v3 offset:5120
	v_and_b32_e32 v2, s48, v45
	v_lshl_or_b32 v45, 1, s84, v2
	v_or_b32_e32 v50, s54, v50
	s_waitcnt lgkmcnt(0)
	v_cmp_ne_u64_e32 vcc, 0, v[4:5]
	s_cbranch_vccnz .LBB60_169
; %bb.166:                              ;   in Loop: Header=BB60_7 Depth=1
	s_mov_b64 s[10:11], exec
	v_readlane_b32 s26, v70, 8
	v_readlane_b32 s27, v70, 9
	s_and_b64 s[26:27], s[10:11], s[26:27]
	s_mov_b64 exec, s[26:27]
; %bb.167:                              ;   in Loop: Header=BB60_7 Depth=1
	ds_write_b64 v3, v[6:7] offset:5128
; %bb.168:                              ;   in Loop: Header=BB60_7 Depth=1
	s_or_b64 exec, exec, s[10:11]
	s_waitcnt lgkmcnt(0)
	s_barrier
.LBB60_169:                             ;   in Loop: Header=BB60_7 Depth=1
                                        ; implicit-def: $vgpr4_vgpr5_vgpr6_vgpr7
.LBB60_170:                             ;   in Loop: Header=BB60_7 Depth=1
	s_or_saveexec_b64 s[8:9], s[8:9]
	s_mov_b64 s[10:11], 0
	v_mov_b32_e32 v2, 8
	s_xor_b64 exec, exec, s[8:9]
; %bb.171:                              ;   in Loop: Header=BB60_7 Depth=1
	v_sub_co_u32_e32 v8, vcc, v8, v6
	s_mov_b64 s[10:11], exec
	s_nop 0
	v_subb_co_u32_e32 v9, vcc, v9, v7, vcc
	v_mov_b32_e32 v2, 0
; %bb.172:                              ;   in Loop: Header=BB60_7 Depth=1
	s_or_b64 exec, exec, s[8:9]
	s_and_b64 s[8:9], s[10:11], exec
	v_mov_b64_e32 v[4:5], v[8:9]
.LBB60_173:                             ;   in Loop: Header=BB60_7 Depth=1
	s_or_b64 exec, exec, s[6:7]
	s_mov_b64 s[6:7], -1
                                        ; implicit-def: $sgpr28_sgpr29
                                        ; implicit-def: $sgpr34_sgpr35
	s_and_saveexec_b64 s[26:27], s[8:9]
	s_cbranch_execz .LBB60_271
; %bb.174:                              ;   in Loop: Header=BB60_7 Depth=1
	s_cmp_eq_u64 s[22:23], 1
	s_cselect_b64 s[6:7], -1, 0
	v_cmp_eq_u64_e32 vcc, 1, v[4:5]
	s_and_b64 s[10:11], s[6:7], vcc
	s_mov_b64 s[6:7], -1
                                        ; implicit-def: $sgpr34_sgpr35
                                        ; implicit-def: $sgpr28_sgpr29
	s_and_saveexec_b64 s[36:37], s[10:11]
	s_cbranch_execz .LBB60_210
; %bb.175:                              ;   in Loop: Header=BB60_7 Depth=1
	ds_read_b64 v[6:7], v3 offset:5120
	s_waitcnt lgkmcnt(0)
	s_barrier
	v_readfirstlane_b32 s38, v6
	v_readfirstlane_b32 s39, v7
	s_mov_b64 s[6:7], exec
	v_readlane_b32 s8, v70, 12
	v_readlane_b32 s9, v70, 13
	s_and_b64 s[8:9], s[6:7], s[8:9]
	s_mov_b64 exec, s[8:9]
; %bb.176:                              ;   in Loop: Header=BB60_7 Depth=1
	ds_write_b16 v42, v3
; %bb.177:                              ;   in Loop: Header=BB60_7 Depth=1
	s_or_b64 exec, exec, s[6:7]
	v_and_b32_e32 v6, s48, v45
	v_cmp_gt_i64_e64 s[6:7], s[38:39], 0
	v_lshl_or_b32 v45, 2, s84, v6
	v_or_b32_e32 v50, s54, v50
	s_mov_b64 s[28:29], -1
	s_mov_b64 s[34:35], 0
	s_and_b64 vcc, exec, s[6:7]
	s_mov_b64 s[6:7], 0
	s_mov_b64 s[8:9], -1
	s_waitcnt lgkmcnt(0)
	s_barrier
                                        ; implicit-def: $vgpr51
	s_cbranch_vccnz .LBB60_194
; %bb.178:                              ;   in Loop: Header=BB60_7 Depth=1
	s_mov_b32 s90, s79
	s_mov_b32 s87, s46
	s_movk_i32 s64, 0x3c00
	s_cmp_lg_u64 s[90:91], 0
	s_cbranch_scc0 .LBB60_237
; %bb.179:                              ;   in Loop: Header=BB60_7 Depth=1
	s_add_u32 s6, s72, 0
	s_addc_u32 s7, 0, 0
	s_xor_b64 s[6:7], s[6:7], 0
	v_cvt_f32_u32_e32 v6, s6
	v_cvt_f32_u32_e32 v7, s7
	s_sub_u32 s30, 0, s6
	s_subb_u32 s31, 0, s7
	v_fmac_f32_e32 v6, 0x4f800000, v7
	v_rcp_f32_e32 v6, v6
	s_nop 0
	v_mul_f32_e32 v6, 0x5f7ffffc, v6
	v_mul_f32_e32 v7, 0x2f800000, v6
	v_trunc_f32_e32 v7, v7
	v_fmac_f32_e32 v6, 0xcf800000, v7
	v_cvt_u32_f32_e32 v7, v7
	v_cvt_u32_f32_e32 v6, v6
	v_readfirstlane_b32 s40, v7
	v_readfirstlane_b32 s8, v6
	s_mul_i32 s9, s30, s40
	s_mul_hi_u32 s42, s30, s8
	s_mul_i32 s41, s31, s8
	s_add_i32 s9, s42, s9
	s_mul_i32 s43, s30, s8
	s_add_i32 s9, s9, s41
	s_mul_i32 s42, s8, s9
	s_mul_hi_u32 s44, s8, s43
	s_mul_hi_u32 s41, s8, s9
	s_add_u32 s42, s44, s42
	s_addc_u32 s41, 0, s41
	s_mul_hi_u32 s45, s40, s43
	s_mul_i32 s43, s40, s43
	s_add_u32 s42, s42, s43
	s_mul_hi_u32 s44, s40, s9
	s_addc_u32 s41, s41, s45
	s_addc_u32 s42, s44, 0
	s_mul_i32 s9, s40, s9
	s_add_u32 s9, s41, s9
	s_addc_u32 s41, 0, s42
	s_add_u32 s42, s8, s9
	s_cselect_b64 s[8:9], -1, 0
	s_cmp_lg_u64 s[8:9], 0
	s_addc_u32 s40, s40, s41
	s_mul_i32 s8, s30, s40
	s_mul_hi_u32 s9, s30, s42
	s_add_i32 s8, s9, s8
	s_mul_i32 s31, s31, s42
	s_add_i32 s8, s8, s31
	s_mul_i32 s30, s30, s42
	s_mul_hi_u32 s31, s40, s30
	s_mul_i32 s41, s40, s30
	s_mul_i32 s44, s42, s8
	s_mul_hi_u32 s30, s42, s30
	s_mul_hi_u32 s43, s42, s8
	s_add_u32 s30, s30, s44
	s_addc_u32 s43, 0, s43
	s_add_u32 s30, s30, s41
	s_mul_hi_u32 s9, s40, s8
	s_addc_u32 s30, s43, s31
	s_addc_u32 s9, s9, 0
	s_mul_i32 s8, s40, s8
	s_add_u32 s8, s30, s8
	s_addc_u32 s30, 0, s9
	s_add_u32 s41, s42, s8
	s_cselect_b64 s[8:9], -1, 0
	s_cmp_lg_u64 s[8:9], 0
	s_addc_u32 s40, s40, s30
	s_ashr_i32 s8, s91, 31
	s_add_u32 s30, s85, s8
	s_mov_b32 s9, s8
	s_addc_u32 s31, s91, s8
	s_xor_b64 s[30:31], s[30:31], s[8:9]
	s_mul_i32 s43, s30, s40
	s_mul_hi_u32 s44, s30, s41
	s_mul_hi_u32 s42, s30, s40
	s_add_u32 s43, s44, s43
	s_addc_u32 s42, 0, s42
	s_mul_hi_u32 s45, s31, s41
	s_mul_i32 s41, s31, s41
	s_add_u32 s41, s43, s41
	s_mul_hi_u32 s44, s31, s40
	s_addc_u32 s41, s42, s45
	s_addc_u32 s42, s44, 0
	s_mul_i32 s40, s31, s40
	s_add_u32 s40, s41, s40
	s_addc_u32 s41, 0, s42
	s_mul_i32 s41, s6, s41
	s_mul_hi_u32 s42, s6, s40
	s_add_i32 s41, s42, s41
	s_mul_i32 s42, s7, s40
	s_add_i32 s44, s41, s42
	s_sub_i32 s42, s31, s44
	s_mul_i32 s40, s6, s40
	s_sub_u32 s30, s30, s40
	s_cselect_b64 s[40:41], -1, 0
	s_cmp_lg_u64 s[40:41], 0
	s_subb_u32 s45, s42, s7
	s_sub_u32 s46, s30, s6
	s_cselect_b64 s[42:43], -1, 0
	s_cmp_lg_u64 s[42:43], 0
	s_subb_u32 s47, s45, 0
	s_cmp_ge_u32 s47, s7
	s_cselect_b32 s49, -1, 0
	s_cmp_ge_u32 s46, s6
	s_cselect_b32 s50, -1, 0
	s_cmp_eq_u32 s47, s7
	s_cselect_b32 s49, s50, s49
	s_cmp_lg_u64 s[42:43], 0
	s_subb_u32 s45, s45, s7
	s_sub_u32 s50, s46, s6
	s_cselect_b64 s[42:43], -1, 0
	s_cmp_lg_u64 s[42:43], 0
	s_subb_u32 s42, s45, 0
	s_cmp_lg_u32 s49, 0
	s_cselect_b32 s43, s50, s46
	s_cselect_b32 s42, s42, s47
	s_cmp_lg_u64 s[40:41], 0
	s_subb_u32 s31, s31, s44
	s_cmp_ge_u32 s31, s7
	s_cselect_b32 s40, -1, 0
	s_cmp_ge_u32 s30, s6
	s_cselect_b32 s6, -1, 0
	s_cmp_eq_u32 s31, s7
	s_cselect_b32 s6, s6, s40
	s_cmp_lg_u32 s6, 0
	s_cselect_b32 s7, s42, s31
	s_cselect_b32 s6, s43, s30
	s_xor_b64 s[6:7], s[6:7], s[8:9]
	s_sub_u32 s6, s6, s8
	s_subb_u32 s7, s7, s8
	s_cbranch_execnz .LBB60_181
.LBB60_180:                             ;   in Loop: Header=BB60_7 Depth=1
	v_cvt_f32_u32_e32 v6, s72
	s_sub_i32 s6, 0, s72
	v_rcp_iflag_f32_e32 v6, v6
	s_nop 0
	v_mul_f32_e32 v6, 0x4f7ffffe, v6
	v_cvt_u32_f32_e32 v6, v6
	s_nop 0
	v_readfirstlane_b32 s7, v6
	s_mul_i32 s6, s6, s7
	s_mul_hi_u32 s6, s7, s6
	s_add_i32 s7, s7, s6
	s_mul_hi_u32 s6, s85, s7
	s_mul_i32 s6, s6, s72
	s_sub_i32 s6, s85, s6
	s_sub_i32 s7, s6, s72
	s_cmp_ge_u32 s6, s72
	s_cselect_b32 s6, s7, s6
	s_sub_i32 s7, s6, s72
	s_cmp_ge_u32 s6, s72
	s_cselect_b32 s78, s7, s6
	s_mov_b64 s[6:7], s[78:79]
.LBB60_181:                             ;   in Loop: Header=BB60_7 Depth=1
	s_sub_u32 s40, s85, s6
	s_subb_u32 s41, s91, s7
	v_cmp_gt_i64_e32 vcc, s[40:41], v[0:1]
	s_mov_b64 s[8:9], 0
	s_mov_b64 s[6:7], 0
                                        ; implicit-def: $vgpr51
	s_and_saveexec_b64 s[30:31], vcc
	s_mov_b32 s50, 0x5040100
	s_cbranch_execz .LBB60_193
; %bb.182:                              ;   in Loop: Header=BB60_7 Depth=1
	v_mov_b64_e32 v[6:7], v[12:13]
	v_mov_b64_e32 v[8:9], v[0:1]
                                        ; implicit-def: $sgpr42_sgpr43
	s_branch .LBB60_186
.LBB60_183:                             ;   in Loop: Header=BB60_186 Depth=2
	s_or_b64 exec, exec, s[44:45]
	s_waitcnt lgkmcnt(0)
	s_barrier
	ds_read_b32 v10, v3 offset:3072
	s_waitcnt lgkmcnt(0)
	s_barrier
	v_cmp_neq_f16_e32 vcc, 0, v10
	s_cbranch_vccnz .LBB60_189
; %bb.184:                              ;   in Loop: Header=BB60_186 Depth=2
	v_lshl_add_u64 v[8:9], v[8:9], 0, s[72:73]
	v_cmp_le_i64_e32 vcc, s[40:41], v[8:9]
	v_lshl_add_u64 v[6:7], v[6:7], 0, s[74:75]
	s_mov_b64 s[44:45], 0
	s_orn2_b64 s[46:47], vcc, exec
.LBB60_185:                             ;   in Loop: Header=BB60_186 Depth=2
	s_and_b64 s[46:47], exec, s[46:47]
	s_or_b64 s[6:7], s[46:47], s[6:7]
	s_andn2_b64 s[42:43], s[42:43], exec
	s_and_b64 s[44:45], s[44:45], exec
	s_or_b64 s[42:43], s[42:43], s[44:45]
	s_andn2_b64 exec, exec, s[6:7]
	s_cbranch_execz .LBB60_192
.LBB60_186:                             ;   Parent Loop BB60_7 Depth=1
                                        ; =>  This Inner Loop Header: Depth=2
	v_cmp_gt_i64_e32 vcc, s[56:57], v[8:9]
	s_and_saveexec_b64 s[44:45], vcc
	s_cbranch_execz .LBB60_183
; %bb.187:                              ;   in Loop: Header=BB60_186 Depth=2
	global_load_ushort v10, v[6:7], off
	s_waitcnt vmcnt(0)
	v_cmp_lt_i16_e32 vcc, -1, v10
	s_nop 1
	v_cndmask_b32_e32 v11, v47, v48, vcc
	v_xor_b32_sdwa v11, v11, v10 dst_sel:DWORD dst_unused:UNUSED_PAD src0_sel:DWORD src1_sel:WORD_0
	v_cmp_o_f16_e32 vcc, v10, v10
	s_nop 1
	v_cndmask_b32_e32 v11, v47, v11, vcc
	v_and_b32_e32 v11, v11, v50
	v_cmp_eq_u32_e32 vcc, v11, v45
	s_and_b64 exec, exec, vcc
	s_cbranch_execz .LBB60_183
; %bb.188:                              ;   in Loop: Header=BB60_186 Depth=2
	v_perm_b32 v10, v10, s64, v49
	ds_write_b32 v3, v10 offset:3072
	s_branch .LBB60_183
.LBB60_189:                             ;   in Loop: Header=BB60_186 Depth=2
	s_mov_b64 s[46:47], -1
                                        ; implicit-def: $vgpr8_vgpr9
                                        ; implicit-def: $vgpr6_vgpr7
	s_mov_b64 s[44:45], -1
	s_branch .LBB60_185
.LBB60_190:                             ;   in Loop: Header=BB60_7 Depth=1
                                        ; implicit-def: $sgpr6_sgpr7
	s_andn2_b64 vcc, exec, s[8:9]
	s_cbranch_vccz .LBB60_132
	s_branch .LBB60_133
.LBB60_191:                             ;   in Loop: Header=BB60_7 Depth=1
                                        ; implicit-def: $sgpr8_sgpr9
	s_branch .LBB60_149
.LBB60_192:                             ;   in Loop: Header=BB60_7 Depth=1
	s_or_b64 exec, exec, s[6:7]
	v_lshrrev_b32_e32 v51, 16, v10
	s_and_b64 s[6:7], s[42:43], exec
.LBB60_193:                             ;   in Loop: Header=BB60_7 Depth=1
	s_or_b64 exec, exec, s[30:31]
	s_movk_i32 s45, 0x3c00
	s_mov_b32 s46, s87
.LBB60_194:                             ;   in Loop: Header=BB60_7 Depth=1
	s_and_b64 vcc, exec, s[8:9]
	s_cbranch_vccz .LBB60_209
; %bb.195:                              ;   in Loop: Header=BB60_7 Depth=1
	v_readlane_b32 s8, v70, 20
	s_add_u32 s34, s38, s8
	v_readlane_b32 s8, v70, 21
	s_addc_u32 s9, s39, s8
	s_mov_b32 s8, s79
	s_cmp_lg_u64 s[8:9], 0
	s_cbranch_scc0 .LBB60_238
; %bb.196:                              ;   in Loop: Header=BB60_7 Depth=1
	s_add_u32 s28, s72, 0
	s_addc_u32 s29, 0, 0
	s_xor_b64 s[28:29], s[28:29], 0
	v_cvt_f32_u32_e32 v6, s28
	v_cvt_f32_u32_e32 v7, s29
	s_sub_u32 s8, 0, s28
	s_subb_u32 s35, 0, s29
	s_mov_b32 s64, s46
	v_fmac_f32_e32 v6, 0x4f800000, v7
	v_rcp_f32_e32 v6, v6
	s_nop 0
	v_mul_f32_e32 v6, 0x5f7ffffc, v6
	v_mul_f32_e32 v7, 0x2f800000, v6
	v_trunc_f32_e32 v7, v7
	v_fmac_f32_e32 v6, 0xcf800000, v7
	v_cvt_u32_f32_e32 v7, v7
	v_cvt_u32_f32_e32 v6, v6
	v_readfirstlane_b32 s40, v7
	v_readfirstlane_b32 s30, v6
	s_mul_i32 s31, s8, s40
	s_mul_hi_u32 s42, s8, s30
	s_mul_i32 s41, s35, s30
	s_add_i32 s31, s42, s31
	s_mul_i32 s43, s8, s30
	s_add_i32 s31, s31, s41
	s_mul_i32 s42, s30, s31
	s_mul_hi_u32 s44, s30, s43
	s_mul_hi_u32 s41, s30, s31
	s_add_u32 s42, s44, s42
	s_addc_u32 s41, 0, s41
	s_mul_hi_u32 s45, s40, s43
	s_mul_i32 s43, s40, s43
	s_add_u32 s42, s42, s43
	s_mul_hi_u32 s44, s40, s31
	s_addc_u32 s41, s41, s45
	s_addc_u32 s42, s44, 0
	s_mul_i32 s31, s40, s31
	s_add_u32 s31, s41, s31
	s_addc_u32 s41, 0, s42
	s_add_u32 s42, s30, s31
	s_cselect_b64 s[30:31], -1, 0
	s_cmp_lg_u64 s[30:31], 0
	s_addc_u32 s40, s40, s41
	s_mul_i32 s30, s8, s40
	s_mul_hi_u32 s31, s8, s42
	s_add_i32 s30, s31, s30
	s_mul_i32 s35, s35, s42
	s_add_i32 s30, s30, s35
	s_mul_i32 s8, s8, s42
	s_mul_hi_u32 s35, s40, s8
	s_mul_i32 s41, s40, s8
	s_mul_i32 s44, s42, s30
	s_mul_hi_u32 s8, s42, s8
	s_mul_hi_u32 s43, s42, s30
	s_add_u32 s8, s8, s44
	s_addc_u32 s43, 0, s43
	s_add_u32 s8, s8, s41
	s_mul_hi_u32 s31, s40, s30
	s_addc_u32 s8, s43, s35
	s_addc_u32 s31, s31, 0
	s_mul_i32 s30, s40, s30
	s_add_u32 s8, s8, s30
	s_addc_u32 s35, 0, s31
	s_add_u32 s8, s42, s8
	s_cselect_b64 s[30:31], -1, 0
	s_cmp_lg_u64 s[30:31], 0
	s_addc_u32 s35, s40, s35
	s_ashr_i32 s30, s9, 31
	s_add_u32 s40, s34, s30
	s_mov_b32 s31, s30
	s_addc_u32 s41, s9, s30
	s_xor_b64 s[40:41], s[40:41], s[30:31]
	s_mul_i32 s43, s40, s35
	s_mul_hi_u32 s44, s40, s8
	s_mul_hi_u32 s42, s40, s35
	s_add_u32 s43, s44, s43
	s_addc_u32 s42, 0, s42
	s_mul_hi_u32 s45, s41, s8
	s_mul_i32 s8, s41, s8
	s_add_u32 s8, s43, s8
	s_mul_hi_u32 s44, s41, s35
	s_addc_u32 s8, s42, s45
	s_addc_u32 s42, s44, 0
	s_mul_i32 s35, s41, s35
	s_add_u32 s8, s8, s35
	s_addc_u32 s35, 0, s42
	s_mul_i32 s35, s28, s35
	s_mul_hi_u32 s42, s28, s8
	s_add_i32 s35, s42, s35
	s_mul_i32 s42, s29, s8
	s_add_i32 s35, s35, s42
	s_sub_i32 s44, s41, s35
	s_mul_i32 s8, s28, s8
	s_sub_u32 s8, s40, s8
	s_cselect_b64 s[42:43], -1, 0
	s_cmp_lg_u64 s[42:43], 0
	s_subb_u32 s40, s44, s29
	s_sub_u32 s46, s8, s28
	s_cselect_b64 s[44:45], -1, 0
	s_cmp_lg_u64 s[44:45], 0
	s_subb_u32 s47, s40, 0
	s_cmp_ge_u32 s47, s29
	s_cselect_b32 s49, -1, 0
	s_cmp_ge_u32 s46, s28
	s_cselect_b32 s50, -1, 0
	s_cmp_eq_u32 s47, s29
	s_cselect_b32 s49, s50, s49
	s_cmp_lg_u64 s[44:45], 0
	s_subb_u32 s40, s40, s29
	s_sub_u32 s50, s46, s28
	s_cselect_b64 s[44:45], -1, 0
	s_cmp_lg_u64 s[44:45], 0
	s_subb_u32 s40, s40, 0
	s_cmp_lg_u32 s49, 0
	s_cselect_b32 s44, s50, s46
	s_cselect_b32 s40, s40, s47
	s_cmp_lg_u64 s[42:43], 0
	s_subb_u32 s35, s41, s35
	s_cmp_ge_u32 s35, s29
	s_cselect_b32 s41, -1, 0
	s_cmp_ge_u32 s8, s28
	s_cselect_b32 s28, -1, 0
	s_cmp_eq_u32 s35, s29
	s_cselect_b32 s28, s28, s41
	s_cmp_lg_u32 s28, 0
	s_cselect_b32 s29, s40, s35
	s_cselect_b32 s28, s44, s8
	s_xor_b64 s[28:29], s[28:29], s[30:31]
	s_sub_u32 s28, s28, s30
	s_mov_b32 s46, s64
	s_movk_i32 s45, 0x3c00
	s_mov_b32 s50, 0x5040100
	s_subb_u32 s29, s29, s30
	s_cbranch_execnz .LBB60_198
.LBB60_197:                             ;   in Loop: Header=BB60_7 Depth=1
	v_cvt_f32_u32_e32 v6, s72
	s_sub_i32 s8, 0, s72
	v_rcp_iflag_f32_e32 v6, v6
	s_nop 0
	v_mul_f32_e32 v6, 0x4f7ffffe, v6
	v_cvt_u32_f32_e32 v6, v6
	s_nop 0
	v_readfirstlane_b32 s28, v6
	s_mul_i32 s8, s8, s28
	s_mul_hi_u32 s8, s28, s8
	s_add_i32 s28, s28, s8
	s_mul_hi_u32 s8, s34, s28
	s_mul_i32 s8, s8, s72
	s_sub_i32 s8, s34, s8
	s_sub_i32 s28, s8, s72
	s_cmp_ge_u32 s8, s72
	s_cselect_b32 s8, s28, s8
	s_sub_i32 s28, s8, s72
	s_cmp_ge_u32 s8, s72
	s_cselect_b32 s78, s28, s8
	s_mov_b64 s[28:29], s[78:79]
.LBB60_198:                             ;   in Loop: Header=BB60_7 Depth=1
	s_sub_u32 s28, s34, s28
	s_subb_u32 s29, s9, s29
	v_cmp_gt_i64_e32 vcc, s[28:29], v[0:1]
                                        ; implicit-def: $vgpr51
	s_and_saveexec_b64 s[8:9], vcc
	s_cbranch_execz .LBB60_208
; %bb.199:                              ;   in Loop: Header=BB60_7 Depth=1
	s_mov_b64 s[30:31], 0
	v_mov_b32_e32 v8, v41
	v_mov_b64_e32 v[6:7], v[0:1]
                                        ; implicit-def: $sgpr34_sgpr35
	s_branch .LBB60_203
.LBB60_200:                             ;   in Loop: Header=BB60_203 Depth=2
	s_or_b64 exec, exec, s[40:41]
	s_waitcnt lgkmcnt(0)
	s_barrier
	ds_read_b32 v9, v3 offset:3072
	s_waitcnt lgkmcnt(0)
	s_barrier
	v_cmp_eq_f16_e32 vcc, 0, v9
	s_cbranch_vccz .LBB60_206
; %bb.201:                              ;   in Loop: Header=BB60_203 Depth=2
	v_lshl_add_u64 v[6:7], v[6:7], 0, s[72:73]
	v_cmp_le_i64_e32 vcc, s[28:29], v[6:7]
	v_add_u32_e32 v8, s55, v8
	s_mov_b64 s[40:41], 0
	s_orn2_b64 s[42:43], vcc, exec
.LBB60_202:                             ;   in Loop: Header=BB60_203 Depth=2
	s_and_b64 s[42:43], exec, s[42:43]
	s_or_b64 s[30:31], s[42:43], s[30:31]
	s_andn2_b64 s[34:35], s[34:35], exec
	s_and_b64 s[40:41], s[40:41], exec
	s_or_b64 s[34:35], s[34:35], s[40:41]
	s_andn2_b64 exec, exec, s[30:31]
	s_cbranch_execz .LBB60_207
.LBB60_203:                             ;   Parent Loop BB60_7 Depth=1
                                        ; =>  This Inner Loop Header: Depth=2
	v_cmp_gt_u64_e32 vcc, s[38:39], v[6:7]
	s_and_saveexec_b64 s[40:41], vcc
	s_cbranch_execz .LBB60_200
; %bb.204:                              ;   in Loop: Header=BB60_203 Depth=2
	ds_read_u16 v9, v8
	s_waitcnt lgkmcnt(0)
	v_cmp_lt_i16_e32 vcc, -1, v9
	s_nop 1
	v_cndmask_b32_e32 v10, v47, v48, vcc
	v_xor_b32_sdwa v10, v10, v9 dst_sel:DWORD dst_unused:UNUSED_PAD src0_sel:DWORD src1_sel:WORD_0
	v_cmp_o_f16_e32 vcc, v9, v9
	s_nop 1
	v_cndmask_b32_e32 v10, v47, v10, vcc
	v_and_b32_e32 v10, v10, v50
	v_cmp_eq_u32_e32 vcc, v10, v45
	s_and_b64 exec, exec, vcc
	s_cbranch_execz .LBB60_200
; %bb.205:                              ;   in Loop: Header=BB60_203 Depth=2
	v_perm_b32 v9, v9, s45, v49
	ds_write_b32 v3, v9 offset:3072
	s_branch .LBB60_200
.LBB60_206:                             ;   in Loop: Header=BB60_203 Depth=2
	s_mov_b64 s[42:43], -1
                                        ; implicit-def: $vgpr6_vgpr7
                                        ; implicit-def: $vgpr8
	s_mov_b64 s[40:41], -1
	s_branch .LBB60_202
.LBB60_207:                             ;   in Loop: Header=BB60_7 Depth=1
	s_or_b64 exec, exec, s[30:31]
	s_andn2_b64 s[6:7], s[6:7], exec
	s_and_b64 s[28:29], s[34:35], exec
	v_lshrrev_b32_e32 v51, 16, v9
	s_or_b64 s[6:7], s[6:7], s[28:29]
.LBB60_208:                             ;   in Loop: Header=BB60_7 Depth=1
	s_or_b64 exec, exec, s[8:9]
	s_mov_b64 s[28:29], 0
	s_mov_b64 s[34:35], -1
.LBB60_209:                             ;   in Loop: Header=BB60_7 Depth=1
	s_orn2_b64 s[6:7], s[6:7], exec
.LBB60_210:                             ;   in Loop: Header=BB60_7 Depth=1
	s_or_b64 exec, exec, s[36:37]
	s_mov_b64 s[8:9], 0
	s_and_saveexec_b64 s[36:37], s[6:7]
	s_cbranch_execz .LBB60_270
; %bb.211:                              ;   in Loop: Header=BB60_7 Depth=1
	s_xor_b64 s[8:9], s[10:11], -1
	v_mov_b32_e32 v2, 1
	s_mov_b64 s[30:31], 0
	v_mov_b64_e32 v[6:7], 1
	s_and_saveexec_b64 s[6:7], s[8:9]
	s_cbranch_execz .LBB60_220
; %bb.212:                              ;   in Loop: Header=BB60_7 Depth=1
	v_cmp_ge_i64_e32 vcc, s[22:23], v[4:5]
	s_and_saveexec_b64 s[8:9], vcc
	s_xor_b64 s[8:9], exec, s[8:9]
	s_cbranch_execz .LBB60_217
; %bb.213:                              ;   in Loop: Header=BB60_7 Depth=1
	ds_read_b64 v[6:7], v3 offset:5120
	v_and_b32_e32 v2, s48, v45
	v_lshl_or_b32 v45, 2, s84, v2
	v_or_b32_e32 v50, s54, v50
	s_waitcnt lgkmcnt(0)
	v_cmp_ne_u64_e32 vcc, 0, v[6:7]
	s_cbranch_vccnz .LBB60_217
; %bb.214:                              ;   in Loop: Header=BB60_7 Depth=1
	s_mov_b64 s[10:11], exec
	v_readlane_b32 s30, v70, 8
	v_readlane_b32 s31, v70, 9
	s_and_b64 s[30:31], s[10:11], s[30:31]
	s_mov_b64 exec, s[30:31]
; %bb.215:                              ;   in Loop: Header=BB60_7 Depth=1
	v_mov_b64_e32 v[6:7], s[22:23]
	ds_write_b64 v3, v[6:7] offset:5128
; %bb.216:                              ;   in Loop: Header=BB60_7 Depth=1
	s_or_b64 exec, exec, s[10:11]
	s_waitcnt lgkmcnt(0)
	s_barrier
.LBB60_217:                             ;   in Loop: Header=BB60_7 Depth=1
	s_or_saveexec_b64 s[8:9], s[8:9]
	s_mov_b64 s[10:11], 0
	v_mov_b32_e32 v2, 8
	s_xor_b64 exec, exec, s[8:9]
; %bb.218:                              ;   in Loop: Header=BB60_7 Depth=1
	v_mov_b32_e32 v2, s23
	v_subrev_co_u32_e32 v4, vcc, s22, v4
	s_mov_b64 s[10:11], exec
	s_nop 0
	v_subb_co_u32_e32 v5, vcc, v5, v2, vcc
	v_mov_b32_e32 v2, 0
; %bb.219:                              ;   in Loop: Header=BB60_7 Depth=1
	s_or_b64 exec, exec, s[8:9]
	s_and_b64 s[30:31], s[10:11], exec
	v_mov_b64_e32 v[6:7], v[4:5]
.LBB60_220:                             ;   in Loop: Header=BB60_7 Depth=1
	s_or_b64 exec, exec, s[6:7]
	s_mov_b64 s[22:23], -1
                                        ; implicit-def: $sgpr8_sgpr9
                                        ; implicit-def: $sgpr6_sgpr7
	s_and_saveexec_b64 s[10:11], s[30:31]
	s_cbranch_execz .LBB60_269
; %bb.221:                              ;   in Loop: Header=BB60_7 Depth=1
	s_cmp_eq_u64 s[14:15], 1
	s_cselect_b64 s[6:7], -1, 0
	v_cmp_eq_u64_e32 vcc, 1, v[6:7]
	s_and_b64 s[22:23], s[6:7], vcc
	s_mov_b64 s[40:41], -1
                                        ; implicit-def: $sgpr8_sgpr9
                                        ; implicit-def: $sgpr6_sgpr7
	s_and_saveexec_b64 s[38:39], s[22:23]
	s_cbranch_execz .LBB60_257
; %bb.222:                              ;   in Loop: Header=BB60_7 Depth=1
	ds_read_b64 v[4:5], v3 offset:5120
	s_waitcnt lgkmcnt(0)
	s_barrier
	v_readfirstlane_b32 s40, v4
	v_readfirstlane_b32 s41, v5
	s_mov_b64 s[6:7], exec
	v_readlane_b32 s8, v70, 12
	v_readlane_b32 s9, v70, 13
	s_and_b64 s[8:9], s[6:7], s[8:9]
	s_mov_b64 exec, s[8:9]
; %bb.223:                              ;   in Loop: Header=BB60_7 Depth=1
	ds_write_b16 v42, v3
; %bb.224:                              ;   in Loop: Header=BB60_7 Depth=1
	s_or_b64 exec, exec, s[6:7]
	v_cmp_gt_i64_e64 s[30:31], s[40:41], 0
	v_or_b32_e32 v45, s54, v45
	v_or_b32_e32 v50, s54, v50
	s_mov_b64 s[6:7], -1
	s_mov_b64 s[8:9], 0
	s_and_b64 vcc, exec, s[30:31]
	s_mov_b64 s[30:31], 0
	s_mov_b64 s[42:43], -1
	s_waitcnt lgkmcnt(0)
	s_barrier
                                        ; implicit-def: $vgpr51
	s_cbranch_vccnz .LBB60_241
; %bb.225:                              ;   in Loop: Header=BB60_7 Depth=1
	s_mov_b32 s90, s79
	s_mov_b32 s92, s46
	s_movk_i32 s87, 0x3c00
	s_cmp_lg_u64 s[90:91], 0
	s_cbranch_scc0 .LBB60_276
; %bb.226:                              ;   in Loop: Header=BB60_7 Depth=1
	s_add_u32 s30, s72, 0
	s_addc_u32 s31, 0, 0
	s_xor_b64 s[30:31], s[30:31], 0
	v_cvt_f32_u32_e32 v4, s30
	v_cvt_f32_u32_e32 v5, s31
	s_sub_u32 s44, 0, s30
	s_subb_u32 s45, 0, s31
	v_fmac_f32_e32 v4, 0x4f800000, v5
	v_rcp_f32_e32 v4, v4
	s_nop 0
	v_mul_f32_e32 v4, 0x5f7ffffc, v4
	v_mul_f32_e32 v5, 0x2f800000, v4
	v_trunc_f32_e32 v5, v5
	v_fmac_f32_e32 v4, 0xcf800000, v5
	v_cvt_u32_f32_e32 v5, v5
	v_cvt_u32_f32_e32 v4, v4
	v_readfirstlane_b32 s46, v5
	v_readfirstlane_b32 s42, v4
	s_mul_i32 s43, s44, s46
	s_mul_hi_u32 s48, s44, s42
	s_mul_i32 s47, s45, s42
	s_add_i32 s43, s48, s43
	s_mul_i32 s49, s44, s42
	s_add_i32 s43, s43, s47
	s_mul_i32 s48, s42, s43
	s_mul_hi_u32 s50, s42, s49
	s_mul_hi_u32 s47, s42, s43
	s_add_u32 s48, s50, s48
	s_addc_u32 s47, 0, s47
	s_mul_hi_u32 s51, s46, s49
	s_mul_i32 s49, s46, s49
	s_add_u32 s48, s48, s49
	s_mul_hi_u32 s50, s46, s43
	s_addc_u32 s47, s47, s51
	s_addc_u32 s48, s50, 0
	s_mul_i32 s43, s46, s43
	s_add_u32 s43, s47, s43
	s_addc_u32 s47, 0, s48
	s_add_u32 s48, s42, s43
	s_cselect_b64 s[42:43], -1, 0
	s_cmp_lg_u64 s[42:43], 0
	s_addc_u32 s46, s46, s47
	s_mul_i32 s42, s44, s46
	s_mul_hi_u32 s43, s44, s48
	s_add_i32 s42, s43, s42
	s_mul_i32 s45, s45, s48
	s_add_i32 s42, s42, s45
	s_mul_i32 s44, s44, s48
	s_mul_hi_u32 s45, s46, s44
	s_mul_i32 s47, s46, s44
	s_mul_i32 s50, s48, s42
	s_mul_hi_u32 s44, s48, s44
	s_mul_hi_u32 s49, s48, s42
	s_add_u32 s44, s44, s50
	s_addc_u32 s49, 0, s49
	s_add_u32 s44, s44, s47
	s_mul_hi_u32 s43, s46, s42
	s_addc_u32 s44, s49, s45
	s_addc_u32 s43, s43, 0
	s_mul_i32 s42, s46, s42
	s_add_u32 s42, s44, s42
	s_addc_u32 s44, 0, s43
	s_add_u32 s47, s48, s42
	s_cselect_b64 s[42:43], -1, 0
	s_cmp_lg_u64 s[42:43], 0
	s_addc_u32 s46, s46, s44
	s_ashr_i32 s42, s91, 31
	s_add_u32 s44, s85, s42
	s_mov_b32 s43, s42
	s_addc_u32 s45, s91, s42
	s_xor_b64 s[44:45], s[44:45], s[42:43]
	s_mul_i32 s49, s44, s46
	s_mul_hi_u32 s50, s44, s47
	s_mul_hi_u32 s48, s44, s46
	s_add_u32 s49, s50, s49
	s_addc_u32 s48, 0, s48
	s_mul_hi_u32 s51, s45, s47
	s_mul_i32 s47, s45, s47
	s_add_u32 s47, s49, s47
	s_mul_hi_u32 s50, s45, s46
	s_addc_u32 s47, s48, s51
	s_addc_u32 s48, s50, 0
	s_mul_i32 s46, s45, s46
	s_add_u32 s46, s47, s46
	s_addc_u32 s47, 0, s48
	s_mul_i32 s47, s30, s47
	s_mul_hi_u32 s48, s30, s46
	s_add_i32 s47, s48, s47
	s_mul_i32 s48, s31, s46
	s_add_i32 s50, s47, s48
	s_sub_i32 s48, s45, s50
	s_mul_i32 s46, s30, s46
	s_sub_u32 s44, s44, s46
	s_cselect_b64 s[46:47], -1, 0
	s_cmp_lg_u64 s[46:47], 0
	s_subb_u32 s51, s48, s31
	s_sub_u32 s52, s44, s30
	s_cselect_b64 s[48:49], -1, 0
	s_cmp_lg_u64 s[48:49], 0
	s_subb_u32 s53, s51, 0
	s_cmp_ge_u32 s53, s31
	s_cselect_b32 s55, -1, 0
	s_cmp_ge_u32 s52, s30
	s_cselect_b32 s64, -1, 0
	s_cmp_eq_u32 s53, s31
	s_cselect_b32 s55, s64, s55
	s_cmp_lg_u64 s[48:49], 0
	s_subb_u32 s51, s51, s31
	s_sub_u32 s64, s52, s30
	s_cselect_b64 s[48:49], -1, 0
	s_cmp_lg_u64 s[48:49], 0
	s_subb_u32 s48, s51, 0
	s_cmp_lg_u32 s55, 0
	s_cselect_b32 s49, s64, s52
	s_cselect_b32 s48, s48, s53
	s_cmp_lg_u64 s[46:47], 0
	s_subb_u32 s45, s45, s50
	s_cmp_ge_u32 s45, s31
	s_cselect_b32 s46, -1, 0
	s_cmp_ge_u32 s44, s30
	s_cselect_b32 s30, -1, 0
	s_cmp_eq_u32 s45, s31
	s_cselect_b32 s30, s30, s46
	s_cmp_lg_u32 s30, 0
	s_cselect_b32 s31, s48, s45
	s_cselect_b32 s30, s49, s44
	s_xor_b64 s[30:31], s[30:31], s[42:43]
	s_sub_u32 s30, s30, s42
	s_subb_u32 s31, s31, s42
	s_cbranch_execnz .LBB60_228
.LBB60_227:                             ;   in Loop: Header=BB60_7 Depth=1
	v_cvt_f32_u32_e32 v4, s72
	s_sub_i32 s30, 0, s72
	v_rcp_iflag_f32_e32 v4, v4
	s_nop 0
	v_mul_f32_e32 v4, 0x4f7ffffe, v4
	v_cvt_u32_f32_e32 v4, v4
	s_nop 0
	v_readfirstlane_b32 s31, v4
	s_mul_i32 s30, s30, s31
	s_mul_hi_u32 s30, s31, s30
	s_add_i32 s31, s31, s30
	s_mul_hi_u32 s30, s85, s31
	s_mul_i32 s30, s30, s72
	s_sub_i32 s30, s85, s30
	s_sub_i32 s31, s30, s72
	s_cmp_ge_u32 s30, s72
	s_cselect_b32 s30, s31, s30
	s_sub_i32 s31, s30, s72
	s_cmp_ge_u32 s30, s72
	s_cselect_b32 s78, s31, s30
	s_mov_b64 s[30:31], s[78:79]
.LBB60_228:                             ;   in Loop: Header=BB60_7 Depth=1
	s_sub_u32 s46, s85, s30
	s_subb_u32 s47, s91, s31
	v_cmp_gt_i64_e32 vcc, s[46:47], v[0:1]
	s_mov_b64 s[42:43], 0
	s_mov_b64 s[30:31], 0
                                        ; implicit-def: $vgpr51
	s_and_saveexec_b64 s[44:45], vcc
	v_readlane_b32 s55, v70, 45
	s_cbranch_execz .LBB60_240
; %bb.229:                              ;   in Loop: Header=BB60_7 Depth=1
	v_mov_b64_e32 v[4:5], v[12:13]
	v_mov_b64_e32 v[8:9], v[0:1]
                                        ; implicit-def: $sgpr48_sgpr49
	s_branch .LBB60_233
.LBB60_230:                             ;   in Loop: Header=BB60_233 Depth=2
	s_or_b64 exec, exec, s[50:51]
	s_waitcnt lgkmcnt(0)
	s_barrier
	ds_read_b32 v10, v3 offset:3072
	s_waitcnt lgkmcnt(0)
	s_barrier
	v_cmp_neq_f16_e32 vcc, 0, v10
	s_cbranch_vccnz .LBB60_236
; %bb.231:                              ;   in Loop: Header=BB60_233 Depth=2
	v_lshl_add_u64 v[8:9], v[8:9], 0, s[72:73]
	v_cmp_le_i64_e32 vcc, s[46:47], v[8:9]
	v_lshl_add_u64 v[4:5], v[4:5], 0, s[74:75]
	s_mov_b64 s[50:51], 0
	s_orn2_b64 s[52:53], vcc, exec
.LBB60_232:                             ;   in Loop: Header=BB60_233 Depth=2
	s_and_b64 s[52:53], exec, s[52:53]
	s_or_b64 s[30:31], s[52:53], s[30:31]
	s_andn2_b64 s[48:49], s[48:49], exec
	s_and_b64 s[50:51], s[50:51], exec
	s_or_b64 s[48:49], s[48:49], s[50:51]
	s_andn2_b64 exec, exec, s[30:31]
	s_cbranch_execz .LBB60_239
.LBB60_233:                             ;   Parent Loop BB60_7 Depth=1
                                        ; =>  This Inner Loop Header: Depth=2
	v_cmp_gt_i64_e32 vcc, s[56:57], v[8:9]
	s_and_saveexec_b64 s[50:51], vcc
	s_cbranch_execz .LBB60_230
; %bb.234:                              ;   in Loop: Header=BB60_233 Depth=2
	global_load_ushort v10, v[4:5], off
	s_waitcnt vmcnt(0)
	v_cmp_lt_i16_e32 vcc, -1, v10
	s_nop 1
	v_cndmask_b32_e32 v11, v47, v48, vcc
	v_xor_b32_sdwa v11, v11, v10 dst_sel:DWORD dst_unused:UNUSED_PAD src0_sel:DWORD src1_sel:WORD_0
	v_cmp_o_f16_e32 vcc, v10, v10
	s_nop 1
	v_cndmask_b32_e32 v11, v47, v11, vcc
	v_and_b32_e32 v11, v11, v50
	v_cmp_eq_u32_e32 vcc, v11, v45
	s_and_b64 exec, exec, vcc
	s_cbranch_execz .LBB60_230
; %bb.235:                              ;   in Loop: Header=BB60_233 Depth=2
	v_perm_b32 v10, v10, s87, v49
	ds_write_b32 v3, v10 offset:3072
	s_branch .LBB60_230
.LBB60_236:                             ;   in Loop: Header=BB60_233 Depth=2
	s_mov_b64 s[52:53], -1
                                        ; implicit-def: $vgpr8_vgpr9
                                        ; implicit-def: $vgpr4_vgpr5
	s_mov_b64 s[50:51], -1
	s_branch .LBB60_232
.LBB60_237:                             ;   in Loop: Header=BB60_7 Depth=1
                                        ; implicit-def: $sgpr6_sgpr7
	s_andn2_b64 vcc, exec, s[8:9]
	s_cbranch_vccz .LBB60_180
	s_branch .LBB60_181
.LBB60_238:                             ;   in Loop: Header=BB60_7 Depth=1
                                        ; implicit-def: $sgpr28_sgpr29
	s_branch .LBB60_197
.LBB60_239:                             ;   in Loop: Header=BB60_7 Depth=1
	s_or_b64 exec, exec, s[30:31]
	v_lshrrev_b32_e32 v51, 16, v10
	s_and_b64 s[30:31], s[48:49], exec
.LBB60_240:                             ;   in Loop: Header=BB60_7 Depth=1
	s_or_b64 exec, exec, s[44:45]
	v_readlane_b32 s51, v70, 42
	v_readlane_b32 s52, v70, 43
	;; [unrolled: 1-line block ×3, first 2 shown]
	s_mov_b32 s50, 0x5040100
	s_movk_i32 s45, 0x3c00
	s_mov_b32 s46, s92
.LBB60_241:                             ;   in Loop: Header=BB60_7 Depth=1
	s_and_b64 vcc, exec, s[42:43]
	s_cbranch_vccz .LBB60_256
; %bb.242:                              ;   in Loop: Header=BB60_7 Depth=1
	v_readlane_b32 s6, v70, 20
	s_add_u32 s44, s40, s6
	v_readlane_b32 s6, v70, 21
	s_addc_u32 s7, s41, s6
	s_mov_b32 s6, s79
	s_cmp_lg_u64 s[6:7], 0
	s_cbranch_scc0 .LBB60_277
; %bb.243:                              ;   in Loop: Header=BB60_7 Depth=1
	s_add_u32 s8, s72, 0
	s_addc_u32 s9, 0, 0
	s_xor_b64 s[8:9], s[8:9], 0
	v_cvt_f32_u32_e32 v4, s8
	v_cvt_f32_u32_e32 v5, s9
	s_sub_u32 s6, 0, s8
	s_mov_b32 s78, s46
	s_subb_u32 s45, 0, s9
	v_fmac_f32_e32 v4, 0x4f800000, v5
	v_rcp_f32_e32 v4, v4
	s_nop 0
	v_mul_f32_e32 v4, 0x5f7ffffc, v4
	v_mul_f32_e32 v5, 0x2f800000, v4
	v_trunc_f32_e32 v5, v5
	v_fmac_f32_e32 v4, 0xcf800000, v5
	v_cvt_u32_f32_e32 v5, v5
	v_cvt_u32_f32_e32 v4, v4
	v_readfirstlane_b32 s46, v5
	v_readfirstlane_b32 s42, v4
	s_mul_i32 s43, s6, s46
	s_mul_hi_u32 s48, s6, s42
	s_mul_i32 s47, s45, s42
	s_add_i32 s43, s48, s43
	s_mul_i32 s49, s6, s42
	s_add_i32 s43, s43, s47
	s_mul_i32 s48, s42, s43
	s_mul_hi_u32 s50, s42, s49
	s_mul_hi_u32 s47, s42, s43
	s_add_u32 s48, s50, s48
	s_addc_u32 s47, 0, s47
	s_mul_hi_u32 s51, s46, s49
	s_mul_i32 s49, s46, s49
	s_add_u32 s48, s48, s49
	s_mul_hi_u32 s50, s46, s43
	s_addc_u32 s47, s47, s51
	s_addc_u32 s48, s50, 0
	s_mul_i32 s43, s46, s43
	s_add_u32 s43, s47, s43
	s_addc_u32 s47, 0, s48
	s_add_u32 s48, s42, s43
	s_cselect_b64 s[42:43], -1, 0
	s_cmp_lg_u64 s[42:43], 0
	s_addc_u32 s46, s46, s47
	s_mul_i32 s42, s6, s46
	s_mul_hi_u32 s43, s6, s48
	s_add_i32 s42, s43, s42
	s_mul_i32 s45, s45, s48
	s_add_i32 s42, s42, s45
	s_mul_i32 s6, s6, s48
	s_mul_hi_u32 s45, s46, s6
	s_mul_i32 s47, s46, s6
	s_mul_i32 s50, s48, s42
	s_mul_hi_u32 s6, s48, s6
	s_mul_hi_u32 s49, s48, s42
	s_add_u32 s6, s6, s50
	s_addc_u32 s49, 0, s49
	s_add_u32 s6, s6, s47
	s_mul_hi_u32 s43, s46, s42
	s_addc_u32 s6, s49, s45
	s_addc_u32 s43, s43, 0
	s_mul_i32 s42, s46, s42
	s_add_u32 s6, s6, s42
	s_addc_u32 s45, 0, s43
	s_add_u32 s6, s48, s6
	s_cselect_b64 s[42:43], -1, 0
	s_cmp_lg_u64 s[42:43], 0
	s_addc_u32 s45, s46, s45
	s_ashr_i32 s42, s7, 31
	s_add_u32 s46, s44, s42
	s_mov_b32 s43, s42
	s_addc_u32 s47, s7, s42
	s_xor_b64 s[46:47], s[46:47], s[42:43]
	s_mul_i32 s49, s46, s45
	s_mul_hi_u32 s50, s46, s6
	s_mul_hi_u32 s48, s46, s45
	s_add_u32 s49, s50, s49
	s_addc_u32 s48, 0, s48
	s_mul_hi_u32 s51, s47, s6
	s_mul_i32 s6, s47, s6
	s_add_u32 s6, s49, s6
	s_mul_hi_u32 s50, s47, s45
	s_addc_u32 s6, s48, s51
	s_addc_u32 s48, s50, 0
	s_mul_i32 s45, s47, s45
	s_add_u32 s6, s6, s45
	s_addc_u32 s45, 0, s48
	s_mul_i32 s45, s8, s45
	s_mul_hi_u32 s48, s8, s6
	s_add_i32 s45, s48, s45
	s_mul_i32 s48, s9, s6
	s_add_i32 s45, s45, s48
	s_sub_i32 s50, s47, s45
	s_mul_i32 s6, s8, s6
	s_sub_u32 s6, s46, s6
	s_cselect_b64 s[48:49], -1, 0
	s_cmp_lg_u64 s[48:49], 0
	s_subb_u32 s46, s50, s9
	s_sub_u32 s52, s6, s8
	s_cselect_b64 s[50:51], -1, 0
	s_cmp_lg_u64 s[50:51], 0
	s_subb_u32 s53, s46, 0
	s_cmp_ge_u32 s53, s9
	s_cselect_b32 s55, -1, 0
	s_cmp_ge_u32 s52, s8
	s_cselect_b32 s64, -1, 0
	s_cmp_eq_u32 s53, s9
	s_cselect_b32 s55, s64, s55
	s_cmp_lg_u64 s[50:51], 0
	s_subb_u32 s46, s46, s9
	s_sub_u32 s64, s52, s8
	s_cselect_b64 s[50:51], -1, 0
	s_cmp_lg_u64 s[50:51], 0
	s_subb_u32 s46, s46, 0
	s_cmp_lg_u32 s55, 0
	s_cselect_b32 s50, s64, s52
	s_cselect_b32 s46, s46, s53
	s_cmp_lg_u64 s[48:49], 0
	s_subb_u32 s45, s47, s45
	s_cmp_ge_u32 s45, s9
	s_cselect_b32 s47, -1, 0
	s_cmp_ge_u32 s6, s8
	s_cselect_b32 s8, -1, 0
	s_cmp_eq_u32 s45, s9
	s_cselect_b32 s8, s8, s47
	s_cmp_lg_u32 s8, 0
	s_cselect_b32 s9, s46, s45
	s_cselect_b32 s8, s50, s6
	s_xor_b64 s[8:9], s[8:9], s[42:43]
	s_sub_u32 s8, s8, s42
	v_readlane_b32 s51, v70, 42
	v_readlane_b32 s55, v70, 45
	;; [unrolled: 1-line block ×4, first 2 shown]
	s_mov_b32 s46, s78
	s_movk_i32 s45, 0x3c00
	s_mov_b32 s50, 0x5040100
	s_subb_u32 s9, s9, s42
	s_cbranch_execnz .LBB60_245
.LBB60_244:                             ;   in Loop: Header=BB60_7 Depth=1
	v_cvt_f32_u32_e32 v4, s72
	s_sub_i32 s6, 0, s72
	v_rcp_iflag_f32_e32 v4, v4
	s_nop 0
	v_mul_f32_e32 v4, 0x4f7ffffe, v4
	v_cvt_u32_f32_e32 v4, v4
	s_nop 0
	v_readfirstlane_b32 s8, v4
	s_mul_i32 s6, s6, s8
	s_mul_hi_u32 s6, s8, s6
	s_add_i32 s8, s8, s6
	s_mul_hi_u32 s6, s44, s8
	s_mul_i32 s6, s6, s72
	s_sub_i32 s6, s44, s6
	s_sub_i32 s8, s6, s72
	s_cmp_ge_u32 s6, s72
	s_cselect_b32 s6, s8, s6
	s_sub_i32 s8, s6, s72
	s_cmp_ge_u32 s6, s72
	s_cselect_b32 s78, s8, s6
	s_mov_b64 s[8:9], s[78:79]
.LBB60_245:                             ;   in Loop: Header=BB60_7 Depth=1
	s_sub_u32 s8, s44, s8
	s_subb_u32 s9, s7, s9
	v_cmp_gt_i64_e32 vcc, s[8:9], v[0:1]
                                        ; implicit-def: $vgpr51
	s_and_saveexec_b64 s[6:7], vcc
	s_cbranch_execz .LBB60_255
; %bb.246:                              ;   in Loop: Header=BB60_7 Depth=1
	s_mov_b32 s78, s46
	s_movk_i32 s64, 0x3c00
	s_mov_b64 s[42:43], 0
	v_mov_b32_e32 v8, v41
	v_mov_b64_e32 v[4:5], v[0:1]
                                        ; implicit-def: $sgpr44_sgpr45
	s_branch .LBB60_250
.LBB60_247:                             ;   in Loop: Header=BB60_250 Depth=2
	s_or_b64 exec, exec, s[46:47]
	s_waitcnt lgkmcnt(0)
	s_barrier
	ds_read_b32 v9, v3 offset:3072
	s_waitcnt lgkmcnt(0)
	s_barrier
	v_cmp_eq_f16_e32 vcc, 0, v9
	s_cbranch_vccz .LBB60_253
; %bb.248:                              ;   in Loop: Header=BB60_250 Depth=2
	v_lshl_add_u64 v[4:5], v[4:5], 0, s[72:73]
	v_cmp_le_i64_e32 vcc, s[8:9], v[4:5]
	v_add_u32_e32 v8, s55, v8
	s_mov_b64 s[46:47], 0
	s_orn2_b64 s[48:49], vcc, exec
.LBB60_249:                             ;   in Loop: Header=BB60_250 Depth=2
	s_and_b64 s[48:49], exec, s[48:49]
	s_or_b64 s[42:43], s[48:49], s[42:43]
	s_andn2_b64 s[44:45], s[44:45], exec
	s_and_b64 s[46:47], s[46:47], exec
	s_or_b64 s[44:45], s[44:45], s[46:47]
	s_andn2_b64 exec, exec, s[42:43]
	s_cbranch_execz .LBB60_254
.LBB60_250:                             ;   Parent Loop BB60_7 Depth=1
                                        ; =>  This Inner Loop Header: Depth=2
	v_cmp_gt_u64_e32 vcc, s[40:41], v[4:5]
	s_and_saveexec_b64 s[46:47], vcc
	s_cbranch_execz .LBB60_247
; %bb.251:                              ;   in Loop: Header=BB60_250 Depth=2
	ds_read_u16 v9, v8
	s_waitcnt lgkmcnt(0)
	v_cmp_lt_i16_e32 vcc, -1, v9
	s_nop 1
	v_cndmask_b32_e32 v10, v47, v48, vcc
	v_xor_b32_sdwa v10, v10, v9 dst_sel:DWORD dst_unused:UNUSED_PAD src0_sel:DWORD src1_sel:WORD_0
	v_cmp_o_f16_e32 vcc, v9, v9
	s_nop 1
	v_cndmask_b32_e32 v10, v47, v10, vcc
	v_and_b32_e32 v10, v10, v50
	v_cmp_eq_u32_e32 vcc, v10, v45
	s_and_b64 exec, exec, vcc
	s_cbranch_execz .LBB60_247
; %bb.252:                              ;   in Loop: Header=BB60_250 Depth=2
	v_perm_b32 v9, v9, s64, v49
	ds_write_b32 v3, v9 offset:3072
	s_branch .LBB60_247
.LBB60_253:                             ;   in Loop: Header=BB60_250 Depth=2
	s_mov_b64 s[48:49], -1
                                        ; implicit-def: $vgpr4_vgpr5
                                        ; implicit-def: $vgpr8
	s_mov_b64 s[46:47], -1
	s_branch .LBB60_249
.LBB60_254:                             ;   in Loop: Header=BB60_7 Depth=1
	s_or_b64 exec, exec, s[42:43]
	s_andn2_b64 s[8:9], s[30:31], exec
	s_and_b64 s[30:31], s[44:45], exec
	v_lshrrev_b32_e32 v51, 16, v9
	s_or_b64 s[30:31], s[8:9], s[30:31]
	s_movk_i32 s45, 0x3c00
	s_mov_b32 s46, s78
.LBB60_255:                             ;   in Loop: Header=BB60_7 Depth=1
	s_or_b64 exec, exec, s[6:7]
	s_mov_b64 s[6:7], 0
	s_mov_b64 s[8:9], -1
.LBB60_256:                             ;   in Loop: Header=BB60_7 Depth=1
	s_orn2_b64 s[40:41], s[30:31], exec
.LBB60_257:                             ;   in Loop: Header=BB60_7 Depth=1
	s_or_b64 exec, exec, s[38:39]
	s_mov_b64 s[38:39], 0
	s_and_saveexec_b64 s[30:31], s[40:41]
	s_cbranch_execz .LBB60_268
; %bb.258:                              ;   in Loop: Header=BB60_7 Depth=1
	s_xor_b64 s[38:39], s[22:23], -1
	v_mov_b64_e32 v[4:5], 1
	v_mov_b32_e32 v2, 1
	s_and_saveexec_b64 s[22:23], s[38:39]
	s_cbranch_execz .LBB60_267
; %bb.259:                              ;   in Loop: Header=BB60_7 Depth=1
	v_cmp_ge_i64_e32 vcc, s[14:15], v[6:7]
	s_and_saveexec_b64 s[38:39], vcc
	s_xor_b64 s[38:39], exec, s[38:39]
	s_cbranch_execz .LBB60_264
; %bb.260:                              ;   in Loop: Header=BB60_7 Depth=1
	ds_read_b64 v[4:5], v3 offset:5120
	v_or_b32_e32 v45, s54, v45
	v_or_b32_e32 v50, s54, v50
	s_waitcnt lgkmcnt(0)
	v_cmp_ne_u64_e32 vcc, 0, v[4:5]
	s_cbranch_vccnz .LBB60_264
; %bb.261:                              ;   in Loop: Header=BB60_7 Depth=1
	s_mov_b64 s[40:41], exec
	v_readlane_b32 s42, v70, 8
	v_readlane_b32 s43, v70, 9
	s_and_b64 s[42:43], s[40:41], s[42:43]
	s_mov_b64 exec, s[42:43]
; %bb.262:                              ;   in Loop: Header=BB60_7 Depth=1
	v_mov_b64_e32 v[4:5], s[14:15]
	ds_write_b64 v3, v[4:5] offset:5128
; %bb.263:                              ;   in Loop: Header=BB60_7 Depth=1
	s_or_b64 exec, exec, s[40:41]
	s_waitcnt lgkmcnt(0)
	s_barrier
.LBB60_264:                             ;   in Loop: Header=BB60_7 Depth=1
	s_andn2_saveexec_b64 s[38:39], s[38:39]
; %bb.265:                              ;   in Loop: Header=BB60_7 Depth=1
	v_mov_b32_e32 v2, s15
	v_subrev_co_u32_e32 v6, vcc, s14, v6
	s_nop 1
	v_subb_co_u32_e32 v7, vcc, v7, v2, vcc
; %bb.266:                              ;   in Loop: Header=BB60_7 Depth=1
	s_or_b64 exec, exec, s[38:39]
	v_mov_b32_e32 v2, 8
	v_mov_b64_e32 v[4:5], v[6:7]
.LBB60_267:                             ;   in Loop: Header=BB60_7 Depth=1
	s_or_b64 exec, exec, s[22:23]
	s_mov_b64 s[38:39], exec
	v_mov_b64_e32 v[6:7], v[4:5]
.LBB60_268:                             ;   in Loop: Header=BB60_7 Depth=1
	s_or_b64 exec, exec, s[30:31]
	s_orn2_b64 s[22:23], s[38:39], exec
.LBB60_269:                             ;   in Loop: Header=BB60_7 Depth=1
	s_or_b64 exec, exec, s[10:11]
	s_andn2_b64 s[10:11], s[34:35], exec
	s_and_b64 s[8:9], s[8:9], exec
	s_or_b64 s[34:35], s[10:11], s[8:9]
	s_andn2_b64 s[8:9], s[28:29], exec
	s_and_b64 s[6:7], s[6:7], exec
	s_or_b64 s[28:29], s[8:9], s[6:7]
	s_and_b64 s[8:9], s[22:23], exec
	v_mov_b64_e32 v[4:5], v[6:7]
.LBB60_270:                             ;   in Loop: Header=BB60_7 Depth=1
	s_or_b64 exec, exec, s[36:37]
	s_orn2_b64 s[6:7], s[8:9], exec
.LBB60_271:                             ;   in Loop: Header=BB60_7 Depth=1
	s_or_b64 exec, exec, s[26:27]
	s_andn2_b64 s[8:9], s[24:25], exec
	s_and_b64 s[10:11], s[34:35], exec
	s_or_b64 s[24:25], s[8:9], s[10:11]
	s_andn2_b64 s[2:3], s[2:3], exec
	s_and_b64 s[8:9], s[28:29], exec
	s_or_b64 s[2:3], s[2:3], s[8:9]
	s_and_b64 s[8:9], s[6:7], exec
	v_mov_b64_e32 v[8:9], v[4:5]
.LBB60_272:                             ;   in Loop: Header=BB60_7 Depth=1
	s_or_b64 exec, exec, s[12:13]
	s_orn2_b64 s[6:7], s[8:9], exec
.LBB60_273:                             ;   in Loop: Header=BB60_7 Depth=1
	s_or_b64 exec, exec, s[20:21]
	s_mov_b64 s[8:9], 0
	s_and_saveexec_b64 s[10:11], s[6:7]
	s_xor_b64 s[6:7], exec, s[10:11]
	s_cbranch_execz .LBB60_5
; %bb.274:                              ;   in Loop: Header=BB60_7 Depth=1
	v_and_b32_e32 v2, 7, v2
	v_cmp_eq_u32_e32 vcc, 0, v2
	s_mov_b64 s[10:11], -1
	s_mov_b64 s[8:9], -1
	s_and_saveexec_b64 s[12:13], vcc
	s_cbranch_execz .LBB60_4
; %bb.275:                              ;   in Loop: Header=BB60_7 Depth=1
	s_xor_b32 s46, s46, 1
	s_add_i32 s14, s84, -2
	s_cmp_eq_u32 s84, 0
	s_cselect_b64 s[10:11], -1, 0
	s_xor_b64 s[8:9], exec, -1
	s_orn2_b64 s[10:11], s[10:11], exec
	s_mov_b32 s84, s14
	s_branch .LBB60_4
.LBB60_276:                             ;   in Loop: Header=BB60_7 Depth=1
                                        ; implicit-def: $sgpr30_sgpr31
	s_andn2_b64 vcc, exec, s[42:43]
	s_cbranch_vccz .LBB60_227
	s_branch .LBB60_228
.LBB60_277:                             ;   in Loop: Header=BB60_7 Depth=1
                                        ; implicit-def: $sgpr8_sgpr9
	s_branch .LBB60_244
.LBB60_278:
	s_or_b64 exec, exec, s[96:97]
	s_xor_b64 s[4:5], s[60:61], -1
	s_xor_b64 s[0:1], s[58:59], -1
	;; [unrolled: 1-line block ×3, first 2 shown]
	s_mov_b64 s[2:3], 0
	s_and_saveexec_b64 s[8:9], s[0:1]
	s_xor_b64 s[0:1], exec, s[8:9]
	s_cbranch_execnz .LBB60_283
; %bb.279:
	s_andn2_saveexec_b64 s[0:1], s[0:1]
	s_cbranch_execnz .LBB60_305
.LBB60_280:
	s_or_b64 exec, exec, s[0:1]
	s_and_saveexec_b64 s[0:1], s[2:3]
.LBB60_281:
	; divergent unreachable
.LBB60_282:
	s_endpgm
.LBB60_283:
	s_and_saveexec_b64 s[2:3], s[4:5]
	s_xor_b64 s[4:5], exec, s[2:3]
	s_cbranch_execz .LBB60_303
; %bb.284:
	s_and_saveexec_b64 s[2:3], s[6:7]
	s_xor_b64 s[2:3], exec, s[2:3]
; %bb.285:
	v_and_b32_e32 v2, 0x8000, v45
	v_mov_b32_e32 v3, 0x8000
	v_mov_b32_e32 v4, 0xffff
	v_cmp_eq_u32_e32 vcc, 0, v2
	s_nop 1
	v_cndmask_b32_e32 v2, v3, v4, vcc
	v_xor_b32_e32 v51, v2, v45
; %bb.286:
	s_or_b64 exec, exec, s[2:3]
	s_mov_b64 s[2:3], exec
	v_readlane_b32 s6, v70, 8
	v_readlane_b32 s7, v70, 9
	s_and_b64 s[6:7], s[2:3], s[6:7]
	v_readlane_b32 s26, v70, 10
	v_readlane_b32 s27, v70, 11
	s_mov_b64 exec, s[6:7]
; %bb.287:
	v_mov_b32_e32 v2, 0
	v_mov_b32_e32 v3, s56
	ds_write_b32 v2, v3 offset:5140
; %bb.288:
	s_or_b64 exec, exec, s[2:3]
	s_waitcnt lgkmcnt(0)
	s_barrier
	s_mov_b64 s[6:7], exec
	v_readlane_b32 s2, v70, 16
	v_readlane_b32 s3, v70, 17
	s_and_b64 s[2:3], s[6:7], s[2:3]
	s_mov_b64 exec, s[2:3]
	s_cbranch_execz .LBB60_300
; %bb.289:
	v_mov_b32_e32 v2, 0
	ds_read_b32 v4, v2 offset:5140
	v_cmp_u_f16_e32 vcc, v51, v51
	s_mov_b64 s[8:9], 0
	s_xor_b64 s[10:11], vcc, -1
                                        ; implicit-def: $sgpr12_sgpr13
                                        ; implicit-def: $sgpr14_sgpr15
                                        ; implicit-def: $sgpr16_sgpr17
	s_waitcnt lgkmcnt(0)
	v_ashrrev_i32_e32 v5, 31, v4
	s_branch .LBB60_292
.LBB60_290:                             ;   in Loop: Header=BB60_292 Depth=1
	s_or_b64 exec, exec, s[22:23]
	s_andn2_b64 s[16:17], s[16:17], exec
	s_and_b64 s[2:3], s[2:3], exec
	s_or_b64 s[16:17], s[16:17], s[2:3]
	s_andn2_b64 s[2:3], s[14:15], exec
	s_and_b64 s[14:15], s[20:21], exec
	s_or_b64 s[14:15], s[2:3], s[14:15]
.LBB60_291:                             ;   in Loop: Header=BB60_292 Depth=1
	s_or_b64 exec, exec, s[18:19]
	s_and_b64 s[2:3], exec, s[14:15]
	s_or_b64 s[8:9], s[2:3], s[8:9]
	s_andn2_b64 s[2:3], s[12:13], exec
	s_and_b64 s[12:13], s[16:17], exec
	s_or_b64 s[12:13], s[2:3], s[12:13]
	s_andn2_b64 exec, exec, s[8:9]
	s_cbranch_execz .LBB60_295
.LBB60_292:                             ; =>This Inner Loop Header: Depth=1
	v_mov_b64_e32 v[2:3], v[0:1]
	v_cmp_lt_i64_e32 vcc, v[2:3], v[4:5]
	s_or_b64 s[16:17], s[16:17], exec
	s_or_b64 s[14:15], s[14:15], exec
                                        ; implicit-def: $vgpr0_vgpr1
	s_and_saveexec_b64 s[18:19], vcc
	s_cbranch_execz .LBB60_291
; %bb.293:                              ;   in Loop: Header=BB60_292 Depth=1
	global_load_ushort v0, v[12:13], off
	s_mov_b64 s[20:21], -1
	s_waitcnt vmcnt(0)
	v_cmp_o_f16_e64 s[2:3], v0, v0
	v_cmp_neq_f16_e32 vcc, v0, v51
	s_or_b64 s[2:3], s[10:11], s[2:3]
	s_and_b64 s[24:25], vcc, s[2:3]
	s_mov_b64 s[2:3], 0
                                        ; implicit-def: $vgpr0_vgpr1
	s_and_saveexec_b64 s[22:23], s[24:25]
	s_cbranch_execz .LBB60_290
; %bb.294:                              ;   in Loop: Header=BB60_292 Depth=1
	v_lshl_add_u64 v[0:1], v[2:3], 0, s[72:73]
	v_cmp_le_i64_e32 vcc, s[56:57], v[0:1]
	s_mov_b64 s[2:3], exec
	v_lshl_add_u64 v[12:13], v[12:13], 0, s[74:75]
	s_orn2_b64 s[20:21], vcc, exec
	s_branch .LBB60_290
.LBB60_295:
	s_or_b64 exec, exec, s[8:9]
	s_xor_b64 s[2:3], s[12:13], -1
	s_and_saveexec_b64 s[8:9], s[2:3]
	s_xor_b64 s[8:9], exec, s[8:9]
	s_cbranch_execz .LBB60_300
; %bb.296:
	s_mov_b64 s[2:3], exec
	s_brev_b32 s8, -2
.LBB60_297:                             ; =>This Inner Loop Header: Depth=1
	s_ff1_i32_b64 s9, s[2:3]
	v_readlane_b32 s12, v2, s9
	s_lshl_b64 s[10:11], 1, s9
	s_min_i32 s8, s8, s12
	s_andn2_b64 s[2:3], s[2:3], s[10:11]
	s_cmp_lg_u64 s[2:3], 0
	s_cbranch_scc1 .LBB60_297
; %bb.298:
	v_mbcnt_lo_u32_b32 v0, exec_lo, 0
	v_mbcnt_hi_u32_b32 v0, exec_hi, v0
	v_cmp_eq_u32_e32 vcc, 0, v0
	s_and_saveexec_b64 s[2:3], vcc
	s_xor_b64 s[2:3], exec, s[2:3]
; %bb.299:
	v_mov_b32_e32 v0, 0
	v_mov_b32_e32 v1, s8
	ds_min_i32 v0, v1 offset:5140
.LBB60_300:
	s_or_b64 exec, exec, s[6:7]
	s_waitcnt lgkmcnt(0)
	s_barrier
	s_mov_b64 s[2:3], exec
	v_readlane_b32 s6, v70, 8
	v_readlane_b32 s7, v70, 9
	s_and_b64 s[6:7], s[2:3], s[6:7]
	s_mov_b64 exec, s[6:7]
	s_cbranch_execz .LBB60_302
; %bb.301:
	v_readlane_b32 s8, v70, 4
	v_readlane_b32 s9, v70, 5
	v_readlane_b32 s10, v70, 0
	s_mul_i32 s6, s9, s26
	s_mul_hi_u32 s7, s8, s26
	v_readlane_b32 s11, v70, 1
	v_mov_b32_e32 v2, 0
	s_add_i32 s7, s7, s6
	s_mul_i32 s6, s8, s26
	s_mul_i32 s8, s11, s26
	s_mul_hi_u32 s9, s10, s26
	ds_read_b32 v0, v2 offset:5140
	s_add_i32 s9, s9, s8
	s_mul_i32 s8, s10, s26
	s_lshl_b64 s[6:7], s[6:7], 1
	v_readlane_b32 s10, v70, 6
	v_readlane_b32 s11, v70, 7
	s_add_u32 s6, s10, s6
	s_addc_u32 s7, s11, s7
	s_lshl_b64 s[8:9], s[8:9], 3
	v_readlane_b32 s10, v70, 2
	v_readlane_b32 s11, v70, 3
	s_add_u32 s8, s10, s8
	s_addc_u32 s9, s11, s9
	s_waitcnt lgkmcnt(0)
	v_ashrrev_i32_e32 v1, 31, v0
	global_store_dwordx2 v2, v[0:1], s[8:9]
	global_store_short v2, v51, s[6:7]
.LBB60_302:
	s_or_b64 exec, exec, s[2:3]
.LBB60_303:
	s_or_saveexec_b64 s[2:3], s[4:5]
	s_mov_b64 s[4:5], 0
	s_xor_b64 exec, exec, s[2:3]
	s_cbranch_execnz .LBB60_306
.LBB60_304:
	s_or_b64 exec, exec, s[2:3]
	s_and_b64 s[2:3], s[4:5], exec
	s_andn2_saveexec_b64 s[0:1], s[0:1]
	s_cbranch_execz .LBB60_280
.LBB60_305:
	s_or_b64 s[2:3], s[2:3], exec
	s_trap 2
	s_or_b64 exec, exec, s[0:1]
	s_and_saveexec_b64 s[0:1], s[2:3]
	s_cbranch_execnz .LBB60_281
	s_branch .LBB60_282
.LBB60_306:
	s_mov_b64 s[4:5], exec
	s_trap 2
	s_branch .LBB60_304
	.section	.rodata,"a",@progbits
	.p2align	6, 0x0
	.amdhsa_kernel _ZN2at6native12_GLOBAL__N_114gatherKthValueIN3c104HalfElLi1EEEvNS_4cuda6detail10TensorInfoIKT_T0_EESA_SA_SA_SA_NS7_IS8_SA_EENS7_IlSA_EE
		.amdhsa_group_segment_fixed_size 5144
		.amdhsa_private_segment_fixed_size 0
		.amdhsa_kernarg_size 1536
		.amdhsa_user_sgpr_count 2
		.amdhsa_user_sgpr_dispatch_ptr 0
		.amdhsa_user_sgpr_queue_ptr 0
		.amdhsa_user_sgpr_kernarg_segment_ptr 1
		.amdhsa_user_sgpr_dispatch_id 0
		.amdhsa_user_sgpr_kernarg_preload_length 0
		.amdhsa_user_sgpr_kernarg_preload_offset 0
		.amdhsa_user_sgpr_private_segment_size 0
		.amdhsa_uses_dynamic_stack 0
		.amdhsa_enable_private_segment 0
		.amdhsa_system_sgpr_workgroup_id_x 1
		.amdhsa_system_sgpr_workgroup_id_y 1
		.amdhsa_system_sgpr_workgroup_id_z 1
		.amdhsa_system_sgpr_workgroup_info 0
		.amdhsa_system_vgpr_workitem_id 0
		.amdhsa_next_free_vgpr 71
		.amdhsa_next_free_sgpr 100
		.amdhsa_accum_offset 72
		.amdhsa_reserve_vcc 1
		.amdhsa_float_round_mode_32 0
		.amdhsa_float_round_mode_16_64 0
		.amdhsa_float_denorm_mode_32 3
		.amdhsa_float_denorm_mode_16_64 3
		.amdhsa_dx10_clamp 1
		.amdhsa_ieee_mode 1
		.amdhsa_fp16_overflow 0
		.amdhsa_tg_split 0
		.amdhsa_exception_fp_ieee_invalid_op 0
		.amdhsa_exception_fp_denorm_src 0
		.amdhsa_exception_fp_ieee_div_zero 0
		.amdhsa_exception_fp_ieee_overflow 0
		.amdhsa_exception_fp_ieee_underflow 0
		.amdhsa_exception_fp_ieee_inexact 0
		.amdhsa_exception_int_div_zero 0
	.end_amdhsa_kernel
	.section	.text._ZN2at6native12_GLOBAL__N_114gatherKthValueIN3c104HalfElLi1EEEvNS_4cuda6detail10TensorInfoIKT_T0_EESA_SA_SA_SA_NS7_IS8_SA_EENS7_IlSA_EE,"axG",@progbits,_ZN2at6native12_GLOBAL__N_114gatherKthValueIN3c104HalfElLi1EEEvNS_4cuda6detail10TensorInfoIKT_T0_EESA_SA_SA_SA_NS7_IS8_SA_EENS7_IlSA_EE,comdat
.Lfunc_end60:
	.size	_ZN2at6native12_GLOBAL__N_114gatherKthValueIN3c104HalfElLi1EEEvNS_4cuda6detail10TensorInfoIKT_T0_EESA_SA_SA_SA_NS7_IS8_SA_EENS7_IlSA_EE, .Lfunc_end60-_ZN2at6native12_GLOBAL__N_114gatherKthValueIN3c104HalfElLi1EEEvNS_4cuda6detail10TensorInfoIKT_T0_EESA_SA_SA_SA_NS7_IS8_SA_EENS7_IlSA_EE
                                        ; -- End function
	.set _ZN2at6native12_GLOBAL__N_114gatherKthValueIN3c104HalfElLi1EEEvNS_4cuda6detail10TensorInfoIKT_T0_EESA_SA_SA_SA_NS7_IS8_SA_EENS7_IlSA_EE.num_vgpr, 71
	.set _ZN2at6native12_GLOBAL__N_114gatherKthValueIN3c104HalfElLi1EEEvNS_4cuda6detail10TensorInfoIKT_T0_EESA_SA_SA_SA_NS7_IS8_SA_EENS7_IlSA_EE.num_agpr, 0
	.set _ZN2at6native12_GLOBAL__N_114gatherKthValueIN3c104HalfElLi1EEEvNS_4cuda6detail10TensorInfoIKT_T0_EESA_SA_SA_SA_NS7_IS8_SA_EENS7_IlSA_EE.numbered_sgpr, 100
	.set _ZN2at6native12_GLOBAL__N_114gatherKthValueIN3c104HalfElLi1EEEvNS_4cuda6detail10TensorInfoIKT_T0_EESA_SA_SA_SA_NS7_IS8_SA_EENS7_IlSA_EE.num_named_barrier, 0
	.set _ZN2at6native12_GLOBAL__N_114gatherKthValueIN3c104HalfElLi1EEEvNS_4cuda6detail10TensorInfoIKT_T0_EESA_SA_SA_SA_NS7_IS8_SA_EENS7_IlSA_EE.private_seg_size, 0
	.set _ZN2at6native12_GLOBAL__N_114gatherKthValueIN3c104HalfElLi1EEEvNS_4cuda6detail10TensorInfoIKT_T0_EESA_SA_SA_SA_NS7_IS8_SA_EENS7_IlSA_EE.uses_vcc, 1
	.set _ZN2at6native12_GLOBAL__N_114gatherKthValueIN3c104HalfElLi1EEEvNS_4cuda6detail10TensorInfoIKT_T0_EESA_SA_SA_SA_NS7_IS8_SA_EENS7_IlSA_EE.uses_flat_scratch, 0
	.set _ZN2at6native12_GLOBAL__N_114gatherKthValueIN3c104HalfElLi1EEEvNS_4cuda6detail10TensorInfoIKT_T0_EESA_SA_SA_SA_NS7_IS8_SA_EENS7_IlSA_EE.has_dyn_sized_stack, 0
	.set _ZN2at6native12_GLOBAL__N_114gatherKthValueIN3c104HalfElLi1EEEvNS_4cuda6detail10TensorInfoIKT_T0_EESA_SA_SA_SA_NS7_IS8_SA_EENS7_IlSA_EE.has_recursion, 0
	.set _ZN2at6native12_GLOBAL__N_114gatherKthValueIN3c104HalfElLi1EEEvNS_4cuda6detail10TensorInfoIKT_T0_EESA_SA_SA_SA_NS7_IS8_SA_EENS7_IlSA_EE.has_indirect_call, 0
	.section	.AMDGPU.csdata,"",@progbits
; Kernel info:
; codeLenInByte = 17208
; TotalNumSgprs: 106
; NumVgprs: 71
; NumAgprs: 0
; TotalNumVgprs: 71
; ScratchSize: 0
; MemoryBound: 0
; FloatMode: 240
; IeeeMode: 1
; LDSByteSize: 5144 bytes/workgroup (compile time only)
; SGPRBlocks: 13
; VGPRBlocks: 8
; NumSGPRsForWavesPerEU: 106
; NumVGPRsForWavesPerEU: 71
; AccumOffset: 72
; Occupancy: 7
; WaveLimiterHint : 1
; COMPUTE_PGM_RSRC2:SCRATCH_EN: 0
; COMPUTE_PGM_RSRC2:USER_SGPR: 2
; COMPUTE_PGM_RSRC2:TRAP_HANDLER: 0
; COMPUTE_PGM_RSRC2:TGID_X_EN: 1
; COMPUTE_PGM_RSRC2:TGID_Y_EN: 1
; COMPUTE_PGM_RSRC2:TGID_Z_EN: 1
; COMPUTE_PGM_RSRC2:TIDIG_COMP_CNT: 0
; COMPUTE_PGM_RSRC3_GFX90A:ACCUM_OFFSET: 17
; COMPUTE_PGM_RSRC3_GFX90A:TG_SPLIT: 0
	.section	.text._ZN2at6native12_GLOBAL__N_114gatherKthValueIN3c104HalfElLi2EEEvNS_4cuda6detail10TensorInfoIKT_T0_EESA_SA_SA_SA_NS7_IS8_SA_EENS7_IlSA_EE,"axG",@progbits,_ZN2at6native12_GLOBAL__N_114gatherKthValueIN3c104HalfElLi2EEEvNS_4cuda6detail10TensorInfoIKT_T0_EESA_SA_SA_SA_NS7_IS8_SA_EENS7_IlSA_EE,comdat
	.globl	_ZN2at6native12_GLOBAL__N_114gatherKthValueIN3c104HalfElLi2EEEvNS_4cuda6detail10TensorInfoIKT_T0_EESA_SA_SA_SA_NS7_IS8_SA_EENS7_IlSA_EE ; -- Begin function _ZN2at6native12_GLOBAL__N_114gatherKthValueIN3c104HalfElLi2EEEvNS_4cuda6detail10TensorInfoIKT_T0_EESA_SA_SA_SA_NS7_IS8_SA_EENS7_IlSA_EE
	.p2align	8
	.type	_ZN2at6native12_GLOBAL__N_114gatherKthValueIN3c104HalfElLi2EEEvNS_4cuda6detail10TensorInfoIKT_T0_EESA_SA_SA_SA_NS7_IS8_SA_EENS7_IlSA_EE,@function
_ZN2at6native12_GLOBAL__N_114gatherKthValueIN3c104HalfElLi2EEEvNS_4cuda6detail10TensorInfoIKT_T0_EESA_SA_SA_SA_NS7_IS8_SA_EENS7_IlSA_EE: ; @_ZN2at6native12_GLOBAL__N_114gatherKthValueIN3c104HalfElLi2EEEvNS_4cuda6detail10TensorInfoIKT_T0_EESA_SA_SA_SA_NS7_IS8_SA_EENS7_IlSA_EE
; %bb.0:
	s_load_dwordx2 s[12:13], s[0:1], 0x500
	s_load_dwordx8 s[56:63], s[0:1], 0x1a0
	s_add_u32 s10, s0, 0x500
	s_addc_u32 s11, s1, 0
	s_mov_b32 s29, 0
	s_waitcnt lgkmcnt(0)
	s_mul_i32 s4, s13, s4
	s_add_i32 s3, s4, s3
	s_mul_i32 s3, s3, s12
	s_add_i32 s28, s3, s2
	v_mov_b64_e32 v[2:3], s[28:29]
	v_cmp_le_i64_e32 vcc, s[60:61], v[2:3]
	s_cbranch_vccnz .LBB61_296
; %bb.1:
	s_load_dwordx2 s[8:9], s[0:1], 0x10
	s_load_dwordx2 s[26:27], s[0:1], 0x1d0
	s_mov_b32 s4, s29
	s_waitcnt lgkmcnt(0)
	s_mov_b32 s5, s9
	s_cmp_lg_u64 s[4:5], 0
	s_cbranch_scc0 .LBB61_309
; %bb.2:
	s_ashr_i32 s4, s9, 31
	s_add_u32 s6, s8, s4
	s_mov_b32 s5, s4
	s_addc_u32 s7, s9, s4
	s_xor_b64 s[14:15], s[6:7], s[4:5]
	v_cvt_f32_u32_e32 v1, s14
	v_cvt_f32_u32_e32 v2, s15
	s_sub_u32 s3, 0, s14
	s_subb_u32 s13, 0, s15
	v_fmamk_f32 v1, v2, 0x4f800000, v1
	v_rcp_f32_e32 v1, v1
	s_nop 0
	v_mul_f32_e32 v1, 0x5f7ffffc, v1
	v_mul_f32_e32 v2, 0x2f800000, v1
	v_trunc_f32_e32 v2, v2
	v_fmamk_f32 v1, v2, 0xcf800000, v1
	v_cvt_u32_f32_e32 v2, v2
	v_cvt_u32_f32_e32 v1, v1
	v_readfirstlane_b32 s18, v2
	v_readfirstlane_b32 s16, v1
	s_mul_i32 s17, s3, s18
	s_mul_hi_u32 s20, s3, s16
	s_mul_i32 s19, s13, s16
	s_add_i32 s17, s20, s17
	s_add_i32 s17, s17, s19
	s_mul_i32 s21, s3, s16
	s_mul_i32 s20, s16, s17
	s_mul_hi_u32 s22, s16, s21
	s_mul_hi_u32 s19, s16, s17
	s_add_u32 s20, s22, s20
	s_addc_u32 s19, 0, s19
	s_mul_hi_u32 s23, s18, s21
	s_mul_i32 s21, s18, s21
	s_add_u32 s20, s20, s21
	s_mul_hi_u32 s22, s18, s17
	s_addc_u32 s19, s19, s23
	s_addc_u32 s20, s22, 0
	s_mul_i32 s17, s18, s17
	s_add_u32 s17, s19, s17
	s_addc_u32 s19, 0, s20
	s_add_u32 s20, s16, s17
	s_cselect_b64 s[16:17], -1, 0
	s_cmp_lg_u64 s[16:17], 0
	s_addc_u32 s18, s18, s19
	s_mul_i32 s16, s3, s18
	s_mul_hi_u32 s17, s3, s20
	s_add_i32 s16, s17, s16
	s_mul_i32 s13, s13, s20
	s_add_i32 s16, s16, s13
	s_mul_i32 s3, s3, s20
	s_mul_hi_u32 s17, s18, s3
	s_mul_i32 s19, s18, s3
	s_mul_i32 s22, s20, s16
	s_mul_hi_u32 s3, s20, s3
	s_mul_hi_u32 s21, s20, s16
	s_add_u32 s3, s3, s22
	s_addc_u32 s21, 0, s21
	s_add_u32 s3, s3, s19
	s_mul_hi_u32 s13, s18, s16
	s_addc_u32 s3, s21, s17
	s_addc_u32 s13, s13, 0
	s_mul_i32 s16, s18, s16
	s_add_u32 s3, s3, s16
	s_addc_u32 s13, 0, s13
	s_add_u32 s3, s20, s3
	s_cselect_b64 s[16:17], -1, 0
	s_cmp_lg_u64 s[16:17], 0
	s_addc_u32 s13, s18, s13
	s_add_u32 s16, s28, 0
	s_addc_u32 s17, 0, 0
	s_xor_b64 s[16:17], s[16:17], 0
	s_mul_i32 s19, s16, s13
	s_mul_hi_u32 s20, s16, s3
	s_mul_hi_u32 s18, s16, s13
	s_add_u32 s19, s20, s19
	s_addc_u32 s18, 0, s18
	s_mul_hi_u32 s21, s17, s3
	s_mul_i32 s3, s17, s3
	s_add_u32 s3, s19, s3
	s_mul_hi_u32 s20, s17, s13
	s_addc_u32 s3, s18, s21
	s_addc_u32 s18, s20, 0
	s_mul_i32 s13, s17, s13
	s_add_u32 s3, s3, s13
	s_addc_u32 s13, 0, s18
	s_mul_i32 s18, s14, s13
	s_mul_hi_u32 s19, s14, s3
	s_add_i32 s18, s19, s18
	s_mul_i32 s19, s15, s3
	s_add_i32 s22, s18, s19
	s_sub_i32 s20, s17, s22
	s_mul_i32 s18, s14, s3
	s_sub_u32 s16, s16, s18
	s_cselect_b64 s[18:19], -1, 0
	s_cmp_lg_u64 s[18:19], 0
	s_subb_u32 s23, s20, s15
	s_sub_u32 s24, s16, s14
	s_cselect_b64 s[20:21], -1, 0
	s_cmp_lg_u64 s[20:21], 0
	s_subb_u32 s20, s23, 0
	s_cmp_ge_u32 s20, s15
	s_cselect_b32 s21, -1, 0
	s_cmp_ge_u32 s24, s14
	s_cselect_b32 s23, -1, 0
	s_cmp_eq_u32 s20, s15
	s_cselect_b32 s20, s23, s21
	s_add_u32 s21, s3, 1
	s_addc_u32 s23, s13, 0
	s_add_u32 s24, s3, 2
	s_addc_u32 s25, s13, 0
	s_cmp_lg_u32 s20, 0
	s_cselect_b32 s20, s24, s21
	s_cselect_b32 s21, s25, s23
	s_cmp_lg_u64 s[18:19], 0
	s_subb_u32 s17, s17, s22
	s_cmp_ge_u32 s17, s15
	s_cselect_b32 s18, -1, 0
	s_cmp_ge_u32 s16, s14
	s_cselect_b32 s14, -1, 0
	s_cmp_eq_u32 s17, s15
	s_cselect_b32 s14, s14, s18
	s_cmp_lg_u32 s14, 0
	s_cselect_b32 s15, s21, s13
	s_cselect_b32 s14, s20, s3
	s_xor_b64 s[4:5], 0, s[4:5]
	s_xor_b64 s[14:15], s[14:15], s[4:5]
	s_sub_u32 s14, s14, s4
	s_subb_u32 s15, s15, s5
	s_cbranch_execnz .LBB61_4
.LBB61_3:
	v_cvt_f32_u32_e32 v1, s8
	s_sub_i32 s3, 0, s8
	s_mov_b32 s15, 0
	v_rcp_iflag_f32_e32 v1, v1
	s_nop 0
	v_mul_f32_e32 v1, 0x4f7ffffe, v1
	v_cvt_u32_f32_e32 v1, v1
	s_nop 0
	v_readfirstlane_b32 s4, v1
	s_mul_i32 s3, s3, s4
	s_mul_hi_u32 s3, s4, s3
	s_add_i32 s4, s4, s3
	s_mul_hi_u32 s3, s28, s4
	s_mul_i32 s5, s3, s8
	s_sub_i32 s5, s28, s5
	s_add_i32 s4, s3, 1
	s_sub_i32 s6, s5, s8
	s_cmp_ge_u32 s5, s8
	s_cselect_b32 s3, s4, s3
	s_cselect_b32 s5, s6, s5
	s_add_i32 s4, s3, 1
	s_cmp_ge_u32 s5, s8
	s_cselect_b32 s14, s4, s3
.LBB61_4:
	s_load_dwordx2 s[30:31], s[0:1], 0x370
	s_mov_b32 s4, 0
	s_mov_b32 s5, s27
                                        ; implicit-def: $vgpr73 : SGPR spill to VGPR lane
	s_cmp_lg_u64 s[4:5], 0
	v_writelane_b32 v73, s26, 0
	s_nop 1
	v_writelane_b32 v73, s27, 1
	s_cbranch_scc0 .LBB61_310
; %bb.5:
	s_ashr_i32 s4, s27, 31
	s_add_u32 s6, s26, s4
	s_mov_b32 s5, s4
	s_addc_u32 s7, s27, s4
	s_xor_b64 s[16:17], s[6:7], s[4:5]
	v_cvt_f32_u32_e32 v1, s16
	v_cvt_f32_u32_e32 v2, s17
	s_sub_u32 s3, 0, s16
	s_subb_u32 s13, 0, s17
	v_fmamk_f32 v1, v2, 0x4f800000, v1
	v_rcp_f32_e32 v1, v1
	s_nop 0
	v_mul_f32_e32 v1, 0x5f7ffffc, v1
	v_mul_f32_e32 v2, 0x2f800000, v1
	v_trunc_f32_e32 v2, v2
	v_fmamk_f32 v1, v2, 0xcf800000, v1
	v_cvt_u32_f32_e32 v2, v2
	v_cvt_u32_f32_e32 v1, v1
	v_readfirstlane_b32 s20, v2
	v_readfirstlane_b32 s18, v1
	s_mul_i32 s19, s3, s20
	s_mul_hi_u32 s22, s3, s18
	s_mul_i32 s21, s13, s18
	s_add_i32 s19, s22, s19
	s_add_i32 s19, s19, s21
	s_mul_i32 s23, s3, s18
	s_mul_i32 s22, s18, s19
	s_mul_hi_u32 s24, s18, s23
	s_mul_hi_u32 s21, s18, s19
	s_add_u32 s22, s24, s22
	s_addc_u32 s21, 0, s21
	s_mul_hi_u32 s25, s20, s23
	s_mul_i32 s23, s20, s23
	s_add_u32 s22, s22, s23
	s_mul_hi_u32 s24, s20, s19
	s_addc_u32 s21, s21, s25
	s_addc_u32 s22, s24, 0
	s_mul_i32 s19, s20, s19
	s_add_u32 s19, s21, s19
	s_addc_u32 s21, 0, s22
	s_add_u32 s22, s18, s19
	s_cselect_b64 s[18:19], -1, 0
	s_cmp_lg_u64 s[18:19], 0
	s_addc_u32 s20, s20, s21
	s_mul_i32 s18, s3, s20
	s_mul_hi_u32 s19, s3, s22
	s_add_i32 s18, s19, s18
	s_mul_i32 s13, s13, s22
	s_add_i32 s18, s18, s13
	s_mul_i32 s3, s3, s22
	s_mul_hi_u32 s19, s20, s3
	s_mul_i32 s21, s20, s3
	s_mul_i32 s24, s22, s18
	s_mul_hi_u32 s3, s22, s3
	s_mul_hi_u32 s23, s22, s18
	s_add_u32 s3, s3, s24
	s_addc_u32 s23, 0, s23
	s_add_u32 s3, s3, s21
	s_mul_hi_u32 s13, s20, s18
	s_addc_u32 s3, s23, s19
	s_addc_u32 s13, s13, 0
	s_mul_i32 s18, s20, s18
	s_add_u32 s3, s3, s18
	s_addc_u32 s13, 0, s13
	s_add_u32 s3, s22, s3
	s_cselect_b64 s[18:19], -1, 0
	s_cmp_lg_u64 s[18:19], 0
	s_addc_u32 s13, s20, s13
	s_add_u32 s18, s28, 0
	s_addc_u32 s19, 0, 0
	s_xor_b64 s[18:19], s[18:19], 0
	s_mul_i32 s21, s18, s13
	s_mul_hi_u32 s22, s18, s3
	s_mul_hi_u32 s20, s18, s13
	s_add_u32 s21, s22, s21
	s_addc_u32 s20, 0, s20
	s_mul_hi_u32 s23, s19, s3
	s_mul_i32 s3, s19, s3
	s_add_u32 s3, s21, s3
	s_mul_hi_u32 s22, s19, s13
	s_addc_u32 s3, s20, s23
	s_addc_u32 s20, s22, 0
	s_mul_i32 s13, s19, s13
	s_add_u32 s3, s3, s13
	s_addc_u32 s13, 0, s20
	s_mul_i32 s20, s16, s13
	s_mul_hi_u32 s21, s16, s3
	s_add_i32 s20, s21, s20
	s_mul_i32 s21, s17, s3
	s_add_i32 s24, s20, s21
	s_sub_i32 s22, s19, s24
	s_mul_i32 s20, s16, s3
	s_sub_u32 s18, s18, s20
	s_cselect_b64 s[20:21], -1, 0
	s_cmp_lg_u64 s[20:21], 0
	s_subb_u32 s25, s22, s17
	s_sub_u32 s26, s18, s16
	s_cselect_b64 s[22:23], -1, 0
	s_cmp_lg_u64 s[22:23], 0
	s_subb_u32 s22, s25, 0
	s_cmp_ge_u32 s22, s17
	s_cselect_b32 s23, -1, 0
	s_cmp_ge_u32 s26, s16
	s_cselect_b32 s25, -1, 0
	s_cmp_eq_u32 s22, s17
	s_cselect_b32 s22, s25, s23
	s_add_u32 s23, s3, 1
	s_addc_u32 s25, s13, 0
	s_add_u32 s26, s3, 2
	s_addc_u32 s27, s13, 0
	s_cmp_lg_u32 s22, 0
	s_cselect_b32 s22, s26, s23
	s_cselect_b32 s23, s27, s25
	s_cmp_lg_u64 s[20:21], 0
	s_subb_u32 s19, s19, s24
	s_cmp_ge_u32 s19, s17
	s_cselect_b32 s20, -1, 0
	s_cmp_ge_u32 s18, s16
	s_cselect_b32 s16, -1, 0
	s_cmp_eq_u32 s19, s17
	s_cselect_b32 s16, s16, s20
	s_cmp_lg_u32 s16, 0
	s_cselect_b32 s17, s23, s13
	s_cselect_b32 s16, s22, s3
	s_xor_b64 s[4:5], 0, s[4:5]
	s_load_dwordx2 s[26:27], s[0:1], 0x1d0
	s_xor_b64 s[16:17], s[16:17], s[4:5]
	s_sub_u32 s4, s16, s4
	s_subb_u32 s5, s17, s5
	v_writelane_b32 v73, s4, 2
	s_nop 1
	v_writelane_b32 v73, s5, 3
	s_cbranch_execnz .LBB61_7
.LBB61_6:
	s_waitcnt lgkmcnt(0)
	v_cvt_f32_u32_e32 v1, s26
	s_sub_i32 s3, 0, s26
	s_mov_b32 s7, 0
	v_rcp_iflag_f32_e32 v1, v1
	s_nop 0
	v_mul_f32_e32 v1, 0x4f7ffffe, v1
	v_cvt_u32_f32_e32 v1, v1
	s_nop 0
	v_readfirstlane_b32 s4, v1
	s_mul_i32 s3, s3, s4
	s_mul_hi_u32 s3, s4, s3
	s_add_i32 s4, s4, s3
	s_mul_hi_u32 s3, s28, s4
	s_mul_i32 s5, s3, s26
	s_sub_i32 s5, s28, s5
	s_add_i32 s4, s3, 1
	s_sub_i32 s6, s5, s26
	s_cmp_ge_u32 s5, s26
	s_cselect_b32 s3, s4, s3
	s_cselect_b32 s5, s6, s5
	s_add_i32 s4, s3, 1
	s_cmp_ge_u32 s5, s26
	s_cselect_b32 s6, s4, s3
	v_writelane_b32 v73, s6, 2
	s_nop 1
	v_writelane_b32 v73, s7, 3
.LBB61_7:
	s_mov_b32 s4, 0
	s_waitcnt lgkmcnt(0)
	s_mov_b32 s5, s31
	s_cmp_lg_u64 s[4:5], 0
	s_cbranch_scc0 .LBB61_311
; %bb.8:
	s_ashr_i32 s6, s31, 31
	s_add_u32 s4, s30, s6
	s_mov_b32 s7, s6
	s_addc_u32 s5, s31, s6
	s_xor_b64 s[16:17], s[4:5], s[6:7]
	v_cvt_f32_u32_e32 v1, s16
	v_cvt_f32_u32_e32 v2, s17
	s_sub_u32 s3, 0, s16
	s_subb_u32 s13, 0, s17
	v_fmamk_f32 v1, v2, 0x4f800000, v1
	v_rcp_f32_e32 v1, v1
	s_nop 0
	v_mul_f32_e32 v1, 0x5f7ffffc, v1
	v_mul_f32_e32 v2, 0x2f800000, v1
	v_trunc_f32_e32 v2, v2
	v_fmamk_f32 v1, v2, 0xcf800000, v1
	v_cvt_u32_f32_e32 v2, v2
	v_cvt_u32_f32_e32 v1, v1
	v_readfirstlane_b32 s20, v2
	v_readfirstlane_b32 s18, v1
	s_mul_i32 s19, s3, s20
	s_mul_hi_u32 s22, s3, s18
	s_mul_i32 s21, s13, s18
	s_add_i32 s19, s22, s19
	s_add_i32 s19, s19, s21
	s_mul_i32 s23, s3, s18
	s_mul_i32 s22, s18, s19
	s_mul_hi_u32 s24, s18, s23
	s_mul_hi_u32 s21, s18, s19
	s_add_u32 s22, s24, s22
	s_addc_u32 s21, 0, s21
	s_mul_hi_u32 s25, s20, s23
	s_mul_i32 s23, s20, s23
	s_add_u32 s22, s22, s23
	s_mul_hi_u32 s24, s20, s19
	s_addc_u32 s21, s21, s25
	s_addc_u32 s22, s24, 0
	s_mul_i32 s19, s20, s19
	s_add_u32 s19, s21, s19
	s_addc_u32 s21, 0, s22
	s_add_u32 s22, s18, s19
	s_cselect_b64 s[18:19], -1, 0
	s_cmp_lg_u64 s[18:19], 0
	s_addc_u32 s20, s20, s21
	s_mul_i32 s18, s3, s20
	s_mul_hi_u32 s19, s3, s22
	s_add_i32 s18, s19, s18
	s_mul_i32 s13, s13, s22
	s_add_i32 s18, s18, s13
	s_mul_i32 s3, s3, s22
	s_mul_hi_u32 s19, s20, s3
	s_mul_i32 s21, s20, s3
	s_mul_i32 s24, s22, s18
	s_mul_hi_u32 s3, s22, s3
	s_mul_hi_u32 s23, s22, s18
	s_add_u32 s3, s3, s24
	s_addc_u32 s23, 0, s23
	s_add_u32 s3, s3, s21
	s_mul_hi_u32 s13, s20, s18
	s_addc_u32 s3, s23, s19
	s_addc_u32 s13, s13, 0
	s_mul_i32 s18, s20, s18
	s_add_u32 s3, s3, s18
	s_addc_u32 s13, 0, s13
	s_add_u32 s3, s22, s3
	s_cselect_b64 s[18:19], -1, 0
	s_cmp_lg_u64 s[18:19], 0
	s_addc_u32 s13, s20, s13
	s_add_u32 s18, s28, 0
	s_addc_u32 s19, 0, 0
	s_xor_b64 s[18:19], s[18:19], 0
	s_mul_i32 s21, s18, s13
	s_mul_hi_u32 s22, s18, s3
	s_mul_hi_u32 s20, s18, s13
	s_add_u32 s21, s22, s21
	s_addc_u32 s20, 0, s20
	s_mul_hi_u32 s23, s19, s3
	s_mul_i32 s3, s19, s3
	s_add_u32 s3, s21, s3
	s_mul_hi_u32 s22, s19, s13
	s_addc_u32 s3, s20, s23
	s_addc_u32 s20, s22, 0
	s_mul_i32 s13, s19, s13
	s_add_u32 s3, s3, s13
	s_addc_u32 s13, 0, s20
	s_mul_i32 s20, s16, s13
	s_mul_hi_u32 s21, s16, s3
	s_add_i32 s20, s21, s20
	s_mul_i32 s21, s17, s3
	s_add_i32 s24, s20, s21
	s_sub_i32 s22, s19, s24
	s_mul_i32 s20, s16, s3
	s_sub_u32 s18, s18, s20
	s_cselect_b64 s[20:21], -1, 0
	s_cmp_lg_u64 s[20:21], 0
	s_subb_u32 s25, s22, s17
	s_sub_u32 s26, s18, s16
	s_cselect_b64 s[22:23], -1, 0
	s_cmp_lg_u64 s[22:23], 0
	s_subb_u32 s22, s25, 0
	s_cmp_ge_u32 s22, s17
	s_cselect_b32 s23, -1, 0
	s_cmp_ge_u32 s26, s16
	s_cselect_b32 s25, -1, 0
	s_cmp_eq_u32 s22, s17
	s_cselect_b32 s22, s25, s23
	s_add_u32 s23, s3, 1
	s_addc_u32 s25, s13, 0
	s_add_u32 s26, s3, 2
	s_addc_u32 s27, s13, 0
	s_cmp_lg_u32 s22, 0
	s_cselect_b32 s22, s26, s23
	s_cselect_b32 s23, s27, s25
	s_cmp_lg_u64 s[20:21], 0
	s_subb_u32 s19, s19, s24
	s_cmp_ge_u32 s19, s17
	s_cselect_b32 s20, -1, 0
	s_cmp_ge_u32 s18, s16
	s_cselect_b32 s16, -1, 0
	s_cmp_eq_u32 s19, s17
	s_cselect_b32 s16, s16, s20
	s_cmp_lg_u32 s16, 0
	s_cselect_b32 s17, s23, s13
	s_cselect_b32 s16, s22, s3
	s_xor_b64 s[6:7], 0, s[6:7]
	s_xor_b64 s[16:17], s[16:17], s[6:7]
	s_sub_u32 s6, s16, s6
	s_subb_u32 s7, s17, s7
	v_writelane_b32 v73, s6, 4
	s_nop 1
	v_writelane_b32 v73, s7, 5
	s_load_dwordx2 s[16:17], s[0:1], 0x0
	s_cbranch_execnz .LBB61_10
.LBB61_9:
	v_cvt_f32_u32_e32 v1, s30
	s_sub_i32 s3, 0, s30
	s_mov_b32 s7, 0
	v_rcp_iflag_f32_e32 v1, v1
	s_nop 0
	v_mul_f32_e32 v1, 0x4f7ffffe, v1
	v_cvt_u32_f32_e32 v1, v1
	s_nop 0
	v_readfirstlane_b32 s4, v1
	s_mul_i32 s3, s3, s4
	s_mul_hi_u32 s3, s4, s3
	s_add_i32 s4, s4, s3
	s_mul_hi_u32 s3, s28, s4
	s_mul_i32 s5, s3, s30
	s_sub_i32 s5, s28, s5
	s_add_i32 s4, s3, 1
	s_sub_i32 s6, s5, s30
	s_cmp_ge_u32 s5, s30
	s_cselect_b32 s3, s4, s3
	s_cselect_b32 s5, s6, s5
	s_add_i32 s4, s3, 1
	s_cmp_ge_u32 s5, s30
	s_cselect_b32 s6, s4, s3
	v_writelane_b32 v73, s6, 4
	s_nop 1
	v_writelane_b32 v73, s7, 5
.LBB61_10:
	s_load_dwordx2 s[4:5], s[0:1], 0x360
	v_writelane_b32 v73, s30, 6
	s_mov_b32 s87, 0
	v_cmp_eq_u32_e64 s[20:21], 0, v0
	v_writelane_b32 v73, s31, 7
	s_waitcnt lgkmcnt(0)
	v_writelane_b32 v73, s4, 8
	s_nop 1
	v_writelane_b32 v73, s5, 9
	s_load_dwordx2 s[4:5], s[0:1], 0x1c0
	s_waitcnt lgkmcnt(0)
	v_writelane_b32 v73, s4, 10
	s_nop 1
	v_writelane_b32 v73, s5, 11
	s_load_dwordx4 s[4:7], s[0:1], 0xd0
	s_mov_b64 s[18:19], exec
	v_writelane_b32 v73, s20, 12
	s_nop 1
	v_writelane_b32 v73, s21, 13
	s_and_b64 s[20:21], s[18:19], s[20:21]
	s_mov_b64 exec, s[20:21]
	s_cbranch_execz .LBB61_12
; %bb.11:
	v_mov_b32_e32 v2, 0
	v_mov_b32_e32 v4, s56
	;; [unrolled: 1-line block ×4, first 2 shown]
	ds_write_b32 v2, v2 offset:5136
	ds_write_b128 v2, v[2:5] offset:5120
.LBB61_12:
	s_or_b64 exec, exec, s[18:19]
	s_load_dwordx4 s[20:23], s[0:1], 0x430
                                        ; kill: killed $sgpr0 killed $sgpr1
	v_mbcnt_lo_u32_b32 v1, -1, 0
	v_mbcnt_hi_u32_b32 v42, -1, v1
	v_cmp_gt_u32_e32 vcc, 64, v0
	v_mov_b64_e32 v[4:5], 0x600
	s_waitcnt lgkmcnt(0)
	v_writelane_b32 v73, s20, 14
	v_mov_b32_e32 v3, 0
	v_mov_b32_e32 v1, v3
	v_writelane_b32 v73, s21, 15
	v_writelane_b32 v73, s22, 16
	;; [unrolled: 1-line block ×3, first 2 shown]
	s_load_dwordx4 s[20:23], s[0:1], 0x290
	s_mul_i32 s0, s14, s9
	s_mul_hi_u32 s1, s14, s8
	s_add_i32 s0, s1, s0
	s_mul_i32 s1, s15, s8
	s_add_i32 s0, s0, s1
	s_mul_i32 s1, s14, s8
	s_sub_u32 s3, s28, s1
	s_subb_u32 s0, 0, s0
	s_mul_i32 s1, s3, s7
	s_mul_hi_u32 s7, s3, s6
	s_add_i32 s1, s7, s1
	s_mul_i32 s0, s0, s6
	s_add_i32 s1, s1, s0
	s_mul_i32 s0, s3, s6
	s_mul_i32 s3, s14, s5
	s_mul_hi_u32 s5, s14, s4
	s_waitcnt lgkmcnt(0)
	v_writelane_b32 v73, s20, 18
	s_add_i32 s3, s5, s3
	s_mul_i32 s5, s15, s4
	v_writelane_b32 v73, s21, 19
	s_add_i32 s5, s3, s5
	s_mul_i32 s4, s14, s4
	v_writelane_b32 v73, s22, 20
	s_lshl_b64 s[6:7], s[4:5], 1
	v_writelane_b32 v73, s23, 21
	s_mov_b32 s8, s28
	s_add_u32 s3, s16, s6
	v_writelane_b32 v73, s8, 22
	s_addc_u32 s4, s17, s7
	s_lshl_b64 s[14:15], s[0:1], 1
	v_writelane_b32 v73, s9, 23
	s_add_u32 s8, s3, s14
	v_cmp_gt_i32_e64 s[0:1], 4, v42
	s_addc_u32 s9, s4, s15
	s_and_b64 s[92:93], vcc, s[0:1]
	v_cmp_gt_u32_e64 s[0:1], 2, v0
	s_barrier
	s_nop 0
	v_writelane_b32 v73, s0, 24
	v_lshlrev_b64 v[8:9], v42, -1
	s_nop 0
	v_writelane_b32 v73, s1, 25
	v_cmp_gt_i64_e64 s[0:1], s[56:57], v[4:5]
	v_not_b32_e32 v18, v8
	v_mov_b32_e32 v8, s57
	v_writelane_b32 v73, s0, 26
	v_not_b32_e32 v19, v9
	v_mov_b32_e32 v21, -1
	v_writelane_b32 v73, s1, 27
	v_mad_u64_u32 v[4:5], s[0:1], s62, v0, 0
	v_mov_b32_e32 v2, v5
	v_mad_u64_u32 v[6:7], s[0:1], s63, v0, v[2:3]
	v_cmp_gt_i64_e64 s[0:1], s[56:57], v[0:1]
	v_lshlrev_b32_e32 v2, 2, v42
	v_and_b32_e32 v45, 0x100, v2
	v_writelane_b32 v73, s0, 28
	v_lshrrev_b32_e32 v2, 1, v0
	v_and_b32_e32 v2, 0x1e0, v2
	v_writelane_b32 v73, s1, 29
	s_load_dword s0, s[10:11], 0xc
	v_or_b32_e32 v46, 0xc00, v2
	v_add_u32_e32 v2, 2, v0
	v_cmp_gt_i64_e32 vcc, s[56:57], v[2:3]
	v_not_b32_e32 v20, v0
	s_waitcnt lgkmcnt(0)
	s_and_b32 s84, s0, 0xffff
	s_bfe_u32 s0, s0, 0xa0006
	s_cmp_gt_u32 s84, 63
	s_cselect_b64 s[18:19], -1, 0
	s_add_u32 s1, s84, -1
	v_writelane_b32 v73, s18, 30
	s_addc_u32 s3, 0, -1
	v_cndmask_b32_e32 v9, 0, v8, vcc
	v_mov_b32_e32 v8, s56
	v_writelane_b32 v73, s19, 31
	s_add_u32 s66, s1, s56
	v_cndmask_b32_e32 v8, v2, v8, vcc
	v_writelane_b32 v73, s1, 32
	s_addc_u32 s95, s3, s57
	v_lshl_add_u64 v[8:9], v[8:9], 0, v[20:21]
	v_writelane_b32 v73, s3, 33
	s_cmp_lt_u32 s2, s12
	v_cmp_lt_u64_e64 s[2:3], 3, v[8:9]
	s_cselect_b32 s1, 12, 18
	s_add_u32 s90, s10, s1
	v_writelane_b32 v73, s2, 34
	v_and_b32_e32 v22, -4, v8
	v_mov_b32_e32 v23, v9
	v_writelane_b32 v73, s3, 35
	s_mov_b32 s1, s62
	v_writelane_b32 v73, s1, 36
	v_cmp_ne_u64_e64 s[2:3], v[8:9], v[22:23]
	s_addc_u32 s91, s11, 0
	s_add_i32 s1, s0, -1
	v_writelane_b32 v73, s2, 37
	s_and_b32 s1, s1, 0xffff
	v_lshlrev_b32_e32 v20, 3, v0
	v_writelane_b32 v73, s3, 38
	s_bfe_u32 s2, s84, 0x30006
	s_cmp_gt_u32 s1, 6
	s_cselect_b64 s[10:11], -1, 0
	v_writelane_b32 v73, s10, 39
	s_and_b32 s13, s0, 0x3f8
	s_cmp_lg_u32 s2, 0
	v_writelane_b32 v73, s11, 40
	v_writelane_b32 v73, s2, 41
	s_cselect_b64 s[0:1], -1, 0
	v_writelane_b32 v73, s0, 42
	v_or_b32_e32 v8, 6, v20
	s_mov_b32 s99, s62
	v_writelane_b32 v73, s1, 43
	s_add_u32 s0, s6, s14
	s_addc_u32 s1, s7, s15
	s_add_u32 s2, s16, s0
	s_addc_u32 s3, s17, s1
	s_lshl_b64 s[0:1], s[62:63], 1
	v_writelane_b32 v73, s0, 44
	s_mov_b32 s55, s63
	s_mov_b32 s54, s62
	v_writelane_b32 v73, s1, 45
	v_mad_u64_u32 v[26:27], s[0:1], s62, v8, 0
	v_writelane_b32 v73, s2, 46
	v_mov_b32_e32 v2, v27
	v_mad_u64_u32 v[8:9], s[0:1], s63, v8, v[2:3]
	v_writelane_b32 v73, s3, 47
	v_writelane_b32 v73, s90, 48
	v_mov_b32_e32 v27, v8
	v_or_b32_e32 v8, 4, v20
	v_writelane_b32 v73, s91, 49
	v_mad_u64_u32 v[28:29], s[0:1], s62, v8, 0
	v_writelane_b32 v73, s99, 50
	v_mov_b32_e32 v2, v29
	v_writelane_b32 v73, s55, 51
	s_mov_b32 s49, s63
	v_mad_u64_u32 v[8:9], s[0:1], s63, v8, v[2:3]
	v_writelane_b32 v73, s54, 52
	v_mov_b32_e32 v5, v6
	v_mov_b32_e32 v29, v8
	v_or_b32_e32 v8, 2, v20
	s_lshl_b32 s94, s84, 1
	v_writelane_b32 v73, s49, 53
	v_lshlrev_b64 v[6:7], 1, v[4:5]
	v_mad_u64_u32 v[30:31], s[0:1], s62, v8, 0
	v_writelane_b32 v73, s94, 54
	v_lshl_add_u64 v[14:15], s[8:9], 0, v[6:7]
	v_mov_b32_e32 v2, v31
	v_writelane_b32 v73, s8, 55
	v_cmp_eq_u32_e64 s[4:5], 0, v42
	v_mad_u64_u32 v[8:9], s[0:1], s63, v8, v[2:3]
	v_writelane_b32 v73, s9, 56
	s_mul_i32 s0, s63, s84
	s_mul_hi_u32 s1, s62, s84
	v_writelane_b32 v73, s4, 57
	v_lshlrev_b32_e32 v43, 1, v0
	v_mov_b32_e32 v2, 0xc00
	s_add_i32 s1, s1, s0
	s_mul_i32 s0, s62, s84
	v_writelane_b32 v73, s5, 58
	v_add_u32_e32 v44, 0xc00, v43
	v_lshlrev_b32_e32 v16, 2, v0
	v_mov_b32_e32 v17, v3
	s_mov_b32 s33, 0xffff
	s_mov_b32 s85, s87
	v_lshl_add_u64 v[24:25], v[22:23], 0, v[0:1]
	s_mov_b32 s67, s63
	s_mov_b32 s97, s62
	;; [unrolled: 1-line block ×3, first 2 shown]
	s_lshl_b64 s[68:69], s[62:63], 3
	v_mov_b32_e32 v31, v8
	v_lshlrev_b64 v[32:33], 3, v[4:5]
	v_lshl_add_u64 v[34:35], s[56:57], 0, v[0:1]
	v_lshl_or_b32 v47, v42, 3, v2
	v_lshl_add_u64 v[12:13], s[2:3], 0, v[6:7]
	s_lshl_b64 s[88:89], s[0:1], 1
	s_mov_b32 s96, 14
	s_mov_b64 s[70:71], 0
	v_mov_b64_e32 v[36:37], s[58:59]
	s_mov_b32 s50, 0x5040100
	v_mov_b64_e32 v[56:57], s[56:57]
	s_movk_i32 s51, 0x3c00
	v_mov_b32_e32 v49, 0xffff
	v_mov_b32_e32 v50, 0x8000
	;; [unrolled: 1-line block ×6, first 2 shown]
	s_mov_b32 s59, 0
	v_writelane_b32 v73, s13, 59
                                        ; implicit-def: $sgpr10_sgpr11
                                        ; implicit-def: $sgpr82_sgpr83
                                        ; implicit-def: $sgpr80_sgpr81
                                        ; implicit-def: $sgpr78_sgpr79
                                        ; implicit-def: $sgpr76_sgpr77
                                        ; implicit-def: $sgpr60_sgpr61
	v_writelane_b32 v73, s97, 60
	s_branch .LBB61_16
.LBB61_13:                              ;   in Loop: Header=BB61_16 Depth=1
	s_or_b64 exec, exec, s[18:19]
	s_and_b64 s[14:15], s[14:15], exec
	s_andn2_b64 s[24:25], s[24:25], exec
	s_andn2_b64 s[0:1], s[0:1], exec
	s_orn2_b64 s[18:19], s[6:7], exec
.LBB61_14:                              ;   in Loop: Header=BB61_16 Depth=1
	s_or_b64 exec, exec, s[2:3]
	s_andn2_b64 s[2:3], s[60:61], exec
	s_and_b64 s[6:7], s[14:15], exec
	s_or_b64 s[26:27], s[2:3], s[6:7]
	s_andn2_b64 s[2:3], s[76:77], exec
	s_and_b64 s[6:7], s[24:25], exec
	s_or_b64 s[24:25], s[2:3], s[6:7]
	;; [unrolled: 3-line block ×3, first 2 shown]
	s_orn2_b64 s[0:1], s[18:19], exec
.LBB61_15:                              ;   in Loop: Header=BB61_16 Depth=1
	s_or_b64 exec, exec, s[16:17]
	s_and_b64 s[0:1], exec, s[0:1]
	s_or_b64 s[70:71], s[0:1], s[70:71]
	s_andn2_b64 s[0:1], s[80:81], exec
	s_and_b64 s[2:3], s[26:27], exec
	s_or_b64 s[80:81], s[0:1], s[2:3]
	s_andn2_b64 s[0:1], s[82:83], exec
	s_and_b64 s[2:3], s[24:25], exec
	;; [unrolled: 3-line block ×3, first 2 shown]
	s_mov_b64 s[60:61], s[26:27]
	s_mov_b64 s[76:77], s[24:25]
	s_or_b64 s[10:11], s[0:1], s[2:3]
	v_mov_b64_e32 v[36:37], v[8:9]
	s_andn2_b64 exec, exec, s[70:71]
	s_cbranch_execz .LBB61_292
.LBB61_16:                              ; =>This Loop Header: Depth=1
                                        ;     Child Loop BB61_21 Depth 2
                                        ;     Child Loop BB61_36 Depth 2
	;; [unrolled: 1-line block ×17, first 2 shown]
	ds_read_b128 v[4:7], v3 offset:5120
	s_mov_b32 s98, s75
	s_waitcnt lgkmcnt(0)
	v_readfirstlane_b32 s75, v5
	v_readfirstlane_b32 s74, v4
	s_nop 1
	v_cmp_gt_i64_e64 s[0:1], s[74:75], 0
	s_and_b64 vcc, exec, s[0:1]
	s_cbranch_vccnz .LBB61_29
; %bb.17:                               ;   in Loop: Header=BB61_16 Depth=1
	v_readlane_b32 s0, v73, 26
	v_readlane_b32 s1, v73, 27
	s_and_b64 vcc, exec, s[0:1]
	s_cbranch_vccz .LBB61_30
; %bb.18:                               ;   in Loop: Header=BB61_16 Depth=1
	s_mov_b64 s[0:1], 0x601
	v_cmp_gt_i64_e32 vcc, s[0:1], v[6:7]
	s_mov_b64 s[6:7], 0
	s_mov_b64 s[0:1], 0
	s_mov_b32 s75, s98
	s_cbranch_vccz .LBB61_31
; %bb.19:                               ;   in Loop: Header=BB61_16 Depth=1
	global_load_ushort v6, v3, s[90:91]
	global_load_ushort v8, v[14:15], off
	v_readlane_b32 s0, v73, 46
	v_readlane_b32 s1, v73, 47
	;; [unrolled: 1-line block ×4, first 2 shown]
	v_mov_b64_e32 v[4:5], s[0:1]
	s_mov_b64 s[14:15], 0
	s_waitcnt vmcnt(1)
	v_and_b32_e32 v2, 0xffff, v6
	v_readfirstlane_b32 s0, v6
	v_lshl_add_u64 v[6:7], v[0:1], 0, v[2:3]
	s_and_b32 s2, 0xffff, s0
	v_mad_u64_u32 v[4:5], s[0:1], s16, v6, v[4:5]
	v_mul_lo_u32 v7, s16, v7
	v_mul_lo_u32 v9, s17, v6
	s_mul_i32 s0, s17, s2
	s_mul_hi_u32 s1, s16, s2
	s_mul_i32 s16, s16, s2
	v_add3_u32 v5, v9, v5, v7
	s_add_i32 s17, s1, s0
	v_mov_b64_e32 v[6:7], v[0:1]
	s_branch .LBB61_21
.LBB61_20:                              ;   in Loop: Header=BB61_21 Depth=2
	s_or_b64 exec, exec, s[2:3]
	v_lshl_add_u64 v[4:5], v[4:5], 0, s[16:17]
	v_mov_b32_e32 v8, v9
	s_andn2_b64 exec, exec, s[14:15]
	s_cbranch_execz .LBB61_83
.LBB61_21:                              ;   Parent Loop BB61_16 Depth=1
                                        ; =>  This Inner Loop Header: Depth=2
	v_lshl_add_u64 v[6:7], v[6:7], 0, v[2:3]
	v_cmp_gt_i64_e64 s[0:1], s[56:57], v[6:7]
	v_cmp_le_i64_e32 vcc, s[56:57], v[6:7]
	s_waitcnt lgkmcnt(0)
	v_mov_b32_e32 v10, 0
	v_mov_b32_e32 v9, 0
	s_and_saveexec_b64 s[2:3], s[0:1]
	s_cbranch_execz .LBB61_23
; %bb.22:                               ;   in Loop: Header=BB61_21 Depth=2
	global_load_ushort v9, v[4:5], off
.LBB61_23:                              ;   in Loop: Header=BB61_21 Depth=2
	s_or_b64 exec, exec, s[2:3]
	s_waitcnt vmcnt(0)
	v_cmp_lt_i16_e64 s[0:1], -1, v8
	s_nop 1
	v_cndmask_b32_e64 v11, v49, v50, s[0:1]
	v_xor_b32_sdwa v11, v11, v8 dst_sel:DWORD dst_unused:UNUSED_PAD src0_sel:DWORD src1_sel:WORD_0
	v_cmp_o_f16_e64 s[0:1], v8, v8
	s_nop 1
	v_cndmask_b32_e64 v11, v49, v11, s[0:1]
	v_and_b32_e32 v11, v11, v52
	v_cmp_eq_u32_e64 s[0:1], v11, v48
	s_cmp_lg_u64 s[0:1], 0
	s_cselect_b64 s[2:3], -1, 0
	s_and_b64 s[2:3], s[4:5], s[2:3]
	s_and_saveexec_b64 s[18:19], s[2:3]
	s_cbranch_execz .LBB61_27
; %bb.24:                               ;   in Loop: Header=BB61_21 Depth=2
	s_mov_b64 s[22:23], exec
	v_mbcnt_lo_u32_b32 v10, s22, 0
	v_mbcnt_hi_u32_b32 v10, s23, v10
	s_bcnt1_i32_b64 s24, s[0:1]
	v_cmp_eq_u32_e64 s[2:3], 0, v10
                                        ; implicit-def: $vgpr11
	s_and_saveexec_b64 s[20:21], s[2:3]
; %bb.25:                               ;   in Loop: Header=BB61_21 Depth=2
	s_bcnt1_i32_b64 s2, s[22:23]
	s_mul_i32 s2, s24, s2
	v_mov_b32_e32 v11, s2
	ds_add_rtn_u32 v11, v3, v11 offset:5136
; %bb.26:                               ;   in Loop: Header=BB61_21 Depth=2
	s_or_b64 exec, exec, s[20:21]
	s_waitcnt lgkmcnt(0)
	v_readfirstlane_b32 s2, v11
	s_nop 1
	v_mov_b32_e32 v11, s2
	v_mad_u32_u24 v10, s24, v10, v11
.LBB61_27:                              ;   in Loop: Header=BB61_21 Depth=2
	s_or_b64 exec, exec, s[18:19]
	ds_bpermute_b32 v10, v45, v10
	s_and_b64 s[2:3], exec, vcc
	s_or_b64 s[14:15], s[2:3], s[14:15]
	s_and_saveexec_b64 s[2:3], s[0:1]
	s_cbranch_execz .LBB61_20
; %bb.28:                               ;   in Loop: Header=BB61_21 Depth=2
	v_and_b32_e32 v38, s0, v18
	v_and_b32_e32 v11, s1, v19
	v_bcnt_u32_b32 v38, v38, 0
	v_bcnt_u32_b32 v11, v11, v38
	v_lshlrev_b32_e32 v11, 1, v11
	s_waitcnt lgkmcnt(0)
	v_lshl_add_u32 v10, v10, 1, v11
	ds_write_b16 v10, v8
	s_branch .LBB61_20
.LBB61_29:                              ;   in Loop: Header=BB61_16 Depth=1
	s_mov_b32 s75, s98
	s_branch .LBB61_49
.LBB61_30:                              ;   in Loop: Header=BB61_16 Depth=1
	s_mov_b64 s[6:7], -1
	s_mov_b64 s[0:1], 0
	s_mov_b32 s75, s98
.LBB61_31:                              ;   in Loop: Header=BB61_16 Depth=1
	s_and_b64 vcc, exec, s[6:7]
	s_cbranch_vccz .LBB61_47
.LBB61_32:                              ;   in Loop: Header=BB61_16 Depth=1
	s_mov_b64 s[0:1], exec
	v_readlane_b32 s2, v73, 28
	v_readlane_b32 s3, v73, 29
	s_and_b64 s[2:3], s[0:1], s[2:3]
	s_mov_b64 exec, s[2:3]
	s_cbranch_execz .LBB61_44
; %bb.33:                               ;   in Loop: Header=BB61_16 Depth=1
	global_load_ushort v2, v3, s[90:91]
	global_load_ushort v40, v[14:15], off
	v_mov_b32_e32 v8, v0
	s_waitcnt vmcnt(1)
	v_readfirstlane_b32 s6, v2
	v_add_u32_sdwa v2, v2, v0 dst_sel:DWORD dst_unused:UNUSED_PAD src0_sel:WORD_0 src1_sel:DWORD
	v_cmp_gt_i64_e32 vcc, s[56:57], v[2:3]
	s_and_saveexec_b64 s[2:3], vcc
	s_cbranch_execz .LBB61_43
; %bb.34:                               ;   in Loop: Header=BB61_16 Depth=1
	s_and_b32 s86, s6, 0xffff
	s_cmp_eq_u32 s86, 1
	v_readlane_b32 s14, v73, 34
	s_cselect_b64 s[6:7], -1, 0
	v_readlane_b32 s15, v73, 35
	s_and_b64 s[16:17], s[14:15], s[6:7]
	s_mov_b64 s[14:15], -1
	v_mov_b64_e32 v[6:7], v[0:1]
	v_mov_b64_e32 v[4:5], v[2:3]
                                        ; implicit-def: $vgpr8_vgpr9
	s_and_saveexec_b64 s[6:7], s[16:17]
	s_cbranch_execz .LBB61_38
; %bb.35:                               ;   in Loop: Header=BB61_16 Depth=1
	v_lshl_add_u64 v[8:9], v[2:3], 0, 3
	v_lshl_add_u64 v[6:7], v[2:3], 0, 2
	v_lshl_add_u64 v[4:5], v[2:3], 0, 1
	v_mov_b64_e32 v[10:11], v[8:9]
	s_waitcnt vmcnt(0)
	v_lshlrev_b32_e32 v54, 16, v40
	s_mov_b64 s[14:15], 0
	v_mov_b64_e32 v[38:39], v[22:23]
	v_mov_b32_e32 v41, v43
	v_mov_b64_e32 v[8:9], v[6:7]
	v_mov_b64_e32 v[6:7], v[4:5]
	;; [unrolled: 1-line block ×3, first 2 shown]
.LBB61_36:                              ;   Parent Loop BB61_16 Depth=1
                                        ; =>  This Inner Loop Header: Depth=2
	v_mad_u64_u32 v[58:59], s[16:17], v10, s54, 0
	v_mad_u64_u32 v[60:61], s[16:17], v8, s99, 0
	;; [unrolled: 1-line block ×3, first 2 shown]
	v_mul_lo_u32 v40, v11, s54
	v_mul_lo_u32 v55, v10, s49
	;; [unrolled: 1-line block ×4, first 2 shown]
	v_readlane_b32 s16, v73, 36
	v_mul_lo_u32 v68, v7, s97
	v_mul_lo_u32 v69, v6, s75
	v_mul_lo_u32 v70, v5, s16
	v_mul_lo_u32 v71, v4, s67
	v_mad_u64_u32 v[64:65], s[16:17], v4, s16, 0
	v_add3_u32 v59, v59, v55, v40
	v_add3_u32 v61, v61, v67, v66
	;; [unrolled: 1-line block ×4, first 2 shown]
	v_lshl_add_u64 v[60:61], v[60:61], 1, s[8:9]
	v_lshl_add_u64 v[58:59], v[58:59], 1, s[8:9]
	;; [unrolled: 1-line block ×4, first 2 shown]
	global_load_ushort v55, v[60:61], off
	global_load_ushort v40, v[58:59], off
	s_nop 0
	global_load_ushort v58, v[62:63], off
	global_load_ushort v59, v[64:65], off
	v_lshl_add_u64 v[38:39], v[38:39], 0, -4
	v_cmp_eq_u64_e32 vcc, 0, v[38:39]
	v_lshl_add_u64 v[10:11], v[10:11], 0, 4
	v_lshl_add_u64 v[8:9], v[8:9], 0, 4
	;; [unrolled: 1-line block ×4, first 2 shown]
	s_or_b64 s[14:15], vcc, s[14:15]
	s_waitcnt vmcnt(2)
	v_perm_b32 v60, v40, v55, s50
	s_waitcnt vmcnt(1)
	v_perm_b32 v55, v55, v58, s50
	s_waitcnt vmcnt(0)
	v_alignbit_b32 v54, v59, v54, 16
	ds_write_b64 v41, v[54:55]
	v_add_u32_e32 v41, 8, v41
	v_mov_b32_e32 v54, v60
	s_andn2_b64 exec, exec, s[14:15]
	s_cbranch_execnz .LBB61_36
; %bb.37:                               ;   in Loop: Header=BB61_16 Depth=1
	s_or_b64 exec, exec, s[14:15]
	v_readlane_b32 s14, v73, 37
	v_lshl_add_u64 v[4:5], v[2:3], 0, v[22:23]
	v_readlane_b32 s15, v73, 38
	v_lshl_add_u64 v[8:9], v[4:5], 0, -1
	s_orn2_b64 s[14:15], s[14:15], exec
	v_mov_b64_e32 v[6:7], v[24:25]
.LBB61_38:                              ;   in Loop: Header=BB61_16 Depth=1
	s_or_b64 exec, exec, s[6:7]
	s_and_saveexec_b64 s[6:7], s[14:15]
	s_cbranch_execz .LBB61_42
; %bb.39:                               ;   in Loop: Header=BB61_16 Depth=1
	v_readlane_b32 s18, v73, 46
	v_readlane_b32 s19, v73, 47
	;; [unrolled: 1-line block ×4, first 2 shown]
	v_mov_b64_e32 v[8:9], s[18:19]
	v_mad_u64_u32 v[8:9], s[18:19], s20, v4, v[8:9]
	s_sub_u32 s14, 0, s86
	v_mul_lo_u32 v2, s20, v5
	v_mul_lo_u32 v7, s21, v4
	s_mul_i32 s18, s21, s86
	s_mul_hi_u32 s19, s20, s86
	s_mov_b64 s[16:17], 0
	s_subb_u32 s15, 0, 0
	v_add3_u32 v9, v7, v9, v2
	s_add_i32 s19, s19, s18
	s_mul_i32 s18, s20, s86
.LBB61_40:                              ;   Parent Loop BB61_16 Depth=1
                                        ; =>  This Inner Loop Header: Depth=2
	s_waitcnt vmcnt(0)
	v_mov_b32_e32 v2, v40
	global_load_ushort v40, v[8:9], off
	v_mov_b64_e32 v[10:11], v[4:5]
	v_lshlrev_b32_e32 v4, 1, v6
	ds_write_b16 v4, v2
	v_lshl_add_u64 v[4:5], v[10:11], 0, s[86:87]
	v_cmp_le_i64_e32 vcc, s[56:57], v[4:5]
	v_lshl_add_u64 v[8:9], v[8:9], 0, s[18:19]
	s_or_b64 s[16:17], vcc, s[16:17]
	v_mov_b64_e32 v[6:7], v[10:11]
	s_andn2_b64 exec, exec, s[16:17]
	s_cbranch_execnz .LBB61_40
; %bb.41:                               ;   in Loop: Header=BB61_16 Depth=1
	s_or_b64 exec, exec, s[16:17]
	v_lshl_add_u64 v[8:9], s[14:15], 0, v[4:5]
.LBB61_42:                              ;   in Loop: Header=BB61_16 Depth=1
	s_or_b64 exec, exec, s[6:7]
.LBB61_43:                              ;   in Loop: Header=BB61_16 Depth=1
	s_or_b64 exec, exec, s[2:3]
	v_lshlrev_b32_e32 v2, 1, v8
	s_waitcnt vmcnt(0)
	ds_write_b16 v2, v40
.LBB61_44:                              ;   in Loop: Header=BB61_16 Depth=1
	s_or_b64 exec, exec, s[0:1]
	s_waitcnt lgkmcnt(0)
	s_barrier
	s_mov_b64 s[0:1], exec
	v_readlane_b32 s2, v73, 12
	v_readlane_b32 s3, v73, 13
	s_and_b64 s[2:3], s[0:1], s[2:3]
	s_mov_b64 exec, s[2:3]
; %bb.45:                               ;   in Loop: Header=BB61_16 Depth=1
	ds_write_b64 v3, v[56:57] offset:5120
; %bb.46:                               ;   in Loop: Header=BB61_16 Depth=1
	s_or_b64 exec, exec, s[0:1]
	s_mov_b64 s[0:1], -1
	s_waitcnt lgkmcnt(0)
	s_barrier
.LBB61_47:                              ;   in Loop: Header=BB61_16 Depth=1
	s_and_b64 vcc, exec, s[0:1]
	s_cbranch_vccz .LBB61_49
; %bb.48:                               ;   in Loop: Header=BB61_16 Depth=1
	ds_read_b64 v[4:5], v3 offset:5120
	s_waitcnt lgkmcnt(0)
	v_readfirstlane_b32 s74, v4
.LBB61_49:                              ;   in Loop: Header=BB61_16 Depth=1
	s_cmp_lt_i32 s74, 1
	s_mov_b64 s[0:1], -1
	v_writelane_b32 v73, s78, 61
                                        ; implicit-def: $vgpr4_vgpr5
                                        ; implicit-def: $vgpr8_vgpr9
	s_nop 1
	v_writelane_b32 v73, s79, 62
	s_cbranch_scc0 .LBB61_64
; %bb.50:                               ;   in Loop: Header=BB61_16 Depth=1
	global_load_ushort v2, v3, s[90:91]
	s_mov_b64 s[4:5], s[80:81]
	s_mov_b32 s0, s87
	s_mov_b64 s[12:13], s[82:83]
	s_waitcnt vmcnt(0)
	v_readfirstlane_b32 s1, v2
	s_and_b32 s80, s1, 0xffff
	s_lshl_b32 s86, s80, 2
	s_mov_b32 s1, s57
	s_cmp_lg_u64 s[0:1], 0
	s_cbranch_scc0 .LBB61_82
; %bb.51:                               ;   in Loop: Header=BB61_16 Depth=1
	s_add_u32 s0, s86, 0
	s_addc_u32 s1, 0, 0
	s_xor_b64 s[0:1], s[0:1], 0
	v_cvt_f32_u32_e32 v2, s0
	v_cvt_f32_u32_e32 v4, s1
	s_sub_u32 s6, 0, s0
	s_subb_u32 s7, 0, s1
	v_fmac_f32_e32 v2, 0x4f800000, v4
	v_rcp_f32_e32 v2, v2
	s_nop 0
	v_mul_f32_e32 v2, 0x5f7ffffc, v2
	v_mul_f32_e32 v4, 0x2f800000, v2
	v_trunc_f32_e32 v4, v4
	v_fmac_f32_e32 v2, 0xcf800000, v4
	v_cvt_u32_f32_e32 v4, v4
	v_cvt_u32_f32_e32 v2, v2
	v_readfirstlane_b32 s14, v4
	v_readfirstlane_b32 s2, v2
	s_mul_i32 s3, s6, s14
	s_mul_hi_u32 s16, s6, s2
	s_mul_i32 s15, s7, s2
	s_add_i32 s3, s16, s3
	s_mul_i32 s17, s6, s2
	s_add_i32 s3, s3, s15
	s_mul_i32 s16, s2, s3
	s_mul_hi_u32 s18, s2, s17
	s_mul_hi_u32 s15, s2, s3
	s_add_u32 s16, s18, s16
	s_addc_u32 s15, 0, s15
	s_mul_hi_u32 s19, s14, s17
	s_mul_i32 s17, s14, s17
	s_add_u32 s16, s16, s17
	s_mul_hi_u32 s18, s14, s3
	s_addc_u32 s15, s15, s19
	s_addc_u32 s16, s18, 0
	s_mul_i32 s3, s14, s3
	s_add_u32 s3, s15, s3
	s_addc_u32 s15, 0, s16
	s_add_u32 s16, s2, s3
	s_cselect_b64 s[2:3], -1, 0
	s_cmp_lg_u64 s[2:3], 0
	s_addc_u32 s14, s14, s15
	s_mul_i32 s2, s6, s14
	s_mul_hi_u32 s3, s6, s16
	s_add_i32 s2, s3, s2
	s_mul_i32 s7, s7, s16
	s_add_i32 s2, s2, s7
	s_mul_i32 s6, s6, s16
	s_mul_hi_u32 s7, s14, s6
	s_mul_i32 s15, s14, s6
	s_mul_i32 s18, s16, s2
	s_mul_hi_u32 s6, s16, s6
	s_mul_hi_u32 s17, s16, s2
	s_add_u32 s6, s6, s18
	s_addc_u32 s17, 0, s17
	s_add_u32 s6, s6, s15
	s_mul_hi_u32 s3, s14, s2
	s_addc_u32 s6, s17, s7
	s_addc_u32 s3, s3, 0
	s_mul_i32 s2, s14, s2
	s_add_u32 s2, s6, s2
	s_addc_u32 s6, 0, s3
	s_add_u32 s15, s16, s2
	s_cselect_b64 s[2:3], -1, 0
	s_cmp_lg_u64 s[2:3], 0
	s_addc_u32 s14, s14, s6
	s_ashr_i32 s2, s57, 31
	s_add_u32 s6, s56, s2
	s_mov_b32 s3, s2
	s_addc_u32 s7, s57, s2
	s_xor_b64 s[6:7], s[6:7], s[2:3]
	s_mul_i32 s17, s6, s14
	s_mul_hi_u32 s18, s6, s15
	s_mul_hi_u32 s16, s6, s14
	s_add_u32 s17, s18, s17
	s_addc_u32 s16, 0, s16
	s_mul_hi_u32 s19, s7, s15
	s_mul_i32 s15, s7, s15
	s_add_u32 s15, s17, s15
	s_mul_hi_u32 s18, s7, s14
	s_addc_u32 s15, s16, s19
	s_addc_u32 s16, s18, 0
	s_mul_i32 s14, s7, s14
	s_add_u32 s14, s15, s14
	s_addc_u32 s15, 0, s16
	s_mul_i32 s15, s0, s15
	s_mul_hi_u32 s16, s0, s14
	s_add_i32 s15, s16, s15
	s_mul_i32 s16, s1, s14
	s_add_i32 s18, s15, s16
	s_sub_i32 s16, s7, s18
	s_mul_i32 s14, s0, s14
	s_sub_u32 s6, s6, s14
	s_cselect_b64 s[14:15], -1, 0
	s_cmp_lg_u64 s[14:15], 0
	s_subb_u32 s19, s16, s1
	s_sub_u32 s20, s6, s0
	s_cselect_b64 s[16:17], -1, 0
	s_cmp_lg_u64 s[16:17], 0
	s_subb_u32 s21, s19, 0
	s_cmp_ge_u32 s21, s1
	s_cselect_b32 s22, -1, 0
	s_cmp_ge_u32 s20, s0
	s_cselect_b32 s23, -1, 0
	s_cmp_eq_u32 s21, s1
	s_cselect_b32 s22, s23, s22
	s_cmp_lg_u64 s[16:17], 0
	s_subb_u32 s19, s19, s1
	s_sub_u32 s23, s20, s0
	s_cselect_b64 s[16:17], -1, 0
	s_cmp_lg_u64 s[16:17], 0
	s_subb_u32 s16, s19, 0
	s_cmp_lg_u32 s22, 0
	s_cselect_b32 s17, s23, s20
	s_cselect_b32 s16, s16, s21
	s_cmp_lg_u64 s[14:15], 0
	s_subb_u32 s7, s7, s18
	s_cmp_ge_u32 s7, s1
	s_cselect_b32 s14, -1, 0
	s_cmp_ge_u32 s6, s0
	s_cselect_b32 s0, -1, 0
	s_cmp_eq_u32 s7, s1
	s_cselect_b32 s0, s0, s14
	s_cmp_lg_u32 s0, 0
	s_cselect_b32 s1, s16, s7
	s_cselect_b32 s0, s17, s6
	s_xor_b64 s[0:1], s[0:1], s[2:3]
	s_sub_u32 s82, s0, s2
	s_subb_u32 s83, s1, s2
	s_cbranch_execnz .LBB61_53
.LBB61_52:                              ;   in Loop: Header=BB61_16 Depth=1
	v_cvt_f32_u32_e32 v2, s86
	s_sub_i32 s0, 0, s86
	s_mov_b32 s83, s87
	v_rcp_iflag_f32_e32 v2, v2
	s_nop 0
	v_mul_f32_e32 v2, 0x4f7ffffe, v2
	v_cvt_u32_f32_e32 v2, v2
	s_nop 0
	v_readfirstlane_b32 s1, v2
	s_mul_i32 s0, s0, s1
	s_mul_hi_u32 s0, s1, s0
	s_add_i32 s1, s1, s0
	s_mul_hi_u32 s0, s56, s1
	s_mul_i32 s0, s0, s86
	s_sub_i32 s0, s56, s0
	s_sub_i32 s1, s0, s86
	s_cmp_ge_u32 s0, s86
	s_cselect_b32 s0, s1, s0
	s_sub_i32 s1, s0, s86
	s_cmp_ge_u32 s0, s86
	s_cselect_b32 s82, s1, s0
.LBB61_53:                              ;   in Loop: Header=BB61_16 Depth=1
	s_sub_u32 s30, s56, s82
	s_subb_u32 s31, s57, s83
	s_mov_b32 s81, s87
	v_cmp_gt_i64_e32 vcc, s[30:31], v[16:17]
	v_mov_b64_e32 v[4:5], 0
	v_mov_b64_e32 v[6:7], 0
	;; [unrolled: 1-line block ×4, first 2 shown]
	s_and_saveexec_b64 s[72:73], vcc
	s_cbranch_execz .LBB61_57
; %bb.54:                               ;   in Loop: Header=BB61_16 Depth=1
	v_writelane_b32 v73, s94, 63
                                        ; implicit-def: $vgpr72 : SGPR spill to VGPR lane
	s_mov_b32 s58, s67
	v_readlane_b32 s0, v73, 26
	v_readlane_b32 s1, v73, 27
	;; [unrolled: 1-line block ×4, first 2 shown]
	s_mul_i32 s0, s69, s80
	s_mul_hi_u32 s1, s68, s80
	v_readlane_b32 s90, v73, 55
	v_writelane_b32 v72, s95, 0
	s_mov_b32 s99, s66
	s_mov_b64 s[8:9], s[88:89]
	s_mov_b64 s[66:67], s[92:93]
	s_add_i32 s75, s1, s0
	s_mov_b64 s[14:15], 0
	v_readlane_b32 s91, v73, 56
	s_mov_b64 s[94:95], 0
	s_mov_b64 s[64:65], 0
	;; [unrolled: 1-line block ×4, first 2 shown]
	v_mov_b64_e32 v[38:39], v[16:17]
.LBB61_55:                              ;   Parent Loop BB61_16 Depth=1
                                        ; =>  This Inner Loop Header: Depth=2
	v_lshl_add_u64 v[4:5], s[90:91], 0, v[32:33]
	v_lshl_add_u64 v[6:7], s[90:91], 0, v[30:31]
	;; [unrolled: 1-line block ×4, first 2 shown]
	global_load_ushort v2, v[4:5], off
	s_nop 0
	global_load_ushort v4, v[6:7], off
	global_load_ushort v5, v[8:9], off
	s_nop 0
	global_load_ushort v6, v[10:11], off
	s_mul_i32 s97, s68, s80
	v_lshl_add_u64 v[38:39], v[38:39], 0, s[86:87]
	v_cmp_le_i64_e32 vcc, s[30:31], v[38:39]
	s_waitcnt vmcnt(3)
	v_cmp_lt_i16_e64 s[0:1], -1, v2
	s_nop 1
	v_cndmask_b32_e64 v7, v49, v50, s[0:1]
	s_waitcnt vmcnt(2)
	v_cmp_lt_i16_e64 s[0:1], -1, v4
	s_waitcnt vmcnt(1)
	v_cmp_o_f16_e64 s[2:3], v5, v5
	s_waitcnt vmcnt(0)
	v_cmp_o_f16_e64 s[16:17], v6, v6
	v_cndmask_b32_e64 v8, v49, v50, s[0:1]
	v_cmp_lt_i16_e64 s[0:1], -1, v5
	v_xor_b32_sdwa v8, v8, v4 dst_sel:DWORD dst_unused:UNUSED_PAD src0_sel:DWORD src1_sel:WORD_0
	v_cmp_o_f16_e64 s[18:19], v2, v2
	v_cndmask_b32_e64 v9, v49, v50, s[0:1]
	v_cmp_lt_i16_e64 s[0:1], -1, v6
	s_nop 1
	v_cndmask_b32_e64 v10, v49, v50, s[0:1]
	v_cmp_o_f16_e64 s[0:1], v4, v4
	v_xor_b32_sdwa v4, v9, v5 dst_sel:DWORD dst_unused:UNUSED_PAD src0_sel:DWORD src1_sel:WORD_0
	v_xor_b32_sdwa v5, v10, v6 dst_sel:DWORD dst_unused:UNUSED_PAD src0_sel:DWORD src1_sel:WORD_0
	;; [unrolled: 1-line block ×3, first 2 shown]
	v_cndmask_b32_e64 v2, v49, v6, s[18:19]
	v_cndmask_b32_e64 v6, v49, v8, s[0:1]
	v_and_b32_e32 v7, v2, v52
	v_bfe_u32 v2, v2, s96, 2
	v_cndmask_b32_e64 v4, v49, v4, s[2:3]
	v_and_b32_e32 v8, v6, v52
	v_bfe_u32 v6, v6, s96, 2
	v_cmp_eq_u32_e64 s[0:1], v7, v48
	v_cmp_eq_u32_e64 s[20:21], 0, v2
	v_cndmask_b32_e64 v5, v49, v5, s[16:17]
	v_and_b32_e32 v9, v4, v52
	v_bfe_u32 v4, v4, s96, 2
	v_cmp_eq_u32_e64 s[2:3], v8, v48
	v_cmp_eq_u32_e64 s[22:23], 0, v6
	s_and_b64 s[20:21], s[0:1], s[20:21]
	v_and_b32_e32 v10, v5, v52
	v_bfe_u32 v5, v5, s96, 2
	v_cmp_eq_u32_e64 s[16:17], v9, v48
	v_cmp_eq_u32_e64 s[24:25], 0, v4
	;; [unrolled: 1-line block ×5, first 2 shown]
	v_cndmask_b32_e64 v2, 0, 1, s[20:21]
	s_and_b64 s[20:21], s[2:3], s[22:23]
	v_cmp_eq_u32_e64 s[18:19], v10, v48
	v_cmp_eq_u32_e64 s[26:27], 0, v5
	;; [unrolled: 1-line block ×5, first 2 shown]
	v_cndmask_b32_e64 v4, 0, 1, s[20:21]
	s_and_b64 s[20:21], s[16:17], s[24:25]
	v_cmp_eq_u32_e64 s[38:39], 1, v5
	v_cmp_eq_u32_e64 s[46:47], 2, v5
	;; [unrolled: 1-line block ×3, first 2 shown]
	v_cndmask_b32_e64 v5, 0, 1, s[20:21]
	s_and_b64 s[20:21], s[18:19], s[26:27]
	v_cmp_eq_u32_e64 s[34:35], 1, v6
	v_cmp_eq_u32_e64 s[42:43], 2, v6
	;; [unrolled: 1-line block ×3, first 2 shown]
	v_cndmask_b32_e64 v6, 0, 1, s[20:21]
	v_cmp_ne_u32_e64 s[20:21], 0, v2
	v_cmp_ne_u32_e64 s[22:23], 0, v4
	v_cmp_ne_u32_e64 s[24:25], 0, v5
	v_cmp_ne_u32_e64 s[26:27], 0, v6
	s_bcnt1_i32_b64 s20, s[20:21]
	s_bcnt1_i32_b64 s21, s[22:23]
	s_bcnt1_i32_b64 s22, s[24:25]
	s_bcnt1_i32_b64 s23, s[26:27]
	s_add_u32 s20, s20, s92
	s_addc_u32 s24, 0, s93
	s_add_u32 s20, s20, s21
	s_addc_u32 s21, s24, 0
	s_add_u32 s20, s20, s22
	s_addc_u32 s21, s21, 0
	s_add_u32 s92, s20, s23
	s_addc_u32 s93, s21, 0
	s_and_b64 s[20:21], s[0:1], s[28:29]
	v_cndmask_b32_e64 v2, 0, 1, s[20:21]
	s_and_b64 s[20:21], s[2:3], s[34:35]
	v_cndmask_b32_e64 v6, 0, 1, s[20:21]
	s_and_b64 s[20:21], s[16:17], s[36:37]
	v_cndmask_b32_e64 v7, 0, 1, s[20:21]
	s_and_b64 s[20:21], s[18:19], s[38:39]
	v_cndmask_b32_e64 v8, 0, 1, s[20:21]
	v_cmp_ne_u32_e64 s[20:21], 0, v2
	v_cmp_ne_u32_e64 s[22:23], 0, v6
	v_cmp_ne_u32_e64 s[24:25], 0, v7
	v_cmp_ne_u32_e64 s[26:27], 0, v8
	s_bcnt1_i32_b64 s20, s[20:21]
	s_bcnt1_i32_b64 s21, s[22:23]
	s_bcnt1_i32_b64 s22, s[24:25]
	s_bcnt1_i32_b64 s23, s[26:27]
	s_add_u32 s6, s20, s6
	s_addc_u32 s7, 0, s7
	s_add_u32 s6, s6, s21
	s_addc_u32 s7, s7, 0
	s_add_u32 s6, s6, s22
	s_addc_u32 s7, s7, 0
	s_add_u32 s6, s6, s23
	s_addc_u32 s7, s7, 0
	s_and_b64 s[20:21], s[0:1], s[40:41]
	v_cndmask_b32_e64 v2, 0, 1, s[20:21]
	s_and_b64 s[20:21], s[2:3], s[42:43]
	v_cndmask_b32_e64 v8, 0, 1, s[20:21]
	s_and_b64 s[20:21], s[16:17], s[44:45]
	v_cndmask_b32_e64 v9, 0, 1, s[20:21]
	s_and_b64 s[20:21], s[18:19], s[46:47]
	;; [unrolled: 24-line block ×3, first 2 shown]
	v_cndmask_b32_e64 v40, 0, 1, s[0:1]
	v_cmp_ne_u32_e64 s[0:1], 0, v2
	v_cmp_ne_u32_e64 s[2:3], 0, v10
	;; [unrolled: 1-line block ×4, first 2 shown]
	s_bcnt1_i32_b64 s0, s[0:1]
	s_bcnt1_i32_b64 s1, s[2:3]
	s_bcnt1_i32_b64 s2, s[16:17]
	s_bcnt1_i32_b64 s3, s[18:19]
	s_add_u32 s0, s0, s94
	s_addc_u32 s16, 0, s95
	s_add_u32 s0, s0, s1
	s_addc_u32 s1, s16, 0
	;; [unrolled: 2-line block ×5, first 2 shown]
	v_mov_b64_e32 v[4:5], s[92:93]
	v_mov_b64_e32 v[6:7], s[6:7]
	;; [unrolled: 1-line block ×3, first 2 shown]
	s_or_b64 s[14:15], vcc, s[14:15]
	v_mov_b64_e32 v[10:11], s[94:95]
	s_andn2_b64 exec, exec, s[14:15]
	s_cbranch_execnz .LBB61_55
; %bb.56:                               ;   in Loop: Header=BB61_16 Depth=1
	s_or_b64 exec, exec, s[14:15]
	v_readlane_b32 s94, v73, 63
	v_readlane_b32 s90, v73, 48
	s_mov_b64 s[92:93], s[66:67]
	s_mov_b64 s[88:89], s[8:9]
	s_mov_b32 s66, s99
	v_readlane_b32 s95, v72, 0
	v_readlane_b32 s91, v73, 49
	s_mov_b32 s67, s58
	v_readlane_b32 s97, v73, 60
	v_readlane_b32 s99, v73, 50
	v_readlane_b32 s55, v73, 51
	v_readlane_b32 s54, v73, 52
	v_readlane_b32 s49, v73, 53
	v_readlane_b32 s94, v73, 54
	s_mov_b32 s50, 0x5040100
	s_movk_i32 s51, 0x3c00
	s_mov_b32 s75, s98
.LBB61_57:                              ;   in Loop: Header=BB61_16 Depth=1
	s_or_b64 exec, exec, s[72:73]
	v_lshl_add_u64 v[38:39], s[30:31], 0, v[0:1]
	v_cmp_gt_i64_e32 vcc, s[56:57], v[38:39]
	s_and_saveexec_b64 s[2:3], vcc
	s_cbranch_execz .LBB61_63
; %bb.58:                               ;   in Loop: Header=BB61_16 Depth=1
	v_mad_u64_u32 v[40:41], s[0:1], v38, s62, 0
	v_mul_lo_u32 v2, v39, s62
	v_mul_lo_u32 v54, v38, s63
	v_readlane_b32 s0, v73, 55
	v_add3_u32 v41, v41, v54, v2
	v_readlane_b32 s1, v73, 56
	v_mov_b32_e32 v54, s83
	v_readlane_b32 s6, v73, 44
	v_lshl_add_u64 v[40:41], v[40:41], 1, s[0:1]
	global_load_ushort v2, v[40:41], off
	v_lshl_add_u64 v[40:41], v[34:35], 0, s[80:81]
	v_subrev_co_u32_e32 v55, vcc, s82, v40
	v_readlane_b32 s0, v73, 46
	s_nop 0
	v_subb_co_u32_e32 v40, vcc, v41, v54, vcc
	v_readlane_b32 s1, v73, 47
	v_mul_lo_u32 v54, s6, v40
	v_readlane_b32 s7, v73, 45
	v_mov_b64_e32 v[40:41], s[0:1]
	v_mad_u64_u32 v[40:41], s[0:1], s6, v55, v[40:41]
	v_mul_lo_u32 v58, s7, v55
	s_mul_i32 s0, s7, s80
	s_mul_hi_u32 s1, s6, s80
	v_add3_u32 v41, v58, v41, v54
	s_add_i32 s7, s1, s0
	s_mul_i32 s6, s6, s80
	s_mov_b64 s[14:15], 0
	s_branch .LBB61_60
.LBB61_59:                              ;   in Loop: Header=BB61_60 Depth=2
	s_or_b64 exec, exec, s[16:17]
	s_and_b64 s[0:1], exec, vcc
	s_waitcnt vmcnt(0)
	v_cmp_lt_i16_e32 vcc, -1, v2
	s_or_b64 s[14:15], s[0:1], s[14:15]
	v_lshl_add_u64 v[40:41], v[40:41], 0, s[6:7]
	v_cndmask_b32_e32 v55, v49, v50, vcc
	v_xor_b32_sdwa v55, v55, v2 dst_sel:DWORD dst_unused:UNUSED_PAD src0_sel:DWORD src1_sel:WORD_0
	v_cmp_o_f16_e32 vcc, v2, v2
	s_nop 1
	v_cndmask_b32_e32 v2, v49, v55, vcc
	v_and_b32_e32 v55, v2, v52
	v_bfe_u32 v2, v2, s96, 2
	v_cmp_eq_u32_e32 vcc, v55, v48
	v_cmp_eq_u32_e64 s[0:1], 0, v2
	s_and_b64 s[0:1], vcc, s[0:1]
	s_nop 0
	v_cndmask_b32_e64 v55, 0, 1, s[0:1]
	v_cmp_ne_u32_e64 s[0:1], 0, v55
	s_bcnt1_i32_b64 s86, s[0:1]
	v_cmp_eq_u32_e64 s[0:1], 1, v2
	s_and_b64 s[0:1], vcc, s[0:1]
	v_lshl_add_u64 v[4:5], s[86:87], 0, v[4:5]
	v_cndmask_b32_e64 v55, 0, 1, s[0:1]
	v_cmp_ne_u32_e64 s[0:1], 0, v55
	s_bcnt1_i32_b64 s86, s[0:1]
	v_cmp_eq_u32_e64 s[0:1], 2, v2
	s_and_b64 s[0:1], vcc, s[0:1]
	v_lshl_add_u64 v[6:7], s[86:87], 0, v[6:7]
	;; [unrolled: 6-line block ×3, first 2 shown]
	v_cndmask_b32_e64 v2, 0, 1, s[0:1]
	v_cmp_ne_u32_e32 vcc, 0, v2
	s_bcnt1_i32_b64 s86, vcc
	v_lshl_add_u64 v[10:11], s[86:87], 0, v[10:11]
	v_mov_b32_e32 v2, v54
	s_andn2_b64 exec, exec, s[14:15]
	s_cbranch_execz .LBB61_62
.LBB61_60:                              ;   Parent Loop BB61_16 Depth=1
                                        ; =>  This Inner Loop Header: Depth=2
	v_lshl_add_u64 v[38:39], v[38:39], 0, s[80:81]
	v_cmp_gt_i64_e64 s[0:1], s[56:57], v[38:39]
	v_cmp_le_i64_e32 vcc, s[56:57], v[38:39]
	v_mov_b32_e32 v54, 0
	s_and_saveexec_b64 s[16:17], s[0:1]
	s_cbranch_execz .LBB61_59
; %bb.61:                               ;   in Loop: Header=BB61_60 Depth=2
	global_load_ushort v54, v[40:41], off
	s_branch .LBB61_59
.LBB61_62:                              ;   in Loop: Header=BB61_16 Depth=1
	s_or_b64 exec, exec, s[14:15]
.LBB61_63:                              ;   in Loop: Header=BB61_16 Depth=1
	s_or_b64 exec, exec, s[2:3]
	v_readlane_b32 s8, v73, 55
	s_mov_b64 s[80:81], s[4:5]
	v_readlane_b32 s4, v73, 57
	s_mov_b64 s[0:1], 0
	v_readlane_b32 s9, v73, 56
	v_readlane_b32 s5, v73, 58
	s_mov_b64 s[82:83], s[12:13]
.LBB61_64:                              ;   in Loop: Header=BB61_16 Depth=1
	s_and_b64 vcc, exec, s[0:1]
	s_cbranch_vccz .LBB61_74
; %bb.65:                               ;   in Loop: Header=BB61_16 Depth=1
	global_load_ushort v2, v3, s[90:91]
	v_mov_b64_e32 v[8:9], 0
	s_waitcnt vmcnt(0)
	v_readfirstlane_b32 s0, v2
	s_and_b32 s75, 0xffff, s0
	s_lshl_b32 s86, s75, 2
	v_cvt_f32_u32_e32 v4, s86
	s_sub_i32 s0, 0, s86
	v_rcp_iflag_f32_e32 v6, v4
	v_mov_b64_e32 v[4:5], 0
	v_mul_f32_e32 v6, 0x4f7ffffe, v6
	v_cvt_u32_f32_e32 v10, v6
	v_mov_b64_e32 v[6:7], 0
	v_readfirstlane_b32 s1, v10
	s_mul_i32 s0, s0, s1
	s_mul_hi_u32 s0, s1, s0
	s_add_i32 s1, s1, s0
	s_mul_hi_u32 s0, s74, s1
	s_mul_i32 s1, s0, s86
	s_sub_i32 s1, s74, s1
	s_add_i32 s2, s0, 1
	s_sub_i32 s3, s1, s86
	s_cmp_ge_u32 s1, s86
	s_cselect_b32 s0, s2, s0
	s_cselect_b32 s1, s3, s1
	s_add_i32 s2, s0, 1
	s_cmp_ge_u32 s1, s86
	s_cselect_b32 s0, s2, s0
	s_mul_hi_u32 s7, s75, s0
	s_mul_i32 s6, s75, s0
	s_lshl_b64 s[14:15], s[6:7], 2
	v_cmp_gt_u64_e32 vcc, s[14:15], v[16:17]
	v_mov_b64_e32 v[10:11], 0
	s_and_saveexec_b64 s[30:31], vcc
	s_cbranch_execz .LBB61_69
; %bb.66:                               ;   in Loop: Header=BB61_16 Depth=1
	s_mov_b64 s[12:13], s[82:83]
	s_mov_b64 s[4:5], s[80:81]
	s_lshl_b32 s7, s75, 3
	s_mov_b64 s[64:65], 0
	v_mov_b32_e32 v40, v20
	s_mov_b64 s[72:73], 0
	s_mov_b64 s[80:81], 0
	;; [unrolled: 1-line block ×4, first 2 shown]
	v_mov_b64_e32 v[38:39], v[16:17]
.LBB61_67:                              ;   Parent Loop BB61_16 Depth=1
                                        ; =>  This Inner Loop Header: Depth=2
	ds_read_b64 v[4:5], v40
	v_lshl_add_u64 v[38:39], v[38:39], 0, s[86:87]
	v_cmp_le_u64_e32 vcc, s[14:15], v[38:39]
	v_add_u32_e32 v40, s7, v40
	s_waitcnt lgkmcnt(0)
	v_cmp_lt_i16_e64 s[0:1], -1, v4
	v_cmp_o_f16_e64 s[2:3], v5, v5
	s_nop 0
	v_cndmask_b32_e64 v6, v49, v50, s[0:1]
	v_cmp_gt_i16_sdwa s[0:1], v4, v21 src0_sel:WORD_1 src1_sel:DWORD
	v_cmp_o_f16_sdwa s[16:17], v5, v5 src0_sel:WORD_1 src1_sel:WORD_1
	v_cmp_o_f16_e64 s[18:19], v4, v4
	v_cndmask_b32_e64 v7, v49, v50, s[0:1]
	v_cmp_lt_i16_e64 s[0:1], -1, v5
	v_xor_b32_sdwa v7, v7, v4 dst_sel:DWORD dst_unused:UNUSED_PAD src0_sel:DWORD src1_sel:WORD_1
	s_nop 0
	v_cndmask_b32_e64 v8, v49, v50, s[0:1]
	v_cmp_gt_i16_sdwa s[0:1], v5, v21 src0_sel:WORD_1 src1_sel:DWORD
	v_bitop3_b32 v8, v8, v5, s33 bitop3:0x78
	s_nop 0
	v_cndmask_b32_e64 v9, v49, v50, s[0:1]
	v_xor_b32_sdwa v9, v9, v5 dst_sel:DWORD dst_unused:UNUSED_PAD src0_sel:DWORD src1_sel:WORD_1
	v_bitop3_b32 v5, v6, v4, s33 bitop3:0x78
	v_cmp_o_f16_sdwa s[0:1], v4, v4 src0_sel:WORD_1 src1_sel:WORD_1
	v_cndmask_b32_e64 v4, v49, v5, s[18:19]
	v_cndmask_b32_e64 v6, v49, v8, s[2:3]
	;; [unrolled: 1-line block ×3, first 2 shown]
	v_and_b32_e32 v8, v4, v52
	v_bfe_u32 v4, v4, s96, 2
	v_cndmask_b32_e64 v7, v49, v9, s[16:17]
	v_and_b32_e32 v9, v5, v52
	v_bfe_u32 v5, v5, s96, 2
	v_cmp_eq_u32_e64 s[20:21], v8, v48
	v_cmp_eq_u32_e64 s[2:3], 0, v4
	v_and_b32_e32 v10, v6, v52
	v_bfe_u32 v6, v6, s96, 2
	v_cmp_eq_u32_e64 s[18:19], v9, v48
	v_cmp_eq_u32_e64 s[34:35], 0, v5
	s_and_b64 s[2:3], s[20:21], s[2:3]
	v_and_b32_e32 v11, v7, v52
	v_bfe_u32 v7, v7, s96, 2
	v_cmp_eq_u32_e64 s[16:17], v10, v48
	v_cmp_eq_u32_e64 s[36:37], 0, v6
	;; [unrolled: 1-line block ×5, first 2 shown]
	v_cndmask_b32_e64 v4, 0, 1, s[2:3]
	s_and_b64 s[2:3], s[18:19], s[34:35]
	v_cmp_eq_u32_e64 s[0:1], v11, v48
	v_cmp_eq_u32_e64 s[38:39], 0, v7
	;; [unrolled: 1-line block ×5, first 2 shown]
	v_cndmask_b32_e64 v5, 0, 1, s[2:3]
	s_and_b64 s[2:3], s[16:17], s[36:37]
	v_cmp_eq_u32_e64 s[44:45], 1, v6
	v_cmp_eq_u32_e64 s[52:53], 2, v6
	v_cmp_eq_u32_e64 s[24:25], 3, v6
	v_cndmask_b32_e64 v6, 0, 1, s[2:3]
	s_and_b64 s[2:3], s[0:1], s[38:39]
	v_cmp_eq_u32_e64 s[46:47], 1, v7
	v_cmp_eq_u32_e64 s[54:55], 2, v7
	;; [unrolled: 1-line block ×3, first 2 shown]
	v_cndmask_b32_e64 v7, 0, 1, s[2:3]
	v_cmp_ne_u32_e64 s[2:3], 0, v4
	v_cmp_ne_u32_e64 s[34:35], 0, v5
	;; [unrolled: 1-line block ×4, first 2 shown]
	s_bcnt1_i32_b64 s2, s[2:3]
	s_bcnt1_i32_b64 s3, s[34:35]
	s_bcnt1_i32_b64 s34, s[36:37]
	s_bcnt1_i32_b64 s35, s[38:39]
	s_add_u32 s2, s2, s90
	s_addc_u32 s36, 0, s91
	s_add_u32 s2, s2, s3
	s_addc_u32 s3, s36, 0
	;; [unrolled: 2-line block ×4, first 2 shown]
	s_and_b64 s[2:3], s[20:21], s[40:41]
	v_cndmask_b32_e64 v6, 0, 1, s[2:3]
	s_and_b64 s[2:3], s[18:19], s[42:43]
	v_cndmask_b32_e64 v7, 0, 1, s[2:3]
	;; [unrolled: 2-line block ×4, first 2 shown]
	v_cmp_ne_u32_e64 s[2:3], 0, v6
	v_cmp_ne_u32_e64 s[34:35], 0, v7
	;; [unrolled: 1-line block ×4, first 2 shown]
	s_bcnt1_i32_b64 s2, s[2:3]
	s_bcnt1_i32_b64 s3, s[34:35]
	;; [unrolled: 1-line block ×4, first 2 shown]
	s_add_u32 s2, s2, s82
	s_addc_u32 s36, 0, s83
	s_add_u32 s2, s2, s3
	s_addc_u32 s3, s36, 0
	s_add_u32 s2, s2, s34
	s_addc_u32 s3, s3, 0
	s_add_u32 s82, s2, s35
	s_addc_u32 s83, s3, 0
	s_and_b64 s[2:3], s[20:21], s[48:49]
	v_cndmask_b32_e64 v8, 0, 1, s[2:3]
	s_and_b64 s[2:3], s[18:19], s[50:51]
	v_cndmask_b32_e64 v9, 0, 1, s[2:3]
	;; [unrolled: 2-line block ×4, first 2 shown]
	v_cmp_ne_u32_e64 s[2:3], 0, v8
	v_cmp_ne_u32_e64 s[34:35], 0, v9
	;; [unrolled: 1-line block ×4, first 2 shown]
	s_bcnt1_i32_b64 s2, s[2:3]
	s_bcnt1_i32_b64 s3, s[34:35]
	;; [unrolled: 1-line block ×4, first 2 shown]
	s_add_u32 s2, s2, s80
	s_addc_u32 s36, 0, s81
	s_add_u32 s2, s2, s3
	s_addc_u32 s3, s36, 0
	;; [unrolled: 2-line block ×4, first 2 shown]
	s_and_b64 s[2:3], s[20:21], s[28:29]
	v_cndmask_b32_e64 v10, 0, 1, s[2:3]
	s_and_b64 s[2:3], s[18:19], s[26:27]
	v_cndmask_b32_e64 v11, 0, 1, s[2:3]
	s_and_b64 s[2:3], s[16:17], s[24:25]
	s_and_b64 s[0:1], s[0:1], s[22:23]
	v_cndmask_b32_e64 v41, 0, 1, s[2:3]
	v_cndmask_b32_e64 v54, 0, 1, s[0:1]
	v_cmp_ne_u32_e64 s[0:1], 0, v10
	v_cmp_ne_u32_e64 s[2:3], 0, v11
	;; [unrolled: 1-line block ×4, first 2 shown]
	s_bcnt1_i32_b64 s0, s[0:1]
	s_bcnt1_i32_b64 s1, s[2:3]
	;; [unrolled: 1-line block ×4, first 2 shown]
	s_add_u32 s0, s0, s72
	s_addc_u32 s16, 0, s73
	s_add_u32 s0, s0, s1
	s_addc_u32 s1, s16, 0
	;; [unrolled: 2-line block ×4, first 2 shown]
	v_mov_b64_e32 v[4:5], s[90:91]
	v_mov_b64_e32 v[6:7], s[82:83]
	;; [unrolled: 1-line block ×3, first 2 shown]
	s_or_b64 s[64:65], vcc, s[64:65]
	v_mov_b64_e32 v[10:11], s[72:73]
	s_andn2_b64 exec, exec, s[64:65]
	s_cbranch_execnz .LBB61_67
; %bb.68:                               ;   in Loop: Header=BB61_16 Depth=1
	s_or_b64 exec, exec, s[64:65]
	v_readlane_b32 s90, v73, 48
	v_readlane_b32 s8, v73, 55
	s_mov_b64 s[80:81], s[4:5]
	v_readlane_b32 s4, v73, 57
	v_readlane_b32 s91, v73, 49
	v_readlane_b32 s99, v73, 50
	v_readlane_b32 s55, v73, 51
	v_readlane_b32 s54, v73, 52
	v_readlane_b32 s49, v73, 53
	s_mov_b32 s50, 0x5040100
	s_movk_i32 s51, 0x3c00
	v_readlane_b32 s9, v73, 56
	v_readlane_b32 s5, v73, 58
	s_mov_b64 s[82:83], s[12:13]
.LBB61_69:                              ;   in Loop: Header=BB61_16 Depth=1
	s_or_b64 exec, exec, s[30:31]
	s_and_b32 s22, s74, 0x7fffffff
	s_mov_b32 s23, s87
	v_lshl_add_u64 v[38:39], s[14:15], 0, v[0:1]
	v_and_b32_e32 v2, 0xffff, v2
	v_cmp_gt_u64_e32 vcc, s[22:23], v[38:39]
	s_and_saveexec_b64 s[14:15], vcc
	s_cbranch_execz .LBB61_73
; %bb.70:                               ;   in Loop: Header=BB61_16 Depth=1
	v_lshl_add_u32 v40, s6, 3, v43
	s_lshl_b32 s24, s75, 1
	s_mov_b64 s[6:7], 0
.LBB61_71:                              ;   Parent Loop BB61_16 Depth=1
                                        ; =>  This Inner Loop Header: Depth=2
	ds_read_u16 v41, v40
	v_lshl_add_u64 v[38:39], v[38:39], 0, v[2:3]
	v_cmp_le_u64_e32 vcc, s[22:23], v[38:39]
	v_add_u32_e32 v40, s24, v40
	s_waitcnt lgkmcnt(0)
	v_cmp_lt_i16_e64 s[0:1], -1, v41
	s_nop 1
	v_cndmask_b32_e64 v54, v49, v50, s[0:1]
	v_xor_b32_sdwa v54, v54, v41 dst_sel:DWORD dst_unused:UNUSED_PAD src0_sel:DWORD src1_sel:WORD_0
	v_cmp_o_f16_e64 s[0:1], v41, v41
	s_nop 1
	v_cndmask_b32_e64 v41, v49, v54, s[0:1]
	v_and_b32_e32 v54, v41, v52
	v_bfe_u32 v41, v41, s96, 2
	v_cmp_eq_u32_e64 s[0:1], v54, v48
	v_cmp_eq_u32_e64 s[2:3], 0, v41
	;; [unrolled: 1-line block ×3, first 2 shown]
	s_and_b64 s[2:3], s[0:1], s[2:3]
	v_cmp_eq_u32_e64 s[18:19], 2, v41
	v_cmp_eq_u32_e64 s[20:21], 3, v41
	v_cndmask_b32_e64 v41, 0, 1, s[2:3]
	s_and_b64 s[2:3], s[0:1], s[16:17]
	v_cndmask_b32_e64 v54, 0, 1, s[2:3]
	s_and_b64 s[2:3], s[0:1], s[18:19]
	s_and_b64 s[0:1], s[0:1], s[20:21]
	v_cndmask_b32_e64 v58, 0, 1, s[0:1]
	v_cmp_ne_u32_e64 s[0:1], 0, v41
	v_cndmask_b32_e64 v55, 0, 1, s[2:3]
	v_cmp_ne_u32_e64 s[2:3], 0, v54
	s_bcnt1_i32_b64 s86, s[0:1]
	v_cmp_ne_u32_e64 s[16:17], 0, v55
	v_lshl_add_u64 v[4:5], s[86:87], 0, v[4:5]
	s_bcnt1_i32_b64 s86, s[2:3]
	v_cmp_ne_u32_e64 s[18:19], 0, v58
	v_lshl_add_u64 v[6:7], s[86:87], 0, v[6:7]
	s_bcnt1_i32_b64 s86, s[16:17]
	v_lshl_add_u64 v[8:9], s[86:87], 0, v[8:9]
	s_bcnt1_i32_b64 s86, s[18:19]
	s_or_b64 s[6:7], vcc, s[6:7]
	v_lshl_add_u64 v[10:11], s[86:87], 0, v[10:11]
	s_andn2_b64 exec, exec, s[6:7]
	s_cbranch_execnz .LBB61_71
; %bb.72:                               ;   in Loop: Header=BB61_16 Depth=1
	s_or_b64 exec, exec, s[6:7]
.LBB61_73:                              ;   in Loop: Header=BB61_16 Depth=1
	s_or_b64 exec, exec, s[14:15]
	s_mov_b32 s75, s98
.LBB61_74:                              ;   in Loop: Header=BB61_16 Depth=1
	s_lshl_b32 s2, s59, 6
	s_and_saveexec_b64 s[0:1], s[4:5]
	v_readlane_b32 s13, v73, 59
	s_cbranch_execz .LBB61_76
; %bb.75:                               ;   in Loop: Header=BB61_16 Depth=1
	v_lshl_add_u32 v2, s2, 3, v46
	ds_write_b128 v2, v[4:7]
	ds_write_b128 v2, v[8:11] offset:16
.LBB61_76:                              ;   in Loop: Header=BB61_16 Depth=1
	s_or_b64 exec, exec, s[0:1]
	s_waitcnt lgkmcnt(0)
	s_barrier
	s_and_saveexec_b64 s[0:1], s[92:93]
	s_cbranch_execz .LBB61_91
; %bb.77:                               ;   in Loop: Header=BB61_16 Depth=1
	v_readlane_b32 s6, v73, 30
	v_readlane_b32 s7, v73, 31
	s_andn2_b64 vcc, exec, s[6:7]
	v_mov_b64_e32 v[4:5], 0
	s_cbranch_vccnz .LBB61_90
; %bb.78:                               ;   in Loop: Header=BB61_16 Depth=1
	v_readlane_b32 s6, v73, 39
	v_readlane_b32 s7, v73, 40
	s_andn2_b64 vcc, exec, s[6:7]
	s_cbranch_vccnz .LBB61_86
; %bb.79:                               ;   in Loop: Header=BB61_16 Depth=1
	v_lshl_add_u32 v2, s59, 9, v47
	v_mov_b64_e32 v[4:5], 0
	s_mov_b32 s3, 0
.LBB61_80:                              ;   Parent Loop BB61_16 Depth=1
                                        ; =>  This Inner Loop Header: Depth=2
	ds_read2_b64 v[6:9], v2 offset1:4
	ds_read2_b64 v[38:41], v2 offset0:8 offset1:12
	ds_read2_b64 v[58:61], v2 offset0:16 offset1:20
	;; [unrolled: 1-line block ×3, first 2 shown]
	s_add_i32 s3, s3, 8
	s_waitcnt lgkmcnt(3)
	v_lshl_add_u64 v[4:5], v[6:7], 0, v[4:5]
	v_lshl_add_u64 v[4:5], v[8:9], 0, v[4:5]
	s_waitcnt lgkmcnt(2)
	v_lshl_add_u64 v[4:5], v[38:39], 0, v[4:5]
	v_lshl_add_u64 v[4:5], v[40:41], 0, v[4:5]
	;; [unrolled: 3-line block ×3, first 2 shown]
	s_waitcnt lgkmcnt(0)
	v_lshl_add_u64 v[4:5], v[62:63], 0, v[4:5]
	v_add_u32_e32 v2, 0x100, v2
	s_cmp_eq_u32 s13, s3
	v_lshl_add_u64 v[4:5], v[64:65], 0, v[4:5]
	s_cbranch_scc0 .LBB61_80
; %bb.81:                               ;   in Loop: Header=BB61_16 Depth=1
	s_mov_b32 s3, s13
	s_branch .LBB61_87
.LBB61_82:                              ;   in Loop: Header=BB61_16 Depth=1
                                        ; implicit-def: $sgpr82_sgpr83
	s_branch .LBB61_52
.LBB61_83:                              ;   in Loop: Header=BB61_16 Depth=1
	s_or_b64 exec, exec, s[14:15]
	s_waitcnt lgkmcnt(0)
	s_barrier
	s_mov_b64 s[0:1], exec
	v_readlane_b32 s2, v73, 12
	v_readlane_b32 s3, v73, 13
	s_and_b64 s[2:3], s[0:1], s[2:3]
	s_mov_b64 exec, s[2:3]
	s_cbranch_execz .LBB61_85
; %bb.84:                               ;   in Loop: Header=BB61_16 Depth=1
	ds_read_b32 v4, v3 offset:5136
	s_waitcnt lgkmcnt(0)
	v_ashrrev_i32_e32 v5, 31, v4
	ds_write_b64 v3, v[4:5] offset:5120
.LBB61_85:                              ;   in Loop: Header=BB61_16 Depth=1
	s_or_b64 exec, exec, s[0:1]
	s_waitcnt lgkmcnt(0)
	s_barrier
	s_mov_b64 s[0:1], -1
	s_and_b64 vcc, exec, s[6:7]
	s_cbranch_vccnz .LBB61_32
	s_branch .LBB61_47
.LBB61_86:                              ;   in Loop: Header=BB61_16 Depth=1
	s_mov_b32 s3, 0
	v_mov_b64_e32 v[4:5], 0
.LBB61_87:                              ;   in Loop: Header=BB61_16 Depth=1
	v_readlane_b32 s6, v73, 42
	v_readlane_b32 s7, v73, 43
	s_andn2_b64 vcc, exec, s[6:7]
	s_cbranch_vccnz .LBB61_90
; %bb.88:                               ;   in Loop: Header=BB61_16 Depth=1
	s_lshl_b32 s6, s59, 9
	s_lshl_b32 s3, s3, 5
	s_add_i32 s6, s6, s3
	v_add_u32_e32 v2, s6, v47
	v_readlane_b32 s3, v73, 41
.LBB61_89:                              ;   Parent Loop BB61_16 Depth=1
                                        ; =>  This Inner Loop Header: Depth=2
	ds_read_b64 v[6:7], v2
	s_add_i32 s3, s3, -1
	v_add_u32_e32 v2, 32, v2
	s_cmp_lg_u32 s3, 0
	s_waitcnt lgkmcnt(0)
	v_lshl_add_u64 v[4:5], v[6:7], 0, v[4:5]
	s_cbranch_scc1 .LBB61_89
.LBB61_90:                              ;   in Loop: Header=BB61_16 Depth=1
	v_add_lshl_u32 v2, s2, v42, 3
	ds_write_b64 v2, v[4:5] offset:3072
.LBB61_91:                              ;   in Loop: Header=BB61_16 Depth=1
	s_or_b64 exec, exec, s[0:1]
	s_lshl_b32 s0, s2, 3
	v_mov_b32_e32 v2, s0
	s_waitcnt lgkmcnt(0)
	s_barrier
	ds_read_b128 v[8:11], v2 offset:3088
	ds_read_b128 v[4:7], v2 offset:3072
	s_lshl_b32 s72, 3, s96
	v_cmp_eq_u64_e64 s[0:1], 1, v[36:37]
	s_not_b32 s52, s72
	s_waitcnt lgkmcnt(1)
	v_readfirstlane_b32 s22, v8
	s_waitcnt lgkmcnt(0)
	v_cmp_eq_u64_e32 vcc, 1, v[4:5]
	v_readfirstlane_b32 s23, v9
	v_readfirstlane_b32 s2, v10
	;; [unrolled: 1-line block ×3, first 2 shown]
	s_and_b64 s[18:19], vcc, s[0:1]
	s_mov_b64 s[0:1], -1
	s_mov_b64 s[20:21], -1
                                        ; implicit-def: $sgpr14_sgpr15
                                        ; implicit-def: $sgpr6_sgpr7
	s_and_saveexec_b64 s[16:17], s[18:19]
	s_cbranch_execz .LBB61_127
; %bb.92:                               ;   in Loop: Header=BB61_16 Depth=1
	ds_read_b64 v[8:9], v3 offset:5120
	s_waitcnt lgkmcnt(0)
	s_barrier
	v_readfirstlane_b32 s20, v8
	v_readfirstlane_b32 s21, v9
	s_mov_b64 s[6:7], exec
	v_readlane_b32 s14, v73, 24
	v_readlane_b32 s15, v73, 25
	s_and_b64 s[14:15], s[6:7], s[14:15]
	s_mov_b64 exec, s[14:15]
; %bb.93:                               ;   in Loop: Header=BB61_16 Depth=1
	ds_write_b16 v44, v3
; %bb.94:                               ;   in Loop: Header=BB61_16 Depth=1
	s_or_b64 exec, exec, s[6:7]
	v_cmp_lt_i64_e64 s[24:25], s[20:21], 1
	v_and_b32_e32 v48, s52, v48
	v_or_b32_e32 v52, s72, v52
	s_mov_b64 s[6:7], -1
	s_mov_b64 s[14:15], 0
	s_and_b64 vcc, exec, s[24:25]
	s_mov_b64 s[24:25], 0
	s_mov_b64 s[26:27], -1
	s_waitcnt lgkmcnt(0)
	s_barrier
                                        ; implicit-def: $vgpr53
	s_cbranch_vccz .LBB61_111
; %bb.95:                               ;   in Loop: Header=BB61_16 Depth=1
	s_mov_b32 s94, s87
	s_cmp_lg_u64 s[94:95], 0
	s_cbranch_scc0 .LBB61_97
; %bb.96:                               ;   in Loop: Header=BB61_16 Depth=1
	s_add_u32 s24, s84, 0
	s_addc_u32 s25, 0, 0
	s_xor_b64 s[24:25], s[24:25], 0
	v_cvt_f32_u32_e32 v2, s24
	v_cvt_f32_u32_e32 v8, s25
	s_sub_u32 s28, 0, s24
	s_subb_u32 s29, 0, s25
	v_fmac_f32_e32 v2, 0x4f800000, v8
	v_rcp_f32_e32 v2, v2
	s_nop 0
	v_mul_f32_e32 v2, 0x5f7ffffc, v2
	v_mul_f32_e32 v8, 0x2f800000, v2
	v_trunc_f32_e32 v8, v8
	v_fmac_f32_e32 v2, 0xcf800000, v8
	v_cvt_u32_f32_e32 v8, v8
	v_cvt_u32_f32_e32 v2, v2
	v_readfirstlane_b32 s30, v8
	v_readfirstlane_b32 s26, v2
	s_mul_i32 s27, s28, s30
	s_mul_hi_u32 s34, s28, s26
	s_mul_i32 s31, s29, s26
	s_add_i32 s27, s34, s27
	s_mul_i32 s35, s28, s26
	s_add_i32 s27, s27, s31
	s_mul_i32 s34, s26, s27
	s_mul_hi_u32 s36, s26, s35
	s_mul_hi_u32 s31, s26, s27
	s_add_u32 s34, s36, s34
	s_addc_u32 s31, 0, s31
	s_mul_hi_u32 s37, s30, s35
	s_mul_i32 s35, s30, s35
	s_add_u32 s34, s34, s35
	s_mul_hi_u32 s36, s30, s27
	s_addc_u32 s31, s31, s37
	s_addc_u32 s34, s36, 0
	s_mul_i32 s27, s30, s27
	s_add_u32 s27, s31, s27
	s_addc_u32 s31, 0, s34
	s_add_u32 s34, s26, s27
	s_cselect_b64 s[26:27], -1, 0
	s_cmp_lg_u64 s[26:27], 0
	s_addc_u32 s30, s30, s31
	s_mul_i32 s26, s28, s30
	s_mul_hi_u32 s27, s28, s34
	s_add_i32 s26, s27, s26
	s_mul_i32 s29, s29, s34
	s_add_i32 s26, s26, s29
	s_mul_i32 s28, s28, s34
	s_mul_hi_u32 s29, s30, s28
	s_mul_i32 s31, s30, s28
	s_mul_i32 s36, s34, s26
	s_mul_hi_u32 s28, s34, s28
	s_mul_hi_u32 s35, s34, s26
	s_add_u32 s28, s28, s36
	s_addc_u32 s35, 0, s35
	s_add_u32 s28, s28, s31
	s_mul_hi_u32 s27, s30, s26
	s_addc_u32 s28, s35, s29
	s_addc_u32 s27, s27, 0
	s_mul_i32 s26, s30, s26
	s_add_u32 s26, s28, s26
	s_addc_u32 s28, 0, s27
	s_add_u32 s31, s34, s26
	s_cselect_b64 s[26:27], -1, 0
	s_cmp_lg_u64 s[26:27], 0
	s_addc_u32 s30, s30, s28
	s_ashr_i32 s26, s95, 31
	s_add_u32 s28, s66, s26
	s_mov_b32 s27, s26
	s_addc_u32 s29, s95, s26
	s_xor_b64 s[28:29], s[28:29], s[26:27]
	s_mul_i32 s35, s28, s30
	s_mul_hi_u32 s36, s28, s31
	s_mul_hi_u32 s34, s28, s30
	s_add_u32 s35, s36, s35
	s_addc_u32 s34, 0, s34
	s_mul_hi_u32 s37, s29, s31
	s_mul_i32 s31, s29, s31
	s_add_u32 s31, s35, s31
	s_mul_hi_u32 s36, s29, s30
	s_addc_u32 s31, s34, s37
	s_addc_u32 s34, s36, 0
	s_mul_i32 s30, s29, s30
	s_add_u32 s30, s31, s30
	s_addc_u32 s31, 0, s34
	s_mul_i32 s31, s24, s31
	s_mul_hi_u32 s34, s24, s30
	s_add_i32 s31, s34, s31
	s_mul_i32 s34, s25, s30
	s_add_i32 s36, s31, s34
	s_sub_i32 s34, s29, s36
	s_mul_i32 s30, s24, s30
	s_sub_u32 s28, s28, s30
	s_cselect_b64 s[30:31], -1, 0
	s_cmp_lg_u64 s[30:31], 0
	s_subb_u32 s37, s34, s25
	s_sub_u32 s38, s28, s24
	s_cselect_b64 s[34:35], -1, 0
	s_cmp_lg_u64 s[34:35], 0
	s_subb_u32 s39, s37, 0
	s_cmp_ge_u32 s39, s25
	s_cselect_b32 s40, -1, 0
	s_cmp_ge_u32 s38, s24
	s_cselect_b32 s41, -1, 0
	s_cmp_eq_u32 s39, s25
	s_cselect_b32 s40, s41, s40
	s_cmp_lg_u64 s[34:35], 0
	s_subb_u32 s37, s37, s25
	s_sub_u32 s41, s38, s24
	s_cselect_b64 s[34:35], -1, 0
	s_cmp_lg_u64 s[34:35], 0
	s_subb_u32 s34, s37, 0
	s_cmp_lg_u32 s40, 0
	s_cselect_b32 s35, s41, s38
	s_cselect_b32 s34, s34, s39
	s_cmp_lg_u64 s[30:31], 0
	s_subb_u32 s29, s29, s36
	s_cmp_ge_u32 s29, s25
	s_cselect_b32 s30, -1, 0
	s_cmp_ge_u32 s28, s24
	s_cselect_b32 s24, -1, 0
	s_cmp_eq_u32 s29, s25
	s_cselect_b32 s24, s24, s30
	s_cmp_lg_u32 s24, 0
	s_cselect_b32 s25, s34, s29
	s_cselect_b32 s24, s35, s28
	s_xor_b64 s[24:25], s[24:25], s[26:27]
	s_sub_u32 s24, s24, s26
	s_subb_u32 s25, s25, s26
	s_mov_b64 s[26:27], 0
	s_branch .LBB61_98
.LBB61_97:                              ;   in Loop: Header=BB61_16 Depth=1
                                        ; implicit-def: $sgpr24_sgpr25
.LBB61_98:                              ;   in Loop: Header=BB61_16 Depth=1
	s_andn2_b64 vcc, exec, s[26:27]
	v_readlane_b32 s94, v73, 54
	s_cbranch_vccnz .LBB61_100
; %bb.99:                               ;   in Loop: Header=BB61_16 Depth=1
	v_cvt_f32_u32_e32 v2, s84
	s_sub_i32 s24, 0, s84
	v_rcp_iflag_f32_e32 v2, v2
	s_nop 0
	v_mul_f32_e32 v2, 0x4f7ffffe, v2
	v_cvt_u32_f32_e32 v2, v2
	s_nop 0
	v_readfirstlane_b32 s25, v2
	s_mul_i32 s24, s24, s25
	s_mul_hi_u32 s24, s25, s24
	s_add_i32 s25, s25, s24
	s_mul_hi_u32 s24, s66, s25
	s_mul_i32 s24, s24, s84
	s_sub_i32 s24, s66, s24
	s_sub_i32 s25, s24, s84
	s_cmp_ge_u32 s24, s84
	s_cselect_b32 s24, s25, s24
	s_sub_i32 s25, s24, s84
	s_cmp_ge_u32 s24, s84
	s_cselect_b32 s86, s25, s24
	s_mov_b64 s[24:25], s[86:87]
.LBB61_100:                             ;   in Loop: Header=BB61_16 Depth=1
	s_sub_u32 s30, s66, s24
	s_subb_u32 s31, s95, s25
	v_cmp_gt_i64_e32 vcc, s[30:31], v[0:1]
	s_mov_b64 s[26:27], 0
	s_mov_b64 s[24:25], 0
                                        ; implicit-def: $vgpr53
	s_and_saveexec_b64 s[28:29], vcc
	s_cbranch_execz .LBB61_110
; %bb.101:                              ;   in Loop: Header=BB61_16 Depth=1
	v_mov_b64_e32 v[8:9], v[12:13]
	v_mov_b64_e32 v[10:11], v[0:1]
                                        ; implicit-def: $sgpr34_sgpr35
	s_branch .LBB61_105
.LBB61_102:                             ;   in Loop: Header=BB61_105 Depth=2
	s_or_b64 exec, exec, s[36:37]
	s_waitcnt lgkmcnt(0)
	s_barrier
	ds_read_b32 v2, v3 offset:3072
	s_waitcnt lgkmcnt(0)
	s_barrier
	v_cmp_neq_f16_e32 vcc, 0, v2
	s_cbranch_vccnz .LBB61_108
; %bb.103:                              ;   in Loop: Header=BB61_105 Depth=2
	v_lshl_add_u64 v[10:11], v[10:11], 0, s[84:85]
	v_cmp_le_i64_e32 vcc, s[30:31], v[10:11]
	v_lshl_add_u64 v[8:9], v[8:9], 0, s[88:89]
	s_mov_b64 s[36:37], 0
	s_orn2_b64 s[38:39], vcc, exec
.LBB61_104:                             ;   in Loop: Header=BB61_105 Depth=2
	s_and_b64 s[38:39], exec, s[38:39]
	s_or_b64 s[24:25], s[38:39], s[24:25]
	s_andn2_b64 s[34:35], s[34:35], exec
	s_and_b64 s[36:37], s[36:37], exec
	s_or_b64 s[34:35], s[34:35], s[36:37]
	s_andn2_b64 exec, exec, s[24:25]
	s_cbranch_execz .LBB61_109
.LBB61_105:                             ;   Parent Loop BB61_16 Depth=1
                                        ; =>  This Inner Loop Header: Depth=2
	v_cmp_gt_i64_e32 vcc, s[56:57], v[10:11]
	s_and_saveexec_b64 s[36:37], vcc
	s_cbranch_execz .LBB61_102
; %bb.106:                              ;   in Loop: Header=BB61_105 Depth=2
	global_load_ushort v2, v[8:9], off
	s_waitcnt vmcnt(0)
	v_cmp_lt_i16_e32 vcc, -1, v2
	s_nop 1
	v_cndmask_b32_e32 v38, v49, v50, vcc
	v_xor_b32_sdwa v38, v38, v2 dst_sel:DWORD dst_unused:UNUSED_PAD src0_sel:DWORD src1_sel:WORD_0
	v_cmp_o_f16_e32 vcc, v2, v2
	s_nop 1
	v_cndmask_b32_e32 v38, v49, v38, vcc
	v_and_b32_e32 v38, v38, v52
	v_cmp_eq_u32_e32 vcc, v38, v48
	s_and_b64 exec, exec, vcc
	s_cbranch_execz .LBB61_102
; %bb.107:                              ;   in Loop: Header=BB61_105 Depth=2
	v_perm_b32 v2, v2, s51, v51
	ds_write_b32 v3, v2 offset:3072
	s_branch .LBB61_102
.LBB61_108:                             ;   in Loop: Header=BB61_105 Depth=2
	s_mov_b64 s[38:39], -1
                                        ; implicit-def: $vgpr10_vgpr11
                                        ; implicit-def: $vgpr8_vgpr9
	s_mov_b64 s[36:37], -1
	s_branch .LBB61_104
.LBB61_109:                             ;   in Loop: Header=BB61_16 Depth=1
	s_or_b64 exec, exec, s[24:25]
	v_lshrrev_b32_e32 v53, 16, v2
	s_and_b64 s[24:25], s[34:35], exec
.LBB61_110:                             ;   in Loop: Header=BB61_16 Depth=1
	s_or_b64 exec, exec, s[28:29]
.LBB61_111:                             ;   in Loop: Header=BB61_16 Depth=1
	s_and_b64 vcc, exec, s[26:27]
	s_cbranch_vccz .LBB61_126
; %bb.112:                              ;   in Loop: Header=BB61_16 Depth=1
	v_readlane_b32 s6, v73, 32
	s_add_u32 s28, s20, s6
	v_readlane_b32 s6, v73, 33
	s_addc_u32 s7, s21, s6
	s_mov_b32 s6, s87
	s_cmp_lg_u64 s[6:7], 0
	s_cbranch_scc0 .LBB61_144
; %bb.113:                              ;   in Loop: Header=BB61_16 Depth=1
	s_add_u32 s14, s84, 0
	s_addc_u32 s15, 0, 0
	s_xor_b64 s[14:15], s[14:15], 0
	v_cvt_f32_u32_e32 v2, s14
	v_cvt_f32_u32_e32 v8, s15
	s_sub_u32 s6, 0, s14
	s_subb_u32 s29, 0, s15
	v_fmac_f32_e32 v2, 0x4f800000, v8
	v_rcp_f32_e32 v2, v2
	s_nop 0
	v_mul_f32_e32 v2, 0x5f7ffffc, v2
	v_mul_f32_e32 v8, 0x2f800000, v2
	v_trunc_f32_e32 v8, v8
	v_fmac_f32_e32 v2, 0xcf800000, v8
	v_cvt_u32_f32_e32 v8, v8
	v_cvt_u32_f32_e32 v2, v2
	v_readfirstlane_b32 s30, v8
	v_readfirstlane_b32 s26, v2
	s_mul_i32 s27, s6, s30
	s_mul_hi_u32 s34, s6, s26
	s_mul_i32 s31, s29, s26
	s_add_i32 s27, s34, s27
	s_mul_i32 s35, s6, s26
	s_add_i32 s27, s27, s31
	s_mul_i32 s34, s26, s27
	s_mul_hi_u32 s36, s26, s35
	s_mul_hi_u32 s31, s26, s27
	s_add_u32 s34, s36, s34
	s_addc_u32 s31, 0, s31
	s_mul_hi_u32 s37, s30, s35
	s_mul_i32 s35, s30, s35
	s_add_u32 s34, s34, s35
	s_mul_hi_u32 s36, s30, s27
	s_addc_u32 s31, s31, s37
	s_addc_u32 s34, s36, 0
	s_mul_i32 s27, s30, s27
	s_add_u32 s27, s31, s27
	s_addc_u32 s31, 0, s34
	s_add_u32 s34, s26, s27
	s_cselect_b64 s[26:27], -1, 0
	s_cmp_lg_u64 s[26:27], 0
	s_addc_u32 s30, s30, s31
	s_mul_i32 s26, s6, s30
	s_mul_hi_u32 s27, s6, s34
	s_add_i32 s26, s27, s26
	s_mul_i32 s29, s29, s34
	s_add_i32 s26, s26, s29
	s_mul_i32 s6, s6, s34
	s_mul_hi_u32 s29, s30, s6
	s_mul_i32 s31, s30, s6
	s_mul_i32 s36, s34, s26
	s_mul_hi_u32 s6, s34, s6
	s_mul_hi_u32 s35, s34, s26
	s_add_u32 s6, s6, s36
	s_addc_u32 s35, 0, s35
	s_add_u32 s6, s6, s31
	s_mul_hi_u32 s27, s30, s26
	s_addc_u32 s6, s35, s29
	s_addc_u32 s27, s27, 0
	s_mul_i32 s26, s30, s26
	s_add_u32 s6, s6, s26
	s_addc_u32 s29, 0, s27
	s_add_u32 s6, s34, s6
	s_cselect_b64 s[26:27], -1, 0
	s_cmp_lg_u64 s[26:27], 0
	s_addc_u32 s29, s30, s29
	s_ashr_i32 s26, s7, 31
	s_add_u32 s30, s28, s26
	s_mov_b32 s27, s26
	s_addc_u32 s31, s7, s26
	s_xor_b64 s[30:31], s[30:31], s[26:27]
	s_mul_i32 s35, s30, s29
	s_mul_hi_u32 s36, s30, s6
	s_mul_hi_u32 s34, s30, s29
	s_add_u32 s35, s36, s35
	s_addc_u32 s34, 0, s34
	s_mul_hi_u32 s37, s31, s6
	s_mul_i32 s6, s31, s6
	s_add_u32 s6, s35, s6
	s_mul_hi_u32 s36, s31, s29
	s_addc_u32 s6, s34, s37
	s_addc_u32 s34, s36, 0
	s_mul_i32 s29, s31, s29
	s_add_u32 s6, s6, s29
	s_addc_u32 s29, 0, s34
	s_mul_i32 s29, s14, s29
	s_mul_hi_u32 s34, s14, s6
	s_add_i32 s29, s34, s29
	s_mul_i32 s34, s15, s6
	s_add_i32 s29, s29, s34
	s_sub_i32 s36, s31, s29
	s_mul_i32 s6, s14, s6
	s_sub_u32 s6, s30, s6
	s_cselect_b64 s[34:35], -1, 0
	s_cmp_lg_u64 s[34:35], 0
	s_subb_u32 s30, s36, s15
	s_sub_u32 s38, s6, s14
	s_cselect_b64 s[36:37], -1, 0
	s_cmp_lg_u64 s[36:37], 0
	s_subb_u32 s39, s30, 0
	s_cmp_ge_u32 s39, s15
	s_cselect_b32 s40, -1, 0
	s_cmp_ge_u32 s38, s14
	s_cselect_b32 s41, -1, 0
	s_cmp_eq_u32 s39, s15
	s_cselect_b32 s40, s41, s40
	s_cmp_lg_u64 s[36:37], 0
	s_subb_u32 s30, s30, s15
	s_sub_u32 s41, s38, s14
	s_cselect_b64 s[36:37], -1, 0
	s_cmp_lg_u64 s[36:37], 0
	s_subb_u32 s30, s30, 0
	s_cmp_lg_u32 s40, 0
	s_cselect_b32 s36, s41, s38
	s_cselect_b32 s30, s30, s39
	s_cmp_lg_u64 s[34:35], 0
	s_subb_u32 s29, s31, s29
	s_cmp_ge_u32 s29, s15
	s_cselect_b32 s31, -1, 0
	s_cmp_ge_u32 s6, s14
	s_cselect_b32 s14, -1, 0
	s_cmp_eq_u32 s29, s15
	s_cselect_b32 s14, s14, s31
	s_cmp_lg_u32 s14, 0
	s_cselect_b32 s15, s30, s29
	s_cselect_b32 s14, s36, s6
	s_xor_b64 s[14:15], s[14:15], s[26:27]
	s_sub_u32 s14, s14, s26
	s_subb_u32 s15, s15, s26
	s_cbranch_execnz .LBB61_115
.LBB61_114:                             ;   in Loop: Header=BB61_16 Depth=1
	v_cvt_f32_u32_e32 v2, s84
	s_sub_i32 s6, 0, s84
	v_rcp_iflag_f32_e32 v2, v2
	s_nop 0
	v_mul_f32_e32 v2, 0x4f7ffffe, v2
	v_cvt_u32_f32_e32 v2, v2
	s_nop 0
	v_readfirstlane_b32 s14, v2
	s_mul_i32 s6, s6, s14
	s_mul_hi_u32 s6, s14, s6
	s_add_i32 s14, s14, s6
	s_mul_hi_u32 s6, s28, s14
	s_mul_i32 s6, s6, s84
	s_sub_i32 s6, s28, s6
	s_sub_i32 s14, s6, s84
	s_cmp_ge_u32 s6, s84
	s_cselect_b32 s6, s14, s6
	s_sub_i32 s14, s6, s84
	s_cmp_ge_u32 s6, s84
	s_cselect_b32 s86, s14, s6
	s_mov_b64 s[14:15], s[86:87]
.LBB61_115:                             ;   in Loop: Header=BB61_16 Depth=1
	s_sub_u32 s14, s28, s14
	s_subb_u32 s15, s7, s15
	v_cmp_gt_i64_e32 vcc, s[14:15], v[0:1]
                                        ; implicit-def: $vgpr53
	s_and_saveexec_b64 s[6:7], vcc
	s_cbranch_execz .LBB61_125
; %bb.116:                              ;   in Loop: Header=BB61_16 Depth=1
	s_mov_b64 s[26:27], 0
	v_mov_b32_e32 v2, v43
	v_mov_b64_e32 v[8:9], v[0:1]
                                        ; implicit-def: $sgpr28_sgpr29
	s_branch .LBB61_120
.LBB61_117:                             ;   in Loop: Header=BB61_120 Depth=2
	s_or_b64 exec, exec, s[30:31]
	s_waitcnt lgkmcnt(0)
	s_barrier
	ds_read_b32 v10, v3 offset:3072
	s_waitcnt lgkmcnt(0)
	s_barrier
	v_cmp_neq_f16_e32 vcc, 0, v10
	s_cbranch_vccnz .LBB61_123
; %bb.118:                              ;   in Loop: Header=BB61_120 Depth=2
	v_lshl_add_u64 v[8:9], v[8:9], 0, s[84:85]
	v_cmp_le_i64_e32 vcc, s[14:15], v[8:9]
	v_add_u32_e32 v2, s94, v2
	s_mov_b64 s[30:31], 0
	s_orn2_b64 s[34:35], vcc, exec
.LBB61_119:                             ;   in Loop: Header=BB61_120 Depth=2
	s_and_b64 s[34:35], exec, s[34:35]
	s_or_b64 s[26:27], s[34:35], s[26:27]
	s_andn2_b64 s[28:29], s[28:29], exec
	s_and_b64 s[30:31], s[30:31], exec
	s_or_b64 s[28:29], s[28:29], s[30:31]
	s_andn2_b64 exec, exec, s[26:27]
	s_cbranch_execz .LBB61_124
.LBB61_120:                             ;   Parent Loop BB61_16 Depth=1
                                        ; =>  This Inner Loop Header: Depth=2
	v_cmp_gt_u64_e32 vcc, s[20:21], v[8:9]
	s_and_saveexec_b64 s[30:31], vcc
	s_cbranch_execz .LBB61_117
; %bb.121:                              ;   in Loop: Header=BB61_120 Depth=2
	ds_read_u16 v10, v2
	s_waitcnt lgkmcnt(0)
	v_cmp_lt_i16_e32 vcc, -1, v10
	s_nop 1
	v_cndmask_b32_e32 v11, v49, v50, vcc
	v_xor_b32_sdwa v11, v11, v10 dst_sel:DWORD dst_unused:UNUSED_PAD src0_sel:DWORD src1_sel:WORD_0
	v_cmp_o_f16_e32 vcc, v10, v10
	s_nop 1
	v_cndmask_b32_e32 v11, v49, v11, vcc
	v_and_b32_e32 v11, v11, v52
	v_cmp_eq_u32_e32 vcc, v11, v48
	s_and_b64 exec, exec, vcc
	s_cbranch_execz .LBB61_117
; %bb.122:                              ;   in Loop: Header=BB61_120 Depth=2
	v_perm_b32 v10, v10, s51, v51
	ds_write_b32 v3, v10 offset:3072
	s_branch .LBB61_117
.LBB61_123:                             ;   in Loop: Header=BB61_120 Depth=2
	s_mov_b64 s[34:35], -1
                                        ; implicit-def: $vgpr8_vgpr9
                                        ; implicit-def: $vgpr2
	s_mov_b64 s[30:31], -1
	s_branch .LBB61_119
.LBB61_124:                             ;   in Loop: Header=BB61_16 Depth=1
	s_or_b64 exec, exec, s[26:27]
	s_andn2_b64 s[14:15], s[24:25], exec
	s_and_b64 s[20:21], s[28:29], exec
	v_lshrrev_b32_e32 v53, 16, v10
	s_or_b64 s[24:25], s[14:15], s[20:21]
.LBB61_125:                             ;   in Loop: Header=BB61_16 Depth=1
	s_or_b64 exec, exec, s[6:7]
	s_mov_b64 s[6:7], 0
	s_mov_b64 s[14:15], -1
.LBB61_126:                             ;   in Loop: Header=BB61_16 Depth=1
	s_orn2_b64 s[20:21], s[24:25], exec
.LBB61_127:                             ;   in Loop: Header=BB61_16 Depth=1
	s_or_b64 exec, exec, s[16:17]
	s_andn2_b64 s[16:17], s[76:77], exec
	s_and_b64 s[14:15], s[14:15], exec
	s_or_b64 s[24:25], s[16:17], s[14:15]
	v_readlane_b32 s14, v73, 61
	v_readlane_b32 s15, v73, 62
	s_andn2_b64 s[14:15], s[14:15], exec
	s_and_b64 s[6:7], s[6:7], exec
	s_andn2_b64 s[26:27], s[60:61], exec
	s_or_b64 s[78:79], s[14:15], s[6:7]
                                        ; implicit-def: $vgpr8_vgpr9
	s_and_saveexec_b64 s[16:17], s[20:21]
	s_cbranch_execz .LBB61_15
; %bb.128:                              ;   in Loop: Header=BB61_16 Depth=1
	s_mov_b64 s[76:77], s[24:25]
	s_mov_b64 s[60:61], s[26:27]
	s_xor_b64 s[6:7], s[18:19], -1
	v_mov_b32_e32 v2, 1
	s_mov_b64 s[14:15], 0
	v_mov_b64_e32 v[8:9], 1
	s_and_saveexec_b64 s[0:1], s[6:7]
	s_cbranch_execz .LBB61_137
; %bb.129:                              ;   in Loop: Header=BB61_16 Depth=1
	v_cmp_le_i64_e32 vcc, v[36:37], v[4:5]
	s_and_saveexec_b64 s[6:7], vcc
	s_xor_b64 s[6:7], exec, s[6:7]
	s_cbranch_execz .LBB61_134
; %bb.130:                              ;   in Loop: Header=BB61_16 Depth=1
	ds_read_b64 v[8:9], v3 offset:5120
	v_and_b32_e32 v48, s52, v48
	v_or_b32_e32 v52, s72, v52
	s_waitcnt lgkmcnt(0)
	v_cmp_ne_u64_e32 vcc, 0, v[8:9]
	s_cbranch_vccnz .LBB61_134
; %bb.131:                              ;   in Loop: Header=BB61_16 Depth=1
	s_mov_b64 s[14:15], exec
	v_readlane_b32 s18, v73, 12
	v_readlane_b32 s19, v73, 13
	s_and_b64 s[18:19], s[14:15], s[18:19]
	s_mov_b64 exec, s[18:19]
; %bb.132:                              ;   in Loop: Header=BB61_16 Depth=1
	ds_write_b64 v3, v[4:5] offset:5128
; %bb.133:                              ;   in Loop: Header=BB61_16 Depth=1
	s_or_b64 exec, exec, s[14:15]
	s_waitcnt lgkmcnt(0)
	s_barrier
.LBB61_134:                             ;   in Loop: Header=BB61_16 Depth=1
	s_or_saveexec_b64 s[6:7], s[6:7]
	s_mov_b64 s[14:15], 0
	v_mov_b32_e32 v2, 8
	s_xor_b64 exec, exec, s[6:7]
; %bb.135:                              ;   in Loop: Header=BB61_16 Depth=1
	v_sub_co_u32_e32 v36, vcc, v36, v4
	s_mov_b64 s[14:15], exec
	s_nop 0
	v_subb_co_u32_e32 v37, vcc, v37, v5, vcc
	v_mov_b32_e32 v2, 0
; %bb.136:                              ;   in Loop: Header=BB61_16 Depth=1
	s_or_b64 exec, exec, s[6:7]
	s_and_b64 s[14:15], s[14:15], exec
	v_mov_b64_e32 v[8:9], v[36:37]
.LBB61_137:                             ;   in Loop: Header=BB61_16 Depth=1
	s_or_b64 exec, exec, s[0:1]
	s_mov_b64 s[18:19], -1
	s_mov_b64 s[6:7], -1
                                        ; implicit-def: $sgpr0_sgpr1
                                        ; implicit-def: $sgpr24_sgpr25
	s_and_saveexec_b64 s[20:21], s[14:15]
	s_xor_b64 s[20:21], exec, s[20:21]
	s_cbranch_execz .LBB61_288
; %bb.138:                              ;   in Loop: Header=BB61_16 Depth=1
	v_cmp_eq_u64_e32 vcc, 1, v[6:7]
	v_cmp_eq_u64_e64 s[0:1], 1, v[8:9]
	s_and_b64 s[28:29], vcc, s[0:1]
                                        ; implicit-def: $sgpr24_sgpr25
                                        ; implicit-def: $sgpr0_sgpr1
	s_and_saveexec_b64 s[26:27], s[28:29]
	s_cbranch_execz .LBB61_175
; %bb.139:                              ;   in Loop: Header=BB61_16 Depth=1
	ds_read_b64 v[4:5], v3 offset:5120
	s_waitcnt lgkmcnt(0)
	s_barrier
	v_readfirstlane_b32 s34, v4
	v_readfirstlane_b32 s35, v5
	s_mov_b64 s[0:1], exec
	v_readlane_b32 s6, v73, 24
	v_readlane_b32 s7, v73, 25
	s_and_b64 s[6:7], s[0:1], s[6:7]
	s_mov_b64 exec, s[6:7]
; %bb.140:                              ;   in Loop: Header=BB61_16 Depth=1
	ds_write_b16 v44, v3
; %bb.141:                              ;   in Loop: Header=BB61_16 Depth=1
	s_or_b64 exec, exec, s[0:1]
	v_and_b32_e32 v4, s52, v48
	v_cmp_gt_i64_e64 s[6:7], s[34:35], 0
	v_lshl_or_b32 v48, 1, s96, v4
	v_or_b32_e32 v52, s72, v52
	s_mov_b64 s[0:1], -1
	s_mov_b64 s[24:25], 0
	s_and_b64 vcc, exec, s[6:7]
	s_mov_b64 s[6:7], 0
	s_mov_b64 s[14:15], -1
	s_waitcnt lgkmcnt(0)
	s_barrier
                                        ; implicit-def: $vgpr53
	s_cbranch_vccnz .LBB61_159
; %bb.142:                              ;   in Loop: Header=BB61_16 Depth=1
	s_mov_b32 s94, s87
	s_cmp_lg_u64 s[94:95], 0
	s_cbranch_scc0 .LBB61_145
; %bb.143:                              ;   in Loop: Header=BB61_16 Depth=1
	s_add_u32 s6, s84, 0
	s_addc_u32 s7, 0, 0
	s_xor_b64 s[6:7], s[6:7], 0
	v_cvt_f32_u32_e32 v4, s6
	v_cvt_f32_u32_e32 v5, s7
	s_sub_u32 s30, 0, s6
	s_subb_u32 s31, 0, s7
	v_fmac_f32_e32 v4, 0x4f800000, v5
	v_rcp_f32_e32 v4, v4
	s_nop 0
	v_mul_f32_e32 v4, 0x5f7ffffc, v4
	v_mul_f32_e32 v5, 0x2f800000, v4
	v_trunc_f32_e32 v5, v5
	v_fmac_f32_e32 v4, 0xcf800000, v5
	v_cvt_u32_f32_e32 v5, v5
	v_cvt_u32_f32_e32 v4, v4
	v_readfirstlane_b32 s36, v5
	v_readfirstlane_b32 s14, v4
	s_mul_i32 s15, s30, s36
	s_mul_hi_u32 s38, s30, s14
	s_mul_i32 s37, s31, s14
	s_add_i32 s15, s38, s15
	s_mul_i32 s39, s30, s14
	s_add_i32 s15, s15, s37
	s_mul_i32 s38, s14, s15
	s_mul_hi_u32 s40, s14, s39
	s_mul_hi_u32 s37, s14, s15
	s_add_u32 s38, s40, s38
	s_addc_u32 s37, 0, s37
	s_mul_hi_u32 s41, s36, s39
	s_mul_i32 s39, s36, s39
	s_add_u32 s38, s38, s39
	s_mul_hi_u32 s40, s36, s15
	s_addc_u32 s37, s37, s41
	s_addc_u32 s38, s40, 0
	s_mul_i32 s15, s36, s15
	s_add_u32 s15, s37, s15
	s_addc_u32 s37, 0, s38
	s_add_u32 s38, s14, s15
	s_cselect_b64 s[14:15], -1, 0
	s_cmp_lg_u64 s[14:15], 0
	s_addc_u32 s36, s36, s37
	s_mul_i32 s14, s30, s36
	s_mul_hi_u32 s15, s30, s38
	s_add_i32 s14, s15, s14
	s_mul_i32 s31, s31, s38
	s_add_i32 s14, s14, s31
	s_mul_i32 s30, s30, s38
	s_mul_hi_u32 s31, s36, s30
	s_mul_i32 s37, s36, s30
	s_mul_i32 s40, s38, s14
	s_mul_hi_u32 s30, s38, s30
	s_mul_hi_u32 s39, s38, s14
	s_add_u32 s30, s30, s40
	s_addc_u32 s39, 0, s39
	s_add_u32 s30, s30, s37
	s_mul_hi_u32 s15, s36, s14
	s_addc_u32 s30, s39, s31
	s_addc_u32 s15, s15, 0
	s_mul_i32 s14, s36, s14
	s_add_u32 s14, s30, s14
	s_addc_u32 s30, 0, s15
	s_add_u32 s37, s38, s14
	s_cselect_b64 s[14:15], -1, 0
	s_cmp_lg_u64 s[14:15], 0
	s_addc_u32 s36, s36, s30
	s_ashr_i32 s14, s95, 31
	s_add_u32 s30, s66, s14
	s_mov_b32 s15, s14
	s_addc_u32 s31, s95, s14
	s_xor_b64 s[30:31], s[30:31], s[14:15]
	s_mul_i32 s39, s30, s36
	s_mul_hi_u32 s40, s30, s37
	s_mul_hi_u32 s38, s30, s36
	s_add_u32 s39, s40, s39
	s_addc_u32 s38, 0, s38
	s_mul_hi_u32 s41, s31, s37
	s_mul_i32 s37, s31, s37
	s_add_u32 s37, s39, s37
	s_mul_hi_u32 s40, s31, s36
	s_addc_u32 s37, s38, s41
	s_addc_u32 s38, s40, 0
	s_mul_i32 s36, s31, s36
	s_add_u32 s36, s37, s36
	s_addc_u32 s37, 0, s38
	s_mul_i32 s37, s6, s37
	s_mul_hi_u32 s38, s6, s36
	s_add_i32 s37, s38, s37
	s_mul_i32 s38, s7, s36
	s_add_i32 s40, s37, s38
	s_sub_i32 s38, s31, s40
	s_mul_i32 s36, s6, s36
	s_sub_u32 s30, s30, s36
	s_cselect_b64 s[36:37], -1, 0
	s_cmp_lg_u64 s[36:37], 0
	s_subb_u32 s41, s38, s7
	s_sub_u32 s42, s30, s6
	s_cselect_b64 s[38:39], -1, 0
	s_cmp_lg_u64 s[38:39], 0
	s_subb_u32 s43, s41, 0
	s_cmp_ge_u32 s43, s7
	s_cselect_b32 s44, -1, 0
	s_cmp_ge_u32 s42, s6
	s_cselect_b32 s45, -1, 0
	s_cmp_eq_u32 s43, s7
	s_cselect_b32 s44, s45, s44
	s_cmp_lg_u64 s[38:39], 0
	s_subb_u32 s41, s41, s7
	s_sub_u32 s45, s42, s6
	s_cselect_b64 s[38:39], -1, 0
	s_cmp_lg_u64 s[38:39], 0
	s_subb_u32 s38, s41, 0
	s_cmp_lg_u32 s44, 0
	s_cselect_b32 s39, s45, s42
	s_cselect_b32 s38, s38, s43
	s_cmp_lg_u64 s[36:37], 0
	s_subb_u32 s31, s31, s40
	s_cmp_ge_u32 s31, s7
	s_cselect_b32 s36, -1, 0
	s_cmp_ge_u32 s30, s6
	s_cselect_b32 s6, -1, 0
	s_cmp_eq_u32 s31, s7
	s_cselect_b32 s6, s6, s36
	s_cmp_lg_u32 s6, 0
	s_cselect_b32 s7, s38, s31
	s_cselect_b32 s6, s39, s30
	s_xor_b64 s[6:7], s[6:7], s[14:15]
	s_sub_u32 s6, s6, s14
	s_subb_u32 s7, s7, s14
	s_mov_b64 s[14:15], 0
	s_branch .LBB61_146
.LBB61_144:                             ;   in Loop: Header=BB61_16 Depth=1
                                        ; implicit-def: $sgpr14_sgpr15
	s_branch .LBB61_114
.LBB61_145:                             ;   in Loop: Header=BB61_16 Depth=1
                                        ; implicit-def: $sgpr6_sgpr7
.LBB61_146:                             ;   in Loop: Header=BB61_16 Depth=1
	s_andn2_b64 vcc, exec, s[14:15]
	v_readlane_b32 s94, v73, 54
	s_cbranch_vccnz .LBB61_148
; %bb.147:                              ;   in Loop: Header=BB61_16 Depth=1
	v_cvt_f32_u32_e32 v4, s84
	s_sub_i32 s6, 0, s84
	v_rcp_iflag_f32_e32 v4, v4
	s_nop 0
	v_mul_f32_e32 v4, 0x4f7ffffe, v4
	v_cvt_u32_f32_e32 v4, v4
	s_nop 0
	v_readfirstlane_b32 s7, v4
	s_mul_i32 s6, s6, s7
	s_mul_hi_u32 s6, s7, s6
	s_add_i32 s7, s7, s6
	s_mul_hi_u32 s6, s66, s7
	s_mul_i32 s6, s6, s84
	s_sub_i32 s6, s66, s6
	s_sub_i32 s7, s6, s84
	s_cmp_ge_u32 s6, s84
	s_cselect_b32 s6, s7, s6
	s_sub_i32 s7, s6, s84
	s_cmp_ge_u32 s6, s84
	s_cselect_b32 s86, s7, s6
	s_mov_b64 s[6:7], s[86:87]
.LBB61_148:                             ;   in Loop: Header=BB61_16 Depth=1
	s_sub_u32 s36, s66, s6
	s_subb_u32 s37, s95, s7
	v_cmp_gt_i64_e32 vcc, s[36:37], v[0:1]
	s_mov_b64 s[14:15], 0
	s_mov_b64 s[6:7], 0
                                        ; implicit-def: $vgpr53
	s_and_saveexec_b64 s[30:31], vcc
	s_cbranch_execz .LBB61_158
; %bb.149:                              ;   in Loop: Header=BB61_16 Depth=1
	v_mov_b64_e32 v[4:5], v[12:13]
	v_mov_b64_e32 v[10:11], v[0:1]
                                        ; implicit-def: $sgpr38_sgpr39
	s_branch .LBB61_153
.LBB61_150:                             ;   in Loop: Header=BB61_153 Depth=2
	s_or_b64 exec, exec, s[40:41]
	s_waitcnt lgkmcnt(0)
	s_barrier
	ds_read_b32 v36, v3 offset:3072
	s_waitcnt lgkmcnt(0)
	s_barrier
	v_cmp_neq_f16_e32 vcc, 0, v36
	s_cbranch_vccnz .LBB61_156
; %bb.151:                              ;   in Loop: Header=BB61_153 Depth=2
	v_lshl_add_u64 v[10:11], v[10:11], 0, s[84:85]
	v_cmp_le_i64_e32 vcc, s[36:37], v[10:11]
	v_lshl_add_u64 v[4:5], v[4:5], 0, s[88:89]
	s_mov_b64 s[40:41], 0
	s_orn2_b64 s[42:43], vcc, exec
.LBB61_152:                             ;   in Loop: Header=BB61_153 Depth=2
	s_and_b64 s[42:43], exec, s[42:43]
	s_or_b64 s[6:7], s[42:43], s[6:7]
	s_andn2_b64 s[38:39], s[38:39], exec
	s_and_b64 s[40:41], s[40:41], exec
	s_or_b64 s[38:39], s[38:39], s[40:41]
	s_andn2_b64 exec, exec, s[6:7]
	s_cbranch_execz .LBB61_157
.LBB61_153:                             ;   Parent Loop BB61_16 Depth=1
                                        ; =>  This Inner Loop Header: Depth=2
	v_cmp_gt_i64_e32 vcc, s[56:57], v[10:11]
	s_and_saveexec_b64 s[40:41], vcc
	s_cbranch_execz .LBB61_150
; %bb.154:                              ;   in Loop: Header=BB61_153 Depth=2
	global_load_ushort v36, v[4:5], off
	s_waitcnt vmcnt(0)
	v_cmp_lt_i16_e32 vcc, -1, v36
	s_nop 1
	v_cndmask_b32_e32 v37, v49, v50, vcc
	v_xor_b32_sdwa v37, v37, v36 dst_sel:DWORD dst_unused:UNUSED_PAD src0_sel:DWORD src1_sel:WORD_0
	v_cmp_o_f16_e32 vcc, v36, v36
	s_nop 1
	v_cndmask_b32_e32 v37, v49, v37, vcc
	v_and_b32_e32 v37, v37, v52
	v_cmp_eq_u32_e32 vcc, v37, v48
	s_and_b64 exec, exec, vcc
	s_cbranch_execz .LBB61_150
; %bb.155:                              ;   in Loop: Header=BB61_153 Depth=2
	v_perm_b32 v36, v36, s51, v51
	ds_write_b32 v3, v36 offset:3072
	s_branch .LBB61_150
.LBB61_156:                             ;   in Loop: Header=BB61_153 Depth=2
	s_mov_b64 s[42:43], -1
                                        ; implicit-def: $vgpr10_vgpr11
                                        ; implicit-def: $vgpr4_vgpr5
	s_mov_b64 s[40:41], -1
	s_branch .LBB61_152
.LBB61_157:                             ;   in Loop: Header=BB61_16 Depth=1
	s_or_b64 exec, exec, s[6:7]
	v_lshrrev_b32_e32 v53, 16, v36
	s_and_b64 s[6:7], s[38:39], exec
.LBB61_158:                             ;   in Loop: Header=BB61_16 Depth=1
	s_or_b64 exec, exec, s[30:31]
.LBB61_159:                             ;   in Loop: Header=BB61_16 Depth=1
	s_and_b64 vcc, exec, s[14:15]
	s_cbranch_vccz .LBB61_174
; %bb.160:                              ;   in Loop: Header=BB61_16 Depth=1
	v_readlane_b32 s0, v73, 32
	s_add_u32 s30, s34, s0
	v_readlane_b32 s0, v73, 33
	s_addc_u32 s1, s35, s0
	s_mov_b32 s0, s87
	s_cmp_lg_u64 s[0:1], 0
	s_cbranch_scc0 .LBB61_193
; %bb.161:                              ;   in Loop: Header=BB61_16 Depth=1
	s_add_u32 s14, s84, 0
	s_addc_u32 s15, 0, 0
	s_xor_b64 s[14:15], s[14:15], 0
	v_cvt_f32_u32_e32 v4, s14
	v_cvt_f32_u32_e32 v5, s15
	s_sub_u32 s0, 0, s14
	s_subb_u32 s31, 0, s15
	v_fmac_f32_e32 v4, 0x4f800000, v5
	v_rcp_f32_e32 v4, v4
	s_nop 0
	v_mul_f32_e32 v4, 0x5f7ffffc, v4
	v_mul_f32_e32 v5, 0x2f800000, v4
	v_trunc_f32_e32 v5, v5
	v_fmac_f32_e32 v4, 0xcf800000, v5
	v_cvt_u32_f32_e32 v5, v5
	v_cvt_u32_f32_e32 v4, v4
	v_readfirstlane_b32 s36, v5
	v_readfirstlane_b32 s24, v4
	s_mul_i32 s25, s0, s36
	s_mul_hi_u32 s38, s0, s24
	s_mul_i32 s37, s31, s24
	s_add_i32 s25, s38, s25
	s_mul_i32 s39, s0, s24
	s_add_i32 s25, s25, s37
	s_mul_i32 s38, s24, s25
	s_mul_hi_u32 s40, s24, s39
	s_mul_hi_u32 s37, s24, s25
	s_add_u32 s38, s40, s38
	s_addc_u32 s37, 0, s37
	s_mul_hi_u32 s41, s36, s39
	s_mul_i32 s39, s36, s39
	s_add_u32 s38, s38, s39
	s_mul_hi_u32 s40, s36, s25
	s_addc_u32 s37, s37, s41
	s_addc_u32 s38, s40, 0
	s_mul_i32 s25, s36, s25
	s_add_u32 s25, s37, s25
	s_addc_u32 s37, 0, s38
	s_add_u32 s38, s24, s25
	s_cselect_b64 s[24:25], -1, 0
	s_cmp_lg_u64 s[24:25], 0
	s_addc_u32 s36, s36, s37
	s_mul_i32 s24, s0, s36
	s_mul_hi_u32 s25, s0, s38
	s_add_i32 s24, s25, s24
	s_mul_i32 s31, s31, s38
	s_add_i32 s24, s24, s31
	s_mul_i32 s0, s0, s38
	s_mul_hi_u32 s31, s36, s0
	s_mul_i32 s37, s36, s0
	s_mul_i32 s40, s38, s24
	s_mul_hi_u32 s0, s38, s0
	s_mul_hi_u32 s39, s38, s24
	s_add_u32 s0, s0, s40
	s_addc_u32 s39, 0, s39
	s_add_u32 s0, s0, s37
	s_mul_hi_u32 s25, s36, s24
	s_addc_u32 s0, s39, s31
	s_addc_u32 s25, s25, 0
	s_mul_i32 s24, s36, s24
	s_add_u32 s0, s0, s24
	s_addc_u32 s31, 0, s25
	s_add_u32 s0, s38, s0
	s_cselect_b64 s[24:25], -1, 0
	s_cmp_lg_u64 s[24:25], 0
	s_addc_u32 s31, s36, s31
	s_ashr_i32 s24, s1, 31
	s_add_u32 s36, s30, s24
	s_mov_b32 s25, s24
	s_addc_u32 s37, s1, s24
	s_xor_b64 s[36:37], s[36:37], s[24:25]
	s_mul_i32 s39, s36, s31
	s_mul_hi_u32 s40, s36, s0
	s_mul_hi_u32 s38, s36, s31
	s_add_u32 s39, s40, s39
	s_addc_u32 s38, 0, s38
	s_mul_hi_u32 s41, s37, s0
	s_mul_i32 s0, s37, s0
	s_add_u32 s0, s39, s0
	s_mul_hi_u32 s40, s37, s31
	s_addc_u32 s0, s38, s41
	s_addc_u32 s38, s40, 0
	s_mul_i32 s31, s37, s31
	s_add_u32 s0, s0, s31
	s_addc_u32 s31, 0, s38
	s_mul_i32 s31, s14, s31
	s_mul_hi_u32 s38, s14, s0
	s_add_i32 s31, s38, s31
	s_mul_i32 s38, s15, s0
	s_add_i32 s31, s31, s38
	s_sub_i32 s40, s37, s31
	s_mul_i32 s0, s14, s0
	s_sub_u32 s0, s36, s0
	s_cselect_b64 s[38:39], -1, 0
	s_cmp_lg_u64 s[38:39], 0
	s_subb_u32 s36, s40, s15
	s_sub_u32 s42, s0, s14
	s_cselect_b64 s[40:41], -1, 0
	s_cmp_lg_u64 s[40:41], 0
	s_subb_u32 s43, s36, 0
	s_cmp_ge_u32 s43, s15
	s_cselect_b32 s44, -1, 0
	s_cmp_ge_u32 s42, s14
	s_cselect_b32 s45, -1, 0
	s_cmp_eq_u32 s43, s15
	s_cselect_b32 s44, s45, s44
	s_cmp_lg_u64 s[40:41], 0
	s_subb_u32 s36, s36, s15
	s_sub_u32 s45, s42, s14
	s_cselect_b64 s[40:41], -1, 0
	s_cmp_lg_u64 s[40:41], 0
	s_subb_u32 s36, s36, 0
	s_cmp_lg_u32 s44, 0
	s_cselect_b32 s40, s45, s42
	s_cselect_b32 s36, s36, s43
	s_cmp_lg_u64 s[38:39], 0
	s_subb_u32 s31, s37, s31
	s_cmp_ge_u32 s31, s15
	s_cselect_b32 s37, -1, 0
	s_cmp_ge_u32 s0, s14
	s_cselect_b32 s14, -1, 0
	s_cmp_eq_u32 s31, s15
	s_cselect_b32 s14, s14, s37
	s_cmp_lg_u32 s14, 0
	s_cselect_b32 s15, s36, s31
	s_cselect_b32 s14, s40, s0
	s_xor_b64 s[14:15], s[14:15], s[24:25]
	s_sub_u32 s14, s14, s24
	s_subb_u32 s15, s15, s24
	s_cbranch_execnz .LBB61_163
.LBB61_162:                             ;   in Loop: Header=BB61_16 Depth=1
	v_cvt_f32_u32_e32 v4, s84
	s_sub_i32 s0, 0, s84
	v_rcp_iflag_f32_e32 v4, v4
	s_nop 0
	v_mul_f32_e32 v4, 0x4f7ffffe, v4
	v_cvt_u32_f32_e32 v4, v4
	s_nop 0
	v_readfirstlane_b32 s14, v4
	s_mul_i32 s0, s0, s14
	s_mul_hi_u32 s0, s14, s0
	s_add_i32 s14, s14, s0
	s_mul_hi_u32 s0, s30, s14
	s_mul_i32 s0, s0, s84
	s_sub_i32 s0, s30, s0
	s_sub_i32 s14, s0, s84
	s_cmp_ge_u32 s0, s84
	s_cselect_b32 s0, s14, s0
	s_sub_i32 s14, s0, s84
	s_cmp_ge_u32 s0, s84
	s_cselect_b32 s86, s14, s0
	s_mov_b64 s[14:15], s[86:87]
.LBB61_163:                             ;   in Loop: Header=BB61_16 Depth=1
	s_sub_u32 s14, s30, s14
	s_subb_u32 s15, s1, s15
	v_cmp_gt_i64_e32 vcc, s[14:15], v[0:1]
                                        ; implicit-def: $vgpr53
	s_and_saveexec_b64 s[0:1], vcc
	s_cbranch_execz .LBB61_173
; %bb.164:                              ;   in Loop: Header=BB61_16 Depth=1
	s_mov_b64 s[24:25], 0
	v_mov_b32_e32 v10, v43
	v_mov_b64_e32 v[4:5], v[0:1]
                                        ; implicit-def: $sgpr30_sgpr31
	s_branch .LBB61_168
.LBB61_165:                             ;   in Loop: Header=BB61_168 Depth=2
	s_or_b64 exec, exec, s[36:37]
	s_waitcnt lgkmcnt(0)
	s_barrier
	ds_read_b32 v11, v3 offset:3072
	s_waitcnt lgkmcnt(0)
	s_barrier
	v_cmp_eq_f16_e32 vcc, 0, v11
	s_cbranch_vccz .LBB61_171
; %bb.166:                              ;   in Loop: Header=BB61_168 Depth=2
	v_lshl_add_u64 v[4:5], v[4:5], 0, s[84:85]
	v_cmp_le_i64_e32 vcc, s[14:15], v[4:5]
	v_add_u32_e32 v10, s94, v10
	s_mov_b64 s[36:37], 0
	s_orn2_b64 s[38:39], vcc, exec
.LBB61_167:                             ;   in Loop: Header=BB61_168 Depth=2
	s_and_b64 s[38:39], exec, s[38:39]
	s_or_b64 s[24:25], s[38:39], s[24:25]
	s_andn2_b64 s[30:31], s[30:31], exec
	s_and_b64 s[36:37], s[36:37], exec
	s_or_b64 s[30:31], s[30:31], s[36:37]
	s_andn2_b64 exec, exec, s[24:25]
	s_cbranch_execz .LBB61_172
.LBB61_168:                             ;   Parent Loop BB61_16 Depth=1
                                        ; =>  This Inner Loop Header: Depth=2
	v_cmp_gt_u64_e32 vcc, s[34:35], v[4:5]
	s_and_saveexec_b64 s[36:37], vcc
	s_cbranch_execz .LBB61_165
; %bb.169:                              ;   in Loop: Header=BB61_168 Depth=2
	ds_read_u16 v11, v10
	s_waitcnt lgkmcnt(0)
	v_cmp_lt_i16_e32 vcc, -1, v11
	s_nop 1
	v_cndmask_b32_e32 v36, v49, v50, vcc
	v_xor_b32_sdwa v36, v36, v11 dst_sel:DWORD dst_unused:UNUSED_PAD src0_sel:DWORD src1_sel:WORD_0
	v_cmp_o_f16_e32 vcc, v11, v11
	s_nop 1
	v_cndmask_b32_e32 v36, v49, v36, vcc
	v_and_b32_e32 v36, v36, v52
	v_cmp_eq_u32_e32 vcc, v36, v48
	s_and_b64 exec, exec, vcc
	s_cbranch_execz .LBB61_165
; %bb.170:                              ;   in Loop: Header=BB61_168 Depth=2
	v_perm_b32 v11, v11, s51, v51
	ds_write_b32 v3, v11 offset:3072
	s_branch .LBB61_165
.LBB61_171:                             ;   in Loop: Header=BB61_168 Depth=2
	s_mov_b64 s[38:39], -1
                                        ; implicit-def: $vgpr4_vgpr5
                                        ; implicit-def: $vgpr10
	s_mov_b64 s[36:37], -1
	s_branch .LBB61_167
.LBB61_172:                             ;   in Loop: Header=BB61_16 Depth=1
	s_or_b64 exec, exec, s[24:25]
	s_andn2_b64 s[6:7], s[6:7], exec
	s_and_b64 s[14:15], s[30:31], exec
	v_lshrrev_b32_e32 v53, 16, v11
	s_or_b64 s[6:7], s[6:7], s[14:15]
.LBB61_173:                             ;   in Loop: Header=BB61_16 Depth=1
	s_or_b64 exec, exec, s[0:1]
	s_mov_b64 s[0:1], 0
	s_mov_b64 s[24:25], -1
.LBB61_174:                             ;   in Loop: Header=BB61_16 Depth=1
	s_orn2_b64 s[6:7], s[6:7], exec
.LBB61_175:                             ;   in Loop: Header=BB61_16 Depth=1
	s_or_b64 exec, exec, s[26:27]
	s_mov_b64 s[14:15], 0
	s_and_saveexec_b64 s[26:27], s[6:7]
	s_cbranch_execz .LBB61_287
; %bb.176:                              ;   in Loop: Header=BB61_16 Depth=1
	s_xor_b64 s[28:29], s[28:29], -1
	v_mov_b32_e32 v2, 1
	v_mov_b64_e32 v[4:5], 1
	s_and_saveexec_b64 s[6:7], s[28:29]
	s_cbranch_execz .LBB61_186
; %bb.177:                              ;   in Loop: Header=BB61_16 Depth=1
	v_cmp_le_i64_e32 vcc, v[8:9], v[6:7]
	s_and_saveexec_b64 s[14:15], vcc
	s_xor_b64 s[14:15], exec, s[14:15]
	s_cbranch_execz .LBB61_183
; %bb.178:                              ;   in Loop: Header=BB61_16 Depth=1
	ds_read_b64 v[4:5], v3 offset:5120
	v_and_b32_e32 v2, s52, v48
	v_lshl_or_b32 v48, 1, s96, v2
	v_or_b32_e32 v52, s72, v52
	s_waitcnt lgkmcnt(0)
	v_cmp_ne_u64_e32 vcc, 0, v[4:5]
	s_cbranch_vccnz .LBB61_182
; %bb.179:                              ;   in Loop: Header=BB61_16 Depth=1
	s_mov_b64 s[28:29], exec
	v_readlane_b32 s30, v73, 12
	v_readlane_b32 s31, v73, 13
	s_and_b64 s[30:31], s[28:29], s[30:31]
	s_mov_b64 exec, s[30:31]
; %bb.180:                              ;   in Loop: Header=BB61_16 Depth=1
	ds_write_b64 v3, v[6:7] offset:5128
; %bb.181:                              ;   in Loop: Header=BB61_16 Depth=1
	s_or_b64 exec, exec, s[28:29]
	s_waitcnt lgkmcnt(0)
	s_barrier
.LBB61_182:                             ;   in Loop: Header=BB61_16 Depth=1
                                        ; implicit-def: $vgpr4_vgpr5_vgpr6_vgpr7
.LBB61_183:                             ;   in Loop: Header=BB61_16 Depth=1
	s_or_saveexec_b64 s[14:15], s[14:15]
	s_mov_b64 s[28:29], 0
	v_mov_b32_e32 v2, 8
	s_xor_b64 exec, exec, s[14:15]
; %bb.184:                              ;   in Loop: Header=BB61_16 Depth=1
	v_sub_co_u32_e32 v8, vcc, v8, v6
	s_mov_b64 s[28:29], exec
	s_nop 0
	v_subb_co_u32_e32 v9, vcc, v9, v7, vcc
	v_mov_b32_e32 v2, 0
; %bb.185:                              ;   in Loop: Header=BB61_16 Depth=1
	s_or_b64 exec, exec, s[14:15]
	s_and_b64 s[14:15], s[28:29], exec
	v_mov_b64_e32 v[4:5], v[8:9]
.LBB61_186:                             ;   in Loop: Header=BB61_16 Depth=1
	s_or_b64 exec, exec, s[6:7]
	s_mov_b64 s[6:7], -1
                                        ; implicit-def: $sgpr34_sgpr35
                                        ; implicit-def: $sgpr36_sgpr37
	s_and_saveexec_b64 s[28:29], s[14:15]
	s_cbranch_execz .LBB61_286
; %bb.187:                              ;   in Loop: Header=BB61_16 Depth=1
	s_cmp_eq_u64 s[22:23], 1
	s_cselect_b64 s[6:7], -1, 0
	v_cmp_eq_u64_e32 vcc, 1, v[4:5]
	s_and_b64 s[40:41], s[6:7], vcc
	s_mov_b64 s[6:7], -1
                                        ; implicit-def: $sgpr36_sgpr37
                                        ; implicit-def: $sgpr34_sgpr35
	s_and_saveexec_b64 s[38:39], s[40:41]
	s_cbranch_execz .LBB61_224
; %bb.188:                              ;   in Loop: Header=BB61_16 Depth=1
	ds_read_b64 v[6:7], v3 offset:5120
	s_waitcnt lgkmcnt(0)
	s_barrier
	v_readfirstlane_b32 s42, v6
	v_readfirstlane_b32 s43, v7
	s_mov_b64 s[6:7], exec
	v_readlane_b32 s14, v73, 24
	v_readlane_b32 s15, v73, 25
	s_and_b64 s[14:15], s[6:7], s[14:15]
	s_mov_b64 exec, s[14:15]
; %bb.189:                              ;   in Loop: Header=BB61_16 Depth=1
	ds_write_b16 v44, v3
; %bb.190:                              ;   in Loop: Header=BB61_16 Depth=1
	s_or_b64 exec, exec, s[6:7]
	v_and_b32_e32 v6, s52, v48
	v_cmp_gt_i64_e64 s[6:7], s[42:43], 0
	v_lshl_or_b32 v48, 2, s96, v6
	v_or_b32_e32 v52, s72, v52
	s_mov_b64 s[34:35], -1
	s_mov_b64 s[36:37], 0
	s_and_b64 vcc, exec, s[6:7]
	s_mov_b64 s[6:7], 0
	s_mov_b64 s[14:15], -1
	s_waitcnt lgkmcnt(0)
	s_barrier
                                        ; implicit-def: $vgpr53
	s_cbranch_vccnz .LBB61_208
; %bb.191:                              ;   in Loop: Header=BB61_16 Depth=1
	s_mov_b32 s94, s87
	s_movk_i32 s58, 0x3c00
	s_cmp_lg_u64 s[94:95], 0
	s_cbranch_scc0 .LBB61_194
; %bb.192:                              ;   in Loop: Header=BB61_16 Depth=1
	s_add_u32 s6, s84, 0
	s_addc_u32 s7, 0, 0
	s_xor_b64 s[6:7], s[6:7], 0
	v_cvt_f32_u32_e32 v6, s6
	v_cvt_f32_u32_e32 v7, s7
	s_sub_u32 s30, 0, s6
	s_subb_u32 s31, 0, s7
	v_fmac_f32_e32 v6, 0x4f800000, v7
	v_rcp_f32_e32 v6, v6
	s_nop 0
	v_mul_f32_e32 v6, 0x5f7ffffc, v6
	v_mul_f32_e32 v7, 0x2f800000, v6
	v_trunc_f32_e32 v7, v7
	v_fmac_f32_e32 v6, 0xcf800000, v7
	v_cvt_u32_f32_e32 v7, v7
	v_cvt_u32_f32_e32 v6, v6
	v_readfirstlane_b32 s44, v7
	v_readfirstlane_b32 s14, v6
	s_mul_i32 s15, s30, s44
	s_mul_hi_u32 s46, s30, s14
	s_mul_i32 s45, s31, s14
	s_add_i32 s15, s46, s15
	s_mul_i32 s47, s30, s14
	s_add_i32 s15, s15, s45
	s_mul_i32 s46, s14, s15
	s_mul_hi_u32 s48, s14, s47
	s_mul_hi_u32 s45, s14, s15
	s_add_u32 s46, s48, s46
	s_addc_u32 s45, 0, s45
	s_mul_hi_u32 s49, s44, s47
	s_mul_i32 s47, s44, s47
	s_add_u32 s46, s46, s47
	s_mul_hi_u32 s48, s44, s15
	s_addc_u32 s45, s45, s49
	s_addc_u32 s46, s48, 0
	s_mul_i32 s15, s44, s15
	s_add_u32 s15, s45, s15
	s_addc_u32 s45, 0, s46
	s_add_u32 s46, s14, s15
	s_cselect_b64 s[14:15], -1, 0
	s_cmp_lg_u64 s[14:15], 0
	s_addc_u32 s44, s44, s45
	s_mul_i32 s14, s30, s44
	s_mul_hi_u32 s15, s30, s46
	s_add_i32 s14, s15, s14
	s_mul_i32 s31, s31, s46
	s_add_i32 s14, s14, s31
	s_mul_i32 s30, s30, s46
	s_mul_hi_u32 s31, s44, s30
	s_mul_i32 s45, s44, s30
	s_mul_i32 s48, s46, s14
	s_mul_hi_u32 s30, s46, s30
	s_mul_hi_u32 s47, s46, s14
	s_add_u32 s30, s30, s48
	s_addc_u32 s47, 0, s47
	s_add_u32 s30, s30, s45
	s_mul_hi_u32 s15, s44, s14
	s_addc_u32 s30, s47, s31
	s_addc_u32 s15, s15, 0
	s_mul_i32 s14, s44, s14
	s_add_u32 s14, s30, s14
	s_addc_u32 s30, 0, s15
	s_add_u32 s45, s46, s14
	s_cselect_b64 s[14:15], -1, 0
	s_cmp_lg_u64 s[14:15], 0
	s_addc_u32 s44, s44, s30
	s_ashr_i32 s14, s95, 31
	s_add_u32 s30, s66, s14
	s_mov_b32 s15, s14
	s_addc_u32 s31, s95, s14
	s_xor_b64 s[30:31], s[30:31], s[14:15]
	s_mul_i32 s47, s30, s44
	s_mul_hi_u32 s48, s30, s45
	s_mul_hi_u32 s46, s30, s44
	s_add_u32 s47, s48, s47
	s_addc_u32 s46, 0, s46
	s_mul_hi_u32 s49, s31, s45
	s_mul_i32 s45, s31, s45
	s_add_u32 s45, s47, s45
	s_mul_hi_u32 s48, s31, s44
	s_addc_u32 s45, s46, s49
	s_addc_u32 s46, s48, 0
	s_mul_i32 s44, s31, s44
	s_add_u32 s44, s45, s44
	s_addc_u32 s45, 0, s46
	s_mul_i32 s45, s6, s45
	s_mul_hi_u32 s46, s6, s44
	s_add_i32 s45, s46, s45
	s_mul_i32 s46, s7, s44
	s_add_i32 s48, s45, s46
	s_sub_i32 s46, s31, s48
	s_mul_i32 s44, s6, s44
	s_sub_u32 s30, s30, s44
	s_cselect_b64 s[44:45], -1, 0
	s_cmp_lg_u64 s[44:45], 0
	s_subb_u32 s49, s46, s7
	s_sub_u32 s50, s30, s6
	s_cselect_b64 s[46:47], -1, 0
	s_cmp_lg_u64 s[46:47], 0
	s_subb_u32 s51, s49, 0
	s_cmp_ge_u32 s51, s7
	s_cselect_b32 s53, -1, 0
	s_cmp_ge_u32 s50, s6
	s_cselect_b32 s54, -1, 0
	s_cmp_eq_u32 s51, s7
	s_cselect_b32 s53, s54, s53
	s_cmp_lg_u64 s[46:47], 0
	s_subb_u32 s49, s49, s7
	s_sub_u32 s54, s50, s6
	s_cselect_b64 s[46:47], -1, 0
	s_cmp_lg_u64 s[46:47], 0
	s_subb_u32 s46, s49, 0
	s_cmp_lg_u32 s53, 0
	s_cselect_b32 s47, s54, s50
	s_cselect_b32 s46, s46, s51
	s_cmp_lg_u64 s[44:45], 0
	s_subb_u32 s31, s31, s48
	s_cmp_ge_u32 s31, s7
	s_cselect_b32 s44, -1, 0
	s_cmp_ge_u32 s30, s6
	s_cselect_b32 s6, -1, 0
	s_cmp_eq_u32 s31, s7
	s_cselect_b32 s6, s6, s44
	s_cmp_lg_u32 s6, 0
	s_cselect_b32 s7, s46, s31
	s_cselect_b32 s6, s47, s30
	s_xor_b64 s[6:7], s[6:7], s[14:15]
	s_sub_u32 s6, s6, s14
	s_subb_u32 s7, s7, s14
	s_mov_b64 s[14:15], 0
	s_branch .LBB61_195
.LBB61_193:                             ;   in Loop: Header=BB61_16 Depth=1
                                        ; implicit-def: $sgpr14_sgpr15
	s_branch .LBB61_162
.LBB61_194:                             ;   in Loop: Header=BB61_16 Depth=1
                                        ; implicit-def: $sgpr6_sgpr7
.LBB61_195:                             ;   in Loop: Header=BB61_16 Depth=1
	s_andn2_b64 vcc, exec, s[14:15]
	v_readlane_b32 s94, v73, 54
	s_cbranch_vccnz .LBB61_197
; %bb.196:                              ;   in Loop: Header=BB61_16 Depth=1
	v_cvt_f32_u32_e32 v6, s84
	s_sub_i32 s6, 0, s84
	v_rcp_iflag_f32_e32 v6, v6
	s_nop 0
	v_mul_f32_e32 v6, 0x4f7ffffe, v6
	v_cvt_u32_f32_e32 v6, v6
	s_nop 0
	v_readfirstlane_b32 s7, v6
	s_mul_i32 s6, s6, s7
	s_mul_hi_u32 s6, s7, s6
	s_add_i32 s7, s7, s6
	s_mul_hi_u32 s6, s66, s7
	s_mul_i32 s6, s6, s84
	s_sub_i32 s6, s66, s6
	s_sub_i32 s7, s6, s84
	s_cmp_ge_u32 s6, s84
	s_cselect_b32 s6, s7, s6
	s_sub_i32 s7, s6, s84
	s_cmp_ge_u32 s6, s84
	s_cselect_b32 s86, s7, s6
	s_mov_b64 s[6:7], s[86:87]
.LBB61_197:                             ;   in Loop: Header=BB61_16 Depth=1
	s_sub_u32 s44, s66, s6
	s_subb_u32 s45, s95, s7
	v_cmp_gt_i64_e32 vcc, s[44:45], v[0:1]
	s_mov_b64 s[14:15], 0
	s_mov_b64 s[6:7], 0
                                        ; implicit-def: $vgpr53
	s_and_saveexec_b64 s[30:31], vcc
	v_readlane_b32 s54, v73, 52
	s_cbranch_execz .LBB61_207
; %bb.198:                              ;   in Loop: Header=BB61_16 Depth=1
	v_mov_b64_e32 v[6:7], v[12:13]
	v_mov_b64_e32 v[8:9], v[0:1]
                                        ; implicit-def: $sgpr46_sgpr47
	s_branch .LBB61_202
.LBB61_199:                             ;   in Loop: Header=BB61_202 Depth=2
	s_or_b64 exec, exec, s[48:49]
	s_waitcnt lgkmcnt(0)
	s_barrier
	ds_read_b32 v10, v3 offset:3072
	s_waitcnt lgkmcnt(0)
	s_barrier
	v_cmp_neq_f16_e32 vcc, 0, v10
	s_cbranch_vccnz .LBB61_205
; %bb.200:                              ;   in Loop: Header=BB61_202 Depth=2
	v_lshl_add_u64 v[8:9], v[8:9], 0, s[84:85]
	v_cmp_le_i64_e32 vcc, s[44:45], v[8:9]
	v_lshl_add_u64 v[6:7], v[6:7], 0, s[88:89]
	s_mov_b64 s[48:49], 0
	s_orn2_b64 s[50:51], vcc, exec
.LBB61_201:                             ;   in Loop: Header=BB61_202 Depth=2
	s_and_b64 s[50:51], exec, s[50:51]
	s_or_b64 s[6:7], s[50:51], s[6:7]
	s_andn2_b64 s[46:47], s[46:47], exec
	s_and_b64 s[48:49], s[48:49], exec
	s_or_b64 s[46:47], s[46:47], s[48:49]
	s_andn2_b64 exec, exec, s[6:7]
	s_cbranch_execz .LBB61_206
.LBB61_202:                             ;   Parent Loop BB61_16 Depth=1
                                        ; =>  This Inner Loop Header: Depth=2
	v_cmp_gt_i64_e32 vcc, s[56:57], v[8:9]
	s_and_saveexec_b64 s[48:49], vcc
	s_cbranch_execz .LBB61_199
; %bb.203:                              ;   in Loop: Header=BB61_202 Depth=2
	global_load_ushort v10, v[6:7], off
	s_waitcnt vmcnt(0)
	v_cmp_lt_i16_e32 vcc, -1, v10
	s_nop 1
	v_cndmask_b32_e32 v11, v49, v50, vcc
	v_xor_b32_sdwa v11, v11, v10 dst_sel:DWORD dst_unused:UNUSED_PAD src0_sel:DWORD src1_sel:WORD_0
	v_cmp_o_f16_e32 vcc, v10, v10
	s_nop 1
	v_cndmask_b32_e32 v11, v49, v11, vcc
	v_and_b32_e32 v11, v11, v52
	v_cmp_eq_u32_e32 vcc, v11, v48
	s_and_b64 exec, exec, vcc
	s_cbranch_execz .LBB61_199
; %bb.204:                              ;   in Loop: Header=BB61_202 Depth=2
	v_perm_b32 v10, v10, s58, v51
	ds_write_b32 v3, v10 offset:3072
	s_branch .LBB61_199
.LBB61_205:                             ;   in Loop: Header=BB61_202 Depth=2
	s_mov_b64 s[50:51], -1
                                        ; implicit-def: $vgpr8_vgpr9
                                        ; implicit-def: $vgpr6_vgpr7
	s_mov_b64 s[48:49], -1
	s_branch .LBB61_201
.LBB61_206:                             ;   in Loop: Header=BB61_16 Depth=1
	s_or_b64 exec, exec, s[6:7]
	v_lshrrev_b32_e32 v53, 16, v10
	s_and_b64 s[6:7], s[46:47], exec
.LBB61_207:                             ;   in Loop: Header=BB61_16 Depth=1
	s_or_b64 exec, exec, s[30:31]
	v_readlane_b32 s49, v73, 53
	s_mov_b32 s50, 0x5040100
	s_movk_i32 s51, 0x3c00
.LBB61_208:                             ;   in Loop: Header=BB61_16 Depth=1
	s_and_b64 vcc, exec, s[14:15]
	s_cbranch_vccz .LBB61_223
; %bb.209:                              ;   in Loop: Header=BB61_16 Depth=1
	v_readlane_b32 s14, v73, 32
	s_add_u32 s36, s42, s14
	v_readlane_b32 s14, v73, 33
	s_addc_u32 s15, s43, s14
	s_mov_b32 s14, s87
	s_cmp_lg_u64 s[14:15], 0
	s_cbranch_scc0 .LBB61_241
; %bb.210:                              ;   in Loop: Header=BB61_16 Depth=1
	s_add_u32 s30, s84, 0
	s_addc_u32 s31, 0, 0
	s_xor_b64 s[30:31], s[30:31], 0
	v_cvt_f32_u32_e32 v6, s30
	v_cvt_f32_u32_e32 v7, s31
	s_sub_u32 s14, 0, s30
	s_subb_u32 s37, 0, s31
	v_fmac_f32_e32 v6, 0x4f800000, v7
	v_rcp_f32_e32 v6, v6
	s_nop 0
	v_mul_f32_e32 v6, 0x5f7ffffc, v6
	v_mul_f32_e32 v7, 0x2f800000, v6
	v_trunc_f32_e32 v7, v7
	v_fmac_f32_e32 v6, 0xcf800000, v7
	v_cvt_u32_f32_e32 v7, v7
	v_cvt_u32_f32_e32 v6, v6
	v_readfirstlane_b32 s44, v7
	v_readfirstlane_b32 s34, v6
	s_mul_i32 s35, s14, s44
	s_mul_hi_u32 s46, s14, s34
	s_mul_i32 s45, s37, s34
	s_add_i32 s35, s46, s35
	s_mul_i32 s47, s14, s34
	s_add_i32 s35, s35, s45
	s_mul_i32 s46, s34, s35
	s_mul_hi_u32 s48, s34, s47
	s_mul_hi_u32 s45, s34, s35
	s_add_u32 s46, s48, s46
	s_addc_u32 s45, 0, s45
	s_mul_hi_u32 s49, s44, s47
	s_mul_i32 s47, s44, s47
	s_add_u32 s46, s46, s47
	s_mul_hi_u32 s48, s44, s35
	s_addc_u32 s45, s45, s49
	s_addc_u32 s46, s48, 0
	s_mul_i32 s35, s44, s35
	s_add_u32 s35, s45, s35
	s_addc_u32 s45, 0, s46
	s_add_u32 s46, s34, s35
	s_cselect_b64 s[34:35], -1, 0
	s_cmp_lg_u64 s[34:35], 0
	s_addc_u32 s44, s44, s45
	s_mul_i32 s34, s14, s44
	s_mul_hi_u32 s35, s14, s46
	s_add_i32 s34, s35, s34
	s_mul_i32 s37, s37, s46
	s_add_i32 s34, s34, s37
	s_mul_i32 s14, s14, s46
	s_mul_hi_u32 s37, s44, s14
	s_mul_i32 s45, s44, s14
	s_mul_i32 s48, s46, s34
	s_mul_hi_u32 s14, s46, s14
	s_mul_hi_u32 s47, s46, s34
	s_add_u32 s14, s14, s48
	s_addc_u32 s47, 0, s47
	s_add_u32 s14, s14, s45
	s_mul_hi_u32 s35, s44, s34
	s_addc_u32 s14, s47, s37
	s_addc_u32 s35, s35, 0
	s_mul_i32 s34, s44, s34
	s_add_u32 s14, s14, s34
	s_addc_u32 s37, 0, s35
	s_add_u32 s14, s46, s14
	s_cselect_b64 s[34:35], -1, 0
	s_cmp_lg_u64 s[34:35], 0
	s_addc_u32 s37, s44, s37
	s_ashr_i32 s34, s15, 31
	s_add_u32 s44, s36, s34
	s_mov_b32 s35, s34
	s_addc_u32 s45, s15, s34
	s_xor_b64 s[44:45], s[44:45], s[34:35]
	s_mul_i32 s47, s44, s37
	s_mul_hi_u32 s48, s44, s14
	s_mul_hi_u32 s46, s44, s37
	s_add_u32 s47, s48, s47
	s_addc_u32 s46, 0, s46
	s_mul_hi_u32 s49, s45, s14
	s_mul_i32 s14, s45, s14
	s_add_u32 s14, s47, s14
	s_mul_hi_u32 s48, s45, s37
	s_addc_u32 s14, s46, s49
	s_addc_u32 s46, s48, 0
	s_mul_i32 s37, s45, s37
	s_add_u32 s14, s14, s37
	s_addc_u32 s37, 0, s46
	s_mul_i32 s37, s30, s37
	s_mul_hi_u32 s46, s30, s14
	s_add_i32 s37, s46, s37
	s_mul_i32 s46, s31, s14
	s_add_i32 s37, s37, s46
	s_sub_i32 s48, s45, s37
	s_mul_i32 s14, s30, s14
	s_sub_u32 s14, s44, s14
	s_cselect_b64 s[46:47], -1, 0
	s_cmp_lg_u64 s[46:47], 0
	s_subb_u32 s44, s48, s31
	s_sub_u32 s50, s14, s30
	s_cselect_b64 s[48:49], -1, 0
	s_cmp_lg_u64 s[48:49], 0
	s_subb_u32 s51, s44, 0
	s_cmp_ge_u32 s51, s31
	s_cselect_b32 s53, -1, 0
	s_cmp_ge_u32 s50, s30
	s_cselect_b32 s54, -1, 0
	s_cmp_eq_u32 s51, s31
	s_cselect_b32 s53, s54, s53
	s_cmp_lg_u64 s[48:49], 0
	s_subb_u32 s44, s44, s31
	s_sub_u32 s54, s50, s30
	s_cselect_b64 s[48:49], -1, 0
	s_cmp_lg_u64 s[48:49], 0
	s_subb_u32 s44, s44, 0
	s_cmp_lg_u32 s53, 0
	s_cselect_b32 s48, s54, s50
	s_cselect_b32 s44, s44, s51
	s_cmp_lg_u64 s[46:47], 0
	s_subb_u32 s37, s45, s37
	s_cmp_ge_u32 s37, s31
	s_cselect_b32 s45, -1, 0
	s_cmp_ge_u32 s14, s30
	s_cselect_b32 s30, -1, 0
	s_cmp_eq_u32 s37, s31
	s_cselect_b32 s30, s30, s45
	s_cmp_lg_u32 s30, 0
	s_cselect_b32 s31, s44, s37
	s_cselect_b32 s30, s48, s14
	s_xor_b64 s[30:31], s[30:31], s[34:35]
	s_sub_u32 s30, s30, s34
	s_mov_b32 s50, 0x5040100
	v_readlane_b32 s49, v73, 53
	v_readlane_b32 s54, v73, 52
	s_movk_i32 s51, 0x3c00
	s_subb_u32 s31, s31, s34
	s_cbranch_execnz .LBB61_212
.LBB61_211:                             ;   in Loop: Header=BB61_16 Depth=1
	v_cvt_f32_u32_e32 v6, s84
	s_sub_i32 s14, 0, s84
	v_rcp_iflag_f32_e32 v6, v6
	s_nop 0
	v_mul_f32_e32 v6, 0x4f7ffffe, v6
	v_cvt_u32_f32_e32 v6, v6
	s_nop 0
	v_readfirstlane_b32 s30, v6
	s_mul_i32 s14, s14, s30
	s_mul_hi_u32 s14, s30, s14
	s_add_i32 s30, s30, s14
	s_mul_hi_u32 s14, s36, s30
	s_mul_i32 s14, s14, s84
	s_sub_i32 s14, s36, s14
	s_sub_i32 s30, s14, s84
	s_cmp_ge_u32 s14, s84
	s_cselect_b32 s14, s30, s14
	s_sub_i32 s30, s14, s84
	s_cmp_ge_u32 s14, s84
	s_cselect_b32 s86, s30, s14
	s_mov_b64 s[30:31], s[86:87]
.LBB61_212:                             ;   in Loop: Header=BB61_16 Depth=1
	s_sub_u32 s30, s36, s30
	s_subb_u32 s31, s15, s31
	v_cmp_gt_i64_e32 vcc, s[30:31], v[0:1]
                                        ; implicit-def: $vgpr53
	s_and_saveexec_b64 s[14:15], vcc
	s_cbranch_execz .LBB61_222
; %bb.213:                              ;   in Loop: Header=BB61_16 Depth=1
	s_mov_b64 s[34:35], 0
	v_mov_b32_e32 v8, v43
	v_mov_b64_e32 v[6:7], v[0:1]
                                        ; implicit-def: $sgpr36_sgpr37
	s_branch .LBB61_217
.LBB61_214:                             ;   in Loop: Header=BB61_217 Depth=2
	s_or_b64 exec, exec, s[44:45]
	s_waitcnt lgkmcnt(0)
	s_barrier
	ds_read_b32 v9, v3 offset:3072
	s_waitcnt lgkmcnt(0)
	s_barrier
	v_cmp_eq_f16_e32 vcc, 0, v9
	s_cbranch_vccz .LBB61_220
; %bb.215:                              ;   in Loop: Header=BB61_217 Depth=2
	v_lshl_add_u64 v[6:7], v[6:7], 0, s[84:85]
	v_cmp_le_i64_e32 vcc, s[30:31], v[6:7]
	v_add_u32_e32 v8, s94, v8
	s_mov_b64 s[44:45], 0
	s_orn2_b64 s[46:47], vcc, exec
.LBB61_216:                             ;   in Loop: Header=BB61_217 Depth=2
	s_and_b64 s[46:47], exec, s[46:47]
	s_or_b64 s[34:35], s[46:47], s[34:35]
	s_andn2_b64 s[36:37], s[36:37], exec
	s_and_b64 s[44:45], s[44:45], exec
	s_or_b64 s[36:37], s[36:37], s[44:45]
	s_andn2_b64 exec, exec, s[34:35]
	s_cbranch_execz .LBB61_221
.LBB61_217:                             ;   Parent Loop BB61_16 Depth=1
                                        ; =>  This Inner Loop Header: Depth=2
	v_cmp_gt_u64_e32 vcc, s[42:43], v[6:7]
	s_and_saveexec_b64 s[44:45], vcc
	s_cbranch_execz .LBB61_214
; %bb.218:                              ;   in Loop: Header=BB61_217 Depth=2
	ds_read_u16 v9, v8
	s_waitcnt lgkmcnt(0)
	v_cmp_lt_i16_e32 vcc, -1, v9
	s_nop 1
	v_cndmask_b32_e32 v10, v49, v50, vcc
	v_xor_b32_sdwa v10, v10, v9 dst_sel:DWORD dst_unused:UNUSED_PAD src0_sel:DWORD src1_sel:WORD_0
	v_cmp_o_f16_e32 vcc, v9, v9
	s_nop 1
	v_cndmask_b32_e32 v10, v49, v10, vcc
	v_and_b32_e32 v10, v10, v52
	v_cmp_eq_u32_e32 vcc, v10, v48
	s_and_b64 exec, exec, vcc
	s_cbranch_execz .LBB61_214
; %bb.219:                              ;   in Loop: Header=BB61_217 Depth=2
	v_perm_b32 v9, v9, s51, v51
	ds_write_b32 v3, v9 offset:3072
	s_branch .LBB61_214
.LBB61_220:                             ;   in Loop: Header=BB61_217 Depth=2
	s_mov_b64 s[46:47], -1
                                        ; implicit-def: $vgpr6_vgpr7
                                        ; implicit-def: $vgpr8
	s_mov_b64 s[44:45], -1
	s_branch .LBB61_216
.LBB61_221:                             ;   in Loop: Header=BB61_16 Depth=1
	s_or_b64 exec, exec, s[34:35]
	s_andn2_b64 s[6:7], s[6:7], exec
	s_and_b64 s[30:31], s[36:37], exec
	v_lshrrev_b32_e32 v53, 16, v9
	s_or_b64 s[6:7], s[6:7], s[30:31]
.LBB61_222:                             ;   in Loop: Header=BB61_16 Depth=1
	s_or_b64 exec, exec, s[14:15]
	s_mov_b64 s[34:35], 0
	s_mov_b64 s[36:37], -1
.LBB61_223:                             ;   in Loop: Header=BB61_16 Depth=1
	s_orn2_b64 s[6:7], s[6:7], exec
.LBB61_224:                             ;   in Loop: Header=BB61_16 Depth=1
	s_or_b64 exec, exec, s[38:39]
	s_mov_b64 s[14:15], 0
	s_and_saveexec_b64 s[38:39], s[6:7]
	s_cbranch_execz .LBB61_285
; %bb.225:                              ;   in Loop: Header=BB61_16 Depth=1
	s_xor_b64 s[14:15], s[40:41], -1
	v_mov_b32_e32 v2, 1
	s_mov_b64 s[40:41], 0
	v_mov_b64_e32 v[6:7], 1
	s_and_saveexec_b64 s[6:7], s[14:15]
	s_cbranch_execz .LBB61_234
; %bb.226:                              ;   in Loop: Header=BB61_16 Depth=1
	v_cmp_ge_i64_e32 vcc, s[22:23], v[4:5]
	s_and_saveexec_b64 s[14:15], vcc
	s_xor_b64 s[14:15], exec, s[14:15]
	s_cbranch_execz .LBB61_231
; %bb.227:                              ;   in Loop: Header=BB61_16 Depth=1
	ds_read_b64 v[6:7], v3 offset:5120
	v_and_b32_e32 v2, s52, v48
	v_lshl_or_b32 v48, 2, s96, v2
	v_or_b32_e32 v52, s72, v52
	s_waitcnt lgkmcnt(0)
	v_cmp_ne_u64_e32 vcc, 0, v[6:7]
	s_cbranch_vccnz .LBB61_231
; %bb.228:                              ;   in Loop: Header=BB61_16 Depth=1
	s_mov_b64 s[30:31], exec
	v_readlane_b32 s40, v73, 12
	v_readlane_b32 s41, v73, 13
	s_and_b64 s[40:41], s[30:31], s[40:41]
	s_mov_b64 exec, s[40:41]
; %bb.229:                              ;   in Loop: Header=BB61_16 Depth=1
	v_mov_b64_e32 v[6:7], s[22:23]
	ds_write_b64 v3, v[6:7] offset:5128
; %bb.230:                              ;   in Loop: Header=BB61_16 Depth=1
	s_or_b64 exec, exec, s[30:31]
	s_waitcnt lgkmcnt(0)
	s_barrier
.LBB61_231:                             ;   in Loop: Header=BB61_16 Depth=1
	s_or_saveexec_b64 s[14:15], s[14:15]
	s_mov_b64 s[30:31], 0
	v_mov_b32_e32 v2, 8
	s_xor_b64 exec, exec, s[14:15]
; %bb.232:                              ;   in Loop: Header=BB61_16 Depth=1
	v_mov_b32_e32 v2, s23
	v_subrev_co_u32_e32 v4, vcc, s22, v4
	s_mov_b64 s[30:31], exec
	s_nop 0
	v_subb_co_u32_e32 v5, vcc, v5, v2, vcc
	v_mov_b32_e32 v2, 0
; %bb.233:                              ;   in Loop: Header=BB61_16 Depth=1
	s_or_b64 exec, exec, s[14:15]
	s_and_b64 s[40:41], s[30:31], exec
	v_mov_b64_e32 v[6:7], v[4:5]
.LBB61_234:                             ;   in Loop: Header=BB61_16 Depth=1
	s_or_b64 exec, exec, s[6:7]
	s_mov_b64 s[30:31], -1
                                        ; implicit-def: $sgpr14_sgpr15
                                        ; implicit-def: $sgpr6_sgpr7
	s_and_saveexec_b64 s[22:23], s[40:41]
	s_cbranch_execz .LBB61_284
; %bb.235:                              ;   in Loop: Header=BB61_16 Depth=1
	s_cmp_eq_u64 s[2:3], 1
	s_cselect_b64 s[6:7], -1, 0
	v_cmp_eq_u64_e32 vcc, 1, v[6:7]
	s_and_b64 s[40:41], s[6:7], vcc
	s_mov_b64 s[44:45], -1
                                        ; implicit-def: $sgpr14_sgpr15
                                        ; implicit-def: $sgpr6_sgpr7
	s_and_saveexec_b64 s[42:43], s[40:41]
	s_cbranch_execz .LBB61_272
; %bb.236:                              ;   in Loop: Header=BB61_16 Depth=1
	ds_read_b64 v[4:5], v3 offset:5120
	s_waitcnt lgkmcnt(0)
	s_barrier
	v_readfirstlane_b32 s44, v4
	v_readfirstlane_b32 s45, v5
	s_mov_b64 s[6:7], exec
	v_readlane_b32 s14, v73, 24
	v_readlane_b32 s15, v73, 25
	s_and_b64 s[14:15], s[6:7], s[14:15]
	s_mov_b64 exec, s[14:15]
; %bb.237:                              ;   in Loop: Header=BB61_16 Depth=1
	ds_write_b16 v44, v3
; %bb.238:                              ;   in Loop: Header=BB61_16 Depth=1
	s_or_b64 exec, exec, s[6:7]
	v_cmp_gt_i64_e64 s[30:31], s[44:45], 0
	v_or_b32_e32 v48, s72, v48
	v_or_b32_e32 v52, s72, v52
	s_mov_b64 s[6:7], -1
	s_mov_b64 s[14:15], 0
	s_and_b64 vcc, exec, s[30:31]
	s_mov_b64 s[30:31], 0
	s_mov_b64 s[46:47], -1
	s_waitcnt lgkmcnt(0)
	s_barrier
                                        ; implicit-def: $vgpr53
	s_cbranch_vccnz .LBB61_256
; %bb.239:                              ;   in Loop: Header=BB61_16 Depth=1
	s_mov_b32 s94, s87
	s_movk_i32 s12, 0x3c00
	s_cmp_lg_u64 s[94:95], 0
	s_cbranch_scc0 .LBB61_242
; %bb.240:                              ;   in Loop: Header=BB61_16 Depth=1
	s_add_u32 s30, s84, 0
	s_addc_u32 s31, 0, 0
	s_xor_b64 s[30:31], s[30:31], 0
	v_cvt_f32_u32_e32 v4, s30
	v_cvt_f32_u32_e32 v5, s31
	s_sub_u32 s48, 0, s30
	s_subb_u32 s49, 0, s31
	v_fmac_f32_e32 v4, 0x4f800000, v5
	v_rcp_f32_e32 v4, v4
	s_nop 0
	v_mul_f32_e32 v4, 0x5f7ffffc, v4
	v_mul_f32_e32 v5, 0x2f800000, v4
	v_trunc_f32_e32 v5, v5
	v_fmac_f32_e32 v4, 0xcf800000, v5
	v_cvt_u32_f32_e32 v5, v5
	v_cvt_u32_f32_e32 v4, v4
	v_readfirstlane_b32 s50, v5
	v_readfirstlane_b32 s46, v4
	s_mul_i32 s47, s48, s50
	s_mul_hi_u32 s52, s48, s46
	s_mul_i32 s51, s49, s46
	s_add_i32 s47, s52, s47
	s_mul_i32 s53, s48, s46
	s_add_i32 s47, s47, s51
	s_mul_i32 s52, s46, s47
	s_mul_hi_u32 s54, s46, s53
	s_mul_hi_u32 s51, s46, s47
	s_add_u32 s52, s54, s52
	s_addc_u32 s51, 0, s51
	s_mul_hi_u32 s55, s50, s53
	s_mul_i32 s53, s50, s53
	s_add_u32 s52, s52, s53
	s_mul_hi_u32 s54, s50, s47
	s_addc_u32 s51, s51, s55
	s_addc_u32 s52, s54, 0
	s_mul_i32 s47, s50, s47
	s_add_u32 s47, s51, s47
	s_addc_u32 s51, 0, s52
	s_add_u32 s52, s46, s47
	s_cselect_b64 s[46:47], -1, 0
	s_cmp_lg_u64 s[46:47], 0
	s_addc_u32 s50, s50, s51
	s_mul_i32 s46, s48, s50
	s_mul_hi_u32 s47, s48, s52
	s_add_i32 s46, s47, s46
	s_mul_i32 s49, s49, s52
	s_add_i32 s46, s46, s49
	s_mul_i32 s48, s48, s52
	s_mul_hi_u32 s49, s50, s48
	s_mul_i32 s51, s50, s48
	s_mul_i32 s54, s52, s46
	s_mul_hi_u32 s48, s52, s48
	s_mul_hi_u32 s53, s52, s46
	s_add_u32 s48, s48, s54
	s_addc_u32 s53, 0, s53
	s_add_u32 s48, s48, s51
	s_mul_hi_u32 s47, s50, s46
	s_addc_u32 s48, s53, s49
	s_addc_u32 s47, s47, 0
	s_mul_i32 s46, s50, s46
	s_add_u32 s46, s48, s46
	s_addc_u32 s48, 0, s47
	s_add_u32 s51, s52, s46
	s_cselect_b64 s[46:47], -1, 0
	s_cmp_lg_u64 s[46:47], 0
	s_addc_u32 s50, s50, s48
	s_ashr_i32 s46, s95, 31
	s_add_u32 s48, s66, s46
	s_mov_b32 s47, s46
	s_addc_u32 s49, s95, s46
	s_xor_b64 s[48:49], s[48:49], s[46:47]
	s_mul_i32 s53, s48, s50
	s_mul_hi_u32 s54, s48, s51
	s_mul_hi_u32 s52, s48, s50
	s_add_u32 s53, s54, s53
	s_addc_u32 s52, 0, s52
	s_mul_hi_u32 s55, s49, s51
	s_mul_i32 s51, s49, s51
	s_add_u32 s51, s53, s51
	s_mul_hi_u32 s54, s49, s50
	s_addc_u32 s51, s52, s55
	s_addc_u32 s52, s54, 0
	s_mul_i32 s50, s49, s50
	s_add_u32 s50, s51, s50
	s_addc_u32 s51, 0, s52
	s_mul_i32 s51, s30, s51
	s_mul_hi_u32 s52, s30, s50
	s_add_i32 s51, s52, s51
	s_mul_i32 s52, s31, s50
	s_add_i32 s54, s51, s52
	s_sub_i32 s52, s49, s54
	s_mul_i32 s50, s30, s50
	s_sub_u32 s48, s48, s50
	s_cselect_b64 s[50:51], -1, 0
	s_cmp_lg_u64 s[50:51], 0
	s_subb_u32 s55, s52, s31
	s_sub_u32 s64, s48, s30
	s_cselect_b64 s[52:53], -1, 0
	s_cmp_lg_u64 s[52:53], 0
	s_subb_u32 s65, s55, 0
	s_cmp_ge_u32 s65, s31
	s_cselect_b32 s73, -1, 0
	s_cmp_ge_u32 s64, s30
	s_cselect_b32 s74, -1, 0
	s_cmp_eq_u32 s65, s31
	s_cselect_b32 s73, s74, s73
	s_cmp_lg_u64 s[52:53], 0
	s_subb_u32 s55, s55, s31
	s_sub_u32 s74, s64, s30
	s_cselect_b64 s[52:53], -1, 0
	s_cmp_lg_u64 s[52:53], 0
	s_subb_u32 s52, s55, 0
	s_cmp_lg_u32 s73, 0
	s_cselect_b32 s53, s74, s64
	s_cselect_b32 s52, s52, s65
	s_cmp_lg_u64 s[50:51], 0
	s_subb_u32 s49, s49, s54
	s_cmp_ge_u32 s49, s31
	s_cselect_b32 s50, -1, 0
	s_cmp_ge_u32 s48, s30
	s_cselect_b32 s30, -1, 0
	s_cmp_eq_u32 s49, s31
	s_cselect_b32 s30, s30, s50
	s_cmp_lg_u32 s30, 0
	s_cselect_b32 s31, s52, s49
	s_cselect_b32 s30, s53, s48
	s_xor_b64 s[30:31], s[30:31], s[46:47]
	s_sub_u32 s30, s30, s46
	s_subb_u32 s31, s31, s46
	s_mov_b64 s[46:47], 0
	s_branch .LBB61_243
.LBB61_241:                             ;   in Loop: Header=BB61_16 Depth=1
                                        ; implicit-def: $sgpr30_sgpr31
	s_branch .LBB61_211
.LBB61_242:                             ;   in Loop: Header=BB61_16 Depth=1
                                        ; implicit-def: $sgpr30_sgpr31
.LBB61_243:                             ;   in Loop: Header=BB61_16 Depth=1
	s_andn2_b64 vcc, exec, s[46:47]
	v_readlane_b32 s94, v73, 54
	s_cbranch_vccnz .LBB61_245
; %bb.244:                              ;   in Loop: Header=BB61_16 Depth=1
	v_cvt_f32_u32_e32 v4, s84
	s_sub_i32 s30, 0, s84
	v_rcp_iflag_f32_e32 v4, v4
	s_nop 0
	v_mul_f32_e32 v4, 0x4f7ffffe, v4
	v_cvt_u32_f32_e32 v4, v4
	s_nop 0
	v_readfirstlane_b32 s31, v4
	s_mul_i32 s30, s30, s31
	s_mul_hi_u32 s30, s31, s30
	s_add_i32 s31, s31, s30
	s_mul_hi_u32 s30, s66, s31
	s_mul_i32 s30, s30, s84
	s_sub_i32 s30, s66, s30
	s_sub_i32 s31, s30, s84
	s_cmp_ge_u32 s30, s84
	s_cselect_b32 s30, s31, s30
	s_sub_i32 s31, s30, s84
	s_cmp_ge_u32 s30, s84
	s_cselect_b32 s86, s31, s30
	s_mov_b64 s[30:31], s[86:87]
.LBB61_245:                             ;   in Loop: Header=BB61_16 Depth=1
	s_sub_u32 s50, s66, s30
	s_subb_u32 s51, s95, s31
	v_cmp_gt_i64_e32 vcc, s[50:51], v[0:1]
	s_mov_b64 s[46:47], 0
	s_mov_b64 s[30:31], 0
                                        ; implicit-def: $vgpr53
	s_and_saveexec_b64 s[48:49], vcc
	v_readlane_b32 s13, v73, 59
	s_cbranch_execz .LBB61_255
; %bb.246:                              ;   in Loop: Header=BB61_16 Depth=1
	v_mov_b64_e32 v[4:5], v[12:13]
	v_mov_b64_e32 v[8:9], v[0:1]
                                        ; implicit-def: $sgpr52_sgpr53
	s_branch .LBB61_250
.LBB61_247:                             ;   in Loop: Header=BB61_250 Depth=2
	s_or_b64 exec, exec, s[54:55]
	s_waitcnt lgkmcnt(0)
	s_barrier
	ds_read_b32 v10, v3 offset:3072
	s_waitcnt lgkmcnt(0)
	s_barrier
	v_cmp_neq_f16_e32 vcc, 0, v10
	s_cbranch_vccnz .LBB61_253
; %bb.248:                              ;   in Loop: Header=BB61_250 Depth=2
	v_lshl_add_u64 v[8:9], v[8:9], 0, s[84:85]
	v_cmp_le_i64_e32 vcc, s[50:51], v[8:9]
	v_lshl_add_u64 v[4:5], v[4:5], 0, s[88:89]
	s_mov_b64 s[54:55], 0
	s_orn2_b64 s[64:65], vcc, exec
.LBB61_249:                             ;   in Loop: Header=BB61_250 Depth=2
	s_and_b64 s[64:65], exec, s[64:65]
	s_or_b64 s[30:31], s[64:65], s[30:31]
	s_andn2_b64 s[52:53], s[52:53], exec
	s_and_b64 s[54:55], s[54:55], exec
	s_or_b64 s[52:53], s[52:53], s[54:55]
	s_andn2_b64 exec, exec, s[30:31]
	s_cbranch_execz .LBB61_254
.LBB61_250:                             ;   Parent Loop BB61_16 Depth=1
                                        ; =>  This Inner Loop Header: Depth=2
	v_cmp_gt_i64_e32 vcc, s[56:57], v[8:9]
	s_and_saveexec_b64 s[54:55], vcc
	s_cbranch_execz .LBB61_247
; %bb.251:                              ;   in Loop: Header=BB61_250 Depth=2
	global_load_ushort v10, v[4:5], off
	s_waitcnt vmcnt(0)
	v_cmp_lt_i16_e32 vcc, -1, v10
	s_nop 1
	v_cndmask_b32_e32 v11, v49, v50, vcc
	v_xor_b32_sdwa v11, v11, v10 dst_sel:DWORD dst_unused:UNUSED_PAD src0_sel:DWORD src1_sel:WORD_0
	v_cmp_o_f16_e32 vcc, v10, v10
	s_nop 1
	v_cndmask_b32_e32 v11, v49, v11, vcc
	v_and_b32_e32 v11, v11, v52
	v_cmp_eq_u32_e32 vcc, v11, v48
	s_and_b64 exec, exec, vcc
	s_cbranch_execz .LBB61_247
; %bb.252:                              ;   in Loop: Header=BB61_250 Depth=2
	v_perm_b32 v10, v10, s12, v51
	ds_write_b32 v3, v10 offset:3072
	s_branch .LBB61_247
.LBB61_253:                             ;   in Loop: Header=BB61_250 Depth=2
	s_mov_b64 s[64:65], -1
                                        ; implicit-def: $vgpr8_vgpr9
                                        ; implicit-def: $vgpr4_vgpr5
	s_mov_b64 s[54:55], -1
	s_branch .LBB61_249
.LBB61_254:                             ;   in Loop: Header=BB61_16 Depth=1
	s_or_b64 exec, exec, s[30:31]
	v_lshrrev_b32_e32 v53, 16, v10
	s_and_b64 s[30:31], s[52:53], exec
.LBB61_255:                             ;   in Loop: Header=BB61_16 Depth=1
	s_or_b64 exec, exec, s[48:49]
	v_readlane_b32 s99, v73, 50
	v_readlane_b32 s55, v73, 51
	;; [unrolled: 1-line block ×4, first 2 shown]
	s_mov_b32 s50, 0x5040100
	s_movk_i32 s51, 0x3c00
.LBB61_256:                             ;   in Loop: Header=BB61_16 Depth=1
	s_and_b64 vcc, exec, s[46:47]
	s_cbranch_vccz .LBB61_271
; %bb.257:                              ;   in Loop: Header=BB61_16 Depth=1
	v_readlane_b32 s6, v73, 32
	s_add_u32 s48, s44, s6
	v_readlane_b32 s6, v73, 33
	s_addc_u32 s7, s45, s6
	s_mov_b32 s6, s87
	s_cmp_lg_u64 s[6:7], 0
	s_cbranch_scc0 .LBB61_291
; %bb.258:                              ;   in Loop: Header=BB61_16 Depth=1
	s_add_u32 s14, s84, 0
	s_addc_u32 s15, 0, 0
	s_xor_b64 s[14:15], s[14:15], 0
	v_cvt_f32_u32_e32 v4, s14
	v_cvt_f32_u32_e32 v5, s15
	s_sub_u32 s6, 0, s14
	s_subb_u32 s49, 0, s15
	v_readlane_b32 s99, v73, 50
	v_fmac_f32_e32 v4, 0x4f800000, v5
	v_rcp_f32_e32 v4, v4
	v_readlane_b32 s13, v73, 59
	v_mul_f32_e32 v4, 0x5f7ffffc, v4
	v_mul_f32_e32 v5, 0x2f800000, v4
	v_trunc_f32_e32 v5, v5
	v_fmac_f32_e32 v4, 0xcf800000, v5
	v_cvt_u32_f32_e32 v5, v5
	v_cvt_u32_f32_e32 v4, v4
	v_readfirstlane_b32 s50, v5
	v_readfirstlane_b32 s46, v4
	s_mul_i32 s47, s6, s50
	s_mul_hi_u32 s52, s6, s46
	s_mul_i32 s51, s49, s46
	s_add_i32 s47, s52, s47
	s_mul_i32 s53, s6, s46
	s_add_i32 s47, s47, s51
	s_mul_i32 s52, s46, s47
	s_mul_hi_u32 s54, s46, s53
	s_mul_hi_u32 s51, s46, s47
	s_add_u32 s52, s54, s52
	s_addc_u32 s51, 0, s51
	s_mul_hi_u32 s55, s50, s53
	s_mul_i32 s53, s50, s53
	s_add_u32 s52, s52, s53
	s_mul_hi_u32 s54, s50, s47
	s_addc_u32 s51, s51, s55
	s_addc_u32 s52, s54, 0
	s_mul_i32 s47, s50, s47
	s_add_u32 s47, s51, s47
	s_addc_u32 s51, 0, s52
	s_add_u32 s52, s46, s47
	s_cselect_b64 s[46:47], -1, 0
	s_cmp_lg_u64 s[46:47], 0
	s_addc_u32 s50, s50, s51
	s_mul_i32 s46, s6, s50
	s_mul_hi_u32 s47, s6, s52
	s_add_i32 s46, s47, s46
	s_mul_i32 s49, s49, s52
	s_add_i32 s46, s46, s49
	s_mul_i32 s6, s6, s52
	s_mul_hi_u32 s49, s50, s6
	s_mul_i32 s51, s50, s6
	s_mul_i32 s54, s52, s46
	s_mul_hi_u32 s6, s52, s6
	s_mul_hi_u32 s53, s52, s46
	s_add_u32 s6, s6, s54
	s_addc_u32 s53, 0, s53
	s_add_u32 s6, s6, s51
	s_mul_hi_u32 s47, s50, s46
	s_addc_u32 s6, s53, s49
	s_addc_u32 s47, s47, 0
	s_mul_i32 s46, s50, s46
	s_add_u32 s6, s6, s46
	s_addc_u32 s49, 0, s47
	s_add_u32 s6, s52, s6
	s_cselect_b64 s[46:47], -1, 0
	s_cmp_lg_u64 s[46:47], 0
	s_addc_u32 s49, s50, s49
	s_ashr_i32 s46, s7, 31
	s_add_u32 s50, s48, s46
	s_mov_b32 s47, s46
	s_addc_u32 s51, s7, s46
	s_xor_b64 s[50:51], s[50:51], s[46:47]
	s_mul_i32 s53, s50, s49
	s_mul_hi_u32 s54, s50, s6
	s_mul_hi_u32 s52, s50, s49
	s_add_u32 s53, s54, s53
	s_addc_u32 s52, 0, s52
	s_mul_hi_u32 s55, s51, s6
	s_mul_i32 s6, s51, s6
	s_add_u32 s6, s53, s6
	s_mul_hi_u32 s54, s51, s49
	s_addc_u32 s6, s52, s55
	s_addc_u32 s52, s54, 0
	s_mul_i32 s49, s51, s49
	s_add_u32 s6, s6, s49
	s_addc_u32 s49, 0, s52
	s_mul_i32 s49, s14, s49
	s_mul_hi_u32 s52, s14, s6
	s_add_i32 s49, s52, s49
	s_mul_i32 s52, s15, s6
	s_add_i32 s49, s49, s52
	s_sub_i32 s54, s51, s49
	s_mul_i32 s6, s14, s6
	s_sub_u32 s6, s50, s6
	s_cselect_b64 s[52:53], -1, 0
	s_cmp_lg_u64 s[52:53], 0
	s_subb_u32 s50, s54, s15
	s_sub_u32 s64, s6, s14
	s_cselect_b64 s[54:55], -1, 0
	s_cmp_lg_u64 s[54:55], 0
	s_subb_u32 s65, s50, 0
	s_cmp_ge_u32 s65, s15
	s_cselect_b32 s73, -1, 0
	s_cmp_ge_u32 s64, s14
	s_cselect_b32 s74, -1, 0
	s_cmp_eq_u32 s65, s15
	s_cselect_b32 s73, s74, s73
	s_cmp_lg_u64 s[54:55], 0
	s_subb_u32 s50, s50, s15
	s_sub_u32 s74, s64, s14
	s_cselect_b64 s[54:55], -1, 0
	s_cmp_lg_u64 s[54:55], 0
	s_subb_u32 s50, s50, 0
	s_cmp_lg_u32 s73, 0
	s_cselect_b32 s54, s74, s64
	s_cselect_b32 s50, s50, s65
	s_cmp_lg_u64 s[52:53], 0
	s_subb_u32 s49, s51, s49
	s_cmp_ge_u32 s49, s15
	s_cselect_b32 s51, -1, 0
	s_cmp_ge_u32 s6, s14
	s_cselect_b32 s14, -1, 0
	s_cmp_eq_u32 s49, s15
	s_cselect_b32 s14, s14, s51
	s_cmp_lg_u32 s14, 0
	s_cselect_b32 s15, s50, s49
	s_cselect_b32 s14, s54, s6
	s_xor_b64 s[14:15], s[14:15], s[46:47]
	s_sub_u32 s14, s14, s46
	v_readlane_b32 s55, v73, 51
	s_movk_i32 s51, 0x3c00
	s_mov_b32 s50, 0x5040100
	v_readlane_b32 s49, v73, 53
	v_readlane_b32 s54, v73, 52
	s_subb_u32 s15, s15, s46
	s_cbranch_execnz .LBB61_260
.LBB61_259:                             ;   in Loop: Header=BB61_16 Depth=1
	v_cvt_f32_u32_e32 v4, s84
	s_sub_i32 s6, 0, s84
	v_rcp_iflag_f32_e32 v4, v4
	s_nop 0
	v_mul_f32_e32 v4, 0x4f7ffffe, v4
	v_cvt_u32_f32_e32 v4, v4
	s_nop 0
	v_readfirstlane_b32 s14, v4
	s_mul_i32 s6, s6, s14
	s_mul_hi_u32 s6, s14, s6
	s_add_i32 s14, s14, s6
	s_mul_hi_u32 s6, s48, s14
	s_mul_i32 s6, s6, s84
	s_sub_i32 s6, s48, s6
	s_sub_i32 s14, s6, s84
	s_cmp_ge_u32 s6, s84
	s_cselect_b32 s6, s14, s6
	s_sub_i32 s14, s6, s84
	s_cmp_ge_u32 s6, s84
	s_cselect_b32 s86, s14, s6
	s_mov_b64 s[14:15], s[86:87]
.LBB61_260:                             ;   in Loop: Header=BB61_16 Depth=1
	s_sub_u32 s14, s48, s14
	s_subb_u32 s15, s7, s15
	v_cmp_gt_i64_e32 vcc, s[14:15], v[0:1]
                                        ; implicit-def: $vgpr53
	s_and_saveexec_b64 s[6:7], vcc
	s_cbranch_execz .LBB61_270
; %bb.261:                              ;   in Loop: Header=BB61_16 Depth=1
	s_movk_i32 s58, 0x3c00
	s_mov_b64 s[46:47], 0
	v_mov_b32_e32 v8, v43
	v_mov_b64_e32 v[4:5], v[0:1]
                                        ; implicit-def: $sgpr48_sgpr49
	s_branch .LBB61_265
.LBB61_262:                             ;   in Loop: Header=BB61_265 Depth=2
	s_or_b64 exec, exec, s[50:51]
	s_waitcnt lgkmcnt(0)
	s_barrier
	ds_read_b32 v9, v3 offset:3072
	s_waitcnt lgkmcnt(0)
	s_barrier
	v_cmp_eq_f16_e32 vcc, 0, v9
	s_cbranch_vccz .LBB61_268
; %bb.263:                              ;   in Loop: Header=BB61_265 Depth=2
	v_lshl_add_u64 v[4:5], v[4:5], 0, s[84:85]
	v_cmp_le_i64_e32 vcc, s[14:15], v[4:5]
	v_add_u32_e32 v8, s94, v8
	s_mov_b64 s[50:51], 0
	s_orn2_b64 s[52:53], vcc, exec
.LBB61_264:                             ;   in Loop: Header=BB61_265 Depth=2
	s_and_b64 s[52:53], exec, s[52:53]
	s_or_b64 s[46:47], s[52:53], s[46:47]
	s_andn2_b64 s[48:49], s[48:49], exec
	s_and_b64 s[50:51], s[50:51], exec
	s_or_b64 s[48:49], s[48:49], s[50:51]
	s_andn2_b64 exec, exec, s[46:47]
	s_cbranch_execz .LBB61_269
.LBB61_265:                             ;   Parent Loop BB61_16 Depth=1
                                        ; =>  This Inner Loop Header: Depth=2
	v_cmp_gt_u64_e32 vcc, s[44:45], v[4:5]
	s_and_saveexec_b64 s[50:51], vcc
	s_cbranch_execz .LBB61_262
; %bb.266:                              ;   in Loop: Header=BB61_265 Depth=2
	ds_read_u16 v9, v8
	s_waitcnt lgkmcnt(0)
	v_cmp_lt_i16_e32 vcc, -1, v9
	s_nop 1
	v_cndmask_b32_e32 v10, v49, v50, vcc
	v_xor_b32_sdwa v10, v10, v9 dst_sel:DWORD dst_unused:UNUSED_PAD src0_sel:DWORD src1_sel:WORD_0
	v_cmp_o_f16_e32 vcc, v9, v9
	s_nop 1
	v_cndmask_b32_e32 v10, v49, v10, vcc
	v_and_b32_e32 v10, v10, v52
	v_cmp_eq_u32_e32 vcc, v10, v48
	s_and_b64 exec, exec, vcc
	s_cbranch_execz .LBB61_262
; %bb.267:                              ;   in Loop: Header=BB61_265 Depth=2
	v_perm_b32 v9, v9, s58, v51
	ds_write_b32 v3, v9 offset:3072
	s_branch .LBB61_262
.LBB61_268:                             ;   in Loop: Header=BB61_265 Depth=2
	s_mov_b64 s[52:53], -1
                                        ; implicit-def: $vgpr4_vgpr5
                                        ; implicit-def: $vgpr8
	s_mov_b64 s[50:51], -1
	s_branch .LBB61_264
.LBB61_269:                             ;   in Loop: Header=BB61_16 Depth=1
	s_or_b64 exec, exec, s[46:47]
	s_andn2_b64 s[14:15], s[30:31], exec
	s_and_b64 s[30:31], s[48:49], exec
	v_lshrrev_b32_e32 v53, 16, v9
	s_or_b64 s[30:31], s[14:15], s[30:31]
	v_readlane_b32 s49, v73, 53
	s_mov_b32 s50, 0x5040100
	s_movk_i32 s51, 0x3c00
.LBB61_270:                             ;   in Loop: Header=BB61_16 Depth=1
	s_or_b64 exec, exec, s[6:7]
	s_mov_b64 s[6:7], 0
	s_mov_b64 s[14:15], -1
.LBB61_271:                             ;   in Loop: Header=BB61_16 Depth=1
	s_orn2_b64 s[44:45], s[30:31], exec
.LBB61_272:                             ;   in Loop: Header=BB61_16 Depth=1
	s_or_b64 exec, exec, s[42:43]
	s_mov_b64 s[42:43], 0
	s_and_saveexec_b64 s[30:31], s[44:45]
	s_cbranch_execz .LBB61_283
; %bb.273:                              ;   in Loop: Header=BB61_16 Depth=1
	s_xor_b64 s[42:43], s[40:41], -1
	v_mov_b64_e32 v[4:5], 1
	v_mov_b32_e32 v2, 1
	s_and_saveexec_b64 s[40:41], s[42:43]
	s_cbranch_execz .LBB61_282
; %bb.274:                              ;   in Loop: Header=BB61_16 Depth=1
	v_cmp_ge_i64_e32 vcc, s[2:3], v[6:7]
	s_and_saveexec_b64 s[42:43], vcc
	s_xor_b64 s[42:43], exec, s[42:43]
	s_cbranch_execz .LBB61_279
; %bb.275:                              ;   in Loop: Header=BB61_16 Depth=1
	ds_read_b64 v[4:5], v3 offset:5120
	v_or_b32_e32 v48, s72, v48
	v_or_b32_e32 v52, s72, v52
	s_waitcnt lgkmcnt(0)
	v_cmp_ne_u64_e32 vcc, 0, v[4:5]
	s_cbranch_vccnz .LBB61_279
; %bb.276:                              ;   in Loop: Header=BB61_16 Depth=1
	s_mov_b64 s[44:45], exec
	v_readlane_b32 s46, v73, 12
	v_readlane_b32 s47, v73, 13
	s_and_b64 s[46:47], s[44:45], s[46:47]
	s_mov_b64 exec, s[46:47]
; %bb.277:                              ;   in Loop: Header=BB61_16 Depth=1
	v_mov_b64_e32 v[4:5], s[2:3]
	ds_write_b64 v3, v[4:5] offset:5128
; %bb.278:                              ;   in Loop: Header=BB61_16 Depth=1
	s_or_b64 exec, exec, s[44:45]
	s_waitcnt lgkmcnt(0)
	s_barrier
.LBB61_279:                             ;   in Loop: Header=BB61_16 Depth=1
	s_andn2_saveexec_b64 s[42:43], s[42:43]
; %bb.280:                              ;   in Loop: Header=BB61_16 Depth=1
	v_mov_b32_e32 v2, s3
	v_subrev_co_u32_e32 v6, vcc, s2, v6
	s_nop 1
	v_subb_co_u32_e32 v7, vcc, v7, v2, vcc
; %bb.281:                              ;   in Loop: Header=BB61_16 Depth=1
	s_or_b64 exec, exec, s[42:43]
	v_mov_b32_e32 v2, 8
	v_mov_b64_e32 v[4:5], v[6:7]
.LBB61_282:                             ;   in Loop: Header=BB61_16 Depth=1
	s_or_b64 exec, exec, s[40:41]
	s_mov_b64 s[42:43], exec
	v_mov_b64_e32 v[6:7], v[4:5]
.LBB61_283:                             ;   in Loop: Header=BB61_16 Depth=1
	s_or_b64 exec, exec, s[30:31]
	s_orn2_b64 s[30:31], s[42:43], exec
.LBB61_284:                             ;   in Loop: Header=BB61_16 Depth=1
	s_or_b64 exec, exec, s[22:23]
	s_andn2_b64 s[2:3], s[36:37], exec
	s_and_b64 s[14:15], s[14:15], exec
	s_or_b64 s[36:37], s[2:3], s[14:15]
	s_andn2_b64 s[2:3], s[34:35], exec
	s_and_b64 s[6:7], s[6:7], exec
	s_or_b64 s[34:35], s[2:3], s[6:7]
	s_and_b64 s[14:15], s[30:31], exec
	v_mov_b64_e32 v[4:5], v[6:7]
.LBB61_285:                             ;   in Loop: Header=BB61_16 Depth=1
	s_or_b64 exec, exec, s[38:39]
	s_orn2_b64 s[6:7], s[14:15], exec
.LBB61_286:                             ;   in Loop: Header=BB61_16 Depth=1
	s_or_b64 exec, exec, s[28:29]
	s_andn2_b64 s[2:3], s[24:25], exec
	s_and_b64 s[14:15], s[36:37], exec
	s_or_b64 s[24:25], s[2:3], s[14:15]
	s_andn2_b64 s[0:1], s[0:1], exec
	s_and_b64 s[2:3], s[34:35], exec
	s_or_b64 s[0:1], s[0:1], s[2:3]
	s_and_b64 s[14:15], s[6:7], exec
	v_mov_b64_e32 v[8:9], v[4:5]
.LBB61_287:                             ;   in Loop: Header=BB61_16 Depth=1
	s_or_b64 exec, exec, s[26:27]
	s_orn2_b64 s[6:7], s[14:15], exec
.LBB61_288:                             ;   in Loop: Header=BB61_16 Depth=1
	s_or_b64 exec, exec, s[20:21]
	s_mov_b64 s[14:15], 0
	s_and_saveexec_b64 s[2:3], s[6:7]
	s_xor_b64 s[2:3], exec, s[2:3]
	s_cbranch_execz .LBB61_14
; %bb.289:                              ;   in Loop: Header=BB61_16 Depth=1
	v_and_b32_e32 v2, 7, v2
	v_cmp_eq_u32_e32 vcc, 0, v2
	s_mov_b64 s[6:7], -1
	s_mov_b64 s[14:15], -1
	s_and_saveexec_b64 s[18:19], vcc
	s_cbranch_execz .LBB61_13
; %bb.290:                              ;   in Loop: Header=BB61_16 Depth=1
	s_xor_b32 s59, s59, 1
	s_add_i32 s20, s96, -2
	s_cmp_eq_u32 s96, 0
	s_cselect_b64 s[6:7], -1, 0
	s_xor_b64 s[14:15], exec, -1
	s_orn2_b64 s[6:7], s[6:7], exec
	s_mov_b32 s96, s20
	s_branch .LBB61_13
.LBB61_291:                             ;   in Loop: Header=BB61_16 Depth=1
                                        ; implicit-def: $sgpr14_sgpr15
	s_branch .LBB61_259
.LBB61_292:
	s_or_b64 exec, exec, s[70:71]
	s_xor_b64 s[4:5], s[82:83], -1
	s_xor_b64 s[2:3], s[10:11], -1
	;; [unrolled: 1-line block ×3, first 2 shown]
	s_mov_b64 s[0:1], 0
	s_and_saveexec_b64 s[8:9], s[2:3]
	s_xor_b64 s[2:3], exec, s[8:9]
	s_cbranch_execnz .LBB61_297
; %bb.293:
	s_andn2_saveexec_b64 s[2:3], s[2:3]
	s_cbranch_execnz .LBB61_322
.LBB61_294:
	s_or_b64 exec, exec, s[2:3]
	s_and_saveexec_b64 s[2:3], s[0:1]
.LBB61_295:
	; divergent unreachable
.LBB61_296:
	s_endpgm
.LBB61_297:
	s_and_saveexec_b64 s[0:1], s[4:5]
	s_xor_b64 s[4:5], exec, s[0:1]
	s_cbranch_execz .LBB61_320
; %bb.298:
	s_and_saveexec_b64 s[0:1], s[6:7]
	s_xor_b64 s[0:1], exec, s[0:1]
; %bb.299:
	v_and_b32_e32 v2, 0x8000, v48
	v_mov_b32_e32 v3, 0x8000
	v_mov_b32_e32 v4, 0xffff
	v_cmp_eq_u32_e32 vcc, 0, v2
	s_nop 1
	v_cndmask_b32_e32 v2, v3, v4, vcc
	v_xor_b32_e32 v53, v2, v48
; %bb.300:
	s_or_b64 exec, exec, s[0:1]
	s_mov_b64 s[0:1], exec
	v_readlane_b32 s6, v73, 12
	v_readlane_b32 s7, v73, 13
	;; [unrolled: 1-line block ×3, first 2 shown]
	s_and_b64 s[6:7], s[0:1], s[6:7]
	v_readlane_b32 s26, v73, 22
	v_readlane_b32 s29, v73, 7
	;; [unrolled: 1-line block ×3, first 2 shown]
	s_mov_b64 exec, s[6:7]
; %bb.301:
	v_mov_b32_e32 v2, 0
	v_mov_b32_e32 v3, s56
	ds_write_b32 v2, v3 offset:5140
; %bb.302:
	s_or_b64 exec, exec, s[0:1]
	s_waitcnt lgkmcnt(0)
	s_barrier
	s_mov_b64 s[6:7], exec
	v_readlane_b32 s0, v73, 28
	v_readlane_b32 s1, v73, 29
	s_and_b64 s[0:1], s[6:7], s[0:1]
	s_mov_b64 exec, s[0:1]
	s_cbranch_execz .LBB61_317
; %bb.303:
	v_mov_b32_e32 v2, 0
	ds_read_b32 v4, v2 offset:5140
	v_cmp_u_f16_e32 vcc, v53, v53
	s_mov_b64 s[8:9], 0
	s_xor_b64 s[10:11], vcc, -1
                                        ; implicit-def: $sgpr12_sgpr13
                                        ; implicit-def: $sgpr14_sgpr15
                                        ; implicit-def: $sgpr16_sgpr17
	s_waitcnt lgkmcnt(0)
	v_ashrrev_i32_e32 v5, 31, v4
	s_branch .LBB61_306
.LBB61_304:                             ;   in Loop: Header=BB61_306 Depth=1
	s_or_b64 exec, exec, s[22:23]
	s_andn2_b64 s[16:17], s[16:17], exec
	s_and_b64 s[0:1], s[0:1], exec
	s_or_b64 s[16:17], s[16:17], s[0:1]
	s_andn2_b64 s[0:1], s[14:15], exec
	s_and_b64 s[14:15], s[20:21], exec
	s_or_b64 s[14:15], s[0:1], s[14:15]
.LBB61_305:                             ;   in Loop: Header=BB61_306 Depth=1
	s_or_b64 exec, exec, s[18:19]
	s_and_b64 s[0:1], exec, s[14:15]
	s_or_b64 s[8:9], s[0:1], s[8:9]
	s_andn2_b64 s[0:1], s[12:13], exec
	s_and_b64 s[12:13], s[16:17], exec
	s_or_b64 s[12:13], s[0:1], s[12:13]
	s_andn2_b64 exec, exec, s[8:9]
	s_cbranch_execz .LBB61_312
.LBB61_306:                             ; =>This Inner Loop Header: Depth=1
	v_mov_b64_e32 v[2:3], v[0:1]
	v_cmp_lt_i64_e32 vcc, v[2:3], v[4:5]
	s_or_b64 s[16:17], s[16:17], exec
	s_or_b64 s[14:15], s[14:15], exec
                                        ; implicit-def: $vgpr0_vgpr1
	s_and_saveexec_b64 s[18:19], vcc
	s_cbranch_execz .LBB61_305
; %bb.307:                              ;   in Loop: Header=BB61_306 Depth=1
	global_load_ushort v0, v[12:13], off
	s_mov_b64 s[20:21], -1
	s_waitcnt vmcnt(0)
	v_cmp_o_f16_e64 s[0:1], v0, v0
	v_cmp_neq_f16_e32 vcc, v0, v53
	s_or_b64 s[0:1], s[10:11], s[0:1]
	s_and_b64 s[24:25], vcc, s[0:1]
	s_mov_b64 s[0:1], 0
                                        ; implicit-def: $vgpr0_vgpr1
	s_and_saveexec_b64 s[22:23], s[24:25]
	s_cbranch_execz .LBB61_304
; %bb.308:                              ;   in Loop: Header=BB61_306 Depth=1
	v_lshl_add_u64 v[0:1], v[2:3], 0, s[84:85]
	v_cmp_le_i64_e32 vcc, s[56:57], v[0:1]
	s_mov_b64 s[0:1], exec
	v_lshl_add_u64 v[12:13], v[12:13], 0, s[88:89]
	s_orn2_b64 s[20:21], vcc, exec
	s_branch .LBB61_304
.LBB61_309:
                                        ; implicit-def: $sgpr14_sgpr15
	s_branch .LBB61_3
.LBB61_310:
                                        ; implicit-def: $sgpr4_sgpr5
                                        ; kill: killed $sgpr4_sgpr5
	s_branch .LBB61_6
.LBB61_311:
                                        ; implicit-def: $sgpr6_sgpr7
                                        ; kill: killed $sgpr6_sgpr7
	s_load_dwordx2 s[16:17], s[0:1], 0x0
	s_branch .LBB61_9
.LBB61_312:
	s_or_b64 exec, exec, s[8:9]
	s_xor_b64 s[0:1], s[12:13], -1
	s_and_saveexec_b64 s[8:9], s[0:1]
	s_xor_b64 s[8:9], exec, s[8:9]
	s_cbranch_execz .LBB61_317
; %bb.313:
	s_mov_b64 s[0:1], exec
	s_brev_b32 s8, -2
.LBB61_314:                             ; =>This Inner Loop Header: Depth=1
	s_ff1_i32_b64 s9, s[0:1]
	v_readlane_b32 s12, v2, s9
	s_lshl_b64 s[10:11], 1, s9
	s_min_i32 s8, s8, s12
	s_andn2_b64 s[0:1], s[0:1], s[10:11]
	s_cmp_lg_u64 s[0:1], 0
	s_cbranch_scc1 .LBB61_314
; %bb.315:
	v_mbcnt_lo_u32_b32 v0, exec_lo, 0
	v_mbcnt_hi_u32_b32 v0, exec_hi, v0
	v_cmp_eq_u32_e32 vcc, 0, v0
	s_and_saveexec_b64 s[0:1], vcc
	s_xor_b64 s[0:1], exec, s[0:1]
; %bb.316:
	v_mov_b32_e32 v0, 0
	v_mov_b32_e32 v1, s8
	ds_min_i32 v0, v1 offset:5140
.LBB61_317:
	s_or_b64 exec, exec, s[6:7]
	s_waitcnt lgkmcnt(0)
	s_barrier
	s_mov_b64 s[0:1], exec
	v_readlane_b32 s6, v73, 12
	v_readlane_b32 s7, v73, 13
	s_and_b64 s[6:7], s[0:1], s[6:7]
	s_mov_b64 exec, s[6:7]
	s_cbranch_execz .LBB61_319
; %bb.318:
	v_readlane_b32 s8, v73, 0
	v_readlane_b32 s9, v73, 1
	;; [unrolled: 1-line block ×4, first 2 shown]
	s_mul_i32 s6, s10, s9
	s_mul_hi_u32 s7, s10, s8
	s_add_i32 s6, s7, s6
	s_mul_i32 s7, s11, s8
	s_add_i32 s6, s6, s7
	s_mul_i32 s7, s10, s8
	v_readlane_b32 s12, v73, 18
	s_sub_u32 s8, s26, s7
	v_readlane_b32 s14, v73, 20
	v_readlane_b32 s15, v73, 21
	s_subb_u32 s6, 0, s6
	s_mul_i32 s7, s8, s15
	s_mul_hi_u32 s9, s8, s14
	v_readlane_b32 s13, v73, 19
	s_add_i32 s7, s9, s7
	s_mul_i32 s6, s6, s14
	s_add_i32 s7, s7, s6
	s_mul_i32 s6, s8, s14
	s_mul_i32 s8, s10, s13
	s_mul_hi_u32 s9, s10, s12
	s_add_i32 s8, s9, s8
	s_mul_i32 s9, s11, s12
	v_readlane_b32 s14, v73, 4
	s_add_i32 s9, s8, s9
	s_mul_i32 s8, s10, s12
	v_readlane_b32 s15, v73, 5
	s_mul_i32 s10, s14, s29
	s_mul_hi_u32 s11, s14, s28
	s_add_i32 s10, s11, s10
	s_mul_i32 s11, s15, s28
	s_add_i32 s10, s10, s11
	s_mul_i32 s11, s14, s28
	v_readlane_b32 s16, v73, 14
	s_sub_u32 s12, s26, s11
	v_readlane_b32 s18, v73, 16
	v_readlane_b32 s19, v73, 17
	s_subb_u32 s10, 0, s10
	s_mul_i32 s11, s12, s19
	s_mul_hi_u32 s13, s12, s18
	v_readlane_b32 s17, v73, 15
	s_add_i32 s11, s13, s11
	s_mul_i32 s10, s10, s18
	s_add_i32 s11, s11, s10
	s_mul_i32 s10, s12, s18
	s_mul_i32 s12, s14, s17
	s_mul_hi_u32 s13, s14, s16
	s_add_i32 s12, s13, s12
	s_mul_i32 s13, s15, s16
	s_add_i32 s13, s12, s13
	s_mul_i32 s12, s14, s16
	s_lshl_b64 s[8:9], s[8:9], 1
	v_readlane_b32 s14, v73, 10
	v_readlane_b32 s15, v73, 11
	s_add_u32 s8, s14, s8
	s_addc_u32 s9, s15, s9
	s_lshl_b64 s[6:7], s[6:7], 1
	v_mov_b32_e32 v2, 0
	s_add_u32 s6, s8, s6
	ds_read_b32 v0, v2 offset:5140
	s_addc_u32 s7, s9, s7
	s_lshl_b64 s[8:9], s[12:13], 3
	v_readlane_b32 s12, v73, 8
	v_readlane_b32 s13, v73, 9
	s_add_u32 s12, s12, s8
	s_addc_u32 s13, s13, s9
	s_lshl_b64 s[8:9], s[10:11], 3
	s_add_u32 s8, s12, s8
	s_addc_u32 s9, s13, s9
	s_waitcnt lgkmcnt(0)
	v_ashrrev_i32_e32 v1, 31, v0
	global_store_dwordx2 v2, v[0:1], s[8:9]
	global_store_short v2, v53, s[6:7]
.LBB61_319:
	s_or_b64 exec, exec, s[0:1]
.LBB61_320:
	s_or_saveexec_b64 s[0:1], s[4:5]
	s_mov_b64 s[4:5], 0
	s_xor_b64 exec, exec, s[0:1]
	s_cbranch_execnz .LBB61_323
.LBB61_321:
	s_or_b64 exec, exec, s[0:1]
	s_and_b64 s[0:1], s[4:5], exec
	s_andn2_saveexec_b64 s[2:3], s[2:3]
	s_cbranch_execz .LBB61_294
.LBB61_322:
	s_or_b64 s[0:1], s[0:1], exec
	s_trap 2
	s_or_b64 exec, exec, s[2:3]
	s_and_saveexec_b64 s[2:3], s[0:1]
	s_cbranch_execnz .LBB61_295
	s_branch .LBB61_296
.LBB61_323:
	s_mov_b64 s[4:5], exec
	s_trap 2
	s_branch .LBB61_321
	.section	.rodata,"a",@progbits
	.p2align	6, 0x0
	.amdhsa_kernel _ZN2at6native12_GLOBAL__N_114gatherKthValueIN3c104HalfElLi2EEEvNS_4cuda6detail10TensorInfoIKT_T0_EESA_SA_SA_SA_NS7_IS8_SA_EENS7_IlSA_EE
		.amdhsa_group_segment_fixed_size 5144
		.amdhsa_private_segment_fixed_size 0
		.amdhsa_kernarg_size 1536
		.amdhsa_user_sgpr_count 2
		.amdhsa_user_sgpr_dispatch_ptr 0
		.amdhsa_user_sgpr_queue_ptr 0
		.amdhsa_user_sgpr_kernarg_segment_ptr 1
		.amdhsa_user_sgpr_dispatch_id 0
		.amdhsa_user_sgpr_kernarg_preload_length 0
		.amdhsa_user_sgpr_kernarg_preload_offset 0
		.amdhsa_user_sgpr_private_segment_size 0
		.amdhsa_uses_dynamic_stack 0
		.amdhsa_enable_private_segment 0
		.amdhsa_system_sgpr_workgroup_id_x 1
		.amdhsa_system_sgpr_workgroup_id_y 1
		.amdhsa_system_sgpr_workgroup_id_z 1
		.amdhsa_system_sgpr_workgroup_info 0
		.amdhsa_system_vgpr_workitem_id 0
		.amdhsa_next_free_vgpr 74
		.amdhsa_next_free_sgpr 100
		.amdhsa_accum_offset 76
		.amdhsa_reserve_vcc 1
		.amdhsa_float_round_mode_32 0
		.amdhsa_float_round_mode_16_64 0
		.amdhsa_float_denorm_mode_32 3
		.amdhsa_float_denorm_mode_16_64 3
		.amdhsa_dx10_clamp 1
		.amdhsa_ieee_mode 1
		.amdhsa_fp16_overflow 0
		.amdhsa_tg_split 0
		.amdhsa_exception_fp_ieee_invalid_op 0
		.amdhsa_exception_fp_denorm_src 0
		.amdhsa_exception_fp_ieee_div_zero 0
		.amdhsa_exception_fp_ieee_overflow 0
		.amdhsa_exception_fp_ieee_underflow 0
		.amdhsa_exception_fp_ieee_inexact 0
		.amdhsa_exception_int_div_zero 0
	.end_amdhsa_kernel
	.section	.text._ZN2at6native12_GLOBAL__N_114gatherKthValueIN3c104HalfElLi2EEEvNS_4cuda6detail10TensorInfoIKT_T0_EESA_SA_SA_SA_NS7_IS8_SA_EENS7_IlSA_EE,"axG",@progbits,_ZN2at6native12_GLOBAL__N_114gatherKthValueIN3c104HalfElLi2EEEvNS_4cuda6detail10TensorInfoIKT_T0_EESA_SA_SA_SA_NS7_IS8_SA_EENS7_IlSA_EE,comdat
.Lfunc_end61:
	.size	_ZN2at6native12_GLOBAL__N_114gatherKthValueIN3c104HalfElLi2EEEvNS_4cuda6detail10TensorInfoIKT_T0_EESA_SA_SA_SA_NS7_IS8_SA_EENS7_IlSA_EE, .Lfunc_end61-_ZN2at6native12_GLOBAL__N_114gatherKthValueIN3c104HalfElLi2EEEvNS_4cuda6detail10TensorInfoIKT_T0_EESA_SA_SA_SA_NS7_IS8_SA_EENS7_IlSA_EE
                                        ; -- End function
	.set _ZN2at6native12_GLOBAL__N_114gatherKthValueIN3c104HalfElLi2EEEvNS_4cuda6detail10TensorInfoIKT_T0_EESA_SA_SA_SA_NS7_IS8_SA_EENS7_IlSA_EE.num_vgpr, 74
	.set _ZN2at6native12_GLOBAL__N_114gatherKthValueIN3c104HalfElLi2EEEvNS_4cuda6detail10TensorInfoIKT_T0_EESA_SA_SA_SA_NS7_IS8_SA_EENS7_IlSA_EE.num_agpr, 0
	.set _ZN2at6native12_GLOBAL__N_114gatherKthValueIN3c104HalfElLi2EEEvNS_4cuda6detail10TensorInfoIKT_T0_EESA_SA_SA_SA_NS7_IS8_SA_EENS7_IlSA_EE.numbered_sgpr, 100
	.set _ZN2at6native12_GLOBAL__N_114gatherKthValueIN3c104HalfElLi2EEEvNS_4cuda6detail10TensorInfoIKT_T0_EESA_SA_SA_SA_NS7_IS8_SA_EENS7_IlSA_EE.num_named_barrier, 0
	.set _ZN2at6native12_GLOBAL__N_114gatherKthValueIN3c104HalfElLi2EEEvNS_4cuda6detail10TensorInfoIKT_T0_EESA_SA_SA_SA_NS7_IS8_SA_EENS7_IlSA_EE.private_seg_size, 0
	.set _ZN2at6native12_GLOBAL__N_114gatherKthValueIN3c104HalfElLi2EEEvNS_4cuda6detail10TensorInfoIKT_T0_EESA_SA_SA_SA_NS7_IS8_SA_EENS7_IlSA_EE.uses_vcc, 1
	.set _ZN2at6native12_GLOBAL__N_114gatherKthValueIN3c104HalfElLi2EEEvNS_4cuda6detail10TensorInfoIKT_T0_EESA_SA_SA_SA_NS7_IS8_SA_EENS7_IlSA_EE.uses_flat_scratch, 0
	.set _ZN2at6native12_GLOBAL__N_114gatherKthValueIN3c104HalfElLi2EEEvNS_4cuda6detail10TensorInfoIKT_T0_EESA_SA_SA_SA_NS7_IS8_SA_EENS7_IlSA_EE.has_dyn_sized_stack, 0
	.set _ZN2at6native12_GLOBAL__N_114gatherKthValueIN3c104HalfElLi2EEEvNS_4cuda6detail10TensorInfoIKT_T0_EESA_SA_SA_SA_NS7_IS8_SA_EENS7_IlSA_EE.has_recursion, 0
	.set _ZN2at6native12_GLOBAL__N_114gatherKthValueIN3c104HalfElLi2EEEvNS_4cuda6detail10TensorInfoIKT_T0_EESA_SA_SA_SA_NS7_IS8_SA_EENS7_IlSA_EE.has_indirect_call, 0
	.section	.AMDGPU.csdata,"",@progbits
; Kernel info:
; codeLenInByte = 19984
; TotalNumSgprs: 106
; NumVgprs: 74
; NumAgprs: 0
; TotalNumVgprs: 74
; ScratchSize: 0
; MemoryBound: 0
; FloatMode: 240
; IeeeMode: 1
; LDSByteSize: 5144 bytes/workgroup (compile time only)
; SGPRBlocks: 13
; VGPRBlocks: 9
; NumSGPRsForWavesPerEU: 106
; NumVGPRsForWavesPerEU: 74
; AccumOffset: 76
; Occupancy: 6
; WaveLimiterHint : 1
; COMPUTE_PGM_RSRC2:SCRATCH_EN: 0
; COMPUTE_PGM_RSRC2:USER_SGPR: 2
; COMPUTE_PGM_RSRC2:TRAP_HANDLER: 0
; COMPUTE_PGM_RSRC2:TGID_X_EN: 1
; COMPUTE_PGM_RSRC2:TGID_Y_EN: 1
; COMPUTE_PGM_RSRC2:TGID_Z_EN: 1
; COMPUTE_PGM_RSRC2:TIDIG_COMP_CNT: 0
; COMPUTE_PGM_RSRC3_GFX90A:ACCUM_OFFSET: 18
; COMPUTE_PGM_RSRC3_GFX90A:TG_SPLIT: 0
	.section	.text._ZN2at6native12_GLOBAL__N_114gatherKthValueIN3c104HalfElLi3EEEvNS_4cuda6detail10TensorInfoIKT_T0_EESA_SA_SA_SA_NS7_IS8_SA_EENS7_IlSA_EE,"axG",@progbits,_ZN2at6native12_GLOBAL__N_114gatherKthValueIN3c104HalfElLi3EEEvNS_4cuda6detail10TensorInfoIKT_T0_EESA_SA_SA_SA_NS7_IS8_SA_EENS7_IlSA_EE,comdat
	.globl	_ZN2at6native12_GLOBAL__N_114gatherKthValueIN3c104HalfElLi3EEEvNS_4cuda6detail10TensorInfoIKT_T0_EESA_SA_SA_SA_NS7_IS8_SA_EENS7_IlSA_EE ; -- Begin function _ZN2at6native12_GLOBAL__N_114gatherKthValueIN3c104HalfElLi3EEEvNS_4cuda6detail10TensorInfoIKT_T0_EESA_SA_SA_SA_NS7_IS8_SA_EENS7_IlSA_EE
	.p2align	8
	.type	_ZN2at6native12_GLOBAL__N_114gatherKthValueIN3c104HalfElLi3EEEvNS_4cuda6detail10TensorInfoIKT_T0_EESA_SA_SA_SA_NS7_IS8_SA_EENS7_IlSA_EE,@function
_ZN2at6native12_GLOBAL__N_114gatherKthValueIN3c104HalfElLi3EEEvNS_4cuda6detail10TensorInfoIKT_T0_EESA_SA_SA_SA_NS7_IS8_SA_EENS7_IlSA_EE: ; @_ZN2at6native12_GLOBAL__N_114gatherKthValueIN3c104HalfElLi3EEEvNS_4cuda6detail10TensorInfoIKT_T0_EESA_SA_SA_SA_NS7_IS8_SA_EENS7_IlSA_EE
; %bb.0:
	s_load_dwordx2 s[14:15], s[0:1], 0x500
	s_load_dwordx8 s[56:63], s[0:1], 0x1a0
	s_add_u32 s12, s0, 0x500
	s_addc_u32 s13, s1, 0
	s_mov_b32 s43, 0
	s_waitcnt lgkmcnt(0)
	s_mul_i32 s4, s15, s4
	s_add_i32 s3, s4, s3
	s_mul_i32 s3, s3, s14
	s_add_i32 s42, s3, s2
	v_mov_b64_e32 v[2:3], s[42:43]
	v_cmp_le_i64_e32 vcc, s[60:61], v[2:3]
	s_cbranch_vccnz .LBB62_311
; %bb.1:
	s_load_dwordx4 s[4:7], s[0:1], 0x10
	s_mov_b32 s8, s43
	s_waitcnt lgkmcnt(0)
	s_mov_b32 s9, s7
	s_cmp_lg_u64 s[8:9], 0
	s_cbranch_scc0 .LBB62_18
; %bb.2:
	s_ashr_i32 s8, s7, 31
	s_add_u32 s10, s6, s8
	s_mov_b32 s9, s8
	s_addc_u32 s11, s7, s8
	s_xor_b64 s[16:17], s[10:11], s[8:9]
	v_cvt_f32_u32_e32 v1, s16
	v_cvt_f32_u32_e32 v2, s17
	s_sub_u32 s3, 0, s16
	s_subb_u32 s15, 0, s17
	v_fmamk_f32 v1, v2, 0x4f800000, v1
	v_rcp_f32_e32 v1, v1
	s_nop 0
	v_mul_f32_e32 v1, 0x5f7ffffc, v1
	v_mul_f32_e32 v2, 0x2f800000, v1
	v_trunc_f32_e32 v2, v2
	v_fmamk_f32 v1, v2, 0xcf800000, v1
	v_cvt_u32_f32_e32 v2, v2
	v_cvt_u32_f32_e32 v1, v1
	v_readfirstlane_b32 s20, v2
	v_readfirstlane_b32 s18, v1
	s_mul_i32 s19, s3, s20
	s_mul_hi_u32 s22, s3, s18
	s_mul_i32 s21, s15, s18
	s_add_i32 s19, s22, s19
	s_add_i32 s19, s19, s21
	s_mul_i32 s23, s3, s18
	s_mul_i32 s22, s18, s19
	s_mul_hi_u32 s24, s18, s23
	s_mul_hi_u32 s21, s18, s19
	s_add_u32 s22, s24, s22
	s_addc_u32 s21, 0, s21
	s_mul_hi_u32 s25, s20, s23
	s_mul_i32 s23, s20, s23
	s_add_u32 s22, s22, s23
	s_mul_hi_u32 s24, s20, s19
	s_addc_u32 s21, s21, s25
	s_addc_u32 s22, s24, 0
	s_mul_i32 s19, s20, s19
	s_add_u32 s19, s21, s19
	s_addc_u32 s21, 0, s22
	s_add_u32 s22, s18, s19
	s_cselect_b64 s[18:19], -1, 0
	s_cmp_lg_u64 s[18:19], 0
	s_addc_u32 s20, s20, s21
	s_mul_i32 s18, s3, s20
	s_mul_hi_u32 s19, s3, s22
	s_add_i32 s18, s19, s18
	s_mul_i32 s15, s15, s22
	s_add_i32 s18, s18, s15
	s_mul_i32 s3, s3, s22
	s_mul_hi_u32 s19, s20, s3
	s_mul_i32 s21, s20, s3
	s_mul_i32 s24, s22, s18
	s_mul_hi_u32 s3, s22, s3
	s_mul_hi_u32 s23, s22, s18
	s_add_u32 s3, s3, s24
	s_addc_u32 s23, 0, s23
	s_add_u32 s3, s3, s21
	s_mul_hi_u32 s15, s20, s18
	s_addc_u32 s3, s23, s19
	s_addc_u32 s15, s15, 0
	s_mul_i32 s18, s20, s18
	s_add_u32 s3, s3, s18
	s_addc_u32 s15, 0, s15
	s_add_u32 s3, s22, s3
	s_cselect_b64 s[18:19], -1, 0
	s_cmp_lg_u64 s[18:19], 0
	s_addc_u32 s15, s20, s15
	s_add_u32 s18, s42, 0
	s_addc_u32 s19, 0, 0
	s_xor_b64 s[18:19], s[18:19], 0
	s_mul_i32 s21, s18, s15
	s_mul_hi_u32 s22, s18, s3
	s_mul_hi_u32 s20, s18, s15
	s_add_u32 s21, s22, s21
	s_addc_u32 s20, 0, s20
	s_mul_hi_u32 s23, s19, s3
	s_mul_i32 s3, s19, s3
	s_add_u32 s3, s21, s3
	s_mul_hi_u32 s22, s19, s15
	s_addc_u32 s3, s20, s23
	s_addc_u32 s20, s22, 0
	s_mul_i32 s15, s19, s15
	s_add_u32 s3, s3, s15
	s_addc_u32 s15, 0, s20
	s_mul_i32 s20, s16, s15
	s_mul_hi_u32 s21, s16, s3
	s_add_i32 s20, s21, s20
	s_mul_i32 s21, s17, s3
	s_add_i32 s24, s20, s21
	s_sub_i32 s22, s19, s24
	s_mul_i32 s20, s16, s3
	s_sub_u32 s18, s18, s20
	s_cselect_b64 s[20:21], -1, 0
	s_cmp_lg_u64 s[20:21], 0
	s_subb_u32 s25, s22, s17
	s_sub_u32 s26, s18, s16
	s_cselect_b64 s[22:23], -1, 0
	s_cmp_lg_u64 s[22:23], 0
	s_subb_u32 s22, s25, 0
	s_cmp_ge_u32 s22, s17
	s_cselect_b32 s23, -1, 0
	s_cmp_ge_u32 s26, s16
	s_cselect_b32 s25, -1, 0
	s_cmp_eq_u32 s22, s17
	s_cselect_b32 s22, s25, s23
	s_add_u32 s23, s3, 1
	s_addc_u32 s25, s15, 0
	s_add_u32 s26, s3, 2
	s_addc_u32 s27, s15, 0
	s_cmp_lg_u32 s22, 0
	s_cselect_b32 s22, s26, s23
	s_cselect_b32 s23, s27, s25
	s_cmp_lg_u64 s[20:21], 0
	s_subb_u32 s19, s19, s24
	s_cmp_ge_u32 s19, s17
	s_cselect_b32 s20, -1, 0
	s_cmp_ge_u32 s18, s16
	s_cselect_b32 s16, -1, 0
	s_cmp_eq_u32 s19, s17
	s_cselect_b32 s16, s16, s20
	s_cmp_lg_u32 s16, 0
	s_cselect_b32 s17, s23, s15
	s_cselect_b32 s16, s22, s3
	s_xor_b64 s[8:9], 0, s[8:9]
	s_xor_b64 s[16:17], s[16:17], s[8:9]
	s_sub_u32 s16, s16, s8
	s_subb_u32 s17, s17, s9
	s_cbranch_execnz .LBB62_4
.LBB62_3:
	v_cvt_f32_u32_e32 v1, s6
	s_sub_i32 s3, 0, s6
	s_mov_b32 s17, 0
	v_rcp_iflag_f32_e32 v1, v1
	s_nop 0
	v_mul_f32_e32 v1, 0x4f7ffffe, v1
	v_cvt_u32_f32_e32 v1, v1
	s_nop 0
	v_readfirstlane_b32 s8, v1
	s_mul_i32 s3, s3, s8
	s_mul_hi_u32 s3, s8, s3
	s_add_i32 s8, s8, s3
	s_mul_hi_u32 s3, s42, s8
	s_mul_i32 s9, s3, s6
	s_sub_i32 s9, s42, s9
	s_add_i32 s8, s3, 1
	s_sub_i32 s10, s9, s6
	s_cmp_ge_u32 s9, s6
	s_cselect_b32 s3, s8, s3
	s_cselect_b32 s9, s10, s9
	s_add_i32 s8, s3, 1
	s_cmp_ge_u32 s9, s6
	s_cselect_b32 s16, s8, s3
.LBB62_4:
	s_or_b64 s[8:9], s[16:17], s[4:5]
	s_mov_b32 s8, 0
	s_cmp_lg_u64 s[8:9], 0
	s_cbranch_scc0 .LBB62_19
; %bb.5:
	s_ashr_i32 s10, s5, 31
	s_add_u32 s8, s4, s10
	s_mov_b32 s11, s10
	s_addc_u32 s9, s5, s10
	s_xor_b64 s[18:19], s[8:9], s[10:11]
	v_cvt_f32_u32_e32 v1, s18
	v_cvt_f32_u32_e32 v2, s19
	s_sub_u32 s3, 0, s18
	s_subb_u32 s15, 0, s19
	v_fmamk_f32 v1, v2, 0x4f800000, v1
	v_rcp_f32_e32 v1, v1
	s_nop 0
	v_mul_f32_e32 v1, 0x5f7ffffc, v1
	v_mul_f32_e32 v2, 0x2f800000, v1
	v_trunc_f32_e32 v2, v2
	v_fmamk_f32 v1, v2, 0xcf800000, v1
	v_cvt_u32_f32_e32 v2, v2
	v_cvt_u32_f32_e32 v1, v1
	v_readfirstlane_b32 s22, v2
	v_readfirstlane_b32 s20, v1
	s_mul_i32 s21, s3, s22
	s_mul_hi_u32 s24, s3, s20
	s_mul_i32 s23, s15, s20
	s_add_i32 s21, s24, s21
	s_add_i32 s21, s21, s23
	s_mul_i32 s25, s3, s20
	s_mul_i32 s24, s20, s21
	s_mul_hi_u32 s26, s20, s25
	s_mul_hi_u32 s23, s20, s21
	s_add_u32 s24, s26, s24
	s_addc_u32 s23, 0, s23
	s_mul_hi_u32 s27, s22, s25
	s_mul_i32 s25, s22, s25
	s_add_u32 s24, s24, s25
	s_mul_hi_u32 s26, s22, s21
	s_addc_u32 s23, s23, s27
	s_addc_u32 s24, s26, 0
	s_mul_i32 s21, s22, s21
	s_add_u32 s21, s23, s21
	s_addc_u32 s23, 0, s24
	s_add_u32 s24, s20, s21
	s_cselect_b64 s[20:21], -1, 0
	s_cmp_lg_u64 s[20:21], 0
	s_addc_u32 s22, s22, s23
	s_mul_i32 s20, s3, s22
	s_mul_hi_u32 s21, s3, s24
	s_add_i32 s20, s21, s20
	s_mul_i32 s15, s15, s24
	s_add_i32 s20, s20, s15
	s_mul_i32 s3, s3, s24
	s_mul_hi_u32 s21, s22, s3
	s_mul_i32 s23, s22, s3
	s_mul_i32 s26, s24, s20
	s_mul_hi_u32 s3, s24, s3
	s_mul_hi_u32 s25, s24, s20
	s_add_u32 s3, s3, s26
	s_addc_u32 s25, 0, s25
	s_add_u32 s3, s3, s23
	s_mul_hi_u32 s15, s22, s20
	s_addc_u32 s3, s25, s21
	s_addc_u32 s15, s15, 0
	s_mul_i32 s20, s22, s20
	s_add_u32 s3, s3, s20
	s_addc_u32 s15, 0, s15
	s_add_u32 s3, s24, s3
	s_cselect_b64 s[20:21], -1, 0
	s_cmp_lg_u64 s[20:21], 0
	s_addc_u32 s15, s22, s15
	s_ashr_i32 s20, s17, 31
	s_add_u32 s22, s16, s20
	s_mov_b32 s21, s20
	s_addc_u32 s23, s17, s20
	s_xor_b64 s[22:23], s[22:23], s[20:21]
	s_mul_i32 s25, s22, s15
	s_mul_hi_u32 s26, s22, s3
	s_mul_hi_u32 s24, s22, s15
	s_add_u32 s25, s26, s25
	s_addc_u32 s24, 0, s24
	s_mul_hi_u32 s27, s23, s3
	s_mul_i32 s3, s23, s3
	s_add_u32 s3, s25, s3
	s_mul_hi_u32 s26, s23, s15
	s_addc_u32 s3, s24, s27
	s_addc_u32 s24, s26, 0
	s_mul_i32 s15, s23, s15
	s_add_u32 s3, s3, s15
	s_addc_u32 s15, 0, s24
	s_mul_i32 s24, s18, s15
	s_mul_hi_u32 s25, s18, s3
	s_add_i32 s24, s25, s24
	s_mul_i32 s25, s19, s3
	s_add_i32 s28, s24, s25
	s_sub_i32 s26, s23, s28
	s_mul_i32 s24, s18, s3
	s_sub_u32 s22, s22, s24
	s_cselect_b64 s[24:25], -1, 0
	s_cmp_lg_u64 s[24:25], 0
	s_subb_u32 s29, s26, s19
	s_sub_u32 s30, s22, s18
	s_cselect_b64 s[26:27], -1, 0
	s_cmp_lg_u64 s[26:27], 0
	s_subb_u32 s26, s29, 0
	s_cmp_ge_u32 s26, s19
	s_cselect_b32 s27, -1, 0
	s_cmp_ge_u32 s30, s18
	s_cselect_b32 s29, -1, 0
	s_cmp_eq_u32 s26, s19
	s_cselect_b32 s26, s29, s27
	s_add_u32 s27, s3, 1
	s_addc_u32 s29, s15, 0
	s_add_u32 s30, s3, 2
	s_addc_u32 s31, s15, 0
	s_cmp_lg_u32 s26, 0
	s_cselect_b32 s26, s30, s27
	s_cselect_b32 s27, s31, s29
	s_cmp_lg_u64 s[24:25], 0
	s_subb_u32 s23, s23, s28
	s_cmp_ge_u32 s23, s19
	s_cselect_b32 s24, -1, 0
	s_cmp_ge_u32 s22, s18
	s_cselect_b32 s18, -1, 0
	s_cmp_eq_u32 s23, s19
	s_cselect_b32 s18, s18, s24
	s_cmp_lg_u32 s18, 0
	s_cselect_b32 s19, s27, s15
	s_cselect_b32 s18, s26, s3
	s_xor_b64 s[10:11], s[20:21], s[10:11]
	s_xor_b64 s[18:19], s[18:19], s[10:11]
	s_sub_u32 s18, s18, s10
	s_subb_u32 s19, s19, s11
	s_load_dwordx4 s[24:27], s[0:1], 0x1d0
	s_cbranch_execnz .LBB62_7
.LBB62_6:
	v_cvt_f32_u32_e32 v1, s4
	s_sub_i32 s3, 0, s4
	s_mov_b32 s19, 0
	v_rcp_iflag_f32_e32 v1, v1
	s_nop 0
	v_mul_f32_e32 v1, 0x4f7ffffe, v1
	v_cvt_u32_f32_e32 v1, v1
	s_nop 0
	v_readfirstlane_b32 s8, v1
	s_mul_i32 s3, s3, s8
	s_mul_hi_u32 s3, s8, s3
	s_add_i32 s8, s8, s3
	s_mul_hi_u32 s3, s16, s8
	s_mul_i32 s9, s3, s4
	s_sub_i32 s9, s16, s9
	s_add_i32 s8, s3, 1
	s_sub_i32 s10, s9, s4
	s_cmp_ge_u32 s9, s4
	s_cselect_b32 s3, s8, s3
	s_cselect_b32 s9, s10, s9
	s_add_i32 s8, s3, 1
	s_cmp_ge_u32 s9, s4
	s_cselect_b32 s18, s8, s3
.LBB62_7:
                                        ; implicit-def: $vgpr73 : SGPR spill to VGPR lane
	s_waitcnt lgkmcnt(0)
	s_mov_b32 s9, s27
	v_writelane_b32 v73, s24, 0
	s_mov_b32 s8, 0
	s_cmp_lg_u64 s[8:9], 0
	v_writelane_b32 v73, s25, 1
	v_writelane_b32 v73, s26, 2
	;; [unrolled: 1-line block ×3, first 2 shown]
	s_cbranch_scc0 .LBB62_20
; %bb.8:
	s_ashr_i32 s8, s27, 31
	s_add_u32 s10, s26, s8
	s_mov_b32 s9, s8
	s_addc_u32 s11, s27, s8
	s_xor_b64 s[20:21], s[10:11], s[8:9]
	v_cvt_f32_u32_e32 v1, s20
	v_cvt_f32_u32_e32 v2, s21
	s_sub_u32 s3, 0, s20
	s_subb_u32 s15, 0, s21
	v_fmamk_f32 v1, v2, 0x4f800000, v1
	v_rcp_f32_e32 v1, v1
	s_nop 0
	v_mul_f32_e32 v1, 0x5f7ffffc, v1
	v_mul_f32_e32 v2, 0x2f800000, v1
	v_trunc_f32_e32 v2, v2
	v_fmamk_f32 v1, v2, 0xcf800000, v1
	v_cvt_u32_f32_e32 v2, v2
	v_cvt_u32_f32_e32 v1, v1
	v_readfirstlane_b32 s24, v2
	v_readfirstlane_b32 s22, v1
	s_mul_i32 s23, s3, s24
	s_mul_hi_u32 s26, s3, s22
	s_mul_i32 s25, s15, s22
	s_add_i32 s23, s26, s23
	s_add_i32 s23, s23, s25
	s_mul_i32 s27, s3, s22
	s_mul_i32 s26, s22, s23
	s_mul_hi_u32 s28, s22, s27
	s_mul_hi_u32 s25, s22, s23
	s_add_u32 s26, s28, s26
	s_addc_u32 s25, 0, s25
	s_mul_hi_u32 s29, s24, s27
	s_mul_i32 s27, s24, s27
	s_add_u32 s26, s26, s27
	s_mul_hi_u32 s28, s24, s23
	s_addc_u32 s25, s25, s29
	s_addc_u32 s26, s28, 0
	s_mul_i32 s23, s24, s23
	s_add_u32 s23, s25, s23
	s_addc_u32 s25, 0, s26
	s_add_u32 s26, s22, s23
	s_cselect_b64 s[22:23], -1, 0
	s_cmp_lg_u64 s[22:23], 0
	s_addc_u32 s24, s24, s25
	s_mul_i32 s22, s3, s24
	s_mul_hi_u32 s23, s3, s26
	s_add_i32 s22, s23, s22
	s_mul_i32 s15, s15, s26
	s_add_i32 s22, s22, s15
	s_mul_i32 s3, s3, s26
	s_mul_hi_u32 s23, s24, s3
	s_mul_i32 s25, s24, s3
	s_mul_i32 s28, s26, s22
	s_mul_hi_u32 s3, s26, s3
	s_mul_hi_u32 s27, s26, s22
	s_add_u32 s3, s3, s28
	s_addc_u32 s27, 0, s27
	s_add_u32 s3, s3, s25
	s_mul_hi_u32 s15, s24, s22
	s_addc_u32 s3, s27, s23
	s_addc_u32 s15, s15, 0
	s_mul_i32 s22, s24, s22
	s_add_u32 s3, s3, s22
	s_addc_u32 s15, 0, s15
	s_add_u32 s3, s26, s3
	s_cselect_b64 s[22:23], -1, 0
	s_cmp_lg_u64 s[22:23], 0
	s_addc_u32 s15, s24, s15
	s_add_u32 s22, s42, 0
	s_addc_u32 s23, 0, 0
	s_xor_b64 s[22:23], s[22:23], 0
	s_mul_i32 s25, s22, s15
	s_mul_hi_u32 s26, s22, s3
	s_mul_hi_u32 s24, s22, s15
	s_add_u32 s25, s26, s25
	s_addc_u32 s24, 0, s24
	s_mul_hi_u32 s27, s23, s3
	s_mul_i32 s3, s23, s3
	s_add_u32 s3, s25, s3
	s_mul_hi_u32 s26, s23, s15
	s_addc_u32 s3, s24, s27
	s_addc_u32 s24, s26, 0
	s_mul_i32 s15, s23, s15
	s_add_u32 s3, s3, s15
	s_addc_u32 s15, 0, s24
	s_mul_i32 s24, s20, s15
	s_mul_hi_u32 s25, s20, s3
	s_add_i32 s24, s25, s24
	s_mul_i32 s25, s21, s3
	s_add_i32 s28, s24, s25
	s_sub_i32 s26, s23, s28
	s_mul_i32 s24, s20, s3
	s_sub_u32 s22, s22, s24
	s_cselect_b64 s[24:25], -1, 0
	s_cmp_lg_u64 s[24:25], 0
	s_subb_u32 s29, s26, s21
	s_sub_u32 s30, s22, s20
	s_cselect_b64 s[26:27], -1, 0
	s_cmp_lg_u64 s[26:27], 0
	s_subb_u32 s26, s29, 0
	s_cmp_ge_u32 s26, s21
	s_cselect_b32 s27, -1, 0
	s_cmp_ge_u32 s30, s20
	s_cselect_b32 s29, -1, 0
	s_cmp_eq_u32 s26, s21
	s_cselect_b32 s26, s29, s27
	s_add_u32 s27, s3, 1
	s_addc_u32 s29, s15, 0
	s_add_u32 s30, s3, 2
	s_addc_u32 s31, s15, 0
	s_cmp_lg_u32 s26, 0
	s_cselect_b32 s26, s30, s27
	s_cselect_b32 s27, s31, s29
	s_cmp_lg_u64 s[24:25], 0
	s_subb_u32 s23, s23, s28
	s_cmp_ge_u32 s23, s21
	s_cselect_b32 s24, -1, 0
	s_cmp_ge_u32 s22, s20
	s_cselect_b32 s20, -1, 0
	s_cmp_eq_u32 s23, s21
	s_cselect_b32 s20, s20, s24
	s_cmp_lg_u32 s20, 0
	s_cselect_b32 s21, s27, s15
	s_cselect_b32 s20, s26, s3
	s_load_dwordx4 s[24:27], s[0:1], 0x1d0
	s_xor_b64 s[8:9], 0, s[8:9]
	s_xor_b64 s[20:21], s[20:21], s[8:9]
	s_sub_u32 s30, s20, s8
	s_subb_u32 s31, s21, s9
	s_cbranch_execnz .LBB62_10
.LBB62_9:
	s_waitcnt lgkmcnt(0)
	v_cvt_f32_u32_e32 v1, s26
	s_sub_i32 s3, 0, s26
	s_mov_b32 s31, 0
	v_rcp_iflag_f32_e32 v1, v1
	s_nop 0
	v_mul_f32_e32 v1, 0x4f7ffffe, v1
	v_cvt_u32_f32_e32 v1, v1
	s_nop 0
	v_readfirstlane_b32 s8, v1
	s_mul_i32 s3, s3, s8
	s_mul_hi_u32 s3, s8, s3
	s_add_i32 s8, s8, s3
	s_mul_hi_u32 s3, s42, s8
	s_mul_i32 s9, s3, s26
	s_sub_i32 s9, s42, s9
	s_add_i32 s8, s3, 1
	s_sub_i32 s10, s9, s26
	s_cmp_ge_u32 s9, s26
	s_cselect_b32 s3, s8, s3
	s_cselect_b32 s9, s10, s9
	s_add_i32 s8, s3, 1
	s_cmp_ge_u32 s9, s26
	s_cselect_b32 s30, s8, s3
.LBB62_10:
	s_waitcnt lgkmcnt(0)
	s_or_b64 s[8:9], s[30:31], s[24:25]
	s_mov_b32 s8, 0
	s_cmp_lg_u64 s[8:9], 0
	v_writelane_b32 v73, s30, 4
	s_nop 1
	v_writelane_b32 v73, s31, 5
	s_cbranch_scc0 .LBB62_21
; %bb.11:
	s_ashr_i32 s10, s25, 31
	s_add_u32 s8, s24, s10
	s_mov_b32 s11, s10
	s_addc_u32 s9, s25, s10
	s_xor_b64 s[20:21], s[8:9], s[10:11]
	v_cvt_f32_u32_e32 v1, s20
	v_cvt_f32_u32_e32 v2, s21
	s_sub_u32 s3, 0, s20
	s_subb_u32 s15, 0, s21
	v_fmamk_f32 v1, v2, 0x4f800000, v1
	v_rcp_f32_e32 v1, v1
	s_nop 0
	v_mul_f32_e32 v1, 0x5f7ffffc, v1
	v_mul_f32_e32 v2, 0x2f800000, v1
	v_trunc_f32_e32 v2, v2
	v_fmamk_f32 v1, v2, 0xcf800000, v1
	v_cvt_u32_f32_e32 v2, v2
	v_cvt_u32_f32_e32 v1, v1
	v_readfirstlane_b32 s24, v2
	v_readfirstlane_b32 s22, v1
	s_mul_i32 s23, s3, s24
	s_mul_hi_u32 s26, s3, s22
	s_mul_i32 s25, s15, s22
	s_add_i32 s23, s26, s23
	s_add_i32 s23, s23, s25
	s_mul_i32 s27, s3, s22
	s_mul_i32 s26, s22, s23
	s_mul_hi_u32 s28, s22, s27
	s_mul_hi_u32 s25, s22, s23
	s_add_u32 s26, s28, s26
	s_addc_u32 s25, 0, s25
	s_mul_hi_u32 s29, s24, s27
	s_mul_i32 s27, s24, s27
	s_add_u32 s26, s26, s27
	s_mul_hi_u32 s28, s24, s23
	s_addc_u32 s25, s25, s29
	s_addc_u32 s26, s28, 0
	s_mul_i32 s23, s24, s23
	s_add_u32 s23, s25, s23
	s_addc_u32 s25, 0, s26
	s_add_u32 s26, s22, s23
	s_cselect_b64 s[22:23], -1, 0
	s_cmp_lg_u64 s[22:23], 0
	s_addc_u32 s24, s24, s25
	s_mul_i32 s22, s3, s24
	s_mul_hi_u32 s23, s3, s26
	s_add_i32 s22, s23, s22
	s_mul_i32 s15, s15, s26
	s_add_i32 s22, s22, s15
	s_mul_i32 s3, s3, s26
	s_mul_hi_u32 s23, s24, s3
	s_mul_i32 s25, s24, s3
	s_mul_i32 s28, s26, s22
	s_mul_hi_u32 s3, s26, s3
	s_mul_hi_u32 s27, s26, s22
	s_add_u32 s3, s3, s28
	s_addc_u32 s27, 0, s27
	s_add_u32 s3, s3, s25
	s_mul_hi_u32 s15, s24, s22
	s_addc_u32 s3, s27, s23
	s_addc_u32 s15, s15, 0
	s_mul_i32 s22, s24, s22
	s_add_u32 s3, s3, s22
	s_addc_u32 s15, 0, s15
	s_add_u32 s3, s26, s3
	s_cselect_b64 s[22:23], -1, 0
	s_cmp_lg_u64 s[22:23], 0
	s_addc_u32 s15, s24, s15
	s_ashr_i32 s22, s31, 31
	s_add_u32 s24, s30, s22
	s_mov_b32 s23, s22
	s_addc_u32 s25, s31, s22
	s_xor_b64 s[24:25], s[24:25], s[22:23]
	s_mul_i32 s27, s24, s15
	s_mul_hi_u32 s28, s24, s3
	s_mul_hi_u32 s26, s24, s15
	s_add_u32 s27, s28, s27
	s_addc_u32 s26, 0, s26
	s_mul_hi_u32 s29, s25, s3
	s_mul_i32 s3, s25, s3
	s_add_u32 s3, s27, s3
	s_mul_hi_u32 s28, s25, s15
	s_addc_u32 s3, s26, s29
	s_addc_u32 s26, s28, 0
	s_mul_i32 s15, s25, s15
	s_add_u32 s3, s3, s15
	s_addc_u32 s15, 0, s26
	s_mul_i32 s26, s20, s15
	s_mul_hi_u32 s27, s20, s3
	s_add_i32 s26, s27, s26
	s_mul_i32 s27, s21, s3
	s_add_i32 s30, s26, s27
	s_sub_i32 s28, s25, s30
	s_mul_i32 s26, s20, s3
	s_sub_u32 s24, s24, s26
	s_cselect_b64 s[26:27], -1, 0
	s_cmp_lg_u64 s[26:27], 0
	s_subb_u32 s31, s28, s21
	s_sub_u32 s33, s24, s20
	s_cselect_b64 s[28:29], -1, 0
	s_cmp_lg_u64 s[28:29], 0
	s_subb_u32 s28, s31, 0
	s_cmp_ge_u32 s28, s21
	s_cselect_b32 s29, -1, 0
	s_cmp_ge_u32 s33, s20
	s_cselect_b32 s31, -1, 0
	s_cmp_eq_u32 s28, s21
	s_cselect_b32 s28, s31, s29
	s_add_u32 s29, s3, 1
	s_addc_u32 s31, s15, 0
	s_add_u32 s33, s3, 2
	s_addc_u32 s34, s15, 0
	s_cmp_lg_u32 s28, 0
	s_cselect_b32 s28, s33, s29
	s_cselect_b32 s29, s34, s31
	s_cmp_lg_u64 s[26:27], 0
	s_subb_u32 s25, s25, s30
	s_cmp_ge_u32 s25, s21
	s_cselect_b32 s26, -1, 0
	s_cmp_ge_u32 s24, s20
	s_cselect_b32 s20, -1, 0
	s_cmp_eq_u32 s25, s21
	s_cselect_b32 s20, s20, s26
	s_load_dwordx4 s[24:27], s[0:1], 0x1d0
	s_cmp_lg_u32 s20, 0
	s_cselect_b32 s21, s29, s15
	s_cselect_b32 s20, s28, s3
	s_xor_b64 s[10:11], s[22:23], s[10:11]
	s_xor_b64 s[20:21], s[20:21], s[10:11]
	s_sub_u32 s20, s20, s10
	s_subb_u32 s21, s21, s11
	s_load_dwordx4 s[44:47], s[0:1], 0x370
	s_cbranch_execnz .LBB62_13
.LBB62_12:
	s_waitcnt lgkmcnt(0)
	v_cvt_f32_u32_e32 v1, s24
	s_sub_i32 s3, 0, s24
	v_readlane_b32 s10, v73, 4
	s_mov_b32 s21, 0
	v_rcp_iflag_f32_e32 v1, v1
	v_readlane_b32 s11, v73, 5
	v_mul_f32_e32 v1, 0x4f7ffffe, v1
	v_cvt_u32_f32_e32 v1, v1
	s_nop 0
	v_readfirstlane_b32 s8, v1
	s_mul_i32 s3, s3, s8
	s_mul_hi_u32 s3, s8, s3
	s_add_i32 s8, s8, s3
	s_mul_hi_u32 s3, s10, s8
	s_mul_i32 s9, s3, s24
	s_sub_i32 s9, s10, s9
	s_add_i32 s8, s3, 1
	s_sub_i32 s10, s9, s24
	s_cmp_ge_u32 s9, s24
	s_cselect_b32 s3, s8, s3
	s_cselect_b32 s9, s10, s9
	s_add_i32 s8, s3, 1
	s_cmp_ge_u32 s9, s24
	s_cselect_b32 s20, s8, s3
.LBB62_13:
	s_mov_b32 s8, 0
	s_waitcnt lgkmcnt(0)
	s_mov_b32 s9, s47
	v_writelane_b32 v73, s20, 6
	s_cmp_lg_u64 s[8:9], 0
	s_nop 0
	v_writelane_b32 v73, s21, 7
	s_cbranch_scc0 .LBB62_22
; %bb.14:
	s_ashr_i32 s8, s47, 31
	s_add_u32 s10, s46, s8
	s_mov_b32 s9, s8
	s_addc_u32 s11, s47, s8
	s_xor_b64 s[20:21], s[10:11], s[8:9]
	v_cvt_f32_u32_e32 v1, s20
	v_cvt_f32_u32_e32 v2, s21
	s_sub_u32 s3, 0, s20
	s_subb_u32 s15, 0, s21
	v_fmamk_f32 v1, v2, 0x4f800000, v1
	v_rcp_f32_e32 v1, v1
	s_nop 0
	v_mul_f32_e32 v1, 0x5f7ffffc, v1
	v_mul_f32_e32 v2, 0x2f800000, v1
	v_trunc_f32_e32 v2, v2
	v_fmamk_f32 v1, v2, 0xcf800000, v1
	v_cvt_u32_f32_e32 v2, v2
	v_cvt_u32_f32_e32 v1, v1
	v_readfirstlane_b32 s24, v2
	v_readfirstlane_b32 s22, v1
	s_mul_i32 s23, s3, s24
	s_mul_hi_u32 s26, s3, s22
	s_mul_i32 s25, s15, s22
	s_add_i32 s23, s26, s23
	s_add_i32 s23, s23, s25
	s_mul_i32 s27, s3, s22
	s_mul_i32 s26, s22, s23
	s_mul_hi_u32 s28, s22, s27
	s_mul_hi_u32 s25, s22, s23
	s_add_u32 s26, s28, s26
	s_addc_u32 s25, 0, s25
	s_mul_hi_u32 s29, s24, s27
	s_mul_i32 s27, s24, s27
	s_add_u32 s26, s26, s27
	s_mul_hi_u32 s28, s24, s23
	s_addc_u32 s25, s25, s29
	s_addc_u32 s26, s28, 0
	s_mul_i32 s23, s24, s23
	s_add_u32 s23, s25, s23
	s_addc_u32 s25, 0, s26
	s_add_u32 s26, s22, s23
	s_cselect_b64 s[22:23], -1, 0
	s_cmp_lg_u64 s[22:23], 0
	s_addc_u32 s24, s24, s25
	s_mul_i32 s22, s3, s24
	s_mul_hi_u32 s23, s3, s26
	s_add_i32 s22, s23, s22
	s_mul_i32 s15, s15, s26
	s_add_i32 s22, s22, s15
	s_mul_i32 s3, s3, s26
	s_mul_hi_u32 s23, s24, s3
	s_mul_i32 s25, s24, s3
	s_mul_i32 s28, s26, s22
	s_mul_hi_u32 s3, s26, s3
	s_mul_hi_u32 s27, s26, s22
	s_add_u32 s3, s3, s28
	s_addc_u32 s27, 0, s27
	s_add_u32 s3, s3, s25
	s_mul_hi_u32 s15, s24, s22
	s_addc_u32 s3, s27, s23
	s_addc_u32 s15, s15, 0
	s_mul_i32 s22, s24, s22
	s_add_u32 s3, s3, s22
	s_addc_u32 s15, 0, s15
	s_add_u32 s3, s26, s3
	s_cselect_b64 s[22:23], -1, 0
	s_cmp_lg_u64 s[22:23], 0
	s_addc_u32 s15, s24, s15
	s_add_u32 s22, s42, 0
	s_addc_u32 s23, 0, 0
	s_xor_b64 s[22:23], s[22:23], 0
	s_mul_i32 s25, s22, s15
	s_mul_hi_u32 s26, s22, s3
	s_mul_hi_u32 s24, s22, s15
	s_add_u32 s25, s26, s25
	s_addc_u32 s24, 0, s24
	s_mul_hi_u32 s27, s23, s3
	s_mul_i32 s3, s23, s3
	s_add_u32 s3, s25, s3
	s_mul_hi_u32 s26, s23, s15
	s_addc_u32 s3, s24, s27
	s_addc_u32 s24, s26, 0
	s_mul_i32 s15, s23, s15
	s_add_u32 s3, s3, s15
	s_addc_u32 s15, 0, s24
	s_mul_i32 s24, s20, s15
	s_mul_hi_u32 s25, s20, s3
	s_add_i32 s24, s25, s24
	s_mul_i32 s25, s21, s3
	s_add_i32 s28, s24, s25
	s_sub_i32 s26, s23, s28
	s_mul_i32 s24, s20, s3
	s_sub_u32 s22, s22, s24
	s_cselect_b64 s[24:25], -1, 0
	s_cmp_lg_u64 s[24:25], 0
	s_subb_u32 s29, s26, s21
	s_sub_u32 s30, s22, s20
	s_cselect_b64 s[26:27], -1, 0
	s_cmp_lg_u64 s[26:27], 0
	s_subb_u32 s26, s29, 0
	s_cmp_ge_u32 s26, s21
	s_cselect_b32 s27, -1, 0
	s_cmp_ge_u32 s30, s20
	s_cselect_b32 s29, -1, 0
	s_cmp_eq_u32 s26, s21
	s_cselect_b32 s26, s29, s27
	s_add_u32 s27, s3, 1
	s_addc_u32 s29, s15, 0
	s_add_u32 s30, s3, 2
	s_addc_u32 s31, s15, 0
	s_cmp_lg_u32 s26, 0
	s_cselect_b32 s26, s30, s27
	s_cselect_b32 s27, s31, s29
	s_cmp_lg_u64 s[24:25], 0
	s_subb_u32 s23, s23, s28
	s_cmp_ge_u32 s23, s21
	s_cselect_b32 s24, -1, 0
	s_cmp_ge_u32 s22, s20
	s_cselect_b32 s20, -1, 0
	s_cmp_eq_u32 s23, s21
	s_cselect_b32 s20, s20, s24
	s_cmp_lg_u32 s20, 0
	s_cselect_b32 s21, s27, s15
	s_cselect_b32 s20, s26, s3
	s_xor_b64 s[8:9], 0, s[8:9]
	s_xor_b64 s[20:21], s[20:21], s[8:9]
	s_sub_u32 s48, s20, s8
	s_subb_u32 s49, s21, s9
	s_cbranch_execnz .LBB62_16
.LBB62_15:
	v_cvt_f32_u32_e32 v1, s46
	s_sub_i32 s3, 0, s46
	s_mov_b32 s49, 0
	v_rcp_iflag_f32_e32 v1, v1
	s_nop 0
	v_mul_f32_e32 v1, 0x4f7ffffe, v1
	v_cvt_u32_f32_e32 v1, v1
	s_nop 0
	v_readfirstlane_b32 s8, v1
	s_mul_i32 s3, s3, s8
	s_mul_hi_u32 s3, s8, s3
	s_add_i32 s8, s8, s3
	s_mul_hi_u32 s3, s42, s8
	s_mul_i32 s9, s3, s46
	s_sub_i32 s9, s42, s9
	s_add_i32 s8, s3, 1
	s_sub_i32 s10, s9, s46
	s_cmp_ge_u32 s9, s46
	s_cselect_b32 s3, s8, s3
	s_cselect_b32 s9, s10, s9
	s_add_i32 s8, s3, 1
	s_cmp_ge_u32 s9, s46
	s_cselect_b32 s48, s8, s3
.LBB62_16:
	s_load_dwordx2 s[20:21], s[0:1], 0xe0
	s_load_dwordx4 s[8:11], s[0:1], 0xd0
	s_or_b64 s[22:23], s[48:49], s[44:45]
	s_mov_b32 s22, 0
	s_cmp_lg_u64 s[22:23], 0
	s_cbranch_scc0 .LBB62_23
; %bb.17:
	s_ashr_i32 s22, s45, 31
	s_add_u32 s24, s44, s22
	s_mov_b32 s23, s22
	s_addc_u32 s25, s45, s22
	s_xor_b64 s[26:27], s[24:25], s[22:23]
	v_cvt_f32_u32_e32 v1, s26
	v_cvt_f32_u32_e32 v2, s27
	s_sub_u32 s3, 0, s26
	s_subb_u32 s15, 0, s27
	s_mov_b64 s[24:25], 0
	v_fmamk_f32 v1, v2, 0x4f800000, v1
	v_rcp_f32_e32 v1, v1
	s_nop 0
	v_mul_f32_e32 v1, 0x5f7ffffc, v1
	v_mul_f32_e32 v2, 0x2f800000, v1
	v_trunc_f32_e32 v2, v2
	v_fmamk_f32 v1, v2, 0xcf800000, v1
	v_cvt_u32_f32_e32 v2, v2
	v_cvt_u32_f32_e32 v1, v1
	v_readfirstlane_b32 s30, v2
	v_readfirstlane_b32 s28, v1
	s_mul_i32 s29, s3, s30
	s_mul_hi_u32 s33, s3, s28
	s_mul_i32 s31, s15, s28
	s_add_i32 s29, s33, s29
	s_add_i32 s29, s29, s31
	s_mul_i32 s34, s3, s28
	s_mul_i32 s33, s28, s29
	s_mul_hi_u32 s35, s28, s34
	s_mul_hi_u32 s31, s28, s29
	s_add_u32 s33, s35, s33
	s_addc_u32 s31, 0, s31
	s_mul_hi_u32 s36, s30, s34
	s_mul_i32 s34, s30, s34
	s_add_u32 s33, s33, s34
	s_mul_hi_u32 s35, s30, s29
	s_addc_u32 s31, s31, s36
	s_addc_u32 s33, s35, 0
	s_mul_i32 s29, s30, s29
	s_add_u32 s29, s31, s29
	s_addc_u32 s31, 0, s33
	s_add_u32 s33, s28, s29
	s_cselect_b64 s[28:29], -1, 0
	s_cmp_lg_u64 s[28:29], 0
	s_addc_u32 s30, s30, s31
	s_mul_i32 s28, s3, s30
	s_mul_hi_u32 s29, s3, s33
	s_add_i32 s28, s29, s28
	s_mul_i32 s15, s15, s33
	s_add_i32 s28, s28, s15
	s_mul_i32 s3, s3, s33
	s_mul_hi_u32 s29, s30, s3
	s_mul_i32 s31, s30, s3
	s_mul_i32 s35, s33, s28
	s_mul_hi_u32 s3, s33, s3
	s_mul_hi_u32 s34, s33, s28
	s_add_u32 s3, s3, s35
	s_addc_u32 s34, 0, s34
	s_add_u32 s3, s3, s31
	s_mul_hi_u32 s15, s30, s28
	s_addc_u32 s3, s34, s29
	s_addc_u32 s15, s15, 0
	s_mul_i32 s28, s30, s28
	s_add_u32 s3, s3, s28
	s_addc_u32 s15, 0, s15
	s_add_u32 s3, s33, s3
	s_cselect_b64 s[28:29], -1, 0
	s_cmp_lg_u64 s[28:29], 0
	s_addc_u32 s15, s30, s15
	s_ashr_i32 s28, s49, 31
	s_add_u32 s30, s48, s28
	s_mov_b32 s29, s28
	s_addc_u32 s31, s49, s28
	s_xor_b64 s[30:31], s[30:31], s[28:29]
	s_mul_i32 s34, s30, s15
	s_mul_hi_u32 s35, s30, s3
	s_mul_hi_u32 s33, s30, s15
	s_add_u32 s34, s35, s34
	s_addc_u32 s33, 0, s33
	s_mul_hi_u32 s36, s31, s3
	s_mul_i32 s3, s31, s3
	s_add_u32 s3, s34, s3
	s_mul_hi_u32 s35, s31, s15
	s_addc_u32 s3, s33, s36
	s_addc_u32 s33, s35, 0
	s_mul_i32 s15, s31, s15
	s_add_u32 s3, s3, s15
	s_addc_u32 s15, 0, s33
	s_mul_i32 s33, s26, s15
	s_mul_hi_u32 s34, s26, s3
	s_add_i32 s33, s34, s33
	s_mul_i32 s34, s27, s3
	s_add_i32 s33, s33, s34
	s_sub_i32 s36, s31, s33
	s_mul_i32 s34, s26, s3
	s_sub_u32 s30, s30, s34
	s_cselect_b64 s[34:35], -1, 0
	s_cmp_lg_u64 s[34:35], 0
	s_subb_u32 s38, s36, s27
	s_sub_u32 s39, s30, s26
	s_cselect_b64 s[36:37], -1, 0
	s_cmp_lg_u64 s[36:37], 0
	s_subb_u32 s36, s38, 0
	s_cmp_ge_u32 s36, s27
	s_cselect_b32 s37, -1, 0
	s_cmp_ge_u32 s39, s26
	s_cselect_b32 s38, -1, 0
	s_cmp_eq_u32 s36, s27
	s_cselect_b32 s36, s38, s37
	s_add_u32 s37, s3, 1
	s_addc_u32 s38, s15, 0
	s_add_u32 s39, s3, 2
	s_addc_u32 s40, s15, 0
	s_cmp_lg_u32 s36, 0
	s_cselect_b32 s36, s39, s37
	s_cselect_b32 s37, s40, s38
	s_cmp_lg_u64 s[34:35], 0
	s_subb_u32 s31, s31, s33
	s_cmp_ge_u32 s31, s27
	s_cselect_b32 s33, -1, 0
	s_cmp_ge_u32 s30, s26
	s_cselect_b32 s26, -1, 0
	s_cmp_eq_u32 s31, s27
	s_cselect_b32 s26, s26, s33
	s_cmp_lg_u32 s26, 0
	s_cselect_b32 s27, s37, s15
	s_cselect_b32 s26, s36, s3
	s_xor_b64 s[22:23], s[28:29], s[22:23]
	s_xor_b64 s[26:27], s[26:27], s[22:23]
	s_sub_u32 s22, s26, s22
	s_subb_u32 s23, s27, s23
	v_writelane_b32 v73, s22, 20
	s_nop 1
	v_writelane_b32 v73, s23, 21
	s_branch .LBB62_24
.LBB62_18:
                                        ; implicit-def: $sgpr16_sgpr17
	s_branch .LBB62_3
.LBB62_19:
                                        ; implicit-def: $sgpr18_sgpr19
	s_load_dwordx4 s[24:27], s[0:1], 0x1d0
	s_branch .LBB62_6
.LBB62_20:
                                        ; implicit-def: $sgpr30_sgpr31
	s_branch .LBB62_9
.LBB62_21:
                                        ; implicit-def: $sgpr20_sgpr21
	s_load_dwordx4 s[44:47], s[0:1], 0x370
	s_branch .LBB62_12
.LBB62_22:
                                        ; implicit-def: $sgpr48_sgpr49
	s_branch .LBB62_15
.LBB62_23:
	s_mov_b64 s[24:25], -1
                                        ; implicit-def: $sgpr22_sgpr23
                                        ; kill: killed $sgpr22_sgpr23
.LBB62_24:
	s_load_dwordx2 s[22:23], s[0:1], 0x440
	s_load_dwordx4 s[28:31], s[0:1], 0x430
	s_andn2_b64 vcc, exec, s[24:25]
	s_waitcnt lgkmcnt(0)
	v_writelane_b32 v73, s22, 8
	s_nop 1
	v_writelane_b32 v73, s23, 9
	s_load_dwordx2 s[22:23], s[0:1], 0x2a0
	v_writelane_b32 v73, s28, 10
	s_nop 1
	v_writelane_b32 v73, s29, 11
	v_writelane_b32 v73, s30, 12
	;; [unrolled: 1-line block ×3, first 2 shown]
	s_load_dwordx4 s[28:31], s[0:1], 0x290
	s_waitcnt lgkmcnt(0)
	v_writelane_b32 v73, s22, 14
	s_nop 1
	v_writelane_b32 v73, s23, 15
	s_load_dwordx2 s[22:23], s[0:1], 0x0
	v_writelane_b32 v73, s28, 16
	s_nop 1
	v_writelane_b32 v73, s29, 17
	v_writelane_b32 v73, s30, 18
	;; [unrolled: 1-line block ×3, first 2 shown]
	s_cbranch_vccnz .LBB62_26
; %bb.25:
	v_cvt_f32_u32_e32 v1, s44
	s_sub_i32 s3, 0, s44
	s_mov_b32 s27, 0
	v_rcp_iflag_f32_e32 v1, v1
	s_nop 0
	v_mul_f32_e32 v1, 0x4f7ffffe, v1
	v_cvt_u32_f32_e32 v1, v1
	s_nop 0
	v_readfirstlane_b32 s15, v1
	s_mul_i32 s3, s3, s15
	s_mul_hi_u32 s3, s15, s3
	s_add_i32 s15, s15, s3
	s_mul_hi_u32 s3, s48, s15
	s_mul_i32 s24, s3, s44
	s_sub_i32 s24, s48, s24
	s_add_i32 s15, s3, 1
	s_sub_i32 s25, s24, s44
	s_cmp_ge_u32 s24, s44
	s_cselect_b32 s3, s15, s3
	s_cselect_b32 s24, s25, s24
	s_add_i32 s15, s3, 1
	s_cmp_ge_u32 s24, s44
	s_cselect_b32 s26, s15, s3
	v_writelane_b32 v73, s26, 20
	s_nop 1
	v_writelane_b32 v73, s27, 21
.LBB62_26:
	v_writelane_b32 v73, s48, 22
	s_load_dwordx2 s[24:25], s[0:1], 0x360
	s_mov_b32 s99, 0
	v_writelane_b32 v73, s49, 23
	v_writelane_b32 v73, s44, 24
	s_load_dwordx2 s[0:1], s[0:1], 0x1c0
	s_nop 0
	v_writelane_b32 v73, s45, 25
	v_writelane_b32 v73, s46, 26
	v_writelane_b32 v73, s47, 27
	s_waitcnt lgkmcnt(0)
	v_writelane_b32 v73, s24, 28
	s_nop 1
	v_writelane_b32 v73, s25, 29
	v_writelane_b32 v73, s0, 30
	v_cmp_eq_u32_e64 s[24:25], 0, v0
	s_nop 0
	v_writelane_b32 v73, s1, 31
	s_mov_b64 s[0:1], exec
	v_writelane_b32 v73, s24, 32
	s_nop 1
	v_writelane_b32 v73, s25, 33
	s_and_b64 s[24:25], s[0:1], s[24:25]
	s_mov_b64 exec, s[24:25]
	s_cbranch_execz .LBB62_28
; %bb.27:
	v_mov_b32_e32 v2, 0
	v_mov_b32_e32 v4, s56
	;; [unrolled: 1-line block ×4, first 2 shown]
	ds_write_b32 v2, v2 offset:5136
	ds_write_b128 v2, v[2:5] offset:5120
.LBB62_28:
	s_or_b64 exec, exec, s[0:1]
	s_mul_i32 s0, s18, s5
	s_mul_hi_u32 s1, s18, s4
	s_add_i32 s0, s1, s0
	s_mul_i32 s1, s19, s4
	s_add_i32 s0, s0, s1
	s_mul_i32 s1, s18, s4
	s_sub_u32 s1, s16, s1
	s_subb_u32 s0, s17, s0
	s_mul_i32 s3, s1, s11
	s_mul_hi_u32 s4, s1, s10
	s_add_i32 s3, s4, s3
	s_mul_i32 s0, s0, s10
	s_add_i32 s5, s3, s0
	s_mul_i32 s4, s1, s10
	s_mul_i32 s0, s18, s9
	s_mul_hi_u32 s1, s18, s8
	s_mul_i32 s3, s16, s7
	s_mul_hi_u32 s7, s16, s6
	s_add_i32 s0, s1, s0
	s_mul_i32 s1, s19, s8
	s_add_i32 s3, s7, s3
	s_mul_i32 s7, s17, s6
	;; [unrolled: 2-line block ×4, first 2 shown]
	s_mov_b32 s8, s42
	v_writelane_b32 v73, s8, 34
	s_sub_u32 s6, s42, s6
	s_subb_u32 s3, 0, s3
	v_writelane_b32 v73, s9, 35
	s_mul_i32 s7, s6, s21
	s_mul_hi_u32 s8, s6, s20
	s_add_i32 s7, s8, s7
	s_mul_i32 s3, s3, s20
	s_add_i32 s7, s7, s3
	s_lshl_b64 s[0:1], s[0:1], 1
	s_add_u32 s3, s22, s0
	s_addc_u32 s8, s23, s1
	s_lshl_b64 s[10:11], s[4:5], 1
	s_mul_i32 s6, s6, s20
	s_add_u32 s3, s3, s10
	v_mbcnt_lo_u32_b32 v1, -1, 0
	s_addc_u32 s4, s8, s11
	s_lshl_b64 s[16:17], s[6:7], 1
	v_mbcnt_hi_u32_b32 v42, -1, v1
	s_add_u32 s8, s3, s16
	v_cmp_gt_u32_e32 vcc, 64, v0
	v_cmp_gt_i32_e64 s[6:7], 4, v42
	v_mov_b64_e32 v[4:5], 0x600
	s_addc_u32 s9, s4, s17
	s_waitcnt lgkmcnt(0)
	s_barrier
	s_and_b64 s[92:93], vcc, s[6:7]
	v_cmp_gt_i64_e64 s[6:7], s[56:57], v[4:5]
	s_load_dword s3, s[12:13], 0xc
	v_mov_b32_e32 v3, 0
	v_writelane_b32 v73, s6, 36
	v_mov_b32_e32 v1, v3
	v_lshlrev_b64 v[8:9], v42, -1
	v_writelane_b32 v73, s7, 37
	v_mad_u64_u32 v[4:5], s[6:7], s62, v0, 0
	v_mov_b32_e32 v2, v5
	v_mad_u64_u32 v[6:7], s[6:7], s63, v0, v[2:3]
	v_cmp_gt_i64_e64 s[6:7], s[56:57], v[0:1]
	v_lshlrev_b32_e32 v2, 2, v42
	s_waitcnt lgkmcnt(0)
	s_and_b32 s96, s3, 0xffff
	s_bfe_u32 s3, s3, 0xa0006
	v_writelane_b32 v73, s6, 38
	v_and_b32_e32 v45, 0x100, v2
	s_cmp_gt_u32 s96, 63
	v_lshrrev_b32_e32 v2, 1, v0
	v_writelane_b32 v73, s7, 39
	s_cselect_b64 s[6:7], -1, 0
	v_and_b32_e32 v2, 0x1e0, v2
	v_writelane_b32 v73, s6, 40
	v_or_b32_e32 v46, 0xc00, v2
	v_add_u32_e32 v2, 2, v0
	v_not_b32_e32 v18, v8
	v_writelane_b32 v73, s7, 41
	s_add_u32 s6, s96, -1
	v_mov_b32_e32 v8, s57
	v_cmp_gt_i64_e32 vcc, s[56:57], v[2:3]
	v_not_b32_e32 v19, v9
	s_addc_u32 s7, 0, -1
	v_cndmask_b32_e32 v9, 0, v8, vcc
	v_mov_b32_e32 v8, s56
	s_add_u32 s75, s6, s56
	v_cndmask_b32_e32 v8, v2, v8, vcc
	v_mov_b32_e32 v21, -1
	v_not_b32_e32 v20, v0
	v_writelane_b32 v73, s6, 42
	s_addc_u32 s55, s7, s57
	v_lshl_add_u64 v[8:9], v[8:9], 0, v[20:21]
	v_writelane_b32 v73, s7, 43
	s_cmp_lt_u32 s2, s14
	v_cmp_lt_u64_e64 s[6:7], 3, v[8:9]
	s_cselect_b32 s2, 12, 18
	s_add_u32 s50, s12, s2
	v_writelane_b32 v73, s6, 44
	s_mov_b32 s2, s63
	v_and_b32_e32 v22, -4, v8
	v_writelane_b32 v73, s7, 45
	v_mov_b32_e32 v23, v9
	v_writelane_b32 v73, s2, 46
	s_mov_b32 s2, s62
	v_writelane_b32 v73, s2, 47
	v_cmp_ne_u64_e64 s[6:7], v[8:9], v[22:23]
	s_addc_u32 s51, s13, 0
	s_add_i32 s2, s3, -1
	v_writelane_b32 v73, s6, 48
	s_and_b32 s2, s2, 0xffff
	v_lshlrev_b32_e32 v20, 3, v0
	v_writelane_b32 v73, s7, 49
	s_bfe_u32 s6, s96, 0x30006
	s_cmp_gt_u32 s2, 6
	s_cselect_b64 s[12:13], -1, 0
	s_and_b32 s74, s3, 0x3f8
	s_cmp_lg_u32 s6, 0
	v_writelane_b32 v73, s12, 50
	s_cselect_b64 s[2:3], -1, 0
	s_add_u32 s0, s0, s16
	v_writelane_b32 v73, s13, 51
	s_addc_u32 s1, s1, s17
	v_writelane_b32 v73, s6, 52
	s_add_u32 s0, s0, s10
	v_writelane_b32 v73, s2, 53
	s_addc_u32 s1, s1, s11
	v_or_b32_e32 v8, 6, v20
	v_writelane_b32 v73, s3, 54
	s_add_u32 s2, s22, s0
	s_addc_u32 s3, s23, s1
	s_lshl_b64 s[0:1], s[62:63], 1
	v_writelane_b32 v73, s0, 55
	s_mov_b32 s69, s63
                                        ; implicit-def: $vgpr72 : SGPR spill to VGPR lane
	s_mov_b32 s70, s62
	v_writelane_b32 v73, s1, 56
	v_mad_u64_u32 v[26:27], s[0:1], s62, v8, 0
	v_mov_b32_e32 v2, v27
	v_mad_u64_u32 v[8:9], s[0:1], s63, v8, v[2:3]
	v_mov_b32_e32 v27, v8
	v_or_b32_e32 v8, 4, v20
	v_mad_u64_u32 v[28:29], s[0:1], s62, v8, 0
	v_mov_b32_e32 v2, v29
	v_mad_u64_u32 v[8:9], s[0:1], s63, v8, v[2:3]
	v_mov_b32_e32 v29, v8
	v_or_b32_e32 v8, 2, v20
	v_mad_u64_u32 v[30:31], s[0:1], s62, v8, 0
	v_mov_b32_e32 v2, v31
	v_mad_u64_u32 v[8:9], s[0:1], s63, v8, v[2:3]
	s_mul_i32 s0, s63, s96
	s_mul_hi_u32 s1, s62, s96
	v_writelane_b32 v73, s2, 57
	s_add_i32 s1, s1, s0
	s_mul_i32 s0, s62, s96
	v_writelane_b32 v73, s3, 58
	s_lshl_b64 s[88:89], s[0:1], 1
	s_mov_b32 s0, 0
	v_writelane_b32 v72, s69, 0
	s_mov_b32 s71, s63
	v_writelane_b32 v73, s0, 59
	v_writelane_b32 v72, s70, 1
	v_mov_b32_e32 v5, v6
	s_mov_b32 s67, s62
	v_writelane_b32 v73, s88, 60
	v_writelane_b32 v72, s71, 2
	v_lshlrev_b32_e32 v43, 1, v0
	v_lshlrev_b64 v[6:7], 1, v[4:5]
	s_mov_b32 s68, s63
	v_mov_b32_e32 v2, 0xc00
	v_writelane_b32 v73, s89, 61
	v_writelane_b32 v72, s67, 3
	v_cmp_eq_u32_e64 s[4:5], 0, v42
	v_cmp_gt_u32_e64 s[90:91], 2, v0
	v_add_u32_e32 v44, 0xc00, v43
	v_lshl_add_u64 v[14:15], s[8:9], 0, v[6:7]
	v_lshlrev_b32_e32 v16, 2, v0
	v_mov_b32_e32 v17, v3
	s_mov_b32 s33, 0xffff
	s_mov_b32 s97, s99
	v_lshl_add_u64 v[24:25], v[22:23], 0, v[0:1]
	s_mov_b32 s76, s62
	s_lshl_b64 s[82:83], s[62:63], 3
	v_mov_b32_e32 v31, v8
	v_lshlrev_b64 v[32:33], 3, v[4:5]
	v_lshl_add_u64 v[34:35], s[56:57], 0, v[0:1]
	v_lshl_or_b32 v47, v42, 3, v2
	v_lshl_add_u64 v[12:13], s[2:3], 0, v[6:7]
	s_lshl_b32 s54, s96, 1
	s_mov_b32 s72, 14
	s_mov_b64 s[86:87], 0
	v_mov_b64_e32 v[36:37], s[58:59]
	v_mov_b64_e32 v[56:57], s[56:57]
	v_mov_b32_e32 v49, 0xffff
	v_mov_b32_e32 v50, 0x8000
	;; [unrolled: 1-line block ×6, first 2 shown]
	v_writelane_b32 v73, s50, 62
	v_writelane_b32 v72, s68, 4
                                        ; implicit-def: $sgpr0_sgpr1
                                        ; implicit-def: $sgpr84_sgpr85
                                        ; implicit-def: $sgpr60_sgpr61
                                        ; implicit-def: $sgpr30_sgpr31
                                        ; implicit-def: $sgpr58_sgpr59
                                        ; implicit-def: $sgpr78_sgpr79
	v_writelane_b32 v72, s54, 5
	v_writelane_b32 v73, s51, 63
	s_branch .LBB62_32
.LBB62_29:                              ;   in Loop: Header=BB62_32 Depth=1
	s_or_b64 exec, exec, s[14:15]
	s_and_b64 s[6:7], s[6:7], exec
	s_andn2_b64 s[24:25], s[24:25], exec
	s_andn2_b64 s[2:3], s[2:3], exec
	s_orn2_b64 s[18:19], s[12:13], exec
.LBB62_30:                              ;   in Loop: Header=BB62_32 Depth=1
	s_or_b64 exec, exec, s[0:1]
	s_andn2_b64 s[0:1], s[64:65], exec
	s_and_b64 s[6:7], s[6:7], exec
	s_or_b64 s[64:65], s[0:1], s[6:7]
	s_andn2_b64 s[0:1], s[58:59], exec
	s_and_b64 s[6:7], s[24:25], exec
	s_or_b64 s[20:21], s[0:1], s[6:7]
	;; [unrolled: 3-line block ×3, first 2 shown]
	s_orn2_b64 s[2:3], s[18:19], exec
.LBB62_31:                              ;   in Loop: Header=BB62_32 Depth=1
	s_or_b64 exec, exec, s[16:17]
	s_and_b64 s[0:1], exec, s[2:3]
	s_or_b64 s[86:87], s[0:1], s[86:87]
	s_andn2_b64 s[0:1], s[60:61], exec
	s_and_b64 s[2:3], s[64:65], exec
	s_or_b64 s[60:61], s[0:1], s[2:3]
	s_andn2_b64 s[0:1], s[84:85], exec
	s_and_b64 s[2:3], s[20:21], exec
	s_or_b64 s[84:85], s[0:1], s[2:3]
	v_readlane_b32 s0, v72, 6
	v_readlane_b32 s1, v72, 7
	s_andn2_b64 s[0:1], s[0:1], exec
	s_and_b64 s[2:3], s[6:7], exec
	s_mov_b64 s[78:79], s[64:65]
	s_mov_b64 s[58:59], s[20:21]
	;; [unrolled: 1-line block ×3, first 2 shown]
	s_or_b64 s[0:1], s[0:1], s[2:3]
	v_mov_b64_e32 v[36:37], v[8:9]
	s_andn2_b64 exec, exec, s[86:87]
	s_cbranch_execz .LBB62_307
.LBB62_32:                              ; =>This Loop Header: Depth=1
                                        ;     Child Loop BB62_37 Depth 2
                                        ;     Child Loop BB62_51 Depth 2
	;; [unrolled: 1-line block ×17, first 2 shown]
	ds_read_b128 v[4:7], v3 offset:5120
	v_writelane_b32 v72, s0, 6
	s_waitcnt lgkmcnt(0)
	v_readfirstlane_b32 s65, v5
	v_readfirstlane_b32 s64, v4
	v_writelane_b32 v72, s1, 7
	s_nop 0
	v_cmp_gt_i64_e64 s[0:1], s[64:65], 0
	s_and_b64 vcc, exec, s[0:1]
	s_cbranch_vccnz .LBB62_64
; %bb.33:                               ;   in Loop: Header=BB62_32 Depth=1
	v_readlane_b32 s0, v73, 36
	v_readlane_b32 s1, v73, 37
	s_and_b64 vcc, exec, s[0:1]
	s_cbranch_vccz .LBB62_45
; %bb.34:                               ;   in Loop: Header=BB62_32 Depth=1
	s_mov_b64 s[0:1], 0x601
	v_cmp_gt_i64_e32 vcc, s[0:1], v[6:7]
	s_mov_b64 s[0:1], 0
	s_mov_b64 s[2:3], 0
	s_mov_b32 s23, 0x5040100
	s_cbranch_vccz .LBB62_46
; %bb.35:                               ;   in Loop: Header=BB62_32 Depth=1
	global_load_ushort v6, v3, s[50:51]
	global_load_ushort v8, v[14:15], off
	v_readlane_b32 s2, v73, 57
	v_readlane_b32 s3, v73, 58
	v_readlane_b32 s10, v73, 55
	v_readlane_b32 s11, v73, 56
	v_mov_b64_e32 v[4:5], s[2:3]
	s_mov_b64 s[6:7], 0
	s_waitcnt vmcnt(1)
	v_and_b32_e32 v2, 0xffff, v6
	v_readfirstlane_b32 s2, v6
	v_lshl_add_u64 v[6:7], v[0:1], 0, v[2:3]
	s_and_b32 s12, 0xffff, s2
	v_mad_u64_u32 v[4:5], s[2:3], s10, v6, v[4:5]
	v_mul_lo_u32 v7, s10, v7
	v_mul_lo_u32 v9, s11, v6
	s_mul_i32 s2, s11, s12
	s_mul_hi_u32 s3, s10, s12
	s_mul_i32 s12, s10, s12
	v_add3_u32 v5, v9, v5, v7
	s_add_i32 s13, s3, s2
	v_mov_b64_e32 v[6:7], v[0:1]
	s_branch .LBB62_37
.LBB62_36:                              ;   in Loop: Header=BB62_37 Depth=2
	s_or_b64 exec, exec, s[2:3]
	v_lshl_add_u64 v[4:5], v[4:5], 0, s[12:13]
	v_mov_b32_e32 v8, v9
	s_andn2_b64 exec, exec, s[6:7]
	s_cbranch_execz .LBB62_98
.LBB62_37:                              ;   Parent Loop BB62_32 Depth=1
                                        ; =>  This Inner Loop Header: Depth=2
	v_lshl_add_u64 v[6:7], v[6:7], 0, v[2:3]
	v_cmp_gt_i64_e64 s[2:3], s[56:57], v[6:7]
	v_cmp_le_i64_e32 vcc, s[56:57], v[6:7]
	s_waitcnt lgkmcnt(0)
	v_mov_b32_e32 v10, 0
	v_mov_b32_e32 v9, 0
	s_and_saveexec_b64 s[14:15], s[2:3]
	s_cbranch_execz .LBB62_39
; %bb.38:                               ;   in Loop: Header=BB62_37 Depth=2
	global_load_ushort v9, v[4:5], off
.LBB62_39:                              ;   in Loop: Header=BB62_37 Depth=2
	s_or_b64 exec, exec, s[14:15]
	s_waitcnt vmcnt(0)
	v_cmp_lt_i16_e64 s[2:3], -1, v8
	s_nop 1
	v_cndmask_b32_e64 v11, v49, v50, s[2:3]
	v_xor_b32_sdwa v11, v11, v8 dst_sel:DWORD dst_unused:UNUSED_PAD src0_sel:DWORD src1_sel:WORD_0
	v_cmp_o_f16_e64 s[2:3], v8, v8
	s_nop 1
	v_cndmask_b32_e64 v11, v49, v11, s[2:3]
	v_and_b32_e32 v11, v11, v52
	v_cmp_eq_u32_e64 s[14:15], v11, v48
	s_cmp_lg_u64 s[14:15], 0
	s_cselect_b64 s[2:3], -1, 0
	s_and_b64 s[2:3], s[4:5], s[2:3]
	s_and_saveexec_b64 s[16:17], s[2:3]
	s_cbranch_execz .LBB62_43
; %bb.40:                               ;   in Loop: Header=BB62_37 Depth=2
	s_mov_b64 s[20:21], exec
	v_mbcnt_lo_u32_b32 v10, s20, 0
	v_mbcnt_hi_u32_b32 v10, s21, v10
	s_bcnt1_i32_b64 s22, s[14:15]
	v_cmp_eq_u32_e64 s[2:3], 0, v10
                                        ; implicit-def: $vgpr11
	s_and_saveexec_b64 s[18:19], s[2:3]
; %bb.41:                               ;   in Loop: Header=BB62_37 Depth=2
	s_bcnt1_i32_b64 s2, s[20:21]
	s_mul_i32 s2, s22, s2
	v_mov_b32_e32 v11, s2
	ds_add_rtn_u32 v11, v3, v11 offset:5136
; %bb.42:                               ;   in Loop: Header=BB62_37 Depth=2
	s_or_b64 exec, exec, s[18:19]
	s_waitcnt lgkmcnt(0)
	v_readfirstlane_b32 s2, v11
	s_nop 1
	v_mov_b32_e32 v11, s2
	v_mad_u32_u24 v10, s22, v10, v11
.LBB62_43:                              ;   in Loop: Header=BB62_37 Depth=2
	s_or_b64 exec, exec, s[16:17]
	ds_bpermute_b32 v10, v45, v10
	s_and_b64 s[2:3], exec, vcc
	s_or_b64 s[6:7], s[2:3], s[6:7]
	s_and_saveexec_b64 s[2:3], s[14:15]
	s_cbranch_execz .LBB62_36
; %bb.44:                               ;   in Loop: Header=BB62_37 Depth=2
	v_and_b32_e32 v38, s14, v18
	v_and_b32_e32 v11, s15, v19
	v_bcnt_u32_b32 v38, v38, 0
	v_bcnt_u32_b32 v11, v11, v38
	v_lshlrev_b32_e32 v11, 1, v11
	s_waitcnt lgkmcnt(0)
	v_lshl_add_u32 v10, v10, 1, v11
	ds_write_b16 v10, v8
	s_branch .LBB62_36
.LBB62_45:                              ;   in Loop: Header=BB62_32 Depth=1
	s_mov_b64 s[0:1], -1
	s_mov_b64 s[2:3], 0
	s_mov_b32 s23, 0x5040100
.LBB62_46:                              ;   in Loop: Header=BB62_32 Depth=1
	s_and_b64 vcc, exec, s[0:1]
	s_cbranch_vccz .LBB62_62
.LBB62_47:                              ;   in Loop: Header=BB62_32 Depth=1
	s_mov_b64 s[0:1], exec
	v_readlane_b32 s2, v73, 38
	v_readlane_b32 s3, v73, 39
	s_and_b64 s[2:3], s[0:1], s[2:3]
	s_mov_b64 exec, s[2:3]
	s_cbranch_execz .LBB62_59
; %bb.48:                               ;   in Loop: Header=BB62_32 Depth=1
	global_load_ushort v2, v3, s[50:51]
	global_load_ushort v40, v[14:15], off
	v_mov_b32_e32 v8, v0
	s_waitcnt vmcnt(1)
	v_readfirstlane_b32 s6, v2
	v_add_u32_sdwa v2, v2, v0 dst_sel:DWORD dst_unused:UNUSED_PAD src0_sel:WORD_0 src1_sel:DWORD
	v_cmp_gt_i64_e32 vcc, s[56:57], v[2:3]
	s_and_saveexec_b64 s[2:3], vcc
	s_cbranch_execz .LBB62_58
; %bb.49:                               ;   in Loop: Header=BB62_32 Depth=1
	s_and_b32 s98, s6, 0xffff
	s_cmp_eq_u32 s98, 1
	v_readlane_b32 s10, v73, 44
	s_cselect_b64 s[6:7], -1, 0
	v_readlane_b32 s11, v73, 45
	s_and_b64 s[14:15], s[10:11], s[6:7]
	s_mov_b64 s[12:13], -1
	v_mov_b64_e32 v[6:7], v[0:1]
	v_mov_b64_e32 v[4:5], v[2:3]
                                        ; implicit-def: $vgpr8_vgpr9
	s_and_saveexec_b64 s[6:7], s[14:15]
	v_readlane_b32 s10, v73, 46
	v_readlane_b32 s11, v73, 47
	s_cbranch_execz .LBB62_53
; %bb.50:                               ;   in Loop: Header=BB62_32 Depth=1
	v_lshl_add_u64 v[8:9], v[2:3], 0, 3
	v_lshl_add_u64 v[6:7], v[2:3], 0, 2
	;; [unrolled: 1-line block ×3, first 2 shown]
	v_mov_b64_e32 v[10:11], v[8:9]
	s_waitcnt vmcnt(0)
	v_lshlrev_b32_e32 v54, 16, v40
	s_mov_b64 s[12:13], 0
	v_mov_b64_e32 v[38:39], v[22:23]
	v_mov_b32_e32 v41, v43
	v_mov_b64_e32 v[8:9], v[6:7]
	v_mov_b64_e32 v[6:7], v[4:5]
	;; [unrolled: 1-line block ×3, first 2 shown]
.LBB62_51:                              ;   Parent Loop BB62_32 Depth=1
                                        ; =>  This Inner Loop Header: Depth=2
	v_mul_lo_u32 v40, v11, s67
	v_mul_lo_u32 v55, v10, s68
	v_mad_u64_u32 v[58:59], s[14:15], v10, s67, 0
	v_mul_lo_u32 v66, v9, s70
	v_mul_lo_u32 v67, v8, s71
	v_mad_u64_u32 v[60:61], s[14:15], v8, s70, 0
	;; [unrolled: 3-line block ×4, first 2 shown]
	v_add3_u32 v59, v59, v55, v40
	v_add3_u32 v61, v61, v67, v66
	;; [unrolled: 1-line block ×4, first 2 shown]
	v_lshl_add_u64 v[60:61], v[60:61], 1, s[8:9]
	v_lshl_add_u64 v[58:59], v[58:59], 1, s[8:9]
	;; [unrolled: 1-line block ×4, first 2 shown]
	global_load_ushort v55, v[60:61], off
	global_load_ushort v40, v[58:59], off
	s_nop 0
	global_load_ushort v58, v[62:63], off
	global_load_ushort v59, v[64:65], off
	v_lshl_add_u64 v[38:39], v[38:39], 0, -4
	v_cmp_eq_u64_e32 vcc, 0, v[38:39]
	v_lshl_add_u64 v[10:11], v[10:11], 0, 4
	v_lshl_add_u64 v[8:9], v[8:9], 0, 4
	;; [unrolled: 1-line block ×4, first 2 shown]
	s_or_b64 s[12:13], vcc, s[12:13]
	s_waitcnt vmcnt(2)
	v_perm_b32 v60, v40, v55, s23
	s_waitcnt vmcnt(1)
	v_perm_b32 v55, v55, v58, s23
	s_waitcnt vmcnt(0)
	v_alignbit_b32 v54, v59, v54, 16
	ds_write_b64 v41, v[54:55]
	v_add_u32_e32 v41, 8, v41
	v_mov_b32_e32 v54, v60
	s_andn2_b64 exec, exec, s[12:13]
	s_cbranch_execnz .LBB62_51
; %bb.52:                               ;   in Loop: Header=BB62_32 Depth=1
	s_or_b64 exec, exec, s[12:13]
	v_readlane_b32 s10, v73, 48
	v_lshl_add_u64 v[4:5], v[2:3], 0, v[22:23]
	v_readlane_b32 s11, v73, 49
	v_lshl_add_u64 v[8:9], v[4:5], 0, -1
	s_orn2_b64 s[12:13], s[10:11], exec
	v_mov_b64_e32 v[6:7], v[24:25]
.LBB62_53:                              ;   in Loop: Header=BB62_32 Depth=1
	s_or_b64 exec, exec, s[6:7]
	s_and_saveexec_b64 s[6:7], s[12:13]
	s_cbranch_execz .LBB62_57
; %bb.54:                               ;   in Loop: Header=BB62_32 Depth=1
	v_readlane_b32 s10, v73, 57
	v_readlane_b32 s11, v73, 58
	s_sub_u32 s12, 0, s98
	s_mov_b64 s[14:15], 0
	v_mov_b64_e32 v[8:9], s[10:11]
	v_readlane_b32 s10, v73, 55
	v_readlane_b32 s11, v73, 56
	s_subb_u32 s13, 0, 0
	v_mad_u64_u32 v[8:9], s[16:17], s10, v4, v[8:9]
	v_mul_lo_u32 v2, s10, v5
	v_mul_lo_u32 v7, s11, v4
	s_mul_i32 s16, s11, s98
	s_mul_hi_u32 s17, s10, s98
	v_add3_u32 v9, v7, v9, v2
	s_add_i32 s17, s17, s16
	s_mul_i32 s16, s10, s98
.LBB62_55:                              ;   Parent Loop BB62_32 Depth=1
                                        ; =>  This Inner Loop Header: Depth=2
	s_waitcnt vmcnt(0)
	v_mov_b32_e32 v2, v40
	global_load_ushort v40, v[8:9], off
	v_mov_b64_e32 v[10:11], v[4:5]
	v_lshlrev_b32_e32 v4, 1, v6
	ds_write_b16 v4, v2
	v_lshl_add_u64 v[4:5], v[10:11], 0, s[98:99]
	v_cmp_le_i64_e32 vcc, s[56:57], v[4:5]
	v_lshl_add_u64 v[8:9], v[8:9], 0, s[16:17]
	s_or_b64 s[14:15], vcc, s[14:15]
	v_mov_b64_e32 v[6:7], v[10:11]
	s_andn2_b64 exec, exec, s[14:15]
	s_cbranch_execnz .LBB62_55
; %bb.56:                               ;   in Loop: Header=BB62_32 Depth=1
	s_or_b64 exec, exec, s[14:15]
	v_lshl_add_u64 v[8:9], s[12:13], 0, v[4:5]
.LBB62_57:                              ;   in Loop: Header=BB62_32 Depth=1
	s_or_b64 exec, exec, s[6:7]
.LBB62_58:                              ;   in Loop: Header=BB62_32 Depth=1
	s_or_b64 exec, exec, s[2:3]
	v_lshlrev_b32_e32 v2, 1, v8
	s_waitcnt vmcnt(0)
	ds_write_b16 v2, v40
.LBB62_59:                              ;   in Loop: Header=BB62_32 Depth=1
	s_or_b64 exec, exec, s[0:1]
	s_waitcnt lgkmcnt(0)
	s_barrier
	s_mov_b64 s[0:1], exec
	v_readlane_b32 s2, v73, 32
	v_readlane_b32 s3, v73, 33
	s_and_b64 s[2:3], s[0:1], s[2:3]
	s_mov_b64 exec, s[2:3]
; %bb.60:                               ;   in Loop: Header=BB62_32 Depth=1
	ds_write_b64 v3, v[56:57] offset:5120
; %bb.61:                               ;   in Loop: Header=BB62_32 Depth=1
	s_or_b64 exec, exec, s[0:1]
	s_mov_b64 s[2:3], -1
	s_waitcnt lgkmcnt(0)
	s_barrier
.LBB62_62:                              ;   in Loop: Header=BB62_32 Depth=1
	s_and_b64 vcc, exec, s[2:3]
	s_cbranch_vccz .LBB62_64
; %bb.63:                               ;   in Loop: Header=BB62_32 Depth=1
	ds_read_b64 v[4:5], v3 offset:5120
	s_waitcnt lgkmcnt(0)
	v_readfirstlane_b32 s64, v4
.LBB62_64:                              ;   in Loop: Header=BB62_32 Depth=1
	s_cmp_lt_i32 s64, 1
	s_mov_b64 s[0:1], -1
                                        ; implicit-def: $vgpr4_vgpr5
                                        ; implicit-def: $vgpr8_vgpr9
	s_cbranch_scc0 .LBB62_79
; %bb.65:                               ;   in Loop: Header=BB62_32 Depth=1
	global_load_ushort v2, v3, s[50:51]
	s_mov_b32 s0, s99
	s_waitcnt vmcnt(0)
	v_readfirstlane_b32 s1, v2
	s_and_b32 s66, s1, 0xffff
	s_lshl_b32 s98, s66, 2
	s_mov_b32 s1, s57
	s_cmp_lg_u64 s[0:1], 0
	s_cbranch_scc0 .LBB62_97
; %bb.66:                               ;   in Loop: Header=BB62_32 Depth=1
	s_add_u32 s0, s98, 0
	s_addc_u32 s1, 0, 0
	s_xor_b64 s[0:1], s[0:1], 0
	v_cvt_f32_u32_e32 v2, s0
	v_cvt_f32_u32_e32 v4, s1
	s_sub_u32 s6, 0, s0
	s_subb_u32 s7, 0, s1
	v_fmac_f32_e32 v2, 0x4f800000, v4
	v_rcp_f32_e32 v2, v2
	s_nop 0
	v_mul_f32_e32 v2, 0x5f7ffffc, v2
	v_mul_f32_e32 v4, 0x2f800000, v2
	v_trunc_f32_e32 v4, v4
	v_fmac_f32_e32 v2, 0xcf800000, v4
	v_cvt_u32_f32_e32 v4, v4
	v_cvt_u32_f32_e32 v2, v2
	v_readfirstlane_b32 s12, v4
	v_readfirstlane_b32 s2, v2
	s_mul_i32 s3, s6, s12
	s_mul_hi_u32 s14, s6, s2
	s_mul_i32 s13, s7, s2
	s_add_i32 s3, s14, s3
	s_mul_i32 s15, s6, s2
	s_add_i32 s3, s3, s13
	s_mul_i32 s14, s2, s3
	s_mul_hi_u32 s16, s2, s15
	s_mul_hi_u32 s13, s2, s3
	s_add_u32 s14, s16, s14
	s_addc_u32 s13, 0, s13
	s_mul_hi_u32 s17, s12, s15
	s_mul_i32 s15, s12, s15
	s_add_u32 s14, s14, s15
	s_mul_hi_u32 s16, s12, s3
	s_addc_u32 s13, s13, s17
	s_addc_u32 s14, s16, 0
	s_mul_i32 s3, s12, s3
	s_add_u32 s3, s13, s3
	s_addc_u32 s13, 0, s14
	s_add_u32 s14, s2, s3
	s_cselect_b64 s[2:3], -1, 0
	s_cmp_lg_u64 s[2:3], 0
	s_addc_u32 s12, s12, s13
	s_mul_i32 s2, s6, s12
	s_mul_hi_u32 s3, s6, s14
	s_add_i32 s2, s3, s2
	s_mul_i32 s7, s7, s14
	s_add_i32 s2, s2, s7
	s_mul_i32 s6, s6, s14
	s_mul_hi_u32 s7, s12, s6
	s_mul_i32 s13, s12, s6
	s_mul_i32 s16, s14, s2
	s_mul_hi_u32 s6, s14, s6
	s_mul_hi_u32 s15, s14, s2
	s_add_u32 s6, s6, s16
	s_addc_u32 s15, 0, s15
	s_add_u32 s6, s6, s13
	s_mul_hi_u32 s3, s12, s2
	s_addc_u32 s6, s15, s7
	s_addc_u32 s3, s3, 0
	s_mul_i32 s2, s12, s2
	s_add_u32 s2, s6, s2
	s_addc_u32 s6, 0, s3
	s_add_u32 s13, s14, s2
	s_cselect_b64 s[2:3], -1, 0
	s_cmp_lg_u64 s[2:3], 0
	s_addc_u32 s12, s12, s6
	s_ashr_i32 s2, s57, 31
	s_add_u32 s6, s56, s2
	s_mov_b32 s3, s2
	s_addc_u32 s7, s57, s2
	s_xor_b64 s[6:7], s[6:7], s[2:3]
	s_mul_i32 s15, s6, s12
	s_mul_hi_u32 s16, s6, s13
	s_mul_hi_u32 s14, s6, s12
	s_add_u32 s15, s16, s15
	s_addc_u32 s14, 0, s14
	s_mul_hi_u32 s17, s7, s13
	s_mul_i32 s13, s7, s13
	s_add_u32 s13, s15, s13
	s_mul_hi_u32 s16, s7, s12
	s_addc_u32 s13, s14, s17
	s_addc_u32 s14, s16, 0
	s_mul_i32 s12, s7, s12
	s_add_u32 s12, s13, s12
	s_addc_u32 s13, 0, s14
	s_mul_i32 s13, s0, s13
	s_mul_hi_u32 s14, s0, s12
	s_add_i32 s13, s14, s13
	s_mul_i32 s14, s1, s12
	s_add_i32 s16, s13, s14
	s_sub_i32 s14, s7, s16
	s_mul_i32 s12, s0, s12
	s_sub_u32 s6, s6, s12
	s_cselect_b64 s[12:13], -1, 0
	s_cmp_lg_u64 s[12:13], 0
	s_subb_u32 s17, s14, s1
	s_sub_u32 s18, s6, s0
	s_cselect_b64 s[14:15], -1, 0
	s_cmp_lg_u64 s[14:15], 0
	s_subb_u32 s19, s17, 0
	s_cmp_ge_u32 s19, s1
	s_cselect_b32 s20, -1, 0
	s_cmp_ge_u32 s18, s0
	s_cselect_b32 s21, -1, 0
	s_cmp_eq_u32 s19, s1
	s_cselect_b32 s20, s21, s20
	s_cmp_lg_u64 s[14:15], 0
	s_subb_u32 s17, s17, s1
	s_sub_u32 s21, s18, s0
	s_cselect_b64 s[14:15], -1, 0
	s_cmp_lg_u64 s[14:15], 0
	s_subb_u32 s14, s17, 0
	s_cmp_lg_u32 s20, 0
	s_cselect_b32 s15, s21, s18
	s_cselect_b32 s14, s14, s19
	s_cmp_lg_u64 s[12:13], 0
	s_subb_u32 s7, s7, s16
	s_cmp_ge_u32 s7, s1
	s_cselect_b32 s12, -1, 0
	s_cmp_ge_u32 s6, s0
	s_cselect_b32 s0, -1, 0
	s_cmp_eq_u32 s7, s1
	s_cselect_b32 s0, s0, s12
	s_cmp_lg_u32 s0, 0
	s_cselect_b32 s1, s14, s7
	s_cselect_b32 s0, s15, s6
	s_xor_b64 s[0:1], s[0:1], s[2:3]
	s_sub_u32 s68, s0, s2
	s_subb_u32 s69, s1, s2
	s_cbranch_execnz .LBB62_68
.LBB62_67:                              ;   in Loop: Header=BB62_32 Depth=1
	v_cvt_f32_u32_e32 v2, s98
	s_sub_i32 s0, 0, s98
	s_mov_b32 s69, s99
	v_rcp_iflag_f32_e32 v2, v2
	s_nop 0
	v_mul_f32_e32 v2, 0x4f7ffffe, v2
	v_cvt_u32_f32_e32 v2, v2
	s_nop 0
	v_readfirstlane_b32 s1, v2
	s_mul_i32 s0, s0, s1
	s_mul_hi_u32 s0, s1, s0
	s_add_i32 s1, s1, s0
	s_mul_hi_u32 s0, s56, s1
	s_mul_i32 s0, s0, s98
	s_sub_i32 s0, s56, s0
	s_sub_i32 s1, s0, s98
	s_cmp_ge_u32 s0, s98
	s_cselect_b32 s0, s1, s0
	s_sub_i32 s1, s0, s98
	s_cmp_ge_u32 s0, s98
	s_cselect_b32 s68, s1, s0
.LBB62_68:                              ;   in Loop: Header=BB62_32 Depth=1
	s_sub_u32 s70, s56, s68
	s_subb_u32 s71, s57, s69
	s_mov_b32 s67, s99
	v_cmp_gt_i64_e32 vcc, s[70:71], v[16:17]
	v_mov_b64_e32 v[4:5], 0
	v_mov_b64_e32 v[6:7], 0
	;; [unrolled: 1-line block ×4, first 2 shown]
	s_and_saveexec_b64 s[80:81], vcc
	s_cbranch_execz .LBB62_72
; %bb.69:                               ;   in Loop: Header=BB62_32 Depth=1
	s_mul_i32 s0, s83, s66
	s_mul_hi_u32 s1, s82, s66
	s_mov_b32 s77, s55
	s_mov_b64 s[10:11], s[92:93]
	s_add_i32 s65, s1, s0
	s_mov_b64 s[0:1], 0
	s_mov_b64 s[92:93], s[8:9]
	;; [unrolled: 1-line block ×6, first 2 shown]
	v_mov_b64_e32 v[38:39], v[16:17]
.LBB62_70:                              ;   Parent Loop BB62_32 Depth=1
                                        ; =>  This Inner Loop Header: Depth=2
	v_lshl_add_u64 v[4:5], s[92:93], 0, v[32:33]
	v_lshl_add_u64 v[6:7], s[92:93], 0, v[30:31]
	;; [unrolled: 1-line block ×4, first 2 shown]
	global_load_ushort v2, v[4:5], off
	s_nop 0
	global_load_ushort v4, v[6:7], off
	global_load_ushort v5, v[8:9], off
	s_nop 0
	global_load_ushort v6, v[10:11], off
	s_mul_i32 s73, s82, s66
	v_lshl_add_u64 v[38:39], v[38:39], 0, s[98:99]
	v_cmp_le_i64_e32 vcc, s[70:71], v[38:39]
	s_waitcnt vmcnt(3)
	v_cmp_lt_i16_e64 s[2:3], -1, v2
	s_nop 1
	v_cndmask_b32_e64 v7, v49, v50, s[2:3]
	s_waitcnt vmcnt(2)
	v_cmp_lt_i16_e64 s[2:3], -1, v4
	s_waitcnt vmcnt(1)
	v_cmp_o_f16_e64 s[14:15], v5, v5
	s_waitcnt vmcnt(0)
	v_cmp_o_f16_e64 s[16:17], v6, v6
	v_cndmask_b32_e64 v8, v49, v50, s[2:3]
	v_cmp_lt_i16_e64 s[2:3], -1, v5
	v_xor_b32_sdwa v8, v8, v4 dst_sel:DWORD dst_unused:UNUSED_PAD src0_sel:DWORD src1_sel:WORD_0
	v_cmp_o_f16_e64 s[18:19], v2, v2
	v_cndmask_b32_e64 v9, v49, v50, s[2:3]
	v_cmp_lt_i16_e64 s[2:3], -1, v6
	s_nop 1
	v_cndmask_b32_e64 v10, v49, v50, s[2:3]
	v_cmp_o_f16_e64 s[2:3], v4, v4
	v_xor_b32_sdwa v4, v9, v5 dst_sel:DWORD dst_unused:UNUSED_PAD src0_sel:DWORD src1_sel:WORD_0
	v_xor_b32_sdwa v5, v10, v6 dst_sel:DWORD dst_unused:UNUSED_PAD src0_sel:DWORD src1_sel:WORD_0
	;; [unrolled: 1-line block ×3, first 2 shown]
	v_cndmask_b32_e64 v2, v49, v6, s[18:19]
	v_cndmask_b32_e64 v6, v49, v8, s[2:3]
	v_and_b32_e32 v7, v2, v52
	v_bfe_u32 v2, v2, s72, 2
	v_cndmask_b32_e64 v4, v49, v4, s[14:15]
	v_and_b32_e32 v8, v6, v52
	v_bfe_u32 v6, v6, s72, 2
	v_cmp_eq_u32_e64 s[2:3], v7, v48
	v_cmp_eq_u32_e64 s[20:21], 0, v2
	v_cndmask_b32_e64 v5, v49, v5, s[16:17]
	v_and_b32_e32 v9, v4, v52
	v_bfe_u32 v4, v4, s72, 2
	v_cmp_eq_u32_e64 s[14:15], v8, v48
	v_cmp_eq_u32_e64 s[22:23], 0, v6
	s_and_b64 s[20:21], s[2:3], s[20:21]
	v_and_b32_e32 v10, v5, v52
	v_bfe_u32 v5, v5, s72, 2
	v_cmp_eq_u32_e64 s[16:17], v9, v48
	v_cmp_eq_u32_e64 s[24:25], 0, v4
	;; [unrolled: 1-line block ×5, first 2 shown]
	v_cndmask_b32_e64 v2, 0, 1, s[20:21]
	s_and_b64 s[20:21], s[14:15], s[22:23]
	v_cmp_eq_u32_e64 s[18:19], v10, v48
	v_cmp_eq_u32_e64 s[26:27], 0, v5
	;; [unrolled: 1-line block ×5, first 2 shown]
	v_cndmask_b32_e64 v4, 0, 1, s[20:21]
	s_and_b64 s[20:21], s[16:17], s[24:25]
	v_cmp_eq_u32_e64 s[38:39], 1, v5
	v_cmp_eq_u32_e64 s[46:47], 2, v5
	;; [unrolled: 1-line block ×3, first 2 shown]
	v_cndmask_b32_e64 v5, 0, 1, s[20:21]
	s_and_b64 s[20:21], s[18:19], s[26:27]
	v_cmp_eq_u32_e64 s[34:35], 1, v6
	v_cmp_eq_u32_e64 s[42:43], 2, v6
	;; [unrolled: 1-line block ×3, first 2 shown]
	v_cndmask_b32_e64 v6, 0, 1, s[20:21]
	v_cmp_ne_u32_e64 s[20:21], 0, v2
	v_cmp_ne_u32_e64 s[22:23], 0, v4
	v_cmp_ne_u32_e64 s[24:25], 0, v5
	v_cmp_ne_u32_e64 s[26:27], 0, v6
	s_bcnt1_i32_b64 s20, s[20:21]
	s_bcnt1_i32_b64 s21, s[22:23]
	s_bcnt1_i32_b64 s22, s[24:25]
	s_bcnt1_i32_b64 s23, s[26:27]
	s_add_u32 s20, s20, s88
	s_addc_u32 s24, 0, s89
	s_add_u32 s20, s20, s21
	s_addc_u32 s21, s24, 0
	s_add_u32 s20, s20, s22
	s_addc_u32 s21, s21, 0
	s_add_u32 s88, s20, s23
	s_addc_u32 s89, s21, 0
	s_and_b64 s[20:21], s[2:3], s[28:29]
	v_cndmask_b32_e64 v2, 0, 1, s[20:21]
	s_and_b64 s[20:21], s[14:15], s[34:35]
	v_cndmask_b32_e64 v6, 0, 1, s[20:21]
	s_and_b64 s[20:21], s[16:17], s[36:37]
	v_cndmask_b32_e64 v7, 0, 1, s[20:21]
	s_and_b64 s[20:21], s[18:19], s[38:39]
	v_cndmask_b32_e64 v8, 0, 1, s[20:21]
	v_cmp_ne_u32_e64 s[20:21], 0, v2
	v_cmp_ne_u32_e64 s[22:23], 0, v6
	v_cmp_ne_u32_e64 s[24:25], 0, v7
	v_cmp_ne_u32_e64 s[26:27], 0, v8
	s_bcnt1_i32_b64 s20, s[20:21]
	s_bcnt1_i32_b64 s21, s[22:23]
	s_bcnt1_i32_b64 s22, s[24:25]
	s_bcnt1_i32_b64 s23, s[26:27]
	s_add_u32 s6, s20, s6
	s_addc_u32 s7, 0, s7
	s_add_u32 s6, s6, s21
	s_addc_u32 s7, s7, 0
	s_add_u32 s6, s6, s22
	s_addc_u32 s7, s7, 0
	s_add_u32 s6, s6, s23
	s_addc_u32 s7, s7, 0
	s_and_b64 s[20:21], s[2:3], s[40:41]
	v_cndmask_b32_e64 v2, 0, 1, s[20:21]
	s_and_b64 s[20:21], s[14:15], s[42:43]
	v_cndmask_b32_e64 v8, 0, 1, s[20:21]
	s_and_b64 s[20:21], s[16:17], s[44:45]
	v_cndmask_b32_e64 v9, 0, 1, s[20:21]
	s_and_b64 s[20:21], s[18:19], s[46:47]
	;; [unrolled: 24-line block ×3, first 2 shown]
	v_cndmask_b32_e64 v40, 0, 1, s[2:3]
	v_cmp_ne_u32_e64 s[2:3], 0, v2
	v_cmp_ne_u32_e64 s[14:15], 0, v10
	;; [unrolled: 1-line block ×4, first 2 shown]
	s_bcnt1_i32_b64 s2, s[2:3]
	s_bcnt1_i32_b64 s3, s[14:15]
	;; [unrolled: 1-line block ×4, first 2 shown]
	s_add_u32 s2, s2, s94
	s_addc_u32 s16, 0, s95
	s_add_u32 s2, s2, s3
	s_addc_u32 s3, s16, 0
	;; [unrolled: 2-line block ×5, first 2 shown]
	v_mov_b64_e32 v[4:5], s[88:89]
	v_mov_b64_e32 v[6:7], s[6:7]
	;; [unrolled: 1-line block ×3, first 2 shown]
	s_or_b64 s[0:1], vcc, s[0:1]
	v_mov_b64_e32 v[10:11], s[94:95]
	s_andn2_b64 exec, exec, s[0:1]
	s_cbranch_execnz .LBB62_70
; %bb.71:                               ;   in Loop: Header=BB62_32 Depth=1
	s_or_b64 exec, exec, s[0:1]
	v_readlane_b32 s88, v73, 60
	v_readlane_b32 s50, v73, 62
	s_mov_b64 s[92:93], s[10:11]
	v_readlane_b32 s89, v73, 61
	s_mov_b32 s55, s77
	v_readlane_b32 s51, v73, 63
	v_readlane_b32 s54, v72, 5
.LBB62_72:                              ;   in Loop: Header=BB62_32 Depth=1
	s_or_b64 exec, exec, s[80:81]
	v_lshl_add_u64 v[38:39], s[70:71], 0, v[0:1]
	v_cmp_gt_i64_e32 vcc, s[56:57], v[38:39]
	s_and_saveexec_b64 s[0:1], vcc
	v_readlane_b32 s70, v72, 1
	v_readlane_b32 s71, v72, 2
	s_cbranch_execz .LBB62_78
; %bb.73:                               ;   in Loop: Header=BB62_32 Depth=1
	v_mul_lo_u32 v2, v39, s62
	v_mul_lo_u32 v54, v38, s63
	v_mad_u64_u32 v[40:41], s[2:3], v38, s62, 0
	v_add3_u32 v41, v41, v54, v2
	v_lshl_add_u64 v[40:41], v[40:41], 1, s[8:9]
	global_load_ushort v2, v[40:41], off
	v_lshl_add_u64 v[40:41], v[34:35], 0, s[66:67]
	v_mov_b32_e32 v54, s69
	v_subrev_co_u32_e32 v55, vcc, s68, v40
	v_readlane_b32 s2, v73, 57
	s_nop 0
	v_subb_co_u32_e32 v40, vcc, v41, v54, vcc
	v_readlane_b32 s6, v73, 55
	v_readlane_b32 s3, v73, 58
	v_readlane_b32 s7, v73, 56
	v_mul_lo_u32 v54, s6, v40
	v_mov_b64_e32 v[40:41], s[2:3]
	v_mad_u64_u32 v[40:41], s[2:3], s6, v55, v[40:41]
	v_mul_lo_u32 v58, s7, v55
	s_mul_i32 s2, s7, s66
	s_mul_hi_u32 s3, s6, s66
	v_add3_u32 v41, v58, v41, v54
	s_add_i32 s7, s3, s2
	s_mul_i32 s6, s6, s66
	s_mov_b64 s[12:13], 0
	s_branch .LBB62_75
.LBB62_74:                              ;   in Loop: Header=BB62_75 Depth=2
	s_or_b64 exec, exec, s[14:15]
	s_and_b64 s[2:3], exec, vcc
	s_waitcnt vmcnt(0)
	v_cmp_lt_i16_e32 vcc, -1, v2
	s_or_b64 s[12:13], s[2:3], s[12:13]
	v_lshl_add_u64 v[40:41], v[40:41], 0, s[6:7]
	v_cndmask_b32_e32 v55, v49, v50, vcc
	v_xor_b32_sdwa v55, v55, v2 dst_sel:DWORD dst_unused:UNUSED_PAD src0_sel:DWORD src1_sel:WORD_0
	v_cmp_o_f16_e32 vcc, v2, v2
	s_nop 1
	v_cndmask_b32_e32 v2, v49, v55, vcc
	v_and_b32_e32 v55, v2, v52
	v_bfe_u32 v2, v2, s72, 2
	v_cmp_eq_u32_e32 vcc, v55, v48
	v_cmp_eq_u32_e64 s[2:3], 0, v2
	s_and_b64 s[2:3], vcc, s[2:3]
	s_nop 0
	v_cndmask_b32_e64 v55, 0, 1, s[2:3]
	v_cmp_ne_u32_e64 s[2:3], 0, v55
	s_bcnt1_i32_b64 s98, s[2:3]
	v_cmp_eq_u32_e64 s[2:3], 1, v2
	s_and_b64 s[2:3], vcc, s[2:3]
	v_lshl_add_u64 v[4:5], s[98:99], 0, v[4:5]
	v_cndmask_b32_e64 v55, 0, 1, s[2:3]
	v_cmp_ne_u32_e64 s[2:3], 0, v55
	s_bcnt1_i32_b64 s98, s[2:3]
	v_cmp_eq_u32_e64 s[2:3], 2, v2
	s_and_b64 s[2:3], vcc, s[2:3]
	v_lshl_add_u64 v[6:7], s[98:99], 0, v[6:7]
	;; [unrolled: 6-line block ×3, first 2 shown]
	v_cndmask_b32_e64 v2, 0, 1, s[2:3]
	v_cmp_ne_u32_e32 vcc, 0, v2
	s_bcnt1_i32_b64 s98, vcc
	v_lshl_add_u64 v[10:11], s[98:99], 0, v[10:11]
	v_mov_b32_e32 v2, v54
	s_andn2_b64 exec, exec, s[12:13]
	s_cbranch_execz .LBB62_77
.LBB62_75:                              ;   Parent Loop BB62_32 Depth=1
                                        ; =>  This Inner Loop Header: Depth=2
	v_lshl_add_u64 v[38:39], v[38:39], 0, s[66:67]
	v_cmp_gt_i64_e64 s[2:3], s[56:57], v[38:39]
	v_cmp_le_i64_e32 vcc, s[56:57], v[38:39]
	v_mov_b32_e32 v54, 0
	s_and_saveexec_b64 s[14:15], s[2:3]
	s_cbranch_execz .LBB62_74
; %bb.76:                               ;   in Loop: Header=BB62_75 Depth=2
	global_load_ushort v54, v[40:41], off
	s_branch .LBB62_74
.LBB62_77:                              ;   in Loop: Header=BB62_32 Depth=1
	s_or_b64 exec, exec, s[12:13]
.LBB62_78:                              ;   in Loop: Header=BB62_32 Depth=1
	s_or_b64 exec, exec, s[0:1]
	s_mov_b64 s[0:1], 0
	v_readlane_b32 s69, v72, 0
	v_readlane_b32 s67, v72, 3
	;; [unrolled: 1-line block ×3, first 2 shown]
.LBB62_79:                              ;   in Loop: Header=BB62_32 Depth=1
	s_and_b64 vcc, exec, s[0:1]
	s_cbranch_vccz .LBB62_89
; %bb.80:                               ;   in Loop: Header=BB62_32 Depth=1
	global_load_ushort v2, v3, s[50:51]
	v_mov_b64_e32 v[8:9], 0
	s_waitcnt vmcnt(0)
	v_readfirstlane_b32 s0, v2
	s_and_b32 s65, 0xffff, s0
	s_lshl_b32 s98, s65, 2
	v_cvt_f32_u32_e32 v4, s98
	s_sub_i32 s0, 0, s98
	v_rcp_iflag_f32_e32 v6, v4
	v_mov_b64_e32 v[4:5], 0
	v_mul_f32_e32 v6, 0x4f7ffffe, v6
	v_cvt_u32_f32_e32 v10, v6
	v_mov_b64_e32 v[6:7], 0
	v_readfirstlane_b32 s1, v10
	s_mul_i32 s0, s0, s1
	s_mul_hi_u32 s0, s1, s0
	s_add_i32 s1, s1, s0
	s_mul_hi_u32 s0, s64, s1
	s_mul_i32 s1, s0, s98
	s_sub_i32 s1, s64, s1
	s_add_i32 s2, s0, 1
	s_sub_i32 s3, s1, s98
	s_cmp_ge_u32 s1, s98
	s_cselect_b32 s0, s2, s0
	s_cselect_b32 s1, s3, s1
	s_add_i32 s2, s0, 1
	s_cmp_ge_u32 s1, s98
	s_cselect_b32 s0, s2, s0
	s_mul_hi_u32 s1, s65, s0
	s_mul_i32 s0, s65, s0
	s_lshl_b64 s[6:7], s[0:1], 2
	v_cmp_gt_u64_e32 vcc, s[6:7], v[16:17]
	v_mov_b64_e32 v[10:11], 0
	s_and_saveexec_b64 s[12:13], vcc
	s_cbranch_execz .LBB62_84
; %bb.81:                               ;   in Loop: Header=BB62_32 Depth=1
	s_mov_b32 s11, s55
	s_lshl_b32 s1, s65, 3
	s_mov_b64 s[66:67], 0
	v_mov_b32_e32 v40, v20
	s_mov_b64 s[68:69], 0
	s_mov_b64 s[70:71], 0
	;; [unrolled: 1-line block ×4, first 2 shown]
	v_mov_b64_e32 v[38:39], v[16:17]
.LBB62_82:                              ;   Parent Loop BB62_32 Depth=1
                                        ; =>  This Inner Loop Header: Depth=2
	ds_read_b64 v[4:5], v40
	v_lshl_add_u64 v[38:39], v[38:39], 0, s[98:99]
	v_cmp_le_u64_e32 vcc, s[6:7], v[38:39]
	v_add_u32_e32 v40, s1, v40
	s_waitcnt lgkmcnt(0)
	v_cmp_lt_i16_e64 s[2:3], -1, v4
	v_cmp_o_f16_e64 s[14:15], v5, v5
	s_nop 0
	v_cndmask_b32_e64 v6, v49, v50, s[2:3]
	v_cmp_gt_i16_sdwa s[2:3], v4, v21 src0_sel:WORD_1 src1_sel:DWORD
	v_cmp_o_f16_sdwa s[16:17], v5, v5 src0_sel:WORD_1 src1_sel:WORD_1
	v_cmp_o_f16_e64 s[18:19], v4, v4
	v_cndmask_b32_e64 v7, v49, v50, s[2:3]
	v_cmp_lt_i16_e64 s[2:3], -1, v5
	v_xor_b32_sdwa v7, v7, v4 dst_sel:DWORD dst_unused:UNUSED_PAD src0_sel:DWORD src1_sel:WORD_1
	s_nop 0
	v_cndmask_b32_e64 v8, v49, v50, s[2:3]
	v_cmp_gt_i16_sdwa s[2:3], v5, v21 src0_sel:WORD_1 src1_sel:DWORD
	v_bitop3_b32 v8, v8, v5, s33 bitop3:0x78
	s_nop 0
	v_cndmask_b32_e64 v9, v49, v50, s[2:3]
	v_xor_b32_sdwa v9, v9, v5 dst_sel:DWORD dst_unused:UNUSED_PAD src0_sel:DWORD src1_sel:WORD_1
	v_bitop3_b32 v5, v6, v4, s33 bitop3:0x78
	v_cmp_o_f16_sdwa s[2:3], v4, v4 src0_sel:WORD_1 src1_sel:WORD_1
	v_cndmask_b32_e64 v4, v49, v5, s[18:19]
	v_cndmask_b32_e64 v6, v49, v8, s[14:15]
	;; [unrolled: 1-line block ×3, first 2 shown]
	v_and_b32_e32 v8, v4, v52
	v_bfe_u32 v4, v4, s72, 2
	v_cndmask_b32_e64 v7, v49, v9, s[16:17]
	v_and_b32_e32 v9, v5, v52
	v_bfe_u32 v5, v5, s72, 2
	v_cmp_eq_u32_e64 s[20:21], v8, v48
	v_cmp_eq_u32_e64 s[2:3], 0, v4
	v_and_b32_e32 v10, v6, v52
	v_bfe_u32 v6, v6, s72, 2
	v_cmp_eq_u32_e64 s[18:19], v9, v48
	v_cmp_eq_u32_e64 s[34:35], 0, v5
	s_and_b64 s[2:3], s[20:21], s[2:3]
	v_and_b32_e32 v11, v7, v52
	v_bfe_u32 v7, v7, s72, 2
	v_cmp_eq_u32_e64 s[16:17], v10, v48
	v_cmp_eq_u32_e64 s[36:37], 0, v6
	v_cmp_eq_u32_e64 s[40:41], 1, v4
	v_cmp_eq_u32_e64 s[48:49], 2, v4
	v_cmp_eq_u32_e64 s[28:29], 3, v4
	v_cndmask_b32_e64 v4, 0, 1, s[2:3]
	s_and_b64 s[2:3], s[18:19], s[34:35]
	v_cmp_eq_u32_e64 s[14:15], v11, v48
	v_cmp_eq_u32_e64 s[38:39], 0, v7
	;; [unrolled: 1-line block ×5, first 2 shown]
	v_cndmask_b32_e64 v5, 0, 1, s[2:3]
	s_and_b64 s[2:3], s[16:17], s[36:37]
	v_cmp_eq_u32_e64 s[44:45], 1, v6
	v_cmp_eq_u32_e64 s[52:53], 2, v6
	;; [unrolled: 1-line block ×3, first 2 shown]
	v_cndmask_b32_e64 v6, 0, 1, s[2:3]
	s_and_b64 s[2:3], s[14:15], s[38:39]
	v_cmp_eq_u32_e64 s[46:47], 1, v7
	v_cmp_eq_u32_e64 s[54:55], 2, v7
	;; [unrolled: 1-line block ×3, first 2 shown]
	v_cndmask_b32_e64 v7, 0, 1, s[2:3]
	v_cmp_ne_u32_e64 s[2:3], 0, v4
	v_cmp_ne_u32_e64 s[34:35], 0, v5
	v_cmp_ne_u32_e64 s[36:37], 0, v6
	v_cmp_ne_u32_e64 s[38:39], 0, v7
	s_bcnt1_i32_b64 s2, s[2:3]
	s_bcnt1_i32_b64 s3, s[34:35]
	s_bcnt1_i32_b64 s34, s[36:37]
	s_bcnt1_i32_b64 s35, s[38:39]
	s_add_u32 s2, s2, s88
	s_addc_u32 s36, 0, s89
	s_add_u32 s2, s2, s3
	s_addc_u32 s3, s36, 0
	s_add_u32 s2, s2, s34
	s_addc_u32 s3, s3, 0
	s_add_u32 s88, s2, s35
	s_addc_u32 s89, s3, 0
	s_and_b64 s[2:3], s[20:21], s[40:41]
	v_cndmask_b32_e64 v6, 0, 1, s[2:3]
	s_and_b64 s[2:3], s[18:19], s[42:43]
	v_cndmask_b32_e64 v7, 0, 1, s[2:3]
	s_and_b64 s[2:3], s[16:17], s[44:45]
	v_cndmask_b32_e64 v8, 0, 1, s[2:3]
	s_and_b64 s[2:3], s[14:15], s[46:47]
	v_cndmask_b32_e64 v9, 0, 1, s[2:3]
	v_cmp_ne_u32_e64 s[2:3], 0, v6
	v_cmp_ne_u32_e64 s[34:35], 0, v7
	v_cmp_ne_u32_e64 s[36:37], 0, v8
	v_cmp_ne_u32_e64 s[38:39], 0, v9
	s_bcnt1_i32_b64 s2, s[2:3]
	s_bcnt1_i32_b64 s3, s[34:35]
	s_bcnt1_i32_b64 s34, s[36:37]
	s_bcnt1_i32_b64 s35, s[38:39]
	s_add_u32 s2, s2, s80
	s_addc_u32 s36, 0, s81
	s_add_u32 s2, s2, s3
	s_addc_u32 s3, s36, 0
	s_add_u32 s2, s2, s34
	s_addc_u32 s3, s3, 0
	s_add_u32 s80, s2, s35
	s_addc_u32 s81, s3, 0
	s_and_b64 s[2:3], s[20:21], s[48:49]
	v_cndmask_b32_e64 v8, 0, 1, s[2:3]
	s_and_b64 s[2:3], s[18:19], s[50:51]
	v_cndmask_b32_e64 v9, 0, 1, s[2:3]
	s_and_b64 s[2:3], s[16:17], s[52:53]
	v_cndmask_b32_e64 v10, 0, 1, s[2:3]
	s_and_b64 s[2:3], s[14:15], s[54:55]
	;; [unrolled: 24-line block ×3, first 2 shown]
	v_cndmask_b32_e64 v54, 0, 1, s[2:3]
	v_cmp_ne_u32_e64 s[2:3], 0, v10
	v_cmp_ne_u32_e64 s[14:15], 0, v11
	;; [unrolled: 1-line block ×4, first 2 shown]
	s_bcnt1_i32_b64 s2, s[2:3]
	s_bcnt1_i32_b64 s3, s[14:15]
	;; [unrolled: 1-line block ×4, first 2 shown]
	s_add_u32 s2, s2, s68
	s_addc_u32 s16, 0, s69
	s_add_u32 s2, s2, s3
	s_addc_u32 s3, s16, 0
	s_add_u32 s2, s2, s14
	s_addc_u32 s3, s3, 0
	s_add_u32 s68, s2, s15
	s_addc_u32 s69, s3, 0
	v_mov_b64_e32 v[4:5], s[88:89]
	v_mov_b64_e32 v[6:7], s[80:81]
	;; [unrolled: 1-line block ×3, first 2 shown]
	s_or_b64 s[66:67], vcc, s[66:67]
	v_mov_b64_e32 v[10:11], s[68:69]
	s_andn2_b64 exec, exec, s[66:67]
	s_cbranch_execnz .LBB62_82
; %bb.83:                               ;   in Loop: Header=BB62_32 Depth=1
	s_or_b64 exec, exec, s[66:67]
	v_readlane_b32 s88, v73, 60
	v_readlane_b32 s50, v73, 62
	v_readlane_b32 s89, v73, 61
	s_mov_b32 s55, s11
	v_readlane_b32 s51, v73, 63
	v_readlane_b32 s69, v72, 0
	;; [unrolled: 1-line block ×7, first 2 shown]
.LBB62_84:                              ;   in Loop: Header=BB62_32 Depth=1
	s_or_b64 exec, exec, s[12:13]
	s_and_b32 s12, s64, 0x7fffffff
	s_mov_b32 s13, s99
	v_lshl_add_u64 v[38:39], s[6:7], 0, v[0:1]
	v_and_b32_e32 v2, 0xffff, v2
	v_cmp_gt_u64_e32 vcc, s[12:13], v[38:39]
	s_and_saveexec_b64 s[6:7], vcc
	s_cbranch_execz .LBB62_88
; %bb.85:                               ;   in Loop: Header=BB62_32 Depth=1
	v_lshl_add_u32 v40, s0, 3, v43
	s_lshl_b32 s22, s65, 1
	s_mov_b64 s[0:1], 0
.LBB62_86:                              ;   Parent Loop BB62_32 Depth=1
                                        ; =>  This Inner Loop Header: Depth=2
	ds_read_u16 v41, v40
	v_lshl_add_u64 v[38:39], v[38:39], 0, v[2:3]
	v_cmp_le_u64_e32 vcc, s[12:13], v[38:39]
	v_add_u32_e32 v40, s22, v40
	s_waitcnt lgkmcnt(0)
	v_cmp_lt_i16_e64 s[2:3], -1, v41
	s_nop 1
	v_cndmask_b32_e64 v54, v49, v50, s[2:3]
	v_xor_b32_sdwa v54, v54, v41 dst_sel:DWORD dst_unused:UNUSED_PAD src0_sel:DWORD src1_sel:WORD_0
	v_cmp_o_f16_e64 s[2:3], v41, v41
	s_nop 1
	v_cndmask_b32_e64 v41, v49, v54, s[2:3]
	v_and_b32_e32 v54, v41, v52
	v_bfe_u32 v41, v41, s72, 2
	v_cmp_eq_u32_e64 s[2:3], v54, v48
	v_cmp_eq_u32_e64 s[14:15], 0, v41
	;; [unrolled: 1-line block ×3, first 2 shown]
	s_and_b64 s[14:15], s[2:3], s[14:15]
	v_cmp_eq_u32_e64 s[18:19], 2, v41
	v_cmp_eq_u32_e64 s[20:21], 3, v41
	v_cndmask_b32_e64 v41, 0, 1, s[14:15]
	s_and_b64 s[14:15], s[2:3], s[16:17]
	v_cndmask_b32_e64 v54, 0, 1, s[14:15]
	s_and_b64 s[14:15], s[2:3], s[18:19]
	s_and_b64 s[2:3], s[2:3], s[20:21]
	v_cndmask_b32_e64 v58, 0, 1, s[2:3]
	v_cmp_ne_u32_e64 s[2:3], 0, v41
	v_cndmask_b32_e64 v55, 0, 1, s[14:15]
	v_cmp_ne_u32_e64 s[14:15], 0, v54
	s_bcnt1_i32_b64 s98, s[2:3]
	v_cmp_ne_u32_e64 s[16:17], 0, v55
	v_lshl_add_u64 v[4:5], s[98:99], 0, v[4:5]
	s_bcnt1_i32_b64 s98, s[14:15]
	v_cmp_ne_u32_e64 s[18:19], 0, v58
	v_lshl_add_u64 v[6:7], s[98:99], 0, v[6:7]
	s_bcnt1_i32_b64 s98, s[16:17]
	v_lshl_add_u64 v[8:9], s[98:99], 0, v[8:9]
	s_bcnt1_i32_b64 s98, s[18:19]
	s_or_b64 s[0:1], vcc, s[0:1]
	v_lshl_add_u64 v[10:11], s[98:99], 0, v[10:11]
	s_andn2_b64 exec, exec, s[0:1]
	s_cbranch_execnz .LBB62_86
; %bb.87:                               ;   in Loop: Header=BB62_32 Depth=1
	s_or_b64 exec, exec, s[0:1]
.LBB62_88:                              ;   in Loop: Header=BB62_32 Depth=1
	s_or_b64 exec, exec, s[6:7]
.LBB62_89:                              ;   in Loop: Header=BB62_32 Depth=1
	v_readlane_b32 s0, v73, 59
	s_lshl_b32 s2, s0, 6
	s_and_saveexec_b64 s[0:1], s[4:5]
	s_movk_i32 s10, 0x3c00
	s_mov_b64 s[64:65], s[78:79]
	s_cbranch_execz .LBB62_91
; %bb.90:                               ;   in Loop: Header=BB62_32 Depth=1
	v_lshl_add_u32 v2, s2, 3, v46
	ds_write_b128 v2, v[4:7]
	ds_write_b128 v2, v[8:11] offset:16
.LBB62_91:                              ;   in Loop: Header=BB62_32 Depth=1
	s_or_b64 exec, exec, s[0:1]
	s_waitcnt lgkmcnt(0)
	s_barrier
	s_and_saveexec_b64 s[0:1], s[92:93]
	s_cbranch_execz .LBB62_106
; %bb.92:                               ;   in Loop: Header=BB62_32 Depth=1
	v_readlane_b32 s6, v73, 40
	v_readlane_b32 s7, v73, 41
	s_andn2_b64 vcc, exec, s[6:7]
	v_mov_b64_e32 v[4:5], 0
	s_cbranch_vccnz .LBB62_105
; %bb.93:                               ;   in Loop: Header=BB62_32 Depth=1
	v_readlane_b32 s6, v73, 50
	v_readlane_b32 s7, v73, 51
	s_andn2_b64 vcc, exec, s[6:7]
	s_cbranch_vccnz .LBB62_101
; %bb.94:                               ;   in Loop: Header=BB62_32 Depth=1
	v_readlane_b32 s3, v73, 59
	v_mov_b64_e32 v[4:5], 0
	s_nop 0
	v_lshl_add_u32 v2, s3, 9, v47
	s_mov_b32 s3, 0
.LBB62_95:                              ;   Parent Loop BB62_32 Depth=1
                                        ; =>  This Inner Loop Header: Depth=2
	ds_read2_b64 v[6:9], v2 offset1:4
	ds_read2_b64 v[38:41], v2 offset0:8 offset1:12
	ds_read2_b64 v[58:61], v2 offset0:16 offset1:20
	;; [unrolled: 1-line block ×3, first 2 shown]
	s_add_i32 s3, s3, 8
	s_waitcnt lgkmcnt(3)
	v_lshl_add_u64 v[4:5], v[6:7], 0, v[4:5]
	v_lshl_add_u64 v[4:5], v[8:9], 0, v[4:5]
	s_waitcnt lgkmcnt(2)
	v_lshl_add_u64 v[4:5], v[38:39], 0, v[4:5]
	v_lshl_add_u64 v[4:5], v[40:41], 0, v[4:5]
	;; [unrolled: 3-line block ×3, first 2 shown]
	s_waitcnt lgkmcnt(0)
	v_lshl_add_u64 v[4:5], v[62:63], 0, v[4:5]
	v_add_u32_e32 v2, 0x100, v2
	s_cmp_eq_u32 s74, s3
	v_lshl_add_u64 v[4:5], v[64:65], 0, v[4:5]
	s_cbranch_scc0 .LBB62_95
; %bb.96:                               ;   in Loop: Header=BB62_32 Depth=1
	s_mov_b32 s3, s74
	s_branch .LBB62_102
.LBB62_97:                              ;   in Loop: Header=BB62_32 Depth=1
                                        ; implicit-def: $sgpr68_sgpr69
	s_branch .LBB62_67
.LBB62_98:                              ;   in Loop: Header=BB62_32 Depth=1
	s_or_b64 exec, exec, s[6:7]
	s_waitcnt lgkmcnt(0)
	s_barrier
	s_mov_b64 s[2:3], exec
	v_readlane_b32 s6, v73, 32
	v_readlane_b32 s7, v73, 33
	s_and_b64 s[6:7], s[2:3], s[6:7]
	s_mov_b64 exec, s[6:7]
	s_cbranch_execz .LBB62_100
; %bb.99:                               ;   in Loop: Header=BB62_32 Depth=1
	ds_read_b32 v4, v3 offset:5136
	s_waitcnt lgkmcnt(0)
	v_ashrrev_i32_e32 v5, 31, v4
	ds_write_b64 v3, v[4:5] offset:5120
.LBB62_100:                             ;   in Loop: Header=BB62_32 Depth=1
	s_or_b64 exec, exec, s[2:3]
	s_waitcnt lgkmcnt(0)
	s_barrier
	s_mov_b64 s[2:3], -1
	s_and_b64 vcc, exec, s[0:1]
	s_cbranch_vccnz .LBB62_47
	s_branch .LBB62_62
.LBB62_101:                             ;   in Loop: Header=BB62_32 Depth=1
	s_mov_b32 s3, 0
	v_mov_b64_e32 v[4:5], 0
.LBB62_102:                             ;   in Loop: Header=BB62_32 Depth=1
	v_readlane_b32 s6, v73, 53
	v_readlane_b32 s7, v73, 54
	s_andn2_b64 vcc, exec, s[6:7]
	s_cbranch_vccnz .LBB62_105
; %bb.103:                              ;   in Loop: Header=BB62_32 Depth=1
	v_readlane_b32 s6, v73, 59
	s_lshl_b32 s6, s6, 9
	s_lshl_b32 s3, s3, 5
	s_add_i32 s6, s6, s3
	v_add_u32_e32 v2, s6, v47
	v_readlane_b32 s3, v73, 52
.LBB62_104:                             ;   Parent Loop BB62_32 Depth=1
                                        ; =>  This Inner Loop Header: Depth=2
	ds_read_b64 v[6:7], v2
	s_add_i32 s3, s3, -1
	v_add_u32_e32 v2, 32, v2
	s_cmp_lg_u32 s3, 0
	s_waitcnt lgkmcnt(0)
	v_lshl_add_u64 v[4:5], v[6:7], 0, v[4:5]
	s_cbranch_scc1 .LBB62_104
.LBB62_105:                             ;   in Loop: Header=BB62_32 Depth=1
	v_add_lshl_u32 v2, s2, v42, 3
	ds_write_b64 v2, v[4:5] offset:3072
.LBB62_106:                             ;   in Loop: Header=BB62_32 Depth=1
	s_or_b64 exec, exec, s[0:1]
	s_lshl_b32 s0, s2, 3
	v_mov_b32_e32 v2, s0
	s_waitcnt lgkmcnt(0)
	s_barrier
	ds_read_b128 v[8:11], v2 offset:3088
	ds_read_b128 v[4:7], v2 offset:3072
	s_lshl_b32 s66, 3, s72
	v_cmp_eq_u64_e64 s[2:3], 1, v[36:37]
	s_not_b32 s52, s66
	s_waitcnt lgkmcnt(1)
	v_readfirstlane_b32 s22, v8
	s_waitcnt lgkmcnt(0)
	v_cmp_eq_u64_e32 vcc, 1, v[4:5]
	v_readfirstlane_b32 s23, v9
	v_readfirstlane_b32 s14, v10
	;; [unrolled: 1-line block ×3, first 2 shown]
	s_and_b64 s[18:19], vcc, s[2:3]
	s_mov_b64 s[2:3], -1
	s_mov_b64 s[12:13], -1
                                        ; implicit-def: $sgpr6_sgpr7
                                        ; implicit-def: $sgpr0_sgpr1
	s_and_saveexec_b64 s[16:17], s[18:19]
	s_cbranch_execz .LBB62_142
; %bb.107:                              ;   in Loop: Header=BB62_32 Depth=1
	ds_read_b64 v[8:9], v3 offset:5120
	s_waitcnt lgkmcnt(0)
	s_barrier
	v_readfirstlane_b32 s20, v8
	v_readfirstlane_b32 s21, v9
	s_and_saveexec_b64 s[0:1], s[90:91]
; %bb.108:                              ;   in Loop: Header=BB62_32 Depth=1
	ds_write_b16 v44, v3
; %bb.109:                              ;   in Loop: Header=BB62_32 Depth=1
	s_or_b64 exec, exec, s[0:1]
	v_cmp_lt_i64_e64 s[12:13], s[20:21], 1
	v_and_b32_e32 v48, s52, v48
	v_or_b32_e32 v52, s66, v52
	s_mov_b64 s[0:1], -1
	s_mov_b64 s[6:7], 0
	s_and_b64 vcc, exec, s[12:13]
	s_mov_b64 s[12:13], 0
	s_mov_b64 s[24:25], -1
	s_waitcnt lgkmcnt(0)
	s_barrier
                                        ; implicit-def: $vgpr53
	s_cbranch_vccz .LBB62_126
; %bb.110:                              ;   in Loop: Header=BB62_32 Depth=1
	s_mov_b32 s54, s99
	s_cmp_lg_u64 s[54:55], 0
	s_cbranch_scc0 .LBB62_112
; %bb.111:                              ;   in Loop: Header=BB62_32 Depth=1
	s_add_u32 s12, s96, 0
	s_addc_u32 s13, 0, 0
	s_xor_b64 s[12:13], s[12:13], 0
	v_cvt_f32_u32_e32 v2, s12
	v_cvt_f32_u32_e32 v8, s13
	s_sub_u32 s26, 0, s12
	s_subb_u32 s27, 0, s13
	v_fmac_f32_e32 v2, 0x4f800000, v8
	v_rcp_f32_e32 v2, v2
	s_nop 0
	v_mul_f32_e32 v2, 0x5f7ffffc, v2
	v_mul_f32_e32 v8, 0x2f800000, v2
	v_trunc_f32_e32 v8, v8
	v_fmac_f32_e32 v2, 0xcf800000, v8
	v_cvt_u32_f32_e32 v8, v8
	v_cvt_u32_f32_e32 v2, v2
	v_readfirstlane_b32 s28, v8
	v_readfirstlane_b32 s24, v2
	s_mul_i32 s25, s26, s28
	s_mul_hi_u32 s34, s26, s24
	s_mul_i32 s29, s27, s24
	s_add_i32 s25, s34, s25
	s_mul_i32 s35, s26, s24
	s_add_i32 s25, s25, s29
	s_mul_i32 s34, s24, s25
	s_mul_hi_u32 s36, s24, s35
	s_mul_hi_u32 s29, s24, s25
	s_add_u32 s34, s36, s34
	s_addc_u32 s29, 0, s29
	s_mul_hi_u32 s37, s28, s35
	s_mul_i32 s35, s28, s35
	s_add_u32 s34, s34, s35
	s_mul_hi_u32 s36, s28, s25
	s_addc_u32 s29, s29, s37
	s_addc_u32 s34, s36, 0
	s_mul_i32 s25, s28, s25
	s_add_u32 s25, s29, s25
	s_addc_u32 s29, 0, s34
	s_add_u32 s34, s24, s25
	s_cselect_b64 s[24:25], -1, 0
	s_cmp_lg_u64 s[24:25], 0
	s_addc_u32 s28, s28, s29
	s_mul_i32 s24, s26, s28
	s_mul_hi_u32 s25, s26, s34
	s_add_i32 s24, s25, s24
	s_mul_i32 s27, s27, s34
	s_add_i32 s24, s24, s27
	s_mul_i32 s26, s26, s34
	s_mul_hi_u32 s27, s28, s26
	s_mul_i32 s29, s28, s26
	s_mul_i32 s36, s34, s24
	s_mul_hi_u32 s26, s34, s26
	s_mul_hi_u32 s35, s34, s24
	s_add_u32 s26, s26, s36
	s_addc_u32 s35, 0, s35
	s_add_u32 s26, s26, s29
	s_mul_hi_u32 s25, s28, s24
	s_addc_u32 s26, s35, s27
	s_addc_u32 s25, s25, 0
	s_mul_i32 s24, s28, s24
	s_add_u32 s24, s26, s24
	s_addc_u32 s26, 0, s25
	s_add_u32 s29, s34, s24
	s_cselect_b64 s[24:25], -1, 0
	s_cmp_lg_u64 s[24:25], 0
	s_addc_u32 s28, s28, s26
	s_ashr_i32 s24, s55, 31
	s_add_u32 s26, s75, s24
	s_mov_b32 s25, s24
	s_addc_u32 s27, s55, s24
	s_xor_b64 s[26:27], s[26:27], s[24:25]
	s_mul_i32 s35, s26, s28
	s_mul_hi_u32 s36, s26, s29
	s_mul_hi_u32 s34, s26, s28
	s_add_u32 s35, s36, s35
	s_addc_u32 s34, 0, s34
	s_mul_hi_u32 s37, s27, s29
	s_mul_i32 s29, s27, s29
	s_add_u32 s29, s35, s29
	s_mul_hi_u32 s36, s27, s28
	s_addc_u32 s29, s34, s37
	s_addc_u32 s34, s36, 0
	s_mul_i32 s28, s27, s28
	s_add_u32 s28, s29, s28
	s_addc_u32 s29, 0, s34
	s_mul_i32 s29, s12, s29
	s_mul_hi_u32 s34, s12, s28
	s_add_i32 s29, s34, s29
	s_mul_i32 s34, s13, s28
	s_add_i32 s36, s29, s34
	s_sub_i32 s34, s27, s36
	s_mul_i32 s28, s12, s28
	s_sub_u32 s26, s26, s28
	s_cselect_b64 s[28:29], -1, 0
	s_cmp_lg_u64 s[28:29], 0
	s_subb_u32 s37, s34, s13
	s_sub_u32 s38, s26, s12
	s_cselect_b64 s[34:35], -1, 0
	s_cmp_lg_u64 s[34:35], 0
	s_subb_u32 s39, s37, 0
	s_cmp_ge_u32 s39, s13
	s_cselect_b32 s40, -1, 0
	s_cmp_ge_u32 s38, s12
	s_cselect_b32 s41, -1, 0
	s_cmp_eq_u32 s39, s13
	s_cselect_b32 s40, s41, s40
	s_cmp_lg_u64 s[34:35], 0
	s_subb_u32 s37, s37, s13
	s_sub_u32 s41, s38, s12
	s_cselect_b64 s[34:35], -1, 0
	s_cmp_lg_u64 s[34:35], 0
	s_subb_u32 s34, s37, 0
	s_cmp_lg_u32 s40, 0
	s_cselect_b32 s35, s41, s38
	s_cselect_b32 s34, s34, s39
	s_cmp_lg_u64 s[28:29], 0
	s_subb_u32 s27, s27, s36
	s_cmp_ge_u32 s27, s13
	s_cselect_b32 s28, -1, 0
	s_cmp_ge_u32 s26, s12
	s_cselect_b32 s12, -1, 0
	s_cmp_eq_u32 s27, s13
	s_cselect_b32 s12, s12, s28
	s_cmp_lg_u32 s12, 0
	s_cselect_b32 s13, s34, s27
	s_cselect_b32 s12, s35, s26
	s_xor_b64 s[12:13], s[12:13], s[24:25]
	s_sub_u32 s12, s12, s24
	s_subb_u32 s13, s13, s24
	s_mov_b64 s[24:25], 0
	s_branch .LBB62_113
.LBB62_112:                             ;   in Loop: Header=BB62_32 Depth=1
                                        ; implicit-def: $sgpr12_sgpr13
.LBB62_113:                             ;   in Loop: Header=BB62_32 Depth=1
	s_andn2_b64 vcc, exec, s[24:25]
	v_readlane_b32 s54, v72, 5
	s_cbranch_vccnz .LBB62_115
; %bb.114:                              ;   in Loop: Header=BB62_32 Depth=1
	v_cvt_f32_u32_e32 v2, s96
	s_sub_i32 s12, 0, s96
	v_rcp_iflag_f32_e32 v2, v2
	s_nop 0
	v_mul_f32_e32 v2, 0x4f7ffffe, v2
	v_cvt_u32_f32_e32 v2, v2
	s_nop 0
	v_readfirstlane_b32 s13, v2
	s_mul_i32 s12, s12, s13
	s_mul_hi_u32 s12, s13, s12
	s_add_i32 s13, s13, s12
	s_mul_hi_u32 s12, s75, s13
	s_mul_i32 s12, s12, s96
	s_sub_i32 s12, s75, s12
	s_sub_i32 s13, s12, s96
	s_cmp_ge_u32 s12, s96
	s_cselect_b32 s12, s13, s12
	s_sub_i32 s13, s12, s96
	s_cmp_ge_u32 s12, s96
	s_cselect_b32 s98, s13, s12
	s_mov_b64 s[12:13], s[98:99]
.LBB62_115:                             ;   in Loop: Header=BB62_32 Depth=1
	s_sub_u32 s28, s75, s12
	s_subb_u32 s29, s55, s13
	v_cmp_gt_i64_e32 vcc, s[28:29], v[0:1]
	s_mov_b64 s[24:25], 0
	s_mov_b64 s[12:13], 0
                                        ; implicit-def: $vgpr53
	s_and_saveexec_b64 s[26:27], vcc
	s_cbranch_execz .LBB62_125
; %bb.116:                              ;   in Loop: Header=BB62_32 Depth=1
	v_mov_b64_e32 v[8:9], v[12:13]
	v_mov_b64_e32 v[10:11], v[0:1]
                                        ; implicit-def: $sgpr34_sgpr35
	s_branch .LBB62_120
.LBB62_117:                             ;   in Loop: Header=BB62_120 Depth=2
	s_or_b64 exec, exec, s[36:37]
	s_waitcnt lgkmcnt(0)
	s_barrier
	ds_read_b32 v2, v3 offset:3072
	s_waitcnt lgkmcnt(0)
	s_barrier
	v_cmp_neq_f16_e32 vcc, 0, v2
	s_cbranch_vccnz .LBB62_123
; %bb.118:                              ;   in Loop: Header=BB62_120 Depth=2
	v_lshl_add_u64 v[10:11], v[10:11], 0, s[96:97]
	v_cmp_le_i64_e32 vcc, s[28:29], v[10:11]
	v_lshl_add_u64 v[8:9], v[8:9], 0, s[88:89]
	s_mov_b64 s[36:37], 0
	s_orn2_b64 s[38:39], vcc, exec
.LBB62_119:                             ;   in Loop: Header=BB62_120 Depth=2
	s_and_b64 s[38:39], exec, s[38:39]
	s_or_b64 s[12:13], s[38:39], s[12:13]
	s_andn2_b64 s[34:35], s[34:35], exec
	s_and_b64 s[36:37], s[36:37], exec
	s_or_b64 s[34:35], s[34:35], s[36:37]
	s_andn2_b64 exec, exec, s[12:13]
	s_cbranch_execz .LBB62_124
.LBB62_120:                             ;   Parent Loop BB62_32 Depth=1
                                        ; =>  This Inner Loop Header: Depth=2
	v_cmp_gt_i64_e32 vcc, s[56:57], v[10:11]
	s_and_saveexec_b64 s[36:37], vcc
	s_cbranch_execz .LBB62_117
; %bb.121:                              ;   in Loop: Header=BB62_120 Depth=2
	global_load_ushort v2, v[8:9], off
	s_waitcnt vmcnt(0)
	v_cmp_lt_i16_e32 vcc, -1, v2
	s_nop 1
	v_cndmask_b32_e32 v38, v49, v50, vcc
	v_xor_b32_sdwa v38, v38, v2 dst_sel:DWORD dst_unused:UNUSED_PAD src0_sel:DWORD src1_sel:WORD_0
	v_cmp_o_f16_e32 vcc, v2, v2
	s_nop 1
	v_cndmask_b32_e32 v38, v49, v38, vcc
	v_and_b32_e32 v38, v38, v52
	v_cmp_eq_u32_e32 vcc, v38, v48
	s_and_b64 exec, exec, vcc
	s_cbranch_execz .LBB62_117
; %bb.122:                              ;   in Loop: Header=BB62_120 Depth=2
	v_perm_b32 v2, v2, s10, v51
	ds_write_b32 v3, v2 offset:3072
	s_branch .LBB62_117
.LBB62_123:                             ;   in Loop: Header=BB62_120 Depth=2
	s_mov_b64 s[38:39], -1
                                        ; implicit-def: $vgpr10_vgpr11
                                        ; implicit-def: $vgpr8_vgpr9
	s_mov_b64 s[36:37], -1
	s_branch .LBB62_119
.LBB62_124:                             ;   in Loop: Header=BB62_32 Depth=1
	s_or_b64 exec, exec, s[12:13]
	v_lshrrev_b32_e32 v53, 16, v2
	s_and_b64 s[12:13], s[34:35], exec
.LBB62_125:                             ;   in Loop: Header=BB62_32 Depth=1
	s_or_b64 exec, exec, s[26:27]
.LBB62_126:                             ;   in Loop: Header=BB62_32 Depth=1
	s_and_b64 vcc, exec, s[24:25]
	s_cbranch_vccz .LBB62_141
; %bb.127:                              ;   in Loop: Header=BB62_32 Depth=1
	v_readlane_b32 s0, v73, 42
	s_add_u32 s26, s20, s0
	v_readlane_b32 s0, v73, 43
	s_addc_u32 s1, s21, s0
	s_mov_b32 s0, s99
	s_cmp_lg_u64 s[0:1], 0
	s_cbranch_scc0 .LBB62_159
; %bb.128:                              ;   in Loop: Header=BB62_32 Depth=1
	s_add_u32 s6, s96, 0
	s_addc_u32 s7, 0, 0
	s_xor_b64 s[6:7], s[6:7], 0
	v_cvt_f32_u32_e32 v2, s6
	v_cvt_f32_u32_e32 v8, s7
	s_sub_u32 s0, 0, s6
	s_subb_u32 s27, 0, s7
	v_fmac_f32_e32 v2, 0x4f800000, v8
	v_rcp_f32_e32 v2, v2
	s_nop 0
	v_mul_f32_e32 v2, 0x5f7ffffc, v2
	v_mul_f32_e32 v8, 0x2f800000, v2
	v_trunc_f32_e32 v8, v8
	v_fmac_f32_e32 v2, 0xcf800000, v8
	v_cvt_u32_f32_e32 v8, v8
	v_cvt_u32_f32_e32 v2, v2
	v_readfirstlane_b32 s28, v8
	v_readfirstlane_b32 s24, v2
	s_mul_i32 s25, s0, s28
	s_mul_hi_u32 s34, s0, s24
	s_mul_i32 s29, s27, s24
	s_add_i32 s25, s34, s25
	s_mul_i32 s35, s0, s24
	s_add_i32 s25, s25, s29
	s_mul_i32 s34, s24, s25
	s_mul_hi_u32 s36, s24, s35
	s_mul_hi_u32 s29, s24, s25
	s_add_u32 s34, s36, s34
	s_addc_u32 s29, 0, s29
	s_mul_hi_u32 s37, s28, s35
	s_mul_i32 s35, s28, s35
	s_add_u32 s34, s34, s35
	s_mul_hi_u32 s36, s28, s25
	s_addc_u32 s29, s29, s37
	s_addc_u32 s34, s36, 0
	s_mul_i32 s25, s28, s25
	s_add_u32 s25, s29, s25
	s_addc_u32 s29, 0, s34
	s_add_u32 s34, s24, s25
	s_cselect_b64 s[24:25], -1, 0
	s_cmp_lg_u64 s[24:25], 0
	s_addc_u32 s28, s28, s29
	s_mul_i32 s24, s0, s28
	s_mul_hi_u32 s25, s0, s34
	s_add_i32 s24, s25, s24
	s_mul_i32 s27, s27, s34
	s_add_i32 s24, s24, s27
	s_mul_i32 s0, s0, s34
	s_mul_hi_u32 s27, s28, s0
	s_mul_i32 s29, s28, s0
	s_mul_i32 s36, s34, s24
	s_mul_hi_u32 s0, s34, s0
	s_mul_hi_u32 s35, s34, s24
	s_add_u32 s0, s0, s36
	s_addc_u32 s35, 0, s35
	s_add_u32 s0, s0, s29
	s_mul_hi_u32 s25, s28, s24
	s_addc_u32 s0, s35, s27
	s_addc_u32 s25, s25, 0
	s_mul_i32 s24, s28, s24
	s_add_u32 s0, s0, s24
	s_addc_u32 s27, 0, s25
	s_add_u32 s0, s34, s0
	s_cselect_b64 s[24:25], -1, 0
	s_cmp_lg_u64 s[24:25], 0
	s_addc_u32 s27, s28, s27
	s_ashr_i32 s24, s1, 31
	s_add_u32 s28, s26, s24
	s_mov_b32 s25, s24
	s_addc_u32 s29, s1, s24
	s_xor_b64 s[28:29], s[28:29], s[24:25]
	s_mul_i32 s35, s28, s27
	s_mul_hi_u32 s36, s28, s0
	s_mul_hi_u32 s34, s28, s27
	s_add_u32 s35, s36, s35
	s_addc_u32 s34, 0, s34
	s_mul_hi_u32 s37, s29, s0
	s_mul_i32 s0, s29, s0
	s_add_u32 s0, s35, s0
	s_mul_hi_u32 s36, s29, s27
	s_addc_u32 s0, s34, s37
	s_addc_u32 s34, s36, 0
	s_mul_i32 s27, s29, s27
	s_add_u32 s0, s0, s27
	s_addc_u32 s27, 0, s34
	s_mul_i32 s27, s6, s27
	s_mul_hi_u32 s34, s6, s0
	s_add_i32 s27, s34, s27
	s_mul_i32 s34, s7, s0
	s_add_i32 s27, s27, s34
	s_sub_i32 s36, s29, s27
	s_mul_i32 s0, s6, s0
	s_sub_u32 s0, s28, s0
	s_cselect_b64 s[34:35], -1, 0
	s_cmp_lg_u64 s[34:35], 0
	s_subb_u32 s28, s36, s7
	s_sub_u32 s38, s0, s6
	s_cselect_b64 s[36:37], -1, 0
	s_cmp_lg_u64 s[36:37], 0
	s_subb_u32 s39, s28, 0
	s_cmp_ge_u32 s39, s7
	s_cselect_b32 s40, -1, 0
	s_cmp_ge_u32 s38, s6
	s_cselect_b32 s41, -1, 0
	s_cmp_eq_u32 s39, s7
	s_cselect_b32 s40, s41, s40
	s_cmp_lg_u64 s[36:37], 0
	s_subb_u32 s28, s28, s7
	s_sub_u32 s41, s38, s6
	s_cselect_b64 s[36:37], -1, 0
	s_cmp_lg_u64 s[36:37], 0
	s_subb_u32 s28, s28, 0
	s_cmp_lg_u32 s40, 0
	s_cselect_b32 s36, s41, s38
	s_cselect_b32 s28, s28, s39
	s_cmp_lg_u64 s[34:35], 0
	s_subb_u32 s27, s29, s27
	s_cmp_ge_u32 s27, s7
	s_cselect_b32 s29, -1, 0
	s_cmp_ge_u32 s0, s6
	s_cselect_b32 s6, -1, 0
	s_cmp_eq_u32 s27, s7
	s_cselect_b32 s6, s6, s29
	s_cmp_lg_u32 s6, 0
	s_cselect_b32 s7, s28, s27
	s_cselect_b32 s6, s36, s0
	s_xor_b64 s[6:7], s[6:7], s[24:25]
	s_sub_u32 s6, s6, s24
	s_subb_u32 s7, s7, s24
	s_cbranch_execnz .LBB62_130
.LBB62_129:                             ;   in Loop: Header=BB62_32 Depth=1
	v_cvt_f32_u32_e32 v2, s96
	s_sub_i32 s0, 0, s96
	v_rcp_iflag_f32_e32 v2, v2
	s_nop 0
	v_mul_f32_e32 v2, 0x4f7ffffe, v2
	v_cvt_u32_f32_e32 v2, v2
	s_nop 0
	v_readfirstlane_b32 s6, v2
	s_mul_i32 s0, s0, s6
	s_mul_hi_u32 s0, s6, s0
	s_add_i32 s6, s6, s0
	s_mul_hi_u32 s0, s26, s6
	s_mul_i32 s0, s0, s96
	s_sub_i32 s0, s26, s0
	s_sub_i32 s6, s0, s96
	s_cmp_ge_u32 s0, s96
	s_cselect_b32 s0, s6, s0
	s_sub_i32 s6, s0, s96
	s_cmp_ge_u32 s0, s96
	s_cselect_b32 s98, s6, s0
	s_mov_b64 s[6:7], s[98:99]
.LBB62_130:                             ;   in Loop: Header=BB62_32 Depth=1
	s_sub_u32 s6, s26, s6
	s_subb_u32 s7, s1, s7
	v_cmp_gt_i64_e32 vcc, s[6:7], v[0:1]
                                        ; implicit-def: $vgpr53
	s_and_saveexec_b64 s[0:1], vcc
	s_cbranch_execz .LBB62_140
; %bb.131:                              ;   in Loop: Header=BB62_32 Depth=1
	s_mov_b64 s[24:25], 0
	v_mov_b32_e32 v2, v43
	v_mov_b64_e32 v[8:9], v[0:1]
                                        ; implicit-def: $sgpr26_sgpr27
	s_branch .LBB62_135
.LBB62_132:                             ;   in Loop: Header=BB62_135 Depth=2
	s_or_b64 exec, exec, s[28:29]
	s_waitcnt lgkmcnt(0)
	s_barrier
	ds_read_b32 v10, v3 offset:3072
	s_waitcnt lgkmcnt(0)
	s_barrier
	v_cmp_neq_f16_e32 vcc, 0, v10
	s_cbranch_vccnz .LBB62_138
; %bb.133:                              ;   in Loop: Header=BB62_135 Depth=2
	v_lshl_add_u64 v[8:9], v[8:9], 0, s[96:97]
	v_cmp_le_i64_e32 vcc, s[6:7], v[8:9]
	v_add_u32_e32 v2, s54, v2
	s_mov_b64 s[28:29], 0
	s_orn2_b64 s[34:35], vcc, exec
.LBB62_134:                             ;   in Loop: Header=BB62_135 Depth=2
	s_and_b64 s[34:35], exec, s[34:35]
	s_or_b64 s[24:25], s[34:35], s[24:25]
	s_andn2_b64 s[26:27], s[26:27], exec
	s_and_b64 s[28:29], s[28:29], exec
	s_or_b64 s[26:27], s[26:27], s[28:29]
	s_andn2_b64 exec, exec, s[24:25]
	s_cbranch_execz .LBB62_139
.LBB62_135:                             ;   Parent Loop BB62_32 Depth=1
                                        ; =>  This Inner Loop Header: Depth=2
	v_cmp_gt_u64_e32 vcc, s[20:21], v[8:9]
	s_and_saveexec_b64 s[28:29], vcc
	s_cbranch_execz .LBB62_132
; %bb.136:                              ;   in Loop: Header=BB62_135 Depth=2
	ds_read_u16 v10, v2
	s_waitcnt lgkmcnt(0)
	v_cmp_lt_i16_e32 vcc, -1, v10
	s_nop 1
	v_cndmask_b32_e32 v11, v49, v50, vcc
	v_xor_b32_sdwa v11, v11, v10 dst_sel:DWORD dst_unused:UNUSED_PAD src0_sel:DWORD src1_sel:WORD_0
	v_cmp_o_f16_e32 vcc, v10, v10
	s_nop 1
	v_cndmask_b32_e32 v11, v49, v11, vcc
	v_and_b32_e32 v11, v11, v52
	v_cmp_eq_u32_e32 vcc, v11, v48
	s_and_b64 exec, exec, vcc
	s_cbranch_execz .LBB62_132
; %bb.137:                              ;   in Loop: Header=BB62_135 Depth=2
	v_perm_b32 v10, v10, s10, v51
	ds_write_b32 v3, v10 offset:3072
	s_branch .LBB62_132
.LBB62_138:                             ;   in Loop: Header=BB62_135 Depth=2
	s_mov_b64 s[34:35], -1
                                        ; implicit-def: $vgpr8_vgpr9
                                        ; implicit-def: $vgpr2
	s_mov_b64 s[28:29], -1
	s_branch .LBB62_134
.LBB62_139:                             ;   in Loop: Header=BB62_32 Depth=1
	s_or_b64 exec, exec, s[24:25]
	s_andn2_b64 s[6:7], s[12:13], exec
	s_and_b64 s[12:13], s[26:27], exec
	v_lshrrev_b32_e32 v53, 16, v10
	s_or_b64 s[12:13], s[6:7], s[12:13]
.LBB62_140:                             ;   in Loop: Header=BB62_32 Depth=1
	s_or_b64 exec, exec, s[0:1]
	s_mov_b64 s[0:1], 0
	s_mov_b64 s[6:7], -1
.LBB62_141:                             ;   in Loop: Header=BB62_32 Depth=1
	s_orn2_b64 s[12:13], s[12:13], exec
.LBB62_142:                             ;   in Loop: Header=BB62_32 Depth=1
	s_or_b64 exec, exec, s[16:17]
	s_andn2_b64 s[16:17], s[58:59], exec
	s_and_b64 s[6:7], s[6:7], exec
	s_or_b64 s[20:21], s[16:17], s[6:7]
	s_andn2_b64 s[6:7], s[30:31], exec
	s_and_b64 s[0:1], s[0:1], exec
	s_andn2_b64 s[64:65], s[64:65], exec
	s_or_b64 s[6:7], s[6:7], s[0:1]
                                        ; implicit-def: $vgpr8_vgpr9
	s_and_saveexec_b64 s[16:17], s[12:13]
	s_cbranch_execz .LBB62_31
; %bb.143:                              ;   in Loop: Header=BB62_32 Depth=1
	s_mov_b64 s[58:59], s[20:21]
	s_mov_b64 s[30:31], s[6:7]
	s_xor_b64 s[2:3], s[18:19], -1
	v_mov_b32_e32 v2, 1
	s_mov_b64 s[6:7], 0
	v_mov_b64_e32 v[8:9], 1
	s_and_saveexec_b64 s[0:1], s[2:3]
	s_cbranch_execz .LBB62_152
; %bb.144:                              ;   in Loop: Header=BB62_32 Depth=1
	v_cmp_le_i64_e32 vcc, v[36:37], v[4:5]
	s_and_saveexec_b64 s[2:3], vcc
	s_xor_b64 s[2:3], exec, s[2:3]
	s_cbranch_execz .LBB62_149
; %bb.145:                              ;   in Loop: Header=BB62_32 Depth=1
	ds_read_b64 v[8:9], v3 offset:5120
	v_and_b32_e32 v48, s52, v48
	v_or_b32_e32 v52, s66, v52
	s_waitcnt lgkmcnt(0)
	v_cmp_ne_u64_e32 vcc, 0, v[8:9]
	s_cbranch_vccnz .LBB62_149
; %bb.146:                              ;   in Loop: Header=BB62_32 Depth=1
	s_mov_b64 s[6:7], exec
	v_readlane_b32 s12, v73, 32
	v_readlane_b32 s13, v73, 33
	s_and_b64 s[12:13], s[6:7], s[12:13]
	s_mov_b64 exec, s[12:13]
; %bb.147:                              ;   in Loop: Header=BB62_32 Depth=1
	ds_write_b64 v3, v[4:5] offset:5128
; %bb.148:                              ;   in Loop: Header=BB62_32 Depth=1
	s_or_b64 exec, exec, s[6:7]
	s_waitcnt lgkmcnt(0)
	s_barrier
.LBB62_149:                             ;   in Loop: Header=BB62_32 Depth=1
	s_or_saveexec_b64 s[2:3], s[2:3]
	s_mov_b64 s[6:7], 0
	v_mov_b32_e32 v2, 8
	s_xor_b64 exec, exec, s[2:3]
; %bb.150:                              ;   in Loop: Header=BB62_32 Depth=1
	v_sub_co_u32_e32 v36, vcc, v36, v4
	s_mov_b64 s[6:7], exec
	s_nop 0
	v_subb_co_u32_e32 v37, vcc, v37, v5, vcc
	v_mov_b32_e32 v2, 0
; %bb.151:                              ;   in Loop: Header=BB62_32 Depth=1
	s_or_b64 exec, exec, s[2:3]
	s_and_b64 s[6:7], s[6:7], exec
	v_mov_b64_e32 v[8:9], v[36:37]
.LBB62_152:                             ;   in Loop: Header=BB62_32 Depth=1
	s_or_b64 exec, exec, s[0:1]
	s_mov_b64 s[18:19], -1
	s_mov_b64 s[0:1], -1
                                        ; implicit-def: $sgpr2_sgpr3
                                        ; implicit-def: $sgpr24_sgpr25
	s_and_saveexec_b64 s[12:13], s[6:7]
	s_xor_b64 s[20:21], exec, s[12:13]
	s_cbranch_execz .LBB62_303
; %bb.153:                              ;   in Loop: Header=BB62_32 Depth=1
	v_cmp_eq_u64_e32 vcc, 1, v[6:7]
	v_cmp_eq_u64_e64 s[2:3], 1, v[8:9]
	s_and_b64 s[28:29], vcc, s[2:3]
                                        ; implicit-def: $sgpr24_sgpr25
                                        ; implicit-def: $sgpr2_sgpr3
	s_and_saveexec_b64 s[26:27], s[28:29]
	s_cbranch_execz .LBB62_190
; %bb.154:                              ;   in Loop: Header=BB62_32 Depth=1
	ds_read_b64 v[4:5], v3 offset:5120
	s_waitcnt lgkmcnt(0)
	s_barrier
	v_readfirstlane_b32 s34, v4
	v_readfirstlane_b32 s35, v5
	s_and_saveexec_b64 s[0:1], s[90:91]
; %bb.155:                              ;   in Loop: Header=BB62_32 Depth=1
	ds_write_b16 v44, v3
; %bb.156:                              ;   in Loop: Header=BB62_32 Depth=1
	s_or_b64 exec, exec, s[0:1]
	v_and_b32_e32 v4, s52, v48
	v_cmp_gt_i64_e64 s[0:1], s[34:35], 0
	v_lshl_or_b32 v48, 1, s72, v4
	v_or_b32_e32 v52, s66, v52
	s_mov_b64 s[2:3], -1
	s_mov_b64 s[24:25], 0
	s_and_b64 vcc, exec, s[0:1]
	s_mov_b64 s[0:1], 0
	s_mov_b64 s[6:7], -1
	s_waitcnt lgkmcnt(0)
	s_barrier
                                        ; implicit-def: $vgpr53
	s_cbranch_vccnz .LBB62_174
; %bb.157:                              ;   in Loop: Header=BB62_32 Depth=1
	s_mov_b32 s54, s99
	s_cmp_lg_u64 s[54:55], 0
	s_cbranch_scc0 .LBB62_160
; %bb.158:                              ;   in Loop: Header=BB62_32 Depth=1
	s_add_u32 s0, s96, 0
	s_addc_u32 s1, 0, 0
	s_xor_b64 s[0:1], s[0:1], 0
	v_cvt_f32_u32_e32 v4, s0
	v_cvt_f32_u32_e32 v5, s1
	s_sub_u32 s12, 0, s0
	s_subb_u32 s13, 0, s1
	v_fmac_f32_e32 v4, 0x4f800000, v5
	v_rcp_f32_e32 v4, v4
	s_nop 0
	v_mul_f32_e32 v4, 0x5f7ffffc, v4
	v_mul_f32_e32 v5, 0x2f800000, v4
	v_trunc_f32_e32 v5, v5
	v_fmac_f32_e32 v4, 0xcf800000, v5
	v_cvt_u32_f32_e32 v5, v5
	v_cvt_u32_f32_e32 v4, v4
	v_readfirstlane_b32 s36, v5
	v_readfirstlane_b32 s6, v4
	s_mul_i32 s7, s12, s36
	s_mul_hi_u32 s38, s12, s6
	s_mul_i32 s37, s13, s6
	s_add_i32 s7, s38, s7
	s_mul_i32 s39, s12, s6
	s_add_i32 s7, s7, s37
	s_mul_i32 s38, s6, s7
	s_mul_hi_u32 s40, s6, s39
	s_mul_hi_u32 s37, s6, s7
	s_add_u32 s38, s40, s38
	s_addc_u32 s37, 0, s37
	s_mul_hi_u32 s41, s36, s39
	s_mul_i32 s39, s36, s39
	s_add_u32 s38, s38, s39
	s_mul_hi_u32 s40, s36, s7
	s_addc_u32 s37, s37, s41
	s_addc_u32 s38, s40, 0
	s_mul_i32 s7, s36, s7
	s_add_u32 s7, s37, s7
	s_addc_u32 s37, 0, s38
	s_add_u32 s38, s6, s7
	s_cselect_b64 s[6:7], -1, 0
	s_cmp_lg_u64 s[6:7], 0
	s_addc_u32 s36, s36, s37
	s_mul_i32 s6, s12, s36
	s_mul_hi_u32 s7, s12, s38
	s_add_i32 s6, s7, s6
	s_mul_i32 s13, s13, s38
	s_add_i32 s6, s6, s13
	s_mul_i32 s12, s12, s38
	s_mul_hi_u32 s13, s36, s12
	s_mul_i32 s37, s36, s12
	s_mul_i32 s40, s38, s6
	s_mul_hi_u32 s12, s38, s12
	s_mul_hi_u32 s39, s38, s6
	s_add_u32 s12, s12, s40
	s_addc_u32 s39, 0, s39
	s_add_u32 s12, s12, s37
	s_mul_hi_u32 s7, s36, s6
	s_addc_u32 s12, s39, s13
	s_addc_u32 s7, s7, 0
	s_mul_i32 s6, s36, s6
	s_add_u32 s6, s12, s6
	s_addc_u32 s12, 0, s7
	s_add_u32 s37, s38, s6
	s_cselect_b64 s[6:7], -1, 0
	s_cmp_lg_u64 s[6:7], 0
	s_addc_u32 s36, s36, s12
	s_ashr_i32 s6, s55, 31
	s_add_u32 s12, s75, s6
	s_mov_b32 s7, s6
	s_addc_u32 s13, s55, s6
	s_xor_b64 s[12:13], s[12:13], s[6:7]
	s_mul_i32 s39, s12, s36
	s_mul_hi_u32 s40, s12, s37
	s_mul_hi_u32 s38, s12, s36
	s_add_u32 s39, s40, s39
	s_addc_u32 s38, 0, s38
	s_mul_hi_u32 s41, s13, s37
	s_mul_i32 s37, s13, s37
	s_add_u32 s37, s39, s37
	s_mul_hi_u32 s40, s13, s36
	s_addc_u32 s37, s38, s41
	s_addc_u32 s38, s40, 0
	s_mul_i32 s36, s13, s36
	s_add_u32 s36, s37, s36
	s_addc_u32 s37, 0, s38
	s_mul_i32 s37, s0, s37
	s_mul_hi_u32 s38, s0, s36
	s_add_i32 s37, s38, s37
	s_mul_i32 s38, s1, s36
	s_add_i32 s40, s37, s38
	s_sub_i32 s38, s13, s40
	s_mul_i32 s36, s0, s36
	s_sub_u32 s12, s12, s36
	s_cselect_b64 s[36:37], -1, 0
	s_cmp_lg_u64 s[36:37], 0
	s_subb_u32 s41, s38, s1
	s_sub_u32 s42, s12, s0
	s_cselect_b64 s[38:39], -1, 0
	s_cmp_lg_u64 s[38:39], 0
	s_subb_u32 s43, s41, 0
	s_cmp_ge_u32 s43, s1
	s_cselect_b32 s44, -1, 0
	s_cmp_ge_u32 s42, s0
	s_cselect_b32 s45, -1, 0
	s_cmp_eq_u32 s43, s1
	s_cselect_b32 s44, s45, s44
	s_cmp_lg_u64 s[38:39], 0
	s_subb_u32 s41, s41, s1
	s_sub_u32 s45, s42, s0
	s_cselect_b64 s[38:39], -1, 0
	s_cmp_lg_u64 s[38:39], 0
	s_subb_u32 s38, s41, 0
	s_cmp_lg_u32 s44, 0
	s_cselect_b32 s39, s45, s42
	s_cselect_b32 s38, s38, s43
	s_cmp_lg_u64 s[36:37], 0
	s_subb_u32 s13, s13, s40
	s_cmp_ge_u32 s13, s1
	s_cselect_b32 s36, -1, 0
	s_cmp_ge_u32 s12, s0
	s_cselect_b32 s0, -1, 0
	s_cmp_eq_u32 s13, s1
	s_cselect_b32 s0, s0, s36
	s_cmp_lg_u32 s0, 0
	s_cselect_b32 s1, s38, s13
	s_cselect_b32 s0, s39, s12
	s_xor_b64 s[0:1], s[0:1], s[6:7]
	s_sub_u32 s0, s0, s6
	s_subb_u32 s1, s1, s6
	s_mov_b64 s[6:7], 0
	s_branch .LBB62_161
.LBB62_159:                             ;   in Loop: Header=BB62_32 Depth=1
                                        ; implicit-def: $sgpr6_sgpr7
	s_branch .LBB62_129
.LBB62_160:                             ;   in Loop: Header=BB62_32 Depth=1
                                        ; implicit-def: $sgpr0_sgpr1
.LBB62_161:                             ;   in Loop: Header=BB62_32 Depth=1
	s_andn2_b64 vcc, exec, s[6:7]
	v_readlane_b32 s54, v72, 5
	s_cbranch_vccnz .LBB62_163
; %bb.162:                              ;   in Loop: Header=BB62_32 Depth=1
	v_cvt_f32_u32_e32 v4, s96
	s_sub_i32 s0, 0, s96
	v_rcp_iflag_f32_e32 v4, v4
	s_nop 0
	v_mul_f32_e32 v4, 0x4f7ffffe, v4
	v_cvt_u32_f32_e32 v4, v4
	s_nop 0
	v_readfirstlane_b32 s1, v4
	s_mul_i32 s0, s0, s1
	s_mul_hi_u32 s0, s1, s0
	s_add_i32 s1, s1, s0
	s_mul_hi_u32 s0, s75, s1
	s_mul_i32 s0, s0, s96
	s_sub_i32 s0, s75, s0
	s_sub_i32 s1, s0, s96
	s_cmp_ge_u32 s0, s96
	s_cselect_b32 s0, s1, s0
	s_sub_i32 s1, s0, s96
	s_cmp_ge_u32 s0, s96
	s_cselect_b32 s98, s1, s0
	s_mov_b64 s[0:1], s[98:99]
.LBB62_163:                             ;   in Loop: Header=BB62_32 Depth=1
	s_sub_u32 s36, s75, s0
	s_subb_u32 s37, s55, s1
	v_cmp_gt_i64_e32 vcc, s[36:37], v[0:1]
	s_mov_b64 s[6:7], 0
	s_mov_b64 s[0:1], 0
                                        ; implicit-def: $vgpr53
	s_and_saveexec_b64 s[12:13], vcc
	s_cbranch_execz .LBB62_173
; %bb.164:                              ;   in Loop: Header=BB62_32 Depth=1
	v_mov_b64_e32 v[4:5], v[12:13]
	v_mov_b64_e32 v[10:11], v[0:1]
                                        ; implicit-def: $sgpr38_sgpr39
	s_branch .LBB62_168
.LBB62_165:                             ;   in Loop: Header=BB62_168 Depth=2
	s_or_b64 exec, exec, s[40:41]
	s_waitcnt lgkmcnt(0)
	s_barrier
	ds_read_b32 v36, v3 offset:3072
	s_waitcnt lgkmcnt(0)
	s_barrier
	v_cmp_neq_f16_e32 vcc, 0, v36
	s_cbranch_vccnz .LBB62_171
; %bb.166:                              ;   in Loop: Header=BB62_168 Depth=2
	v_lshl_add_u64 v[10:11], v[10:11], 0, s[96:97]
	v_cmp_le_i64_e32 vcc, s[36:37], v[10:11]
	v_lshl_add_u64 v[4:5], v[4:5], 0, s[88:89]
	s_mov_b64 s[40:41], 0
	s_orn2_b64 s[42:43], vcc, exec
.LBB62_167:                             ;   in Loop: Header=BB62_168 Depth=2
	s_and_b64 s[42:43], exec, s[42:43]
	s_or_b64 s[0:1], s[42:43], s[0:1]
	s_andn2_b64 s[38:39], s[38:39], exec
	s_and_b64 s[40:41], s[40:41], exec
	s_or_b64 s[38:39], s[38:39], s[40:41]
	s_andn2_b64 exec, exec, s[0:1]
	s_cbranch_execz .LBB62_172
.LBB62_168:                             ;   Parent Loop BB62_32 Depth=1
                                        ; =>  This Inner Loop Header: Depth=2
	v_cmp_gt_i64_e32 vcc, s[56:57], v[10:11]
	s_and_saveexec_b64 s[40:41], vcc
	s_cbranch_execz .LBB62_165
; %bb.169:                              ;   in Loop: Header=BB62_168 Depth=2
	global_load_ushort v36, v[4:5], off
	s_waitcnt vmcnt(0)
	v_cmp_lt_i16_e32 vcc, -1, v36
	s_nop 1
	v_cndmask_b32_e32 v37, v49, v50, vcc
	v_xor_b32_sdwa v37, v37, v36 dst_sel:DWORD dst_unused:UNUSED_PAD src0_sel:DWORD src1_sel:WORD_0
	v_cmp_o_f16_e32 vcc, v36, v36
	s_nop 1
	v_cndmask_b32_e32 v37, v49, v37, vcc
	v_and_b32_e32 v37, v37, v52
	v_cmp_eq_u32_e32 vcc, v37, v48
	s_and_b64 exec, exec, vcc
	s_cbranch_execz .LBB62_165
; %bb.170:                              ;   in Loop: Header=BB62_168 Depth=2
	v_perm_b32 v36, v36, s10, v51
	ds_write_b32 v3, v36 offset:3072
	s_branch .LBB62_165
.LBB62_171:                             ;   in Loop: Header=BB62_168 Depth=2
	s_mov_b64 s[42:43], -1
                                        ; implicit-def: $vgpr10_vgpr11
                                        ; implicit-def: $vgpr4_vgpr5
	s_mov_b64 s[40:41], -1
	s_branch .LBB62_167
.LBB62_172:                             ;   in Loop: Header=BB62_32 Depth=1
	s_or_b64 exec, exec, s[0:1]
	v_lshrrev_b32_e32 v53, 16, v36
	s_and_b64 s[0:1], s[38:39], exec
.LBB62_173:                             ;   in Loop: Header=BB62_32 Depth=1
	s_or_b64 exec, exec, s[12:13]
.LBB62_174:                             ;   in Loop: Header=BB62_32 Depth=1
	s_and_b64 vcc, exec, s[6:7]
	s_cbranch_vccz .LBB62_189
; %bb.175:                              ;   in Loop: Header=BB62_32 Depth=1
	v_readlane_b32 s2, v73, 42
	s_add_u32 s24, s34, s2
	v_readlane_b32 s2, v73, 43
	s_addc_u32 s3, s35, s2
	s_mov_b32 s2, s99
	s_cmp_lg_u64 s[2:3], 0
	s_cbranch_scc0 .LBB62_208
; %bb.176:                              ;   in Loop: Header=BB62_32 Depth=1
	s_add_u32 s6, s96, 0
	s_addc_u32 s7, 0, 0
	s_xor_b64 s[6:7], s[6:7], 0
	v_cvt_f32_u32_e32 v4, s6
	v_cvt_f32_u32_e32 v5, s7
	s_sub_u32 s2, 0, s6
	s_subb_u32 s25, 0, s7
	v_fmac_f32_e32 v4, 0x4f800000, v5
	v_rcp_f32_e32 v4, v4
	s_nop 0
	v_mul_f32_e32 v4, 0x5f7ffffc, v4
	v_mul_f32_e32 v5, 0x2f800000, v4
	v_trunc_f32_e32 v5, v5
	v_fmac_f32_e32 v4, 0xcf800000, v5
	v_cvt_u32_f32_e32 v5, v5
	v_cvt_u32_f32_e32 v4, v4
	v_readfirstlane_b32 s36, v5
	v_readfirstlane_b32 s12, v4
	s_mul_i32 s13, s2, s36
	s_mul_hi_u32 s38, s2, s12
	s_mul_i32 s37, s25, s12
	s_add_i32 s13, s38, s13
	s_mul_i32 s39, s2, s12
	s_add_i32 s13, s13, s37
	s_mul_i32 s38, s12, s13
	s_mul_hi_u32 s40, s12, s39
	s_mul_hi_u32 s37, s12, s13
	s_add_u32 s38, s40, s38
	s_addc_u32 s37, 0, s37
	s_mul_hi_u32 s41, s36, s39
	s_mul_i32 s39, s36, s39
	s_add_u32 s38, s38, s39
	s_mul_hi_u32 s40, s36, s13
	s_addc_u32 s37, s37, s41
	s_addc_u32 s38, s40, 0
	s_mul_i32 s13, s36, s13
	s_add_u32 s13, s37, s13
	s_addc_u32 s37, 0, s38
	s_add_u32 s38, s12, s13
	s_cselect_b64 s[12:13], -1, 0
	s_cmp_lg_u64 s[12:13], 0
	s_addc_u32 s36, s36, s37
	s_mul_i32 s12, s2, s36
	s_mul_hi_u32 s13, s2, s38
	s_add_i32 s12, s13, s12
	s_mul_i32 s25, s25, s38
	s_add_i32 s12, s12, s25
	s_mul_i32 s2, s2, s38
	s_mul_hi_u32 s25, s36, s2
	s_mul_i32 s37, s36, s2
	s_mul_i32 s40, s38, s12
	s_mul_hi_u32 s2, s38, s2
	s_mul_hi_u32 s39, s38, s12
	s_add_u32 s2, s2, s40
	s_addc_u32 s39, 0, s39
	s_add_u32 s2, s2, s37
	s_mul_hi_u32 s13, s36, s12
	s_addc_u32 s2, s39, s25
	s_addc_u32 s13, s13, 0
	s_mul_i32 s12, s36, s12
	s_add_u32 s2, s2, s12
	s_addc_u32 s25, 0, s13
	s_add_u32 s2, s38, s2
	s_cselect_b64 s[12:13], -1, 0
	s_cmp_lg_u64 s[12:13], 0
	s_addc_u32 s25, s36, s25
	s_ashr_i32 s12, s3, 31
	s_add_u32 s36, s24, s12
	s_mov_b32 s13, s12
	s_addc_u32 s37, s3, s12
	s_xor_b64 s[36:37], s[36:37], s[12:13]
	s_mul_i32 s39, s36, s25
	s_mul_hi_u32 s40, s36, s2
	s_mul_hi_u32 s38, s36, s25
	s_add_u32 s39, s40, s39
	s_addc_u32 s38, 0, s38
	s_mul_hi_u32 s41, s37, s2
	s_mul_i32 s2, s37, s2
	s_add_u32 s2, s39, s2
	s_mul_hi_u32 s40, s37, s25
	s_addc_u32 s2, s38, s41
	s_addc_u32 s38, s40, 0
	s_mul_i32 s25, s37, s25
	s_add_u32 s2, s2, s25
	s_addc_u32 s25, 0, s38
	s_mul_i32 s25, s6, s25
	s_mul_hi_u32 s38, s6, s2
	s_add_i32 s25, s38, s25
	s_mul_i32 s38, s7, s2
	s_add_i32 s25, s25, s38
	s_sub_i32 s40, s37, s25
	s_mul_i32 s2, s6, s2
	s_sub_u32 s2, s36, s2
	s_cselect_b64 s[38:39], -1, 0
	s_cmp_lg_u64 s[38:39], 0
	s_subb_u32 s36, s40, s7
	s_sub_u32 s42, s2, s6
	s_cselect_b64 s[40:41], -1, 0
	s_cmp_lg_u64 s[40:41], 0
	s_subb_u32 s43, s36, 0
	s_cmp_ge_u32 s43, s7
	s_cselect_b32 s44, -1, 0
	s_cmp_ge_u32 s42, s6
	s_cselect_b32 s45, -1, 0
	s_cmp_eq_u32 s43, s7
	s_cselect_b32 s44, s45, s44
	s_cmp_lg_u64 s[40:41], 0
	s_subb_u32 s36, s36, s7
	s_sub_u32 s45, s42, s6
	s_cselect_b64 s[40:41], -1, 0
	s_cmp_lg_u64 s[40:41], 0
	s_subb_u32 s36, s36, 0
	s_cmp_lg_u32 s44, 0
	s_cselect_b32 s40, s45, s42
	s_cselect_b32 s36, s36, s43
	s_cmp_lg_u64 s[38:39], 0
	s_subb_u32 s25, s37, s25
	s_cmp_ge_u32 s25, s7
	s_cselect_b32 s37, -1, 0
	s_cmp_ge_u32 s2, s6
	s_cselect_b32 s6, -1, 0
	s_cmp_eq_u32 s25, s7
	s_cselect_b32 s6, s6, s37
	s_cmp_lg_u32 s6, 0
	s_cselect_b32 s7, s36, s25
	s_cselect_b32 s6, s40, s2
	s_xor_b64 s[6:7], s[6:7], s[12:13]
	s_sub_u32 s6, s6, s12
	s_subb_u32 s7, s7, s12
	s_cbranch_execnz .LBB62_178
.LBB62_177:                             ;   in Loop: Header=BB62_32 Depth=1
	v_cvt_f32_u32_e32 v4, s96
	s_sub_i32 s2, 0, s96
	v_rcp_iflag_f32_e32 v4, v4
	s_nop 0
	v_mul_f32_e32 v4, 0x4f7ffffe, v4
	v_cvt_u32_f32_e32 v4, v4
	s_nop 0
	v_readfirstlane_b32 s6, v4
	s_mul_i32 s2, s2, s6
	s_mul_hi_u32 s2, s6, s2
	s_add_i32 s6, s6, s2
	s_mul_hi_u32 s2, s24, s6
	s_mul_i32 s2, s2, s96
	s_sub_i32 s2, s24, s2
	s_sub_i32 s6, s2, s96
	s_cmp_ge_u32 s2, s96
	s_cselect_b32 s2, s6, s2
	s_sub_i32 s6, s2, s96
	s_cmp_ge_u32 s2, s96
	s_cselect_b32 s98, s6, s2
	s_mov_b64 s[6:7], s[98:99]
.LBB62_178:                             ;   in Loop: Header=BB62_32 Depth=1
	s_sub_u32 s6, s24, s6
	s_subb_u32 s7, s3, s7
	v_cmp_gt_i64_e32 vcc, s[6:7], v[0:1]
                                        ; implicit-def: $vgpr53
	s_and_saveexec_b64 s[2:3], vcc
	s_cbranch_execz .LBB62_188
; %bb.179:                              ;   in Loop: Header=BB62_32 Depth=1
	s_mov_b64 s[12:13], 0
	v_mov_b32_e32 v10, v43
	v_mov_b64_e32 v[4:5], v[0:1]
                                        ; implicit-def: $sgpr24_sgpr25
	s_branch .LBB62_183
.LBB62_180:                             ;   in Loop: Header=BB62_183 Depth=2
	s_or_b64 exec, exec, s[36:37]
	s_waitcnt lgkmcnt(0)
	s_barrier
	ds_read_b32 v11, v3 offset:3072
	s_waitcnt lgkmcnt(0)
	s_barrier
	v_cmp_eq_f16_e32 vcc, 0, v11
	s_cbranch_vccz .LBB62_186
; %bb.181:                              ;   in Loop: Header=BB62_183 Depth=2
	v_lshl_add_u64 v[4:5], v[4:5], 0, s[96:97]
	v_cmp_le_i64_e32 vcc, s[6:7], v[4:5]
	v_add_u32_e32 v10, s54, v10
	s_mov_b64 s[36:37], 0
	s_orn2_b64 s[38:39], vcc, exec
.LBB62_182:                             ;   in Loop: Header=BB62_183 Depth=2
	s_and_b64 s[38:39], exec, s[38:39]
	s_or_b64 s[12:13], s[38:39], s[12:13]
	s_andn2_b64 s[24:25], s[24:25], exec
	s_and_b64 s[36:37], s[36:37], exec
	s_or_b64 s[24:25], s[24:25], s[36:37]
	s_andn2_b64 exec, exec, s[12:13]
	s_cbranch_execz .LBB62_187
.LBB62_183:                             ;   Parent Loop BB62_32 Depth=1
                                        ; =>  This Inner Loop Header: Depth=2
	v_cmp_gt_u64_e32 vcc, s[34:35], v[4:5]
	s_and_saveexec_b64 s[36:37], vcc
	s_cbranch_execz .LBB62_180
; %bb.184:                              ;   in Loop: Header=BB62_183 Depth=2
	ds_read_u16 v11, v10
	s_waitcnt lgkmcnt(0)
	v_cmp_lt_i16_e32 vcc, -1, v11
	s_nop 1
	v_cndmask_b32_e32 v36, v49, v50, vcc
	v_xor_b32_sdwa v36, v36, v11 dst_sel:DWORD dst_unused:UNUSED_PAD src0_sel:DWORD src1_sel:WORD_0
	v_cmp_o_f16_e32 vcc, v11, v11
	s_nop 1
	v_cndmask_b32_e32 v36, v49, v36, vcc
	v_and_b32_e32 v36, v36, v52
	v_cmp_eq_u32_e32 vcc, v36, v48
	s_and_b64 exec, exec, vcc
	s_cbranch_execz .LBB62_180
; %bb.185:                              ;   in Loop: Header=BB62_183 Depth=2
	v_perm_b32 v11, v11, s10, v51
	ds_write_b32 v3, v11 offset:3072
	s_branch .LBB62_180
.LBB62_186:                             ;   in Loop: Header=BB62_183 Depth=2
	s_mov_b64 s[38:39], -1
                                        ; implicit-def: $vgpr4_vgpr5
                                        ; implicit-def: $vgpr10
	s_mov_b64 s[36:37], -1
	s_branch .LBB62_182
.LBB62_187:                             ;   in Loop: Header=BB62_32 Depth=1
	s_or_b64 exec, exec, s[12:13]
	s_andn2_b64 s[0:1], s[0:1], exec
	s_and_b64 s[6:7], s[24:25], exec
	v_lshrrev_b32_e32 v53, 16, v11
	s_or_b64 s[0:1], s[0:1], s[6:7]
.LBB62_188:                             ;   in Loop: Header=BB62_32 Depth=1
	s_or_b64 exec, exec, s[2:3]
	s_mov_b64 s[2:3], 0
	s_mov_b64 s[24:25], -1
.LBB62_189:                             ;   in Loop: Header=BB62_32 Depth=1
	s_orn2_b64 s[0:1], s[0:1], exec
.LBB62_190:                             ;   in Loop: Header=BB62_32 Depth=1
	s_or_b64 exec, exec, s[26:27]
	s_mov_b64 s[6:7], 0
	s_and_saveexec_b64 s[26:27], s[0:1]
	s_cbranch_execz .LBB62_302
; %bb.191:                              ;   in Loop: Header=BB62_32 Depth=1
	s_xor_b64 s[12:13], s[28:29], -1
	v_mov_b32_e32 v2, 1
	v_mov_b64_e32 v[10:11], 1
	s_and_saveexec_b64 s[0:1], s[12:13]
	s_cbranch_execz .LBB62_201
; %bb.192:                              ;   in Loop: Header=BB62_32 Depth=1
	v_cmp_le_i64_e32 vcc, v[8:9], v[6:7]
	s_and_saveexec_b64 s[6:7], vcc
	s_xor_b64 s[6:7], exec, s[6:7]
	s_cbranch_execz .LBB62_198
; %bb.193:                              ;   in Loop: Header=BB62_32 Depth=1
	ds_read_b64 v[4:5], v3 offset:5120
	v_and_b32_e32 v2, s52, v48
	v_lshl_or_b32 v48, 1, s72, v2
	v_or_b32_e32 v52, s66, v52
	s_waitcnt lgkmcnt(0)
	v_cmp_ne_u64_e32 vcc, 0, v[4:5]
	s_cbranch_vccnz .LBB62_197
; %bb.194:                              ;   in Loop: Header=BB62_32 Depth=1
	s_mov_b64 s[12:13], exec
	v_readlane_b32 s28, v73, 32
	v_readlane_b32 s29, v73, 33
	s_and_b64 s[28:29], s[12:13], s[28:29]
	s_mov_b64 exec, s[28:29]
; %bb.195:                              ;   in Loop: Header=BB62_32 Depth=1
	ds_write_b64 v3, v[6:7] offset:5128
; %bb.196:                              ;   in Loop: Header=BB62_32 Depth=1
	s_or_b64 exec, exec, s[12:13]
	s_waitcnt lgkmcnt(0)
	s_barrier
.LBB62_197:                             ;   in Loop: Header=BB62_32 Depth=1
                                        ; implicit-def: $vgpr4_vgpr5_vgpr6_vgpr7
.LBB62_198:                             ;   in Loop: Header=BB62_32 Depth=1
	s_or_saveexec_b64 s[6:7], s[6:7]
	s_mov_b64 s[12:13], 0
	v_mov_b32_e32 v2, 8
	s_xor_b64 exec, exec, s[6:7]
; %bb.199:                              ;   in Loop: Header=BB62_32 Depth=1
	v_sub_co_u32_e32 v8, vcc, v8, v6
	s_mov_b64 s[12:13], exec
	s_nop 0
	v_subb_co_u32_e32 v9, vcc, v9, v7, vcc
	v_mov_b32_e32 v2, 0
; %bb.200:                              ;   in Loop: Header=BB62_32 Depth=1
	s_or_b64 exec, exec, s[6:7]
	s_and_b64 s[6:7], s[12:13], exec
	v_mov_b64_e32 v[10:11], v[8:9]
.LBB62_201:                             ;   in Loop: Header=BB62_32 Depth=1
	s_or_b64 exec, exec, s[0:1]
	s_mov_b64 s[0:1], -1
                                        ; implicit-def: $sgpr34_sgpr35
                                        ; implicit-def: $sgpr36_sgpr37
	s_and_saveexec_b64 s[28:29], s[6:7]
	s_cbranch_execz .LBB62_301
; %bb.202:                              ;   in Loop: Header=BB62_32 Depth=1
	s_cmp_eq_u64 s[22:23], 1
	s_cselect_b64 s[0:1], -1, 0
	v_cmp_eq_u64_e32 vcc, 1, v[10:11]
	s_and_b64 s[40:41], s[0:1], vcc
	s_mov_b64 s[0:1], -1
                                        ; implicit-def: $sgpr36_sgpr37
                                        ; implicit-def: $sgpr34_sgpr35
	s_and_saveexec_b64 s[38:39], s[40:41]
	s_cbranch_execz .LBB62_239
; %bb.203:                              ;   in Loop: Header=BB62_32 Depth=1
	ds_read_b64 v[4:5], v3 offset:5120
	s_waitcnt lgkmcnt(0)
	s_barrier
	v_readfirstlane_b32 s42, v4
	v_readfirstlane_b32 s43, v5
	s_and_saveexec_b64 s[0:1], s[90:91]
; %bb.204:                              ;   in Loop: Header=BB62_32 Depth=1
	ds_write_b16 v44, v3
; %bb.205:                              ;   in Loop: Header=BB62_32 Depth=1
	s_or_b64 exec, exec, s[0:1]
	v_and_b32_e32 v4, s52, v48
	v_cmp_gt_i64_e64 s[0:1], s[42:43], 0
	v_lshl_or_b32 v48, 2, s72, v4
	v_or_b32_e32 v52, s66, v52
	s_mov_b64 s[34:35], -1
	s_mov_b64 s[36:37], 0
	s_and_b64 vcc, exec, s[0:1]
	s_mov_b64 s[0:1], 0
	s_mov_b64 s[6:7], -1
	s_waitcnt lgkmcnt(0)
	s_barrier
                                        ; implicit-def: $vgpr53
	s_cbranch_vccnz .LBB62_223
; %bb.206:                              ;   in Loop: Header=BB62_32 Depth=1
	s_mov_b32 s54, s99
	s_cmp_lg_u64 s[54:55], 0
	s_cbranch_scc0 .LBB62_209
; %bb.207:                              ;   in Loop: Header=BB62_32 Depth=1
	s_add_u32 s0, s96, 0
	s_addc_u32 s1, 0, 0
	s_xor_b64 s[0:1], s[0:1], 0
	v_cvt_f32_u32_e32 v4, s0
	v_cvt_f32_u32_e32 v5, s1
	s_sub_u32 s12, 0, s0
	s_subb_u32 s13, 0, s1
	s_mov_b32 s11, s55
	v_fmac_f32_e32 v4, 0x4f800000, v5
	v_rcp_f32_e32 v4, v4
	s_nop 0
	v_mul_f32_e32 v4, 0x5f7ffffc, v4
	v_mul_f32_e32 v5, 0x2f800000, v4
	v_trunc_f32_e32 v5, v5
	v_fmac_f32_e32 v4, 0xcf800000, v5
	v_cvt_u32_f32_e32 v5, v5
	v_cvt_u32_f32_e32 v4, v4
	v_readfirstlane_b32 s44, v5
	v_readfirstlane_b32 s6, v4
	s_mul_i32 s7, s12, s44
	s_mul_hi_u32 s46, s12, s6
	s_mul_i32 s45, s13, s6
	s_add_i32 s7, s46, s7
	s_mul_i32 s47, s12, s6
	s_add_i32 s7, s7, s45
	s_mul_i32 s46, s6, s7
	s_mul_hi_u32 s48, s6, s47
	s_mul_hi_u32 s45, s6, s7
	s_add_u32 s46, s48, s46
	s_addc_u32 s45, 0, s45
	s_mul_hi_u32 s49, s44, s47
	s_mul_i32 s47, s44, s47
	s_add_u32 s46, s46, s47
	s_mul_hi_u32 s48, s44, s7
	s_addc_u32 s45, s45, s49
	s_addc_u32 s46, s48, 0
	s_mul_i32 s7, s44, s7
	s_add_u32 s7, s45, s7
	s_addc_u32 s45, 0, s46
	s_add_u32 s46, s6, s7
	s_cselect_b64 s[6:7], -1, 0
	s_cmp_lg_u64 s[6:7], 0
	s_addc_u32 s44, s44, s45
	s_mul_i32 s6, s12, s44
	s_mul_hi_u32 s7, s12, s46
	s_add_i32 s6, s7, s6
	s_mul_i32 s13, s13, s46
	s_add_i32 s6, s6, s13
	s_mul_i32 s12, s12, s46
	s_mul_hi_u32 s13, s44, s12
	s_mul_i32 s45, s44, s12
	s_mul_i32 s48, s46, s6
	s_mul_hi_u32 s12, s46, s12
	s_mul_hi_u32 s47, s46, s6
	s_add_u32 s12, s12, s48
	s_addc_u32 s47, 0, s47
	s_add_u32 s12, s12, s45
	s_mul_hi_u32 s7, s44, s6
	s_addc_u32 s12, s47, s13
	s_addc_u32 s7, s7, 0
	s_mul_i32 s6, s44, s6
	s_add_u32 s6, s12, s6
	s_addc_u32 s12, 0, s7
	s_add_u32 s45, s46, s6
	s_cselect_b64 s[6:7], -1, 0
	s_cmp_lg_u64 s[6:7], 0
	s_addc_u32 s44, s44, s12
	s_ashr_i32 s6, s55, 31
	s_add_u32 s12, s75, s6
	s_mov_b32 s7, s6
	s_addc_u32 s13, s55, s6
	s_xor_b64 s[12:13], s[12:13], s[6:7]
	s_mul_i32 s47, s12, s44
	s_mul_hi_u32 s48, s12, s45
	s_mul_hi_u32 s46, s12, s44
	s_add_u32 s47, s48, s47
	s_addc_u32 s46, 0, s46
	s_mul_hi_u32 s49, s13, s45
	s_mul_i32 s45, s13, s45
	s_add_u32 s45, s47, s45
	s_mul_hi_u32 s48, s13, s44
	s_addc_u32 s45, s46, s49
	s_addc_u32 s46, s48, 0
	s_mul_i32 s44, s13, s44
	s_add_u32 s44, s45, s44
	s_addc_u32 s45, 0, s46
	s_mul_i32 s45, s0, s45
	s_mul_hi_u32 s46, s0, s44
	s_add_i32 s45, s46, s45
	s_mul_i32 s46, s1, s44
	s_add_i32 s48, s45, s46
	s_sub_i32 s46, s13, s48
	s_mul_i32 s44, s0, s44
	s_sub_u32 s12, s12, s44
	s_cselect_b64 s[44:45], -1, 0
	s_cmp_lg_u64 s[44:45], 0
	s_subb_u32 s49, s46, s1
	s_sub_u32 s50, s12, s0
	s_cselect_b64 s[46:47], -1, 0
	s_cmp_lg_u64 s[46:47], 0
	s_subb_u32 s51, s49, 0
	s_cmp_ge_u32 s51, s1
	s_cselect_b32 s53, -1, 0
	s_cmp_ge_u32 s50, s0
	s_cselect_b32 s54, -1, 0
	s_cmp_eq_u32 s51, s1
	s_cselect_b32 s53, s54, s53
	s_cmp_lg_u64 s[46:47], 0
	s_subb_u32 s49, s49, s1
	s_sub_u32 s54, s50, s0
	s_cselect_b64 s[46:47], -1, 0
	s_cmp_lg_u64 s[46:47], 0
	s_subb_u32 s46, s49, 0
	s_cmp_lg_u32 s53, 0
	s_cselect_b32 s47, s54, s50
	s_cselect_b32 s46, s46, s51
	s_cmp_lg_u64 s[44:45], 0
	s_subb_u32 s13, s13, s48
	s_cmp_ge_u32 s13, s1
	s_cselect_b32 s44, -1, 0
	s_cmp_ge_u32 s12, s0
	s_cselect_b32 s0, -1, 0
	s_cmp_eq_u32 s13, s1
	s_cselect_b32 s0, s0, s44
	s_cmp_lg_u32 s0, 0
	s_cselect_b32 s1, s46, s13
	s_cselect_b32 s0, s47, s12
	s_xor_b64 s[0:1], s[0:1], s[6:7]
	s_sub_u32 s0, s0, s6
	s_subb_u32 s1, s1, s6
	s_mov_b64 s[6:7], 0
	s_branch .LBB62_210
.LBB62_208:                             ;   in Loop: Header=BB62_32 Depth=1
                                        ; implicit-def: $sgpr6_sgpr7
	s_branch .LBB62_177
.LBB62_209:                             ;   in Loop: Header=BB62_32 Depth=1
	s_mov_b32 s11, s55
                                        ; implicit-def: $sgpr0_sgpr1
.LBB62_210:                             ;   in Loop: Header=BB62_32 Depth=1
	s_andn2_b64 vcc, exec, s[6:7]
	v_readlane_b32 s54, v72, 5
	s_cbranch_vccnz .LBB62_212
; %bb.211:                              ;   in Loop: Header=BB62_32 Depth=1
	v_cvt_f32_u32_e32 v4, s96
	s_sub_i32 s0, 0, s96
	v_rcp_iflag_f32_e32 v4, v4
	s_nop 0
	v_mul_f32_e32 v4, 0x4f7ffffe, v4
	v_cvt_u32_f32_e32 v4, v4
	s_nop 0
	v_readfirstlane_b32 s1, v4
	s_mul_i32 s0, s0, s1
	s_mul_hi_u32 s0, s1, s0
	s_add_i32 s1, s1, s0
	s_mul_hi_u32 s0, s75, s1
	s_mul_i32 s0, s0, s96
	s_sub_i32 s0, s75, s0
	s_sub_i32 s1, s0, s96
	s_cmp_ge_u32 s0, s96
	s_cselect_b32 s0, s1, s0
	s_sub_i32 s1, s0, s96
	s_cmp_ge_u32 s0, s96
	s_cselect_b32 s98, s1, s0
	s_mov_b64 s[0:1], s[98:99]
.LBB62_212:                             ;   in Loop: Header=BB62_32 Depth=1
	s_sub_u32 s44, s75, s0
	s_subb_u32 s45, s11, s1
	s_mov_b32 s55, s11
	v_cmp_gt_i64_e32 vcc, s[44:45], v[0:1]
	s_mov_b64 s[6:7], 0
	s_mov_b64 s[0:1], 0
                                        ; implicit-def: $vgpr53
	s_and_saveexec_b64 s[12:13], vcc
	s_cbranch_execz .LBB62_222
; %bb.213:                              ;   in Loop: Header=BB62_32 Depth=1
	v_mov_b64_e32 v[4:5], v[12:13]
	v_mov_b64_e32 v[6:7], v[0:1]
                                        ; implicit-def: $sgpr46_sgpr47
	s_branch .LBB62_217
.LBB62_214:                             ;   in Loop: Header=BB62_217 Depth=2
	s_or_b64 exec, exec, s[48:49]
	s_waitcnt lgkmcnt(0)
	s_barrier
	ds_read_b32 v8, v3 offset:3072
	s_waitcnt lgkmcnt(0)
	s_barrier
	v_cmp_neq_f16_e32 vcc, 0, v8
	s_cbranch_vccnz .LBB62_220
; %bb.215:                              ;   in Loop: Header=BB62_217 Depth=2
	v_lshl_add_u64 v[6:7], v[6:7], 0, s[96:97]
	v_cmp_le_i64_e32 vcc, s[44:45], v[6:7]
	v_lshl_add_u64 v[4:5], v[4:5], 0, s[88:89]
	s_mov_b64 s[48:49], 0
	s_orn2_b64 s[50:51], vcc, exec
.LBB62_216:                             ;   in Loop: Header=BB62_217 Depth=2
	s_and_b64 s[50:51], exec, s[50:51]
	s_or_b64 s[0:1], s[50:51], s[0:1]
	s_andn2_b64 s[46:47], s[46:47], exec
	s_and_b64 s[48:49], s[48:49], exec
	s_or_b64 s[46:47], s[46:47], s[48:49]
	s_andn2_b64 exec, exec, s[0:1]
	s_cbranch_execz .LBB62_221
.LBB62_217:                             ;   Parent Loop BB62_32 Depth=1
                                        ; =>  This Inner Loop Header: Depth=2
	v_cmp_gt_i64_e32 vcc, s[56:57], v[6:7]
	s_and_saveexec_b64 s[48:49], vcc
	s_cbranch_execz .LBB62_214
; %bb.218:                              ;   in Loop: Header=BB62_217 Depth=2
	global_load_ushort v8, v[4:5], off
	s_waitcnt vmcnt(0)
	v_cmp_lt_i16_e32 vcc, -1, v8
	s_nop 1
	v_cndmask_b32_e32 v9, v49, v50, vcc
	v_xor_b32_sdwa v9, v9, v8 dst_sel:DWORD dst_unused:UNUSED_PAD src0_sel:DWORD src1_sel:WORD_0
	v_cmp_o_f16_e32 vcc, v8, v8
	s_nop 1
	v_cndmask_b32_e32 v9, v49, v9, vcc
	v_and_b32_e32 v9, v9, v52
	v_cmp_eq_u32_e32 vcc, v9, v48
	s_and_b64 exec, exec, vcc
	s_cbranch_execz .LBB62_214
; %bb.219:                              ;   in Loop: Header=BB62_217 Depth=2
	v_perm_b32 v8, v8, s10, v51
	ds_write_b32 v3, v8 offset:3072
	s_branch .LBB62_214
.LBB62_220:                             ;   in Loop: Header=BB62_217 Depth=2
	s_mov_b64 s[50:51], -1
                                        ; implicit-def: $vgpr6_vgpr7
                                        ; implicit-def: $vgpr4_vgpr5
	s_mov_b64 s[48:49], -1
	s_branch .LBB62_216
.LBB62_221:                             ;   in Loop: Header=BB62_32 Depth=1
	s_or_b64 exec, exec, s[0:1]
	v_lshrrev_b32_e32 v53, 16, v8
	s_and_b64 s[0:1], s[46:47], exec
.LBB62_222:                             ;   in Loop: Header=BB62_32 Depth=1
	s_or_b64 exec, exec, s[12:13]
	v_readlane_b32 s50, v73, 62
	v_readlane_b32 s51, v73, 63
.LBB62_223:                             ;   in Loop: Header=BB62_32 Depth=1
	s_and_b64 vcc, exec, s[6:7]
	s_cbranch_vccz .LBB62_238
; %bb.224:                              ;   in Loop: Header=BB62_32 Depth=1
	v_readlane_b32 s6, v73, 42
	s_add_u32 s36, s42, s6
	v_readlane_b32 s6, v73, 43
	s_addc_u32 s7, s43, s6
	s_mov_b32 s6, s99
	s_cmp_lg_u64 s[6:7], 0
	s_cbranch_scc0 .LBB62_256
; %bb.225:                              ;   in Loop: Header=BB62_32 Depth=1
	s_add_u32 s12, s96, 0
	s_addc_u32 s13, 0, 0
	s_xor_b64 s[12:13], s[12:13], 0
	v_cvt_f32_u32_e32 v4, s12
	v_cvt_f32_u32_e32 v5, s13
	s_sub_u32 s6, 0, s12
	s_subb_u32 s37, 0, s13
	v_fmac_f32_e32 v4, 0x4f800000, v5
	v_rcp_f32_e32 v4, v4
	s_nop 0
	v_mul_f32_e32 v4, 0x5f7ffffc, v4
	v_mul_f32_e32 v5, 0x2f800000, v4
	v_trunc_f32_e32 v5, v5
	v_fmac_f32_e32 v4, 0xcf800000, v5
	v_cvt_u32_f32_e32 v5, v5
	v_cvt_u32_f32_e32 v4, v4
	v_readfirstlane_b32 s44, v5
	v_readfirstlane_b32 s34, v4
	s_mul_i32 s35, s6, s44
	s_mul_hi_u32 s46, s6, s34
	s_mul_i32 s45, s37, s34
	s_add_i32 s35, s46, s35
	s_mul_i32 s47, s6, s34
	s_add_i32 s35, s35, s45
	s_mul_i32 s46, s34, s35
	s_mul_hi_u32 s48, s34, s47
	s_mul_hi_u32 s45, s34, s35
	s_add_u32 s46, s48, s46
	s_addc_u32 s45, 0, s45
	s_mul_hi_u32 s49, s44, s47
	s_mul_i32 s47, s44, s47
	s_add_u32 s46, s46, s47
	s_mul_hi_u32 s48, s44, s35
	s_addc_u32 s45, s45, s49
	s_addc_u32 s46, s48, 0
	s_mul_i32 s35, s44, s35
	s_add_u32 s35, s45, s35
	s_addc_u32 s45, 0, s46
	s_add_u32 s46, s34, s35
	s_cselect_b64 s[34:35], -1, 0
	s_cmp_lg_u64 s[34:35], 0
	s_addc_u32 s44, s44, s45
	s_mul_i32 s34, s6, s44
	s_mul_hi_u32 s35, s6, s46
	s_add_i32 s34, s35, s34
	s_mul_i32 s37, s37, s46
	s_add_i32 s34, s34, s37
	s_mul_i32 s6, s6, s46
	s_mul_hi_u32 s37, s44, s6
	s_mul_i32 s45, s44, s6
	s_mul_i32 s48, s46, s34
	s_mul_hi_u32 s6, s46, s6
	s_mul_hi_u32 s47, s46, s34
	s_add_u32 s6, s6, s48
	s_addc_u32 s47, 0, s47
	s_add_u32 s6, s6, s45
	s_mul_hi_u32 s35, s44, s34
	s_addc_u32 s6, s47, s37
	s_addc_u32 s35, s35, 0
	s_mul_i32 s34, s44, s34
	s_add_u32 s6, s6, s34
	s_addc_u32 s37, 0, s35
	s_add_u32 s6, s46, s6
	s_cselect_b64 s[34:35], -1, 0
	s_cmp_lg_u64 s[34:35], 0
	s_addc_u32 s37, s44, s37
	s_ashr_i32 s34, s7, 31
	s_add_u32 s44, s36, s34
	s_mov_b32 s35, s34
	s_addc_u32 s45, s7, s34
	s_xor_b64 s[44:45], s[44:45], s[34:35]
	s_mul_i32 s47, s44, s37
	s_mul_hi_u32 s48, s44, s6
	s_mul_hi_u32 s46, s44, s37
	s_add_u32 s47, s48, s47
	s_addc_u32 s46, 0, s46
	s_mul_hi_u32 s49, s45, s6
	s_mul_i32 s6, s45, s6
	s_add_u32 s6, s47, s6
	s_mul_hi_u32 s48, s45, s37
	s_addc_u32 s6, s46, s49
	s_addc_u32 s46, s48, 0
	s_mul_i32 s37, s45, s37
	s_add_u32 s6, s6, s37
	s_addc_u32 s37, 0, s46
	s_mul_i32 s37, s12, s37
	s_mul_hi_u32 s46, s12, s6
	s_add_i32 s37, s46, s37
	s_mul_i32 s46, s13, s6
	s_add_i32 s37, s37, s46
	s_sub_i32 s48, s45, s37
	s_mul_i32 s6, s12, s6
	s_sub_u32 s6, s44, s6
	s_cselect_b64 s[46:47], -1, 0
	s_cmp_lg_u64 s[46:47], 0
	s_subb_u32 s44, s48, s13
	s_sub_u32 s50, s6, s12
	s_cselect_b64 s[48:49], -1, 0
	s_cmp_lg_u64 s[48:49], 0
	s_subb_u32 s51, s44, 0
	s_cmp_ge_u32 s51, s13
	s_cselect_b32 s53, -1, 0
	s_cmp_ge_u32 s50, s12
	s_cselect_b32 s54, -1, 0
	s_cmp_eq_u32 s51, s13
	s_cselect_b32 s53, s54, s53
	s_cmp_lg_u64 s[48:49], 0
	s_subb_u32 s44, s44, s13
	s_sub_u32 s54, s50, s12
	s_cselect_b64 s[48:49], -1, 0
	s_cmp_lg_u64 s[48:49], 0
	s_subb_u32 s44, s44, 0
	s_cmp_lg_u32 s53, 0
	s_cselect_b32 s48, s54, s50
	s_cselect_b32 s44, s44, s51
	s_cmp_lg_u64 s[46:47], 0
	s_subb_u32 s37, s45, s37
	s_cmp_ge_u32 s37, s13
	s_cselect_b32 s45, -1, 0
	s_cmp_ge_u32 s6, s12
	s_cselect_b32 s12, -1, 0
	s_cmp_eq_u32 s37, s13
	s_cselect_b32 s12, s12, s45
	s_cmp_lg_u32 s12, 0
	s_cselect_b32 s13, s44, s37
	s_cselect_b32 s12, s48, s6
	s_xor_b64 s[12:13], s[12:13], s[34:35]
	v_readlane_b32 s50, v73, 62
	s_sub_u32 s12, s12, s34
	v_readlane_b32 s54, v72, 5
	v_readlane_b32 s51, v73, 63
	s_subb_u32 s13, s13, s34
	s_cbranch_execnz .LBB62_227
.LBB62_226:                             ;   in Loop: Header=BB62_32 Depth=1
	v_cvt_f32_u32_e32 v4, s96
	s_sub_i32 s6, 0, s96
	v_rcp_iflag_f32_e32 v4, v4
	s_nop 0
	v_mul_f32_e32 v4, 0x4f7ffffe, v4
	v_cvt_u32_f32_e32 v4, v4
	s_nop 0
	v_readfirstlane_b32 s12, v4
	s_mul_i32 s6, s6, s12
	s_mul_hi_u32 s6, s12, s6
	s_add_i32 s12, s12, s6
	s_mul_hi_u32 s6, s36, s12
	s_mul_i32 s6, s6, s96
	s_sub_i32 s6, s36, s6
	s_sub_i32 s12, s6, s96
	s_cmp_ge_u32 s6, s96
	s_cselect_b32 s6, s12, s6
	s_sub_i32 s12, s6, s96
	s_cmp_ge_u32 s6, s96
	s_cselect_b32 s98, s12, s6
	s_mov_b64 s[12:13], s[98:99]
.LBB62_227:                             ;   in Loop: Header=BB62_32 Depth=1
	s_sub_u32 s12, s36, s12
	s_subb_u32 s13, s7, s13
	v_cmp_gt_i64_e32 vcc, s[12:13], v[0:1]
                                        ; implicit-def: $vgpr53
	s_and_saveexec_b64 s[6:7], vcc
	s_cbranch_execz .LBB62_237
; %bb.228:                              ;   in Loop: Header=BB62_32 Depth=1
	s_mov_b64 s[34:35], 0
	v_mov_b32_e32 v6, v43
	v_mov_b64_e32 v[4:5], v[0:1]
                                        ; implicit-def: $sgpr36_sgpr37
	s_branch .LBB62_232
.LBB62_229:                             ;   in Loop: Header=BB62_232 Depth=2
	s_or_b64 exec, exec, s[44:45]
	s_waitcnt lgkmcnt(0)
	s_barrier
	ds_read_b32 v7, v3 offset:3072
	s_waitcnt lgkmcnt(0)
	s_barrier
	v_cmp_eq_f16_e32 vcc, 0, v7
	s_cbranch_vccz .LBB62_235
; %bb.230:                              ;   in Loop: Header=BB62_232 Depth=2
	v_lshl_add_u64 v[4:5], v[4:5], 0, s[96:97]
	v_cmp_le_i64_e32 vcc, s[12:13], v[4:5]
	v_add_u32_e32 v6, s54, v6
	s_mov_b64 s[44:45], 0
	s_orn2_b64 s[46:47], vcc, exec
.LBB62_231:                             ;   in Loop: Header=BB62_232 Depth=2
	s_and_b64 s[46:47], exec, s[46:47]
	s_or_b64 s[34:35], s[46:47], s[34:35]
	s_andn2_b64 s[36:37], s[36:37], exec
	s_and_b64 s[44:45], s[44:45], exec
	s_or_b64 s[36:37], s[36:37], s[44:45]
	s_andn2_b64 exec, exec, s[34:35]
	s_cbranch_execz .LBB62_236
.LBB62_232:                             ;   Parent Loop BB62_32 Depth=1
                                        ; =>  This Inner Loop Header: Depth=2
	v_cmp_gt_u64_e32 vcc, s[42:43], v[4:5]
	s_and_saveexec_b64 s[44:45], vcc
	s_cbranch_execz .LBB62_229
; %bb.233:                              ;   in Loop: Header=BB62_232 Depth=2
	ds_read_u16 v7, v6
	s_waitcnt lgkmcnt(0)
	v_cmp_lt_i16_e32 vcc, -1, v7
	s_nop 1
	v_cndmask_b32_e32 v8, v49, v50, vcc
	v_xor_b32_sdwa v8, v8, v7 dst_sel:DWORD dst_unused:UNUSED_PAD src0_sel:DWORD src1_sel:WORD_0
	v_cmp_o_f16_e32 vcc, v7, v7
	s_nop 1
	v_cndmask_b32_e32 v8, v49, v8, vcc
	v_and_b32_e32 v8, v8, v52
	v_cmp_eq_u32_e32 vcc, v8, v48
	s_and_b64 exec, exec, vcc
	s_cbranch_execz .LBB62_229
; %bb.234:                              ;   in Loop: Header=BB62_232 Depth=2
	v_perm_b32 v7, v7, s10, v51
	ds_write_b32 v3, v7 offset:3072
	s_branch .LBB62_229
.LBB62_235:                             ;   in Loop: Header=BB62_232 Depth=2
	s_mov_b64 s[46:47], -1
                                        ; implicit-def: $vgpr4_vgpr5
                                        ; implicit-def: $vgpr6
	s_mov_b64 s[44:45], -1
	s_branch .LBB62_231
.LBB62_236:                             ;   in Loop: Header=BB62_32 Depth=1
	s_or_b64 exec, exec, s[34:35]
	s_andn2_b64 s[0:1], s[0:1], exec
	s_and_b64 s[12:13], s[36:37], exec
	v_lshrrev_b32_e32 v53, 16, v7
	s_or_b64 s[0:1], s[0:1], s[12:13]
.LBB62_237:                             ;   in Loop: Header=BB62_32 Depth=1
	s_or_b64 exec, exec, s[6:7]
	s_mov_b64 s[34:35], 0
	s_mov_b64 s[36:37], -1
.LBB62_238:                             ;   in Loop: Header=BB62_32 Depth=1
	s_orn2_b64 s[0:1], s[0:1], exec
.LBB62_239:                             ;   in Loop: Header=BB62_32 Depth=1
	s_or_b64 exec, exec, s[38:39]
	s_mov_b64 s[6:7], 0
	s_and_saveexec_b64 s[38:39], s[0:1]
	s_cbranch_execz .LBB62_300
; %bb.240:                              ;   in Loop: Header=BB62_32 Depth=1
	s_xor_b64 s[6:7], s[40:41], -1
	v_mov_b32_e32 v2, 1
	s_mov_b64 s[40:41], 0
	v_mov_b64_e32 v[4:5], 1
	s_and_saveexec_b64 s[0:1], s[6:7]
	s_cbranch_execz .LBB62_249
; %bb.241:                              ;   in Loop: Header=BB62_32 Depth=1
	v_cmp_ge_i64_e32 vcc, s[22:23], v[10:11]
	s_and_saveexec_b64 s[6:7], vcc
	s_xor_b64 s[6:7], exec, s[6:7]
	s_cbranch_execz .LBB62_246
; %bb.242:                              ;   in Loop: Header=BB62_32 Depth=1
	ds_read_b64 v[4:5], v3 offset:5120
	v_and_b32_e32 v2, s52, v48
	v_lshl_or_b32 v48, 2, s72, v2
	v_or_b32_e32 v52, s66, v52
	s_waitcnt lgkmcnt(0)
	v_cmp_ne_u64_e32 vcc, 0, v[4:5]
	s_cbranch_vccnz .LBB62_246
; %bb.243:                              ;   in Loop: Header=BB62_32 Depth=1
	s_mov_b64 s[12:13], exec
	v_readlane_b32 s40, v73, 32
	v_readlane_b32 s41, v73, 33
	s_and_b64 s[40:41], s[12:13], s[40:41]
	s_mov_b64 exec, s[40:41]
; %bb.244:                              ;   in Loop: Header=BB62_32 Depth=1
	v_mov_b64_e32 v[4:5], s[22:23]
	ds_write_b64 v3, v[4:5] offset:5128
; %bb.245:                              ;   in Loop: Header=BB62_32 Depth=1
	s_or_b64 exec, exec, s[12:13]
	s_waitcnt lgkmcnt(0)
	s_barrier
.LBB62_246:                             ;   in Loop: Header=BB62_32 Depth=1
	s_or_saveexec_b64 s[6:7], s[6:7]
	s_mov_b64 s[12:13], 0
	v_mov_b32_e32 v2, 8
	s_xor_b64 exec, exec, s[6:7]
; %bb.247:                              ;   in Loop: Header=BB62_32 Depth=1
	v_mov_b32_e32 v2, s23
	v_subrev_co_u32_e32 v10, vcc, s22, v10
	s_mov_b64 s[12:13], exec
	s_nop 0
	v_subb_co_u32_e32 v11, vcc, v11, v2, vcc
	v_mov_b32_e32 v2, 0
; %bb.248:                              ;   in Loop: Header=BB62_32 Depth=1
	s_or_b64 exec, exec, s[6:7]
	s_and_b64 s[40:41], s[12:13], exec
	v_mov_b64_e32 v[4:5], v[10:11]
.LBB62_249:                             ;   in Loop: Header=BB62_32 Depth=1
	s_or_b64 exec, exec, s[0:1]
	s_mov_b64 s[12:13], -1
                                        ; implicit-def: $sgpr6_sgpr7
                                        ; implicit-def: $sgpr0_sgpr1
	s_and_saveexec_b64 s[22:23], s[40:41]
	s_cbranch_execz .LBB62_299
; %bb.250:                              ;   in Loop: Header=BB62_32 Depth=1
	s_cmp_eq_u64 s[14:15], 1
	s_cselect_b64 s[0:1], -1, 0
	v_cmp_eq_u64_e32 vcc, 1, v[4:5]
	s_and_b64 s[40:41], s[0:1], vcc
	s_mov_b64 s[44:45], -1
                                        ; implicit-def: $sgpr6_sgpr7
                                        ; implicit-def: $sgpr0_sgpr1
	s_and_saveexec_b64 s[42:43], s[40:41]
	s_cbranch_execz .LBB62_287
; %bb.251:                              ;   in Loop: Header=BB62_32 Depth=1
	ds_read_b64 v[6:7], v3 offset:5120
	s_waitcnt lgkmcnt(0)
	s_barrier
	v_readfirstlane_b32 s44, v6
	v_readfirstlane_b32 s45, v7
	s_and_saveexec_b64 s[0:1], s[90:91]
; %bb.252:                              ;   in Loop: Header=BB62_32 Depth=1
	ds_write_b16 v44, v3
; %bb.253:                              ;   in Loop: Header=BB62_32 Depth=1
	s_or_b64 exec, exec, s[0:1]
	v_cmp_gt_i64_e64 s[12:13], s[44:45], 0
	v_or_b32_e32 v48, s66, v48
	v_or_b32_e32 v52, s66, v52
	s_mov_b64 s[0:1], -1
	s_mov_b64 s[6:7], 0
	s_and_b64 vcc, exec, s[12:13]
	s_mov_b64 s[12:13], 0
	s_mov_b64 s[46:47], -1
	s_waitcnt lgkmcnt(0)
	s_barrier
                                        ; implicit-def: $vgpr53
	s_cbranch_vccnz .LBB62_271
; %bb.254:                              ;   in Loop: Header=BB62_32 Depth=1
	s_mov_b32 s54, s99
	s_mov_b64 s[78:79], s[64:65]
	s_movk_i32 s10, 0x3c00
	s_cmp_lg_u64 s[54:55], 0
	s_mov_b32 s65, s55
	s_cbranch_scc0 .LBB62_257
; %bb.255:                              ;   in Loop: Header=BB62_32 Depth=1
	s_add_u32 s12, s96, 0
	s_addc_u32 s13, 0, 0
	s_xor_b64 s[12:13], s[12:13], 0
	v_cvt_f32_u32_e32 v6, s12
	v_cvt_f32_u32_e32 v7, s13
	s_sub_u32 s48, 0, s12
	s_subb_u32 s49, 0, s13
	s_mov_b32 s11, s65
	v_fmac_f32_e32 v6, 0x4f800000, v7
	v_rcp_f32_e32 v6, v6
	s_nop 0
	v_mul_f32_e32 v6, 0x5f7ffffc, v6
	v_mul_f32_e32 v7, 0x2f800000, v6
	v_trunc_f32_e32 v7, v7
	v_fmac_f32_e32 v6, 0xcf800000, v7
	v_cvt_u32_f32_e32 v7, v7
	v_cvt_u32_f32_e32 v6, v6
	v_readfirstlane_b32 s50, v7
	v_readfirstlane_b32 s46, v6
	s_mul_i32 s47, s48, s50
	s_mul_hi_u32 s52, s48, s46
	s_mul_i32 s51, s49, s46
	s_add_i32 s47, s52, s47
	s_mul_i32 s53, s48, s46
	s_add_i32 s47, s47, s51
	s_mul_i32 s52, s46, s47
	s_mul_hi_u32 s54, s46, s53
	s_mul_hi_u32 s51, s46, s47
	s_add_u32 s52, s54, s52
	s_addc_u32 s51, 0, s51
	s_mul_hi_u32 s55, s50, s53
	s_mul_i32 s53, s50, s53
	s_add_u32 s52, s52, s53
	s_mul_hi_u32 s54, s50, s47
	s_addc_u32 s51, s51, s55
	s_addc_u32 s52, s54, 0
	s_mul_i32 s47, s50, s47
	s_add_u32 s47, s51, s47
	s_addc_u32 s51, 0, s52
	s_add_u32 s52, s46, s47
	s_cselect_b64 s[46:47], -1, 0
	s_cmp_lg_u64 s[46:47], 0
	s_addc_u32 s50, s50, s51
	s_mul_i32 s46, s48, s50
	s_mul_hi_u32 s47, s48, s52
	s_add_i32 s46, s47, s46
	s_mul_i32 s49, s49, s52
	s_add_i32 s46, s46, s49
	s_mul_i32 s48, s48, s52
	s_mul_hi_u32 s49, s50, s48
	s_mul_i32 s51, s50, s48
	s_mul_i32 s54, s52, s46
	s_mul_hi_u32 s48, s52, s48
	s_mul_hi_u32 s53, s52, s46
	s_add_u32 s48, s48, s54
	s_addc_u32 s53, 0, s53
	s_add_u32 s48, s48, s51
	s_mul_hi_u32 s47, s50, s46
	s_addc_u32 s48, s53, s49
	s_addc_u32 s47, s47, 0
	s_mul_i32 s46, s50, s46
	s_add_u32 s46, s48, s46
	s_addc_u32 s48, 0, s47
	s_add_u32 s51, s52, s46
	s_cselect_b64 s[46:47], -1, 0
	s_cmp_lg_u64 s[46:47], 0
	s_addc_u32 s50, s50, s48
	s_ashr_i32 s46, s65, 31
	s_add_u32 s48, s75, s46
	s_mov_b32 s47, s46
	s_addc_u32 s49, s65, s46
	s_xor_b64 s[48:49], s[48:49], s[46:47]
	s_mul_i32 s53, s48, s50
	s_mul_hi_u32 s54, s48, s51
	s_mul_hi_u32 s52, s48, s50
	s_add_u32 s53, s54, s53
	s_addc_u32 s52, 0, s52
	s_mul_hi_u32 s55, s49, s51
	s_mul_i32 s51, s49, s51
	s_add_u32 s51, s53, s51
	s_mul_hi_u32 s54, s49, s50
	s_addc_u32 s51, s52, s55
	s_addc_u32 s52, s54, 0
	s_mul_i32 s50, s49, s50
	s_add_u32 s50, s51, s50
	s_addc_u32 s51, 0, s52
	s_mul_i32 s51, s12, s51
	s_mul_hi_u32 s52, s12, s50
	s_add_i32 s51, s52, s51
	s_mul_i32 s52, s13, s50
	s_add_i32 s54, s51, s52
	s_sub_i32 s52, s49, s54
	s_mul_i32 s50, s12, s50
	s_sub_u32 s48, s48, s50
	s_cselect_b64 s[50:51], -1, 0
	s_cmp_lg_u64 s[50:51], 0
	s_subb_u32 s55, s52, s13
	s_sub_u32 s64, s48, s12
	s_cselect_b64 s[52:53], -1, 0
	s_cmp_lg_u64 s[52:53], 0
	s_subb_u32 s65, s55, 0
	s_cmp_ge_u32 s65, s13
	s_cselect_b32 s67, -1, 0
	s_cmp_ge_u32 s64, s12
	s_cselect_b32 s68, -1, 0
	s_cmp_eq_u32 s65, s13
	s_cselect_b32 s67, s68, s67
	s_cmp_lg_u64 s[52:53], 0
	s_subb_u32 s55, s55, s13
	s_sub_u32 s68, s64, s12
	s_cselect_b64 s[52:53], -1, 0
	s_cmp_lg_u64 s[52:53], 0
	s_subb_u32 s52, s55, 0
	s_cmp_lg_u32 s67, 0
	s_cselect_b32 s53, s68, s64
	s_cselect_b32 s52, s52, s65
	s_cmp_lg_u64 s[50:51], 0
	s_subb_u32 s49, s49, s54
	s_cmp_ge_u32 s49, s13
	s_cselect_b32 s50, -1, 0
	s_cmp_ge_u32 s48, s12
	s_cselect_b32 s12, -1, 0
	s_cmp_eq_u32 s49, s13
	s_cselect_b32 s12, s12, s50
	s_cmp_lg_u32 s12, 0
	s_cselect_b32 s13, s52, s49
	s_cselect_b32 s12, s53, s48
	s_xor_b64 s[12:13], s[12:13], s[46:47]
	s_sub_u32 s12, s12, s46
	s_subb_u32 s13, s13, s46
	s_mov_b64 s[46:47], 0
	s_branch .LBB62_258
.LBB62_256:                             ;   in Loop: Header=BB62_32 Depth=1
                                        ; implicit-def: $sgpr12_sgpr13
	s_branch .LBB62_226
.LBB62_257:                             ;   in Loop: Header=BB62_32 Depth=1
	s_mov_b32 s11, s65
                                        ; implicit-def: $sgpr12_sgpr13
.LBB62_258:                             ;   in Loop: Header=BB62_32 Depth=1
	s_andn2_b64 vcc, exec, s[46:47]
	v_readlane_b32 s54, v72, 5
	s_mov_b64 s[64:65], s[78:79]
	s_cbranch_vccnz .LBB62_260
; %bb.259:                              ;   in Loop: Header=BB62_32 Depth=1
	v_cvt_f32_u32_e32 v6, s96
	s_sub_i32 s12, 0, s96
	v_rcp_iflag_f32_e32 v6, v6
	s_nop 0
	v_mul_f32_e32 v6, 0x4f7ffffe, v6
	v_cvt_u32_f32_e32 v6, v6
	s_nop 0
	v_readfirstlane_b32 s13, v6
	s_mul_i32 s12, s12, s13
	s_mul_hi_u32 s12, s13, s12
	s_add_i32 s13, s13, s12
	s_mul_hi_u32 s12, s75, s13
	s_mul_i32 s12, s12, s96
	s_sub_i32 s12, s75, s12
	s_sub_i32 s13, s12, s96
	s_cmp_ge_u32 s12, s96
	s_cselect_b32 s12, s13, s12
	s_sub_i32 s13, s12, s96
	s_cmp_ge_u32 s12, s96
	s_cselect_b32 s98, s13, s12
	s_mov_b64 s[12:13], s[98:99]
.LBB62_260:                             ;   in Loop: Header=BB62_32 Depth=1
	s_sub_u32 s50, s75, s12
	s_subb_u32 s51, s11, s13
	s_mov_b32 s55, s11
	v_cmp_gt_i64_e32 vcc, s[50:51], v[0:1]
	s_mov_b64 s[46:47], 0
	s_mov_b64 s[12:13], 0
                                        ; implicit-def: $vgpr53
	s_and_saveexec_b64 s[48:49], vcc
	v_readlane_b32 s67, v72, 3
	v_readlane_b32 s68, v72, 4
	s_cbranch_execz .LBB62_270
; %bb.261:                              ;   in Loop: Header=BB62_32 Depth=1
	s_mov_b32 s11, s55
	v_mov_b64_e32 v[6:7], v[12:13]
	v_mov_b64_e32 v[8:9], v[0:1]
                                        ; implicit-def: $sgpr52_sgpr53
	s_branch .LBB62_265
.LBB62_262:                             ;   in Loop: Header=BB62_265 Depth=2
	s_or_b64 exec, exec, s[54:55]
	s_waitcnt lgkmcnt(0)
	s_barrier
	ds_read_b32 v10, v3 offset:3072
	s_waitcnt lgkmcnt(0)
	s_barrier
	v_cmp_neq_f16_e32 vcc, 0, v10
	s_cbranch_vccnz .LBB62_268
; %bb.263:                              ;   in Loop: Header=BB62_265 Depth=2
	v_lshl_add_u64 v[8:9], v[8:9], 0, s[96:97]
	v_cmp_le_i64_e32 vcc, s[50:51], v[8:9]
	v_lshl_add_u64 v[6:7], v[6:7], 0, s[88:89]
	s_mov_b64 s[54:55], 0
	s_orn2_b64 s[64:65], vcc, exec
.LBB62_264:                             ;   in Loop: Header=BB62_265 Depth=2
	s_and_b64 s[64:65], exec, s[64:65]
	s_or_b64 s[12:13], s[64:65], s[12:13]
	s_andn2_b64 s[52:53], s[52:53], exec
	s_and_b64 s[54:55], s[54:55], exec
	s_or_b64 s[52:53], s[52:53], s[54:55]
	s_andn2_b64 exec, exec, s[12:13]
	s_cbranch_execz .LBB62_269
.LBB62_265:                             ;   Parent Loop BB62_32 Depth=1
                                        ; =>  This Inner Loop Header: Depth=2
	v_cmp_gt_i64_e32 vcc, s[56:57], v[8:9]
	s_and_saveexec_b64 s[54:55], vcc
	s_cbranch_execz .LBB62_262
; %bb.266:                              ;   in Loop: Header=BB62_265 Depth=2
	global_load_ushort v10, v[6:7], off
	s_waitcnt vmcnt(0)
	v_cmp_lt_i16_e32 vcc, -1, v10
	s_nop 1
	v_cndmask_b32_e32 v11, v49, v50, vcc
	v_xor_b32_sdwa v11, v11, v10 dst_sel:DWORD dst_unused:UNUSED_PAD src0_sel:DWORD src1_sel:WORD_0
	v_cmp_o_f16_e32 vcc, v10, v10
	s_nop 1
	v_cndmask_b32_e32 v11, v49, v11, vcc
	v_and_b32_e32 v11, v11, v52
	v_cmp_eq_u32_e32 vcc, v11, v48
	s_and_b64 exec, exec, vcc
	s_cbranch_execz .LBB62_262
; %bb.267:                              ;   in Loop: Header=BB62_265 Depth=2
	v_perm_b32 v10, v10, s10, v51
	ds_write_b32 v3, v10 offset:3072
	s_branch .LBB62_262
.LBB62_268:                             ;   in Loop: Header=BB62_265 Depth=2
	s_mov_b64 s[64:65], -1
                                        ; implicit-def: $vgpr8_vgpr9
                                        ; implicit-def: $vgpr6_vgpr7
	s_mov_b64 s[54:55], -1
	s_branch .LBB62_264
.LBB62_269:                             ;   in Loop: Header=BB62_32 Depth=1
	s_or_b64 exec, exec, s[12:13]
	v_lshrrev_b32_e32 v53, 16, v10
	s_and_b64 s[12:13], s[52:53], exec
	s_mov_b32 s55, s11
	v_readlane_b32 s54, v72, 5
	s_mov_b64 s[64:65], s[78:79]
.LBB62_270:                             ;   in Loop: Header=BB62_32 Depth=1
	s_or_b64 exec, exec, s[48:49]
	v_readlane_b32 s50, v73, 62
	v_readlane_b32 s51, v73, 63
	s_movk_i32 s10, 0x3c00
.LBB62_271:                             ;   in Loop: Header=BB62_32 Depth=1
	s_and_b64 vcc, exec, s[46:47]
	s_cbranch_vccz .LBB62_286
; %bb.272:                              ;   in Loop: Header=BB62_32 Depth=1
	v_readlane_b32 s0, v73, 42
	s_add_u32 s48, s44, s0
	v_readlane_b32 s0, v73, 43
	s_addc_u32 s1, s45, s0
	s_mov_b32 s0, s99
	s_mov_b32 s11, s55
	s_cmp_lg_u64 s[0:1], 0
	s_cbranch_scc0 .LBB62_306
; %bb.273:                              ;   in Loop: Header=BB62_32 Depth=1
	s_add_u32 s6, s96, 0
	s_addc_u32 s7, 0, 0
	s_xor_b64 s[6:7], s[6:7], 0
	v_cvt_f32_u32_e32 v6, s6
	v_cvt_f32_u32_e32 v7, s7
	s_sub_u32 s0, 0, s6
	s_subb_u32 s49, 0, s7
	s_mov_b64 s[78:79], s[64:65]
	v_fmac_f32_e32 v6, 0x4f800000, v7
	v_rcp_f32_e32 v6, v6
	s_movk_i32 s10, 0x3c00
	v_mul_f32_e32 v6, 0x5f7ffffc, v6
	v_mul_f32_e32 v7, 0x2f800000, v6
	v_trunc_f32_e32 v7, v7
	v_fmac_f32_e32 v6, 0xcf800000, v7
	v_cvt_u32_f32_e32 v7, v7
	v_cvt_u32_f32_e32 v6, v6
	v_readfirstlane_b32 s50, v7
	v_readfirstlane_b32 s46, v6
	s_mul_i32 s47, s0, s50
	s_mul_hi_u32 s52, s0, s46
	s_mul_i32 s51, s49, s46
	s_add_i32 s47, s52, s47
	s_mul_i32 s53, s0, s46
	s_add_i32 s47, s47, s51
	s_mul_i32 s52, s46, s47
	s_mul_hi_u32 s54, s46, s53
	s_mul_hi_u32 s51, s46, s47
	s_add_u32 s52, s54, s52
	s_addc_u32 s51, 0, s51
	s_mul_hi_u32 s55, s50, s53
	s_mul_i32 s53, s50, s53
	s_add_u32 s52, s52, s53
	s_mul_hi_u32 s54, s50, s47
	s_addc_u32 s51, s51, s55
	s_addc_u32 s52, s54, 0
	s_mul_i32 s47, s50, s47
	s_add_u32 s47, s51, s47
	s_addc_u32 s51, 0, s52
	s_add_u32 s52, s46, s47
	s_cselect_b64 s[46:47], -1, 0
	s_cmp_lg_u64 s[46:47], 0
	s_addc_u32 s50, s50, s51
	s_mul_i32 s46, s0, s50
	s_mul_hi_u32 s47, s0, s52
	s_add_i32 s46, s47, s46
	s_mul_i32 s49, s49, s52
	s_add_i32 s46, s46, s49
	s_mul_i32 s0, s0, s52
	s_mul_hi_u32 s49, s50, s0
	s_mul_i32 s51, s50, s0
	s_mul_i32 s54, s52, s46
	s_mul_hi_u32 s0, s52, s0
	s_mul_hi_u32 s53, s52, s46
	s_add_u32 s0, s0, s54
	s_addc_u32 s53, 0, s53
	s_add_u32 s0, s0, s51
	s_mul_hi_u32 s47, s50, s46
	s_addc_u32 s0, s53, s49
	s_addc_u32 s47, s47, 0
	s_mul_i32 s46, s50, s46
	s_add_u32 s0, s0, s46
	s_addc_u32 s49, 0, s47
	s_add_u32 s0, s52, s0
	s_cselect_b64 s[46:47], -1, 0
	s_cmp_lg_u64 s[46:47], 0
	s_addc_u32 s49, s50, s49
	s_ashr_i32 s46, s1, 31
	s_add_u32 s50, s48, s46
	s_mov_b32 s47, s46
	s_addc_u32 s51, s1, s46
	s_xor_b64 s[50:51], s[50:51], s[46:47]
	s_mul_i32 s53, s50, s49
	s_mul_hi_u32 s54, s50, s0
	s_mul_hi_u32 s52, s50, s49
	s_add_u32 s53, s54, s53
	s_addc_u32 s52, 0, s52
	s_mul_hi_u32 s55, s51, s0
	s_mul_i32 s0, s51, s0
	s_add_u32 s0, s53, s0
	s_mul_hi_u32 s54, s51, s49
	s_addc_u32 s0, s52, s55
	s_addc_u32 s52, s54, 0
	s_mul_i32 s49, s51, s49
	s_add_u32 s0, s0, s49
	s_addc_u32 s49, 0, s52
	s_mul_i32 s49, s6, s49
	s_mul_hi_u32 s52, s6, s0
	s_add_i32 s49, s52, s49
	s_mul_i32 s52, s7, s0
	s_add_i32 s49, s49, s52
	s_sub_i32 s54, s51, s49
	s_mul_i32 s0, s6, s0
	s_sub_u32 s0, s50, s0
	s_cselect_b64 s[52:53], -1, 0
	s_cmp_lg_u64 s[52:53], 0
	s_subb_u32 s50, s54, s7
	s_sub_u32 s64, s0, s6
	s_cselect_b64 s[54:55], -1, 0
	s_cmp_lg_u64 s[54:55], 0
	s_subb_u32 s65, s50, 0
	s_cmp_ge_u32 s65, s7
	s_cselect_b32 s67, -1, 0
	s_cmp_ge_u32 s64, s6
	s_cselect_b32 s68, -1, 0
	s_cmp_eq_u32 s65, s7
	s_cselect_b32 s67, s68, s67
	s_cmp_lg_u64 s[54:55], 0
	s_subb_u32 s50, s50, s7
	s_sub_u32 s68, s64, s6
	s_cselect_b64 s[54:55], -1, 0
	s_cmp_lg_u64 s[54:55], 0
	s_subb_u32 s50, s50, 0
	s_cmp_lg_u32 s67, 0
	s_cselect_b32 s54, s68, s64
	s_cselect_b32 s50, s50, s65
	s_cmp_lg_u64 s[52:53], 0
	s_subb_u32 s49, s51, s49
	s_cmp_ge_u32 s49, s7
	s_cselect_b32 s51, -1, 0
	s_cmp_ge_u32 s0, s6
	s_cselect_b32 s6, -1, 0
	s_cmp_eq_u32 s49, s7
	s_cselect_b32 s6, s6, s51
	s_cmp_lg_u32 s6, 0
	s_cselect_b32 s7, s50, s49
	s_cselect_b32 s6, s54, s0
	s_xor_b64 s[6:7], s[6:7], s[46:47]
	v_readlane_b32 s50, v73, 62
	s_sub_u32 s6, s6, s46
	v_readlane_b32 s68, v72, 4
	v_readlane_b32 s67, v72, 3
	s_mov_b64 s[64:65], s[78:79]
	v_readlane_b32 s51, v73, 63
	v_readlane_b32 s54, v72, 5
	s_subb_u32 s7, s7, s46
	s_cbranch_execnz .LBB62_275
.LBB62_274:                             ;   in Loop: Header=BB62_32 Depth=1
	v_cvt_f32_u32_e32 v6, s96
	s_sub_i32 s0, 0, s96
	v_rcp_iflag_f32_e32 v6, v6
	s_nop 0
	v_mul_f32_e32 v6, 0x4f7ffffe, v6
	v_cvt_u32_f32_e32 v6, v6
	s_nop 0
	v_readfirstlane_b32 s6, v6
	s_mul_i32 s0, s0, s6
	s_mul_hi_u32 s0, s6, s0
	s_add_i32 s6, s6, s0
	s_mul_hi_u32 s0, s48, s6
	s_mul_i32 s0, s0, s96
	s_sub_i32 s0, s48, s0
	s_sub_i32 s6, s0, s96
	s_cmp_ge_u32 s0, s96
	s_cselect_b32 s0, s6, s0
	s_sub_i32 s6, s0, s96
	s_cmp_ge_u32 s0, s96
	s_cselect_b32 s98, s6, s0
	s_mov_b64 s[6:7], s[98:99]
.LBB62_275:                             ;   in Loop: Header=BB62_32 Depth=1
	s_sub_u32 s6, s48, s6
	s_subb_u32 s7, s1, s7
	v_cmp_gt_i64_e32 vcc, s[6:7], v[0:1]
                                        ; implicit-def: $vgpr53
	s_and_saveexec_b64 s[0:1], vcc
	s_mov_b32 s55, s11
	s_cbranch_execz .LBB62_285
; %bb.276:                              ;   in Loop: Header=BB62_32 Depth=1
	s_mov_b64 s[46:47], 0
	v_mov_b32_e32 v8, v43
	v_mov_b64_e32 v[6:7], v[0:1]
                                        ; implicit-def: $sgpr48_sgpr49
	s_branch .LBB62_280
.LBB62_277:                             ;   in Loop: Header=BB62_280 Depth=2
	s_or_b64 exec, exec, s[50:51]
	s_waitcnt lgkmcnt(0)
	s_barrier
	ds_read_b32 v9, v3 offset:3072
	s_waitcnt lgkmcnt(0)
	s_barrier
	v_cmp_eq_f16_e32 vcc, 0, v9
	s_cbranch_vccz .LBB62_283
; %bb.278:                              ;   in Loop: Header=BB62_280 Depth=2
	v_lshl_add_u64 v[6:7], v[6:7], 0, s[96:97]
	v_cmp_le_i64_e32 vcc, s[6:7], v[6:7]
	v_add_u32_e32 v8, s54, v8
	s_mov_b64 s[50:51], 0
	s_orn2_b64 s[52:53], vcc, exec
.LBB62_279:                             ;   in Loop: Header=BB62_280 Depth=2
	s_and_b64 s[52:53], exec, s[52:53]
	s_or_b64 s[46:47], s[52:53], s[46:47]
	s_andn2_b64 s[48:49], s[48:49], exec
	s_and_b64 s[50:51], s[50:51], exec
	s_or_b64 s[48:49], s[48:49], s[50:51]
	s_andn2_b64 exec, exec, s[46:47]
	s_cbranch_execz .LBB62_284
.LBB62_280:                             ;   Parent Loop BB62_32 Depth=1
                                        ; =>  This Inner Loop Header: Depth=2
	v_cmp_gt_u64_e32 vcc, s[44:45], v[6:7]
	s_and_saveexec_b64 s[50:51], vcc
	s_cbranch_execz .LBB62_277
; %bb.281:                              ;   in Loop: Header=BB62_280 Depth=2
	ds_read_u16 v9, v8
	s_waitcnt lgkmcnt(0)
	v_cmp_lt_i16_e32 vcc, -1, v9
	s_nop 1
	v_cndmask_b32_e32 v10, v49, v50, vcc
	v_xor_b32_sdwa v10, v10, v9 dst_sel:DWORD dst_unused:UNUSED_PAD src0_sel:DWORD src1_sel:WORD_0
	v_cmp_o_f16_e32 vcc, v9, v9
	s_nop 1
	v_cndmask_b32_e32 v10, v49, v10, vcc
	v_and_b32_e32 v10, v10, v52
	v_cmp_eq_u32_e32 vcc, v10, v48
	s_and_b64 exec, exec, vcc
	s_cbranch_execz .LBB62_277
; %bb.282:                              ;   in Loop: Header=BB62_280 Depth=2
	v_perm_b32 v9, v9, s10, v51
	ds_write_b32 v3, v9 offset:3072
	s_branch .LBB62_277
.LBB62_283:                             ;   in Loop: Header=BB62_280 Depth=2
	s_mov_b64 s[52:53], -1
                                        ; implicit-def: $vgpr6_vgpr7
                                        ; implicit-def: $vgpr8
	s_mov_b64 s[50:51], -1
	s_branch .LBB62_279
.LBB62_284:                             ;   in Loop: Header=BB62_32 Depth=1
	s_or_b64 exec, exec, s[46:47]
	s_andn2_b64 s[6:7], s[12:13], exec
	s_and_b64 s[12:13], s[48:49], exec
	v_readlane_b32 s50, v73, 62
	v_lshrrev_b32_e32 v53, 16, v9
	s_or_b64 s[12:13], s[6:7], s[12:13]
	v_readlane_b32 s51, v73, 63
.LBB62_285:                             ;   in Loop: Header=BB62_32 Depth=1
	s_or_b64 exec, exec, s[0:1]
	s_mov_b64 s[0:1], 0
	s_mov_b64 s[6:7], -1
.LBB62_286:                             ;   in Loop: Header=BB62_32 Depth=1
	s_orn2_b64 s[44:45], s[12:13], exec
.LBB62_287:                             ;   in Loop: Header=BB62_32 Depth=1
	s_or_b64 exec, exec, s[42:43]
	s_mov_b64 s[42:43], 0
	s_and_saveexec_b64 s[12:13], s[44:45]
	s_cbranch_execz .LBB62_298
; %bb.288:                              ;   in Loop: Header=BB62_32 Depth=1
	s_xor_b64 s[42:43], s[40:41], -1
	v_mov_b64_e32 v[6:7], 1
	v_mov_b32_e32 v2, 1
	s_and_saveexec_b64 s[40:41], s[42:43]
	s_cbranch_execz .LBB62_297
; %bb.289:                              ;   in Loop: Header=BB62_32 Depth=1
	v_cmp_ge_i64_e32 vcc, s[14:15], v[4:5]
	s_and_saveexec_b64 s[42:43], vcc
	s_xor_b64 s[42:43], exec, s[42:43]
	s_cbranch_execz .LBB62_294
; %bb.290:                              ;   in Loop: Header=BB62_32 Depth=1
	ds_read_b64 v[6:7], v3 offset:5120
	v_or_b32_e32 v48, s66, v48
	v_or_b32_e32 v52, s66, v52
	s_waitcnt lgkmcnt(0)
	v_cmp_ne_u64_e32 vcc, 0, v[6:7]
	s_cbranch_vccnz .LBB62_294
; %bb.291:                              ;   in Loop: Header=BB62_32 Depth=1
	s_mov_b64 s[44:45], exec
	v_readlane_b32 s46, v73, 32
	v_readlane_b32 s47, v73, 33
	s_and_b64 s[46:47], s[44:45], s[46:47]
	s_mov_b64 exec, s[46:47]
; %bb.292:                              ;   in Loop: Header=BB62_32 Depth=1
	v_mov_b64_e32 v[6:7], s[14:15]
	ds_write_b64 v3, v[6:7] offset:5128
; %bb.293:                              ;   in Loop: Header=BB62_32 Depth=1
	s_or_b64 exec, exec, s[44:45]
	s_waitcnt lgkmcnt(0)
	s_barrier
.LBB62_294:                             ;   in Loop: Header=BB62_32 Depth=1
	s_andn2_saveexec_b64 s[42:43], s[42:43]
; %bb.295:                              ;   in Loop: Header=BB62_32 Depth=1
	v_mov_b32_e32 v2, s15
	v_subrev_co_u32_e32 v4, vcc, s14, v4
	s_nop 1
	v_subb_co_u32_e32 v5, vcc, v5, v2, vcc
; %bb.296:                              ;   in Loop: Header=BB62_32 Depth=1
	s_or_b64 exec, exec, s[42:43]
	v_mov_b32_e32 v2, 8
	v_mov_b64_e32 v[6:7], v[4:5]
.LBB62_297:                             ;   in Loop: Header=BB62_32 Depth=1
	s_or_b64 exec, exec, s[40:41]
	s_mov_b64 s[42:43], exec
	v_mov_b64_e32 v[4:5], v[6:7]
.LBB62_298:                             ;   in Loop: Header=BB62_32 Depth=1
	s_or_b64 exec, exec, s[12:13]
	s_orn2_b64 s[12:13], s[42:43], exec
.LBB62_299:                             ;   in Loop: Header=BB62_32 Depth=1
	s_or_b64 exec, exec, s[22:23]
	s_andn2_b64 s[14:15], s[36:37], exec
	s_and_b64 s[6:7], s[6:7], exec
	s_or_b64 s[36:37], s[14:15], s[6:7]
	s_andn2_b64 s[6:7], s[34:35], exec
	s_and_b64 s[0:1], s[0:1], exec
	s_or_b64 s[34:35], s[6:7], s[0:1]
	s_and_b64 s[6:7], s[12:13], exec
	v_mov_b64_e32 v[10:11], v[4:5]
.LBB62_300:                             ;   in Loop: Header=BB62_32 Depth=1
	s_or_b64 exec, exec, s[38:39]
	s_orn2_b64 s[0:1], s[6:7], exec
.LBB62_301:                             ;   in Loop: Header=BB62_32 Depth=1
	s_or_b64 exec, exec, s[28:29]
	s_andn2_b64 s[6:7], s[24:25], exec
	s_and_b64 s[12:13], s[36:37], exec
	s_or_b64 s[24:25], s[6:7], s[12:13]
	s_andn2_b64 s[2:3], s[2:3], exec
	s_and_b64 s[6:7], s[34:35], exec
	s_or_b64 s[2:3], s[2:3], s[6:7]
	s_and_b64 s[6:7], s[0:1], exec
	v_mov_b64_e32 v[8:9], v[10:11]
.LBB62_302:                             ;   in Loop: Header=BB62_32 Depth=1
	s_or_b64 exec, exec, s[26:27]
	s_orn2_b64 s[0:1], s[6:7], exec
.LBB62_303:                             ;   in Loop: Header=BB62_32 Depth=1
	s_or_b64 exec, exec, s[20:21]
	s_mov_b64 s[6:7], 0
	s_and_saveexec_b64 s[12:13], s[0:1]
	s_xor_b64 s[0:1], exec, s[12:13]
	s_cbranch_execz .LBB62_30
; %bb.304:                              ;   in Loop: Header=BB62_32 Depth=1
	v_and_b32_e32 v2, 7, v2
	v_cmp_eq_u32_e32 vcc, 0, v2
	s_mov_b64 s[12:13], -1
	s_mov_b64 s[6:7], -1
	s_and_saveexec_b64 s[14:15], vcc
	s_cbranch_execz .LBB62_29
; %bb.305:                              ;   in Loop: Header=BB62_32 Depth=1
	v_readlane_b32 s6, v73, 59
	s_xor_b32 s6, s6, 1
	s_add_i32 s18, s72, -2
	s_cmp_eq_u32 s72, 0
	s_cselect_b64 s[12:13], -1, 0
	v_writelane_b32 v73, s6, 59
	s_xor_b64 s[6:7], exec, -1
	s_orn2_b64 s[12:13], s[12:13], exec
	s_mov_b32 s72, s18
	s_branch .LBB62_29
.LBB62_306:                             ;   in Loop: Header=BB62_32 Depth=1
                                        ; implicit-def: $sgpr6_sgpr7
	s_branch .LBB62_274
.LBB62_307:
	s_or_b64 exec, exec, s[86:87]
	s_xor_b64 s[4:5], s[84:85], -1
	s_xor_b64 s[0:1], s[0:1], -1
	;; [unrolled: 1-line block ×3, first 2 shown]
	s_mov_b64 s[2:3], 0
	s_and_saveexec_b64 s[8:9], s[0:1]
	s_xor_b64 s[0:1], exec, s[8:9]
	s_cbranch_execnz .LBB62_312
; %bb.308:
	s_andn2_saveexec_b64 s[0:1], s[0:1]
	s_cbranch_execnz .LBB62_334
.LBB62_309:
	s_or_b64 exec, exec, s[0:1]
	s_and_saveexec_b64 s[0:1], s[2:3]
.LBB62_310:
	; divergent unreachable
.LBB62_311:
	s_endpgm
.LBB62_312:
	s_and_saveexec_b64 s[2:3], s[4:5]
	s_xor_b64 s[4:5], exec, s[2:3]
	s_cbranch_execz .LBB62_332
; %bb.313:
	s_and_saveexec_b64 s[2:3], s[6:7]
	s_xor_b64 s[2:3], exec, s[2:3]
; %bb.314:
	v_and_b32_e32 v2, 0x8000, v48
	v_mov_b32_e32 v3, 0x8000
	v_mov_b32_e32 v4, 0xffff
	v_cmp_eq_u32_e32 vcc, 0, v2
	s_nop 1
	v_cndmask_b32_e32 v2, v3, v4, vcc
	v_xor_b32_e32 v53, v2, v48
; %bb.315:
	s_or_b64 exec, exec, s[2:3]
	s_mov_b64 s[2:3], exec
	v_readlane_b32 s6, v73, 32
	v_readlane_b32 s7, v73, 33
	;; [unrolled: 1-line block ×4, first 2 shown]
	s_and_b64 s[6:7], s[2:3], s[6:7]
	v_readlane_b32 s26, v73, 34
	v_readlane_b32 s29, v73, 25
	v_readlane_b32 s30, v73, 26
	v_readlane_b32 s31, v73, 27
	v_readlane_b32 s35, v73, 23
	v_readlane_b32 s27, v73, 35
	s_mov_b64 exec, s[6:7]
; %bb.316:
	v_mov_b32_e32 v2, 0
	v_mov_b32_e32 v3, s56
	ds_write_b32 v2, v3 offset:5140
; %bb.317:
	s_or_b64 exec, exec, s[2:3]
	s_waitcnt lgkmcnt(0)
	s_barrier
	s_mov_b64 s[6:7], exec
	v_readlane_b32 s2, v73, 38
	v_readlane_b32 s3, v73, 39
	s_and_b64 s[2:3], s[6:7], s[2:3]
	s_mov_b64 exec, s[2:3]
	s_cbranch_execz .LBB62_329
; %bb.318:
	v_mov_b32_e32 v2, 0
	ds_read_b32 v4, v2 offset:5140
	v_cmp_u_f16_e32 vcc, v53, v53
	s_mov_b64 s[8:9], 0
	s_xor_b64 s[10:11], vcc, -1
                                        ; implicit-def: $sgpr12_sgpr13
                                        ; implicit-def: $sgpr14_sgpr15
                                        ; implicit-def: $sgpr16_sgpr17
	s_waitcnt lgkmcnt(0)
	v_ashrrev_i32_e32 v5, 31, v4
	s_branch .LBB62_321
.LBB62_319:                             ;   in Loop: Header=BB62_321 Depth=1
	s_or_b64 exec, exec, s[22:23]
	s_andn2_b64 s[16:17], s[16:17], exec
	s_and_b64 s[2:3], s[2:3], exec
	s_or_b64 s[16:17], s[16:17], s[2:3]
	s_andn2_b64 s[2:3], s[14:15], exec
	s_and_b64 s[14:15], s[20:21], exec
	s_or_b64 s[14:15], s[2:3], s[14:15]
.LBB62_320:                             ;   in Loop: Header=BB62_321 Depth=1
	s_or_b64 exec, exec, s[18:19]
	s_and_b64 s[2:3], exec, s[14:15]
	s_or_b64 s[8:9], s[2:3], s[8:9]
	s_andn2_b64 s[2:3], s[12:13], exec
	s_and_b64 s[12:13], s[16:17], exec
	s_or_b64 s[12:13], s[2:3], s[12:13]
	s_andn2_b64 exec, exec, s[8:9]
	s_cbranch_execz .LBB62_324
.LBB62_321:                             ; =>This Inner Loop Header: Depth=1
	v_mov_b64_e32 v[2:3], v[0:1]
	v_cmp_lt_i64_e32 vcc, v[2:3], v[4:5]
	s_or_b64 s[16:17], s[16:17], exec
	s_or_b64 s[14:15], s[14:15], exec
                                        ; implicit-def: $vgpr0_vgpr1
	s_and_saveexec_b64 s[18:19], vcc
	s_cbranch_execz .LBB62_320
; %bb.322:                              ;   in Loop: Header=BB62_321 Depth=1
	global_load_ushort v0, v[12:13], off
	s_mov_b64 s[20:21], -1
	s_waitcnt vmcnt(0)
	v_cmp_o_f16_e64 s[2:3], v0, v0
	v_cmp_neq_f16_e32 vcc, v0, v53
	s_or_b64 s[2:3], s[10:11], s[2:3]
	s_and_b64 s[24:25], vcc, s[2:3]
	s_mov_b64 s[2:3], 0
                                        ; implicit-def: $vgpr0_vgpr1
	s_and_saveexec_b64 s[22:23], s[24:25]
	s_cbranch_execz .LBB62_319
; %bb.323:                              ;   in Loop: Header=BB62_321 Depth=1
	v_lshl_add_u64 v[0:1], v[2:3], 0, s[96:97]
	v_cmp_le_i64_e32 vcc, s[56:57], v[0:1]
	s_mov_b64 s[2:3], exec
	v_lshl_add_u64 v[12:13], v[12:13], 0, s[88:89]
	s_orn2_b64 s[20:21], vcc, exec
	s_branch .LBB62_319
.LBB62_324:
	s_or_b64 exec, exec, s[8:9]
	s_xor_b64 s[2:3], s[12:13], -1
	s_and_saveexec_b64 s[8:9], s[2:3]
	s_xor_b64 s[8:9], exec, s[8:9]
	s_cbranch_execz .LBB62_329
; %bb.325:
	s_mov_b64 s[2:3], exec
	s_brev_b32 s8, -2
.LBB62_326:                             ; =>This Inner Loop Header: Depth=1
	s_ff1_i32_b64 s9, s[2:3]
	v_readlane_b32 s12, v2, s9
	s_lshl_b64 s[10:11], 1, s9
	s_min_i32 s8, s8, s12
	s_andn2_b64 s[2:3], s[2:3], s[10:11]
	s_cmp_lg_u64 s[2:3], 0
	s_cbranch_scc1 .LBB62_326
; %bb.327:
	v_mbcnt_lo_u32_b32 v0, exec_lo, 0
	v_mbcnt_hi_u32_b32 v0, exec_hi, v0
	v_cmp_eq_u32_e32 vcc, 0, v0
	s_and_saveexec_b64 s[2:3], vcc
	s_xor_b64 s[2:3], exec, s[2:3]
; %bb.328:
	v_mov_b32_e32 v0, 0
	v_mov_b32_e32 v1, s8
	ds_min_i32 v0, v1 offset:5140
.LBB62_329:
	s_or_b64 exec, exec, s[6:7]
	s_waitcnt lgkmcnt(0)
	s_barrier
	s_mov_b64 s[2:3], exec
	v_readlane_b32 s6, v73, 32
	v_readlane_b32 s7, v73, 33
	s_and_b64 s[6:7], s[2:3], s[6:7]
	s_mov_b64 exec, s[6:7]
	s_cbranch_execz .LBB62_331
; %bb.330:
	s_mul_i32 s6, s34, s31
	s_mul_hi_u32 s7, s34, s30
	s_add_i32 s6, s7, s6
	s_mul_i32 s7, s35, s30
	s_add_i32 s6, s6, s7
	s_mul_i32 s7, s34, s30
	v_readlane_b32 s10, v73, 8
	s_sub_u32 s8, s26, s7
	v_readlane_b32 s11, v73, 9
	s_subb_u32 s6, 0, s6
	s_mul_i32 s7, s8, s11
	s_mul_hi_u32 s9, s8, s10
	v_readlane_b32 s12, v73, 0
	s_add_i32 s7, s9, s7
	s_mul_i32 s6, s6, s10
	v_readlane_b32 s13, v73, 1
	v_readlane_b32 s18, v73, 6
	s_add_i32 s7, s7, s6
	s_mul_i32 s6, s8, s10
	v_readlane_b32 s19, v73, 7
	s_mul_i32 s8, s18, s13
	s_mul_hi_u32 s9, s18, s12
	s_add_i32 s8, s9, s8
	s_mul_i32 s9, s19, s12
	s_add_i32 s8, s8, s9
	s_mul_i32 s9, s18, s12
	v_readlane_b32 s16, v73, 4
	v_readlane_b32 s20, v73, 16
	;; [unrolled: 1-line block ×3, first 2 shown]
	s_sub_u32 s10, s16, s9
	v_readlane_b32 s22, v73, 18
	v_readlane_b32 s23, v73, 19
	s_subb_u32 s8, s17, s8
	s_mul_i32 s9, s10, s23
	s_mul_hi_u32 s11, s10, s22
	v_readlane_b32 s14, v73, 2
	v_readlane_b32 s15, v73, 3
	;; [unrolled: 1-line block ×3, first 2 shown]
	s_add_i32 s9, s11, s9
	s_mul_i32 s8, s8, s22
	s_add_i32 s9, s9, s8
	s_mul_i32 s8, s10, s22
	s_mul_i32 s10, s18, s21
	s_mul_hi_u32 s11, s18, s20
	s_mul_i32 s12, s16, s15
	s_mul_hi_u32 s13, s16, s14
	s_add_i32 s10, s11, s10
	s_mul_i32 s11, s19, s20
	s_add_i32 s12, s13, s12
	s_mul_i32 s13, s17, s14
	s_add_i32 s11, s10, s11
	s_add_i32 s12, s12, s13
	s_mul_i32 s13, s16, s14
	v_readlane_b32 s16, v73, 14
	s_sub_u32 s14, s26, s13
	v_readlane_b32 s17, v73, 15
	s_subb_u32 s12, 0, s12
	s_mul_i32 s13, s14, s17
	s_mul_hi_u32 s15, s14, s16
	s_mul_i32 s10, s18, s20
	s_add_i32 s13, s15, s13
	s_mul_i32 s12, s12, s16
	v_readlane_b32 s18, v73, 20
	s_add_i32 s13, s13, s12
	s_mul_i32 s12, s14, s16
	v_readlane_b32 s19, v73, 21
	s_mul_i32 s14, s18, s29
	s_mul_hi_u32 s15, s18, s28
	s_add_i32 s14, s15, s14
	s_mul_i32 s15, s19, s28
	s_add_i32 s14, s14, s15
	s_mul_i32 s15, s18, s28
	v_readlane_b32 s20, v73, 10
	s_sub_u32 s16, s34, s15
	v_readlane_b32 s22, v73, 12
	v_readlane_b32 s23, v73, 13
	s_subb_u32 s14, s35, s14
	s_mul_i32 s15, s16, s23
	s_mul_hi_u32 s17, s16, s22
	v_readlane_b32 s21, v73, 11
	s_add_i32 s15, s17, s15
	s_mul_i32 s14, s14, s22
	s_add_i32 s15, s15, s14
	s_mul_i32 s14, s16, s22
	s_mul_i32 s16, s18, s21
	s_mul_hi_u32 s17, s18, s20
	s_add_i32 s16, s17, s16
	s_mul_i32 s17, s19, s20
	s_add_i32 s17, s16, s17
	s_mul_i32 s16, s18, s20
	s_lshl_b64 s[10:11], s[10:11], 1
	v_readlane_b32 s18, v73, 30
	v_readlane_b32 s19, v73, 31
	s_add_u32 s10, s18, s10
	s_addc_u32 s11, s19, s11
	s_lshl_b64 s[8:9], s[8:9], 1
	s_add_u32 s10, s10, s8
	s_addc_u32 s11, s11, s9
	s_lshl_b64 s[8:9], s[12:13], 1
	;; [unrolled: 3-line block ×3, first 2 shown]
	v_readlane_b32 s12, v73, 28
	v_mov_b32_e32 v2, 0
	v_readlane_b32 s13, v73, 29
	s_add_u32 s12, s12, s10
	ds_read_b32 v0, v2 offset:5140
	s_addc_u32 s13, s13, s11
	s_lshl_b64 s[10:11], s[14:15], 3
	s_add_u32 s10, s12, s10
	s_addc_u32 s11, s13, s11
	s_lshl_b64 s[6:7], s[6:7], 3
	s_add_u32 s6, s10, s6
	s_addc_u32 s7, s11, s7
	s_waitcnt lgkmcnt(0)
	v_ashrrev_i32_e32 v1, 31, v0
	global_store_dwordx2 v2, v[0:1], s[6:7]
	global_store_short v2, v53, s[8:9]
.LBB62_331:
	s_or_b64 exec, exec, s[2:3]
.LBB62_332:
	s_or_saveexec_b64 s[2:3], s[4:5]
	s_mov_b64 s[4:5], 0
	s_xor_b64 exec, exec, s[2:3]
	s_cbranch_execnz .LBB62_335
.LBB62_333:
	s_or_b64 exec, exec, s[2:3]
	s_and_b64 s[2:3], s[4:5], exec
	s_andn2_saveexec_b64 s[0:1], s[0:1]
	s_cbranch_execz .LBB62_309
.LBB62_334:
	s_or_b64 s[2:3], s[2:3], exec
	s_trap 2
	s_or_b64 exec, exec, s[0:1]
	s_and_saveexec_b64 s[0:1], s[2:3]
	s_cbranch_execnz .LBB62_310
	s_branch .LBB62_311
.LBB62_335:
	s_mov_b64 s[4:5], exec
	s_trap 2
	s_branch .LBB62_333
	.section	.rodata,"a",@progbits
	.p2align	6, 0x0
	.amdhsa_kernel _ZN2at6native12_GLOBAL__N_114gatherKthValueIN3c104HalfElLi3EEEvNS_4cuda6detail10TensorInfoIKT_T0_EESA_SA_SA_SA_NS7_IS8_SA_EENS7_IlSA_EE
		.amdhsa_group_segment_fixed_size 5144
		.amdhsa_private_segment_fixed_size 0
		.amdhsa_kernarg_size 1536
		.amdhsa_user_sgpr_count 2
		.amdhsa_user_sgpr_dispatch_ptr 0
		.amdhsa_user_sgpr_queue_ptr 0
		.amdhsa_user_sgpr_kernarg_segment_ptr 1
		.amdhsa_user_sgpr_dispatch_id 0
		.amdhsa_user_sgpr_kernarg_preload_length 0
		.amdhsa_user_sgpr_kernarg_preload_offset 0
		.amdhsa_user_sgpr_private_segment_size 0
		.amdhsa_uses_dynamic_stack 0
		.amdhsa_enable_private_segment 0
		.amdhsa_system_sgpr_workgroup_id_x 1
		.amdhsa_system_sgpr_workgroup_id_y 1
		.amdhsa_system_sgpr_workgroup_id_z 1
		.amdhsa_system_sgpr_workgroup_info 0
		.amdhsa_system_vgpr_workitem_id 0
		.amdhsa_next_free_vgpr 74
		.amdhsa_next_free_sgpr 100
		.amdhsa_accum_offset 76
		.amdhsa_reserve_vcc 1
		.amdhsa_float_round_mode_32 0
		.amdhsa_float_round_mode_16_64 0
		.amdhsa_float_denorm_mode_32 3
		.amdhsa_float_denorm_mode_16_64 3
		.amdhsa_dx10_clamp 1
		.amdhsa_ieee_mode 1
		.amdhsa_fp16_overflow 0
		.amdhsa_tg_split 0
		.amdhsa_exception_fp_ieee_invalid_op 0
		.amdhsa_exception_fp_denorm_src 0
		.amdhsa_exception_fp_ieee_div_zero 0
		.amdhsa_exception_fp_ieee_overflow 0
		.amdhsa_exception_fp_ieee_underflow 0
		.amdhsa_exception_fp_ieee_inexact 0
		.amdhsa_exception_int_div_zero 0
	.end_amdhsa_kernel
	.section	.text._ZN2at6native12_GLOBAL__N_114gatherKthValueIN3c104HalfElLi3EEEvNS_4cuda6detail10TensorInfoIKT_T0_EESA_SA_SA_SA_NS7_IS8_SA_EENS7_IlSA_EE,"axG",@progbits,_ZN2at6native12_GLOBAL__N_114gatherKthValueIN3c104HalfElLi3EEEvNS_4cuda6detail10TensorInfoIKT_T0_EESA_SA_SA_SA_NS7_IS8_SA_EENS7_IlSA_EE,comdat
.Lfunc_end62:
	.size	_ZN2at6native12_GLOBAL__N_114gatherKthValueIN3c104HalfElLi3EEEvNS_4cuda6detail10TensorInfoIKT_T0_EESA_SA_SA_SA_NS7_IS8_SA_EENS7_IlSA_EE, .Lfunc_end62-_ZN2at6native12_GLOBAL__N_114gatherKthValueIN3c104HalfElLi3EEEvNS_4cuda6detail10TensorInfoIKT_T0_EESA_SA_SA_SA_NS7_IS8_SA_EENS7_IlSA_EE
                                        ; -- End function
	.set _ZN2at6native12_GLOBAL__N_114gatherKthValueIN3c104HalfElLi3EEEvNS_4cuda6detail10TensorInfoIKT_T0_EESA_SA_SA_SA_NS7_IS8_SA_EENS7_IlSA_EE.num_vgpr, 74
	.set _ZN2at6native12_GLOBAL__N_114gatherKthValueIN3c104HalfElLi3EEEvNS_4cuda6detail10TensorInfoIKT_T0_EESA_SA_SA_SA_NS7_IS8_SA_EENS7_IlSA_EE.num_agpr, 0
	.set _ZN2at6native12_GLOBAL__N_114gatherKthValueIN3c104HalfElLi3EEEvNS_4cuda6detail10TensorInfoIKT_T0_EESA_SA_SA_SA_NS7_IS8_SA_EENS7_IlSA_EE.numbered_sgpr, 100
	.set _ZN2at6native12_GLOBAL__N_114gatherKthValueIN3c104HalfElLi3EEEvNS_4cuda6detail10TensorInfoIKT_T0_EESA_SA_SA_SA_NS7_IS8_SA_EENS7_IlSA_EE.num_named_barrier, 0
	.set _ZN2at6native12_GLOBAL__N_114gatherKthValueIN3c104HalfElLi3EEEvNS_4cuda6detail10TensorInfoIKT_T0_EESA_SA_SA_SA_NS7_IS8_SA_EENS7_IlSA_EE.private_seg_size, 0
	.set _ZN2at6native12_GLOBAL__N_114gatherKthValueIN3c104HalfElLi3EEEvNS_4cuda6detail10TensorInfoIKT_T0_EESA_SA_SA_SA_NS7_IS8_SA_EENS7_IlSA_EE.uses_vcc, 1
	.set _ZN2at6native12_GLOBAL__N_114gatherKthValueIN3c104HalfElLi3EEEvNS_4cuda6detail10TensorInfoIKT_T0_EESA_SA_SA_SA_NS7_IS8_SA_EENS7_IlSA_EE.uses_flat_scratch, 0
	.set _ZN2at6native12_GLOBAL__N_114gatherKthValueIN3c104HalfElLi3EEEvNS_4cuda6detail10TensorInfoIKT_T0_EESA_SA_SA_SA_NS7_IS8_SA_EENS7_IlSA_EE.has_dyn_sized_stack, 0
	.set _ZN2at6native12_GLOBAL__N_114gatherKthValueIN3c104HalfElLi3EEEvNS_4cuda6detail10TensorInfoIKT_T0_EESA_SA_SA_SA_NS7_IS8_SA_EENS7_IlSA_EE.has_recursion, 0
	.set _ZN2at6native12_GLOBAL__N_114gatherKthValueIN3c104HalfElLi3EEEvNS_4cuda6detail10TensorInfoIKT_T0_EESA_SA_SA_SA_NS7_IS8_SA_EENS7_IlSA_EE.has_indirect_call, 0
	.section	.AMDGPU.csdata,"",@progbits
; Kernel info:
; codeLenInByte = 22180
; TotalNumSgprs: 106
; NumVgprs: 74
; NumAgprs: 0
; TotalNumVgprs: 74
; ScratchSize: 0
; MemoryBound: 0
; FloatMode: 240
; IeeeMode: 1
; LDSByteSize: 5144 bytes/workgroup (compile time only)
; SGPRBlocks: 13
; VGPRBlocks: 9
; NumSGPRsForWavesPerEU: 106
; NumVGPRsForWavesPerEU: 74
; AccumOffset: 76
; Occupancy: 6
; WaveLimiterHint : 1
; COMPUTE_PGM_RSRC2:SCRATCH_EN: 0
; COMPUTE_PGM_RSRC2:USER_SGPR: 2
; COMPUTE_PGM_RSRC2:TRAP_HANDLER: 0
; COMPUTE_PGM_RSRC2:TGID_X_EN: 1
; COMPUTE_PGM_RSRC2:TGID_Y_EN: 1
; COMPUTE_PGM_RSRC2:TGID_Z_EN: 1
; COMPUTE_PGM_RSRC2:TIDIG_COMP_CNT: 0
; COMPUTE_PGM_RSRC3_GFX90A:ACCUM_OFFSET: 18
; COMPUTE_PGM_RSRC3_GFX90A:TG_SPLIT: 0
	.section	.text._ZN2at6native12_GLOBAL__N_114gatherKthValueIN3c104HalfElLin1EEEvNS_4cuda6detail10TensorInfoIKT_T0_EESA_SA_SA_SA_NS7_IS8_SA_EENS7_IlSA_EE,"axG",@progbits,_ZN2at6native12_GLOBAL__N_114gatherKthValueIN3c104HalfElLin1EEEvNS_4cuda6detail10TensorInfoIKT_T0_EESA_SA_SA_SA_NS7_IS8_SA_EENS7_IlSA_EE,comdat
	.globl	_ZN2at6native12_GLOBAL__N_114gatherKthValueIN3c104HalfElLin1EEEvNS_4cuda6detail10TensorInfoIKT_T0_EESA_SA_SA_SA_NS7_IS8_SA_EENS7_IlSA_EE ; -- Begin function _ZN2at6native12_GLOBAL__N_114gatherKthValueIN3c104HalfElLin1EEEvNS_4cuda6detail10TensorInfoIKT_T0_EESA_SA_SA_SA_NS7_IS8_SA_EENS7_IlSA_EE
	.p2align	8
	.type	_ZN2at6native12_GLOBAL__N_114gatherKthValueIN3c104HalfElLin1EEEvNS_4cuda6detail10TensorInfoIKT_T0_EESA_SA_SA_SA_NS7_IS8_SA_EENS7_IlSA_EE,@function
_ZN2at6native12_GLOBAL__N_114gatherKthValueIN3c104HalfElLin1EEEvNS_4cuda6detail10TensorInfoIKT_T0_EESA_SA_SA_SA_NS7_IS8_SA_EENS7_IlSA_EE: ; @_ZN2at6native12_GLOBAL__N_114gatherKthValueIN3c104HalfElLin1EEEvNS_4cuda6detail10TensorInfoIKT_T0_EESA_SA_SA_SA_NS7_IS8_SA_EENS7_IlSA_EE
; %bb.0:
	s_load_dwordx2 s[12:13], s[0:1], 0x500
	s_load_dwordx8 s[56:63], s[0:1], 0x1a0
	s_add_u32 s10, s0, 0x500
	s_addc_u32 s11, s1, 0
	s_mov_b32 s7, 0
	s_waitcnt lgkmcnt(0)
	s_mul_i32 s4, s13, s4
	s_add_i32 s3, s4, s3
	s_mul_i32 s3, s3, s12
	s_add_i32 s6, s3, s2
	v_mov_b64_e32 v[2:3], s[6:7]
	v_cmp_le_i64_e32 vcc, s[60:61], v[2:3]
	s_cbranch_vccnz .LBB63_307
; %bb.1:
	s_load_dword s13, s[0:1], 0x198
	s_mov_b64 s[4:5], 0
	s_mov_b64 s[8:9], s[6:7]
	s_waitcnt lgkmcnt(0)
	s_cmp_lt_i32 s13, 2
	s_cbranch_scc1 .LBB63_9
; %bb.2:
	s_mov_b32 s14, 0
	s_add_i32 s4, s13, -1
	s_mov_b32 s5, s14
	s_add_i32 s3, s13, 1
	s_lshl_b64 s[4:5], s[4:5], 3
	s_add_u32 s4, s0, s4
	s_addc_u32 s5, s1, s5
	s_add_u32 s16, s4, 8
	s_addc_u32 s17, s5, 0
	s_mov_b64 s[4:5], 0
	s_mov_b64 s[18:19], s[6:7]
.LBB63_3:                               ; =>This Inner Loop Header: Depth=1
	s_load_dwordx2 s[20:21], s[16:17], 0x0
	s_waitcnt lgkmcnt(0)
	s_or_b64 s[8:9], s[18:19], s[20:21]
	s_mov_b32 s15, s9
	s_cmp_lg_u64 s[14:15], 0
	s_cbranch_scc0 .LBB63_8
; %bb.4:                                ;   in Loop: Header=BB63_3 Depth=1
	s_ashr_i32 s8, s21, 31
	s_add_u32 s22, s20, s8
	s_mov_b32 s9, s8
	s_addc_u32 s23, s21, s8
	s_xor_b64 s[22:23], s[22:23], s[8:9]
	v_cvt_f32_u32_e32 v1, s22
	v_cvt_f32_u32_e32 v2, s23
	s_sub_u32 s13, 0, s22
	s_subb_u32 s15, 0, s23
	v_fmac_f32_e32 v1, 0x4f800000, v2
	v_rcp_f32_e32 v1, v1
	s_nop 0
	v_mul_f32_e32 v1, 0x5f7ffffc, v1
	v_mul_f32_e32 v2, 0x2f800000, v1
	v_trunc_f32_e32 v2, v2
	v_fmac_f32_e32 v1, 0xcf800000, v2
	v_cvt_u32_f32_e32 v2, v2
	v_cvt_u32_f32_e32 v1, v1
	v_readfirstlane_b32 s26, v2
	v_readfirstlane_b32 s24, v1
	s_mul_i32 s25, s13, s26
	s_mul_hi_u32 s28, s13, s24
	s_mul_i32 s27, s15, s24
	s_add_i32 s25, s28, s25
	s_add_i32 s25, s25, s27
	s_mul_i32 s29, s13, s24
	s_mul_i32 s28, s24, s25
	s_mul_hi_u32 s30, s24, s29
	s_mul_hi_u32 s27, s24, s25
	s_add_u32 s28, s30, s28
	s_addc_u32 s27, 0, s27
	s_mul_hi_u32 s31, s26, s29
	s_mul_i32 s29, s26, s29
	s_add_u32 s28, s28, s29
	s_mul_hi_u32 s30, s26, s25
	s_addc_u32 s27, s27, s31
	s_addc_u32 s28, s30, 0
	s_mul_i32 s25, s26, s25
	s_add_u32 s25, s27, s25
	s_addc_u32 s27, 0, s28
	s_add_u32 s28, s24, s25
	s_cselect_b64 s[24:25], -1, 0
	s_cmp_lg_u64 s[24:25], 0
	s_addc_u32 s26, s26, s27
	s_mul_i32 s24, s13, s26
	s_mul_hi_u32 s25, s13, s28
	s_add_i32 s24, s25, s24
	s_mul_i32 s15, s15, s28
	s_add_i32 s24, s24, s15
	s_mul_i32 s13, s13, s28
	s_mul_hi_u32 s25, s26, s13
	s_mul_i32 s27, s26, s13
	s_mul_i32 s30, s28, s24
	s_mul_hi_u32 s13, s28, s13
	s_mul_hi_u32 s29, s28, s24
	s_add_u32 s13, s13, s30
	s_addc_u32 s29, 0, s29
	s_add_u32 s13, s13, s27
	s_mul_hi_u32 s15, s26, s24
	s_addc_u32 s13, s29, s25
	s_addc_u32 s15, s15, 0
	s_mul_i32 s24, s26, s24
	s_add_u32 s13, s13, s24
	s_addc_u32 s15, 0, s15
	s_add_u32 s13, s28, s13
	s_cselect_b64 s[24:25], -1, 0
	s_cmp_lg_u64 s[24:25], 0
	s_addc_u32 s15, s26, s15
	s_ashr_i32 s24, s19, 31
	s_add_u32 s26, s18, s24
	s_mov_b32 s25, s24
	s_addc_u32 s27, s19, s24
	s_xor_b64 s[26:27], s[26:27], s[24:25]
	s_mul_i32 s29, s26, s15
	s_mul_hi_u32 s30, s26, s13
	s_mul_hi_u32 s28, s26, s15
	s_add_u32 s29, s30, s29
	s_addc_u32 s28, 0, s28
	s_mul_hi_u32 s31, s27, s13
	s_mul_i32 s13, s27, s13
	s_add_u32 s13, s29, s13
	s_mul_hi_u32 s30, s27, s15
	s_addc_u32 s13, s28, s31
	s_addc_u32 s28, s30, 0
	s_mul_i32 s15, s27, s15
	s_add_u32 s13, s13, s15
	s_addc_u32 s15, 0, s28
	s_mul_i32 s28, s22, s15
	s_mul_hi_u32 s29, s22, s13
	s_add_i32 s28, s29, s28
	s_mul_i32 s29, s23, s13
	s_add_i32 s33, s28, s29
	s_sub_i32 s30, s27, s33
	s_mul_i32 s28, s22, s13
	s_sub_u32 s26, s26, s28
	s_cselect_b64 s[28:29], -1, 0
	s_cmp_lg_u64 s[28:29], 0
	s_subb_u32 s34, s30, s23
	s_sub_u32 s35, s26, s22
	s_cselect_b64 s[30:31], -1, 0
	s_cmp_lg_u64 s[30:31], 0
	s_subb_u32 s30, s34, 0
	s_cmp_ge_u32 s30, s23
	s_cselect_b32 s31, -1, 0
	s_cmp_ge_u32 s35, s22
	s_cselect_b32 s34, -1, 0
	s_cmp_eq_u32 s30, s23
	s_cselect_b32 s30, s34, s31
	s_add_u32 s31, s13, 1
	s_addc_u32 s34, s15, 0
	s_add_u32 s35, s13, 2
	s_addc_u32 s36, s15, 0
	s_cmp_lg_u32 s30, 0
	s_cselect_b32 s30, s35, s31
	s_cselect_b32 s31, s36, s34
	s_cmp_lg_u64 s[28:29], 0
	s_subb_u32 s27, s27, s33
	s_cmp_ge_u32 s27, s23
	s_cselect_b32 s28, -1, 0
	s_cmp_ge_u32 s26, s22
	s_cselect_b32 s22, -1, 0
	s_cmp_eq_u32 s27, s23
	s_cselect_b32 s22, s22, s28
	s_cmp_lg_u32 s22, 0
	s_cselect_b32 s23, s31, s15
	s_cselect_b32 s22, s30, s13
	s_xor_b64 s[8:9], s[24:25], s[8:9]
	s_xor_b64 s[22:23], s[22:23], s[8:9]
	s_sub_u32 s8, s22, s8
	s_subb_u32 s9, s23, s9
	s_cbranch_execnz .LBB63_6
.LBB63_5:                               ;   in Loop: Header=BB63_3 Depth=1
	v_cvt_f32_u32_e32 v1, s20
	s_sub_i32 s8, 0, s20
	v_rcp_iflag_f32_e32 v1, v1
	s_nop 0
	v_mul_f32_e32 v1, 0x4f7ffffe, v1
	v_cvt_u32_f32_e32 v1, v1
	s_nop 0
	v_readfirstlane_b32 s9, v1
	s_mul_i32 s8, s8, s9
	s_mul_hi_u32 s8, s9, s8
	s_add_i32 s9, s9, s8
	s_mul_hi_u32 s8, s18, s9
	s_mul_i32 s13, s8, s20
	s_sub_i32 s13, s18, s13
	s_add_i32 s9, s8, 1
	s_sub_i32 s15, s13, s20
	s_cmp_ge_u32 s13, s20
	s_cselect_b32 s8, s9, s8
	s_cselect_b32 s13, s15, s13
	s_add_i32 s9, s8, 1
	s_cmp_ge_u32 s13, s20
	s_cselect_b32 s8, s9, s8
	s_mov_b32 s9, s14
.LBB63_6:                               ;   in Loop: Header=BB63_3 Depth=1
	s_mul_i32 s13, s8, s21
	s_mul_hi_u32 s15, s8, s20
	s_load_dwordx2 s[22:23], s[16:17], 0xc8
	s_add_i32 s13, s15, s13
	s_mul_i32 s15, s9, s20
	s_add_i32 s13, s13, s15
	s_mul_i32 s15, s8, s20
	s_sub_u32 s15, s18, s15
	s_subb_u32 s13, s19, s13
	s_waitcnt lgkmcnt(0)
	s_mul_i32 s13, s22, s13
	s_mul_hi_u32 s18, s22, s15
	s_add_i32 s13, s18, s13
	s_mul_i32 s18, s23, s15
	s_add_i32 s13, s13, s18
	s_mul_i32 s15, s22, s15
	s_add_u32 s4, s15, s4
	s_addc_u32 s5, s13, s5
	s_add_i32 s3, s3, -1
	s_add_u32 s16, s16, -8
	s_addc_u32 s17, s17, -1
	s_cmp_gt_u32 s3, 2
	s_cbranch_scc0 .LBB63_9
; %bb.7:                                ;   in Loop: Header=BB63_3 Depth=1
	s_mov_b64 s[18:19], s[8:9]
	s_branch .LBB63_3
.LBB63_8:                               ;   in Loop: Header=BB63_3 Depth=1
                                        ; implicit-def: $sgpr8_sgpr9
	s_branch .LBB63_5
.LBB63_9:
	s_load_dword s13, s[0:1], 0x358
	s_load_dwordx2 s[14:15], s[0:1], 0xd0
	s_add_u32 s16, s0, 0x1c0
	s_addc_u32 s17, s1, 0
	s_mov_b64 s[60:61], 0
	s_waitcnt lgkmcnt(0)
	s_cmp_lt_i32 s13, 2
	s_mov_b64 s[28:29], s[6:7]
	s_cbranch_scc1 .LBB63_17
; %bb.10:
	s_mov_b32 s18, 0
	s_add_i32 s20, s13, -1
	s_mov_b32 s21, s18
	s_add_i32 s3, s13, 1
	s_lshl_b64 s[20:21], s[20:21], 3
	s_add_u32 s13, s16, s20
	s_addc_u32 s19, s17, s21
	s_add_u32 s20, s13, 8
	s_addc_u32 s21, s19, 0
	s_mov_b64 s[22:23], s[6:7]
.LBB63_11:                              ; =>This Inner Loop Header: Depth=1
	s_load_dwordx2 s[24:25], s[20:21], 0x0
	s_waitcnt lgkmcnt(0)
	s_or_b64 s[26:27], s[22:23], s[24:25]
	s_mov_b32 s19, s27
	s_cmp_lg_u64 s[18:19], 0
	s_cbranch_scc0 .LBB63_16
; %bb.12:                               ;   in Loop: Header=BB63_11 Depth=1
	s_ashr_i32 s26, s25, 31
	s_add_u32 s28, s24, s26
	s_mov_b32 s27, s26
	s_addc_u32 s29, s25, s26
	s_xor_b64 s[28:29], s[28:29], s[26:27]
	v_cvt_f32_u32_e32 v1, s28
	v_cvt_f32_u32_e32 v2, s29
	s_sub_u32 s13, 0, s28
	s_subb_u32 s19, 0, s29
	v_fmac_f32_e32 v1, 0x4f800000, v2
	v_rcp_f32_e32 v1, v1
	s_nop 0
	v_mul_f32_e32 v1, 0x5f7ffffc, v1
	v_mul_f32_e32 v2, 0x2f800000, v1
	v_trunc_f32_e32 v2, v2
	v_fmac_f32_e32 v1, 0xcf800000, v2
	v_cvt_u32_f32_e32 v2, v2
	v_cvt_u32_f32_e32 v1, v1
	v_readfirstlane_b32 s33, v2
	v_readfirstlane_b32 s30, v1
	s_mul_i32 s31, s13, s33
	s_mul_hi_u32 s35, s13, s30
	s_mul_i32 s34, s19, s30
	s_add_i32 s31, s35, s31
	s_add_i32 s31, s31, s34
	s_mul_i32 s36, s13, s30
	s_mul_i32 s35, s30, s31
	s_mul_hi_u32 s37, s30, s36
	s_mul_hi_u32 s34, s30, s31
	s_add_u32 s35, s37, s35
	s_addc_u32 s34, 0, s34
	s_mul_hi_u32 s38, s33, s36
	s_mul_i32 s36, s33, s36
	s_add_u32 s35, s35, s36
	s_mul_hi_u32 s37, s33, s31
	s_addc_u32 s34, s34, s38
	s_addc_u32 s35, s37, 0
	s_mul_i32 s31, s33, s31
	s_add_u32 s31, s34, s31
	s_addc_u32 s34, 0, s35
	s_add_u32 s35, s30, s31
	s_cselect_b64 s[30:31], -1, 0
	s_cmp_lg_u64 s[30:31], 0
	s_addc_u32 s33, s33, s34
	s_mul_i32 s30, s13, s33
	s_mul_hi_u32 s31, s13, s35
	s_add_i32 s30, s31, s30
	s_mul_i32 s19, s19, s35
	s_add_i32 s30, s30, s19
	s_mul_i32 s13, s13, s35
	s_mul_hi_u32 s31, s33, s13
	s_mul_i32 s34, s33, s13
	s_mul_i32 s37, s35, s30
	s_mul_hi_u32 s13, s35, s13
	s_mul_hi_u32 s36, s35, s30
	s_add_u32 s13, s13, s37
	s_addc_u32 s36, 0, s36
	s_add_u32 s13, s13, s34
	s_mul_hi_u32 s19, s33, s30
	s_addc_u32 s13, s36, s31
	s_addc_u32 s19, s19, 0
	s_mul_i32 s30, s33, s30
	s_add_u32 s13, s13, s30
	s_addc_u32 s19, 0, s19
	s_add_u32 s13, s35, s13
	s_cselect_b64 s[30:31], -1, 0
	s_cmp_lg_u64 s[30:31], 0
	s_addc_u32 s19, s33, s19
	s_ashr_i32 s30, s23, 31
	s_add_u32 s34, s22, s30
	s_mov_b32 s31, s30
	s_addc_u32 s35, s23, s30
	s_xor_b64 s[34:35], s[34:35], s[30:31]
	s_mul_i32 s36, s34, s19
	s_mul_hi_u32 s37, s34, s13
	s_mul_hi_u32 s33, s34, s19
	s_add_u32 s36, s37, s36
	s_addc_u32 s33, 0, s33
	s_mul_hi_u32 s38, s35, s13
	s_mul_i32 s13, s35, s13
	s_add_u32 s13, s36, s13
	s_mul_hi_u32 s37, s35, s19
	s_addc_u32 s13, s33, s38
	s_addc_u32 s33, s37, 0
	s_mul_i32 s19, s35, s19
	s_add_u32 s13, s13, s19
	s_addc_u32 s19, 0, s33
	s_mul_i32 s33, s28, s19
	s_mul_hi_u32 s36, s28, s13
	s_add_i32 s33, s36, s33
	s_mul_i32 s36, s29, s13
	s_add_i32 s33, s33, s36
	s_sub_i32 s38, s35, s33
	s_mul_i32 s36, s28, s13
	s_sub_u32 s34, s34, s36
	s_cselect_b64 s[36:37], -1, 0
	s_cmp_lg_u64 s[36:37], 0
	s_subb_u32 s40, s38, s29
	s_sub_u32 s41, s34, s28
	s_cselect_b64 s[38:39], -1, 0
	s_cmp_lg_u64 s[38:39], 0
	s_subb_u32 s38, s40, 0
	s_cmp_ge_u32 s38, s29
	s_cselect_b32 s39, -1, 0
	s_cmp_ge_u32 s41, s28
	s_cselect_b32 s40, -1, 0
	s_cmp_eq_u32 s38, s29
	s_cselect_b32 s38, s40, s39
	s_add_u32 s39, s13, 1
	s_addc_u32 s40, s19, 0
	s_add_u32 s41, s13, 2
	s_addc_u32 s42, s19, 0
	s_cmp_lg_u32 s38, 0
	s_cselect_b32 s38, s41, s39
	s_cselect_b32 s39, s42, s40
	s_cmp_lg_u64 s[36:37], 0
	s_subb_u32 s33, s35, s33
	s_cmp_ge_u32 s33, s29
	s_cselect_b32 s35, -1, 0
	s_cmp_ge_u32 s34, s28
	s_cselect_b32 s28, -1, 0
	s_cmp_eq_u32 s33, s29
	s_cselect_b32 s28, s28, s35
	s_cmp_lg_u32 s28, 0
	s_cselect_b32 s29, s39, s19
	s_cselect_b32 s28, s38, s13
	s_xor_b64 s[26:27], s[30:31], s[26:27]
	s_xor_b64 s[28:29], s[28:29], s[26:27]
	s_sub_u32 s28, s28, s26
	s_subb_u32 s29, s29, s27
	s_cbranch_execnz .LBB63_14
.LBB63_13:                              ;   in Loop: Header=BB63_11 Depth=1
	v_cvt_f32_u32_e32 v1, s24
	s_sub_i32 s13, 0, s24
	s_mov_b32 s29, s18
	v_rcp_iflag_f32_e32 v1, v1
	s_nop 0
	v_mul_f32_e32 v1, 0x4f7ffffe, v1
	v_cvt_u32_f32_e32 v1, v1
	s_nop 0
	v_readfirstlane_b32 s19, v1
	s_mul_i32 s13, s13, s19
	s_mul_hi_u32 s13, s19, s13
	s_add_i32 s19, s19, s13
	s_mul_hi_u32 s13, s22, s19
	s_mul_i32 s26, s13, s24
	s_sub_i32 s26, s22, s26
	s_add_i32 s19, s13, 1
	s_sub_i32 s27, s26, s24
	s_cmp_ge_u32 s26, s24
	s_cselect_b32 s13, s19, s13
	s_cselect_b32 s26, s27, s26
	s_add_i32 s19, s13, 1
	s_cmp_ge_u32 s26, s24
	s_cselect_b32 s28, s19, s13
.LBB63_14:                              ;   in Loop: Header=BB63_11 Depth=1
	s_mul_i32 s13, s28, s25
	s_mul_hi_u32 s19, s28, s24
	s_load_dwordx2 s[26:27], s[20:21], 0xc8
	s_add_i32 s13, s19, s13
	s_mul_i32 s19, s29, s24
	s_add_i32 s13, s13, s19
	s_mul_i32 s19, s28, s24
	s_sub_u32 s19, s22, s19
	s_subb_u32 s13, s23, s13
	s_waitcnt lgkmcnt(0)
	s_mul_i32 s13, s26, s13
	s_mul_hi_u32 s22, s26, s19
	s_add_i32 s13, s22, s13
	s_mul_i32 s22, s27, s19
	s_add_i32 s13, s13, s22
	s_mul_i32 s19, s26, s19
	s_add_u32 s60, s19, s60
	s_addc_u32 s61, s13, s61
	s_add_i32 s3, s3, -1
	s_add_u32 s20, s20, -8
	s_addc_u32 s21, s21, -1
	s_cmp_gt_u32 s3, 2
	s_cbranch_scc0 .LBB63_17
; %bb.15:                               ;   in Loop: Header=BB63_11 Depth=1
	s_mov_b64 s[22:23], s[28:29]
	s_branch .LBB63_11
.LBB63_16:                              ;   in Loop: Header=BB63_11 Depth=1
                                        ; implicit-def: $sgpr28_sgpr29
	s_branch .LBB63_13
.LBB63_17:
	s_load_dword s18, s[0:1], 0x4f8
	s_load_dwordx2 s[20:21], s[16:17], 0xd0
                                        ; implicit-def: $vgpr72 : SGPR spill to VGPR lane
	s_add_u32 s13, s0, 0x360
	v_writelane_b32 v72, s28, 0
                                        ; kill: killed $sgpr16 killed $sgpr17
	s_addc_u32 s17, s1, 0
	s_waitcnt lgkmcnt(0)
	s_cmp_lt_i32 s18, 2
	v_writelane_b32 v72, s29, 1
	v_writelane_b32 v72, s20, 2
	s_mov_b64 s[66:67], 0
	s_nop 0
	v_writelane_b32 v72, s21, 3
	s_cbranch_scc1 .LBB63_25
; %bb.18:
	s_mov_b32 s16, 0
	s_add_i32 s3, s18, 1
	s_add_i32 s18, s18, -1
	s_mov_b32 s19, s16
	s_lshl_b64 s[18:19], s[18:19], 3
	s_add_u32 s13, s13, s18
	s_addc_u32 s17, s17, s19
	s_add_u32 s18, s13, 8
	s_addc_u32 s19, s17, 0
.LBB63_19:                              ; =>This Inner Loop Header: Depth=1
	s_load_dwordx2 s[20:21], s[18:19], 0x0
	s_waitcnt lgkmcnt(0)
	s_or_b64 s[22:23], s[6:7], s[20:21]
	s_mov_b32 s17, s23
	s_cmp_lg_u64 s[16:17], 0
	s_cbranch_scc0 .LBB63_24
; %bb.20:                               ;   in Loop: Header=BB63_19 Depth=1
	s_ashr_i32 s22, s21, 31
	s_add_u32 s24, s20, s22
	s_mov_b32 s23, s22
	s_addc_u32 s25, s21, s22
	s_xor_b64 s[24:25], s[24:25], s[22:23]
	v_cvt_f32_u32_e32 v1, s24
	v_cvt_f32_u32_e32 v2, s25
	s_sub_u32 s13, 0, s24
	s_subb_u32 s17, 0, s25
	v_fmac_f32_e32 v1, 0x4f800000, v2
	v_rcp_f32_e32 v1, v1
	s_nop 0
	v_mul_f32_e32 v1, 0x5f7ffffc, v1
	v_mul_f32_e32 v2, 0x2f800000, v1
	v_trunc_f32_e32 v2, v2
	v_fmac_f32_e32 v1, 0xcf800000, v2
	v_cvt_u32_f32_e32 v2, v2
	v_cvt_u32_f32_e32 v1, v1
	v_readfirstlane_b32 s28, v2
	v_readfirstlane_b32 s26, v1
	s_mul_i32 s27, s13, s28
	s_mul_hi_u32 s30, s13, s26
	s_mul_i32 s29, s17, s26
	s_add_i32 s27, s30, s27
	s_add_i32 s27, s27, s29
	s_mul_i32 s31, s13, s26
	s_mul_i32 s30, s26, s27
	s_mul_hi_u32 s33, s26, s31
	s_mul_hi_u32 s29, s26, s27
	s_add_u32 s30, s33, s30
	s_addc_u32 s29, 0, s29
	s_mul_hi_u32 s34, s28, s31
	s_mul_i32 s31, s28, s31
	s_add_u32 s30, s30, s31
	s_mul_hi_u32 s33, s28, s27
	s_addc_u32 s29, s29, s34
	s_addc_u32 s30, s33, 0
	s_mul_i32 s27, s28, s27
	s_add_u32 s27, s29, s27
	s_addc_u32 s29, 0, s30
	s_add_u32 s30, s26, s27
	s_cselect_b64 s[26:27], -1, 0
	s_cmp_lg_u64 s[26:27], 0
	s_addc_u32 s28, s28, s29
	s_mul_i32 s26, s13, s28
	s_mul_hi_u32 s27, s13, s30
	s_add_i32 s26, s27, s26
	s_mul_i32 s17, s17, s30
	s_add_i32 s26, s26, s17
	s_mul_i32 s13, s13, s30
	s_mul_hi_u32 s27, s28, s13
	s_mul_i32 s29, s28, s13
	s_mul_i32 s33, s30, s26
	s_mul_hi_u32 s13, s30, s13
	s_mul_hi_u32 s31, s30, s26
	s_add_u32 s13, s13, s33
	s_addc_u32 s31, 0, s31
	s_add_u32 s13, s13, s29
	s_mul_hi_u32 s17, s28, s26
	s_addc_u32 s13, s31, s27
	s_addc_u32 s17, s17, 0
	s_mul_i32 s26, s28, s26
	s_add_u32 s13, s13, s26
	s_addc_u32 s17, 0, s17
	s_add_u32 s13, s30, s13
	s_cselect_b64 s[26:27], -1, 0
	s_cmp_lg_u64 s[26:27], 0
	s_addc_u32 s17, s28, s17
	s_ashr_i32 s26, s7, 31
	s_add_u32 s28, s6, s26
	s_mov_b32 s27, s26
	s_addc_u32 s29, s7, s26
	s_xor_b64 s[28:29], s[28:29], s[26:27]
	s_mul_i32 s31, s28, s17
	s_mul_hi_u32 s33, s28, s13
	s_mul_hi_u32 s30, s28, s17
	s_add_u32 s31, s33, s31
	s_addc_u32 s30, 0, s30
	s_mul_hi_u32 s34, s29, s13
	s_mul_i32 s13, s29, s13
	s_add_u32 s13, s31, s13
	s_mul_hi_u32 s33, s29, s17
	s_addc_u32 s13, s30, s34
	s_addc_u32 s30, s33, 0
	s_mul_i32 s17, s29, s17
	s_add_u32 s13, s13, s17
	s_addc_u32 s17, 0, s30
	s_mul_i32 s30, s24, s17
	s_mul_hi_u32 s31, s24, s13
	s_add_i32 s30, s31, s30
	s_mul_i32 s31, s25, s13
	s_add_i32 s33, s30, s31
	s_sub_i32 s34, s29, s33
	s_mul_i32 s30, s24, s13
	s_sub_u32 s28, s28, s30
	s_cselect_b64 s[30:31], -1, 0
	s_cmp_lg_u64 s[30:31], 0
	s_subb_u32 s36, s34, s25
	s_sub_u32 s37, s28, s24
	s_cselect_b64 s[34:35], -1, 0
	s_cmp_lg_u64 s[34:35], 0
	s_subb_u32 s34, s36, 0
	s_cmp_ge_u32 s34, s25
	s_cselect_b32 s35, -1, 0
	s_cmp_ge_u32 s37, s24
	s_cselect_b32 s36, -1, 0
	s_cmp_eq_u32 s34, s25
	s_cselect_b32 s34, s36, s35
	s_add_u32 s35, s13, 1
	s_addc_u32 s36, s17, 0
	s_add_u32 s37, s13, 2
	s_addc_u32 s38, s17, 0
	s_cmp_lg_u32 s34, 0
	s_cselect_b32 s34, s37, s35
	s_cselect_b32 s35, s38, s36
	s_cmp_lg_u64 s[30:31], 0
	s_subb_u32 s29, s29, s33
	s_cmp_ge_u32 s29, s25
	s_cselect_b32 s30, -1, 0
	s_cmp_ge_u32 s28, s24
	s_cselect_b32 s24, -1, 0
	s_cmp_eq_u32 s29, s25
	s_cselect_b32 s24, s24, s30
	s_cmp_lg_u32 s24, 0
	s_cselect_b32 s25, s35, s17
	s_cselect_b32 s24, s34, s13
	s_xor_b64 s[22:23], s[26:27], s[22:23]
	s_xor_b64 s[24:25], s[24:25], s[22:23]
	s_sub_u32 s70, s24, s22
	s_subb_u32 s71, s25, s23
	s_cbranch_execnz .LBB63_22
.LBB63_21:                              ;   in Loop: Header=BB63_19 Depth=1
	v_cvt_f32_u32_e32 v1, s20
	s_sub_i32 s13, 0, s20
	s_mov_b32 s71, s16
	v_rcp_iflag_f32_e32 v1, v1
	s_nop 0
	v_mul_f32_e32 v1, 0x4f7ffffe, v1
	v_cvt_u32_f32_e32 v1, v1
	s_nop 0
	v_readfirstlane_b32 s17, v1
	s_mul_i32 s13, s13, s17
	s_mul_hi_u32 s13, s17, s13
	s_add_i32 s17, s17, s13
	s_mul_hi_u32 s13, s6, s17
	s_mul_i32 s22, s13, s20
	s_sub_i32 s22, s6, s22
	s_add_i32 s17, s13, 1
	s_sub_i32 s23, s22, s20
	s_cmp_ge_u32 s22, s20
	s_cselect_b32 s13, s17, s13
	s_cselect_b32 s22, s23, s22
	s_add_i32 s17, s13, 1
	s_cmp_ge_u32 s22, s20
	s_cselect_b32 s70, s17, s13
.LBB63_22:                              ;   in Loop: Header=BB63_19 Depth=1
	s_mul_i32 s13, s70, s21
	s_mul_hi_u32 s17, s70, s20
	s_load_dwordx2 s[22:23], s[18:19], 0xc8
	s_add_i32 s13, s17, s13
	s_mul_i32 s17, s71, s20
	s_add_i32 s13, s13, s17
	s_mul_i32 s17, s70, s20
	s_sub_u32 s6, s6, s17
	s_subb_u32 s7, s7, s13
	s_waitcnt lgkmcnt(0)
	s_mul_i32 s7, s22, s7
	s_mul_hi_u32 s13, s22, s6
	s_add_i32 s7, s13, s7
	s_mul_i32 s13, s23, s6
	s_add_i32 s7, s7, s13
	s_mul_i32 s6, s22, s6
	s_add_u32 s66, s6, s66
	s_addc_u32 s67, s7, s67
	s_add_i32 s3, s3, -1
	s_add_u32 s18, s18, -8
	s_addc_u32 s19, s19, -1
	s_cmp_gt_u32 s3, 2
	s_cbranch_scc0 .LBB63_26
; %bb.23:                               ;   in Loop: Header=BB63_19 Depth=1
	s_mov_b64 s[6:7], s[70:71]
	s_branch .LBB63_19
.LBB63_24:                              ;   in Loop: Header=BB63_19 Depth=1
                                        ; implicit-def: $sgpr70_sgpr71
	s_branch .LBB63_21
.LBB63_25:
	s_mov_b64 s[70:71], s[6:7]
.LBB63_26:
	s_load_dwordx2 s[6:7], s[0:1], 0x430
	s_mov_b32 s81, 0
                                        ; kill: killed $sgpr0 killed $sgpr1
	s_waitcnt lgkmcnt(0)
	v_writelane_b32 v72, s6, 4
	s_nop 1
	v_writelane_b32 v72, s7, 5
	s_load_dwordx2 s[16:17], s[0:1], 0x0
	s_load_dwordx2 s[6:7], s[0:1], 0x1c0
	s_waitcnt lgkmcnt(0)
	v_writelane_b32 v72, s6, 6
	s_nop 1
	v_writelane_b32 v72, s7, 7
	s_load_dwordx2 s[6:7], s[0:1], 0x360
	s_waitcnt lgkmcnt(0)
	v_writelane_b32 v72, s6, 8
	s_nop 1
	v_writelane_b32 v72, s7, 9
	v_cmp_eq_u32_e64 s[6:7], 0, v0
	s_mov_b64 s[0:1], exec
	s_nop 0
	v_writelane_b32 v72, s6, 10
	s_nop 1
	v_writelane_b32 v72, s7, 11
	s_and_b64 s[6:7], s[0:1], s[6:7]
	s_mov_b64 exec, s[6:7]
	s_cbranch_execz .LBB63_28
; %bb.27:
	v_mov_b32_e32 v2, 0
	v_mov_b32_e32 v4, s56
	;; [unrolled: 1-line block ×4, first 2 shown]
	ds_write_b32 v2, v2 offset:5136
	ds_write_b128 v2, v[2:5] offset:5120
.LBB63_28:
	s_or_b64 exec, exec, s[0:1]
	s_mul_i32 s0, s14, s9
	s_mul_hi_u32 s1, s14, s8
	s_add_i32 s0, s1, s0
	s_mul_i32 s1, s15, s8
	s_add_i32 s1, s0, s1
	s_mul_i32 s0, s14, s8
	s_lshl_b64 s[0:1], s[0:1], 1
	s_add_u32 s8, s16, s0
	v_mbcnt_lo_u32_b32 v1, -1, 0
	s_addc_u32 s9, s17, s1
	s_lshl_b64 s[82:83], s[4:5], 1
	v_mbcnt_hi_u32_b32 v48, -1, v1
	s_add_u32 s84, s8, s82
	v_cmp_gt_u32_e32 vcc, 64, v0
	v_cmp_gt_i32_e64 s[6:7], 4, v48
	s_addc_u32 s85, s9, s83
	s_and_b64 s[6:7], vcc, s[6:7]
	v_writelane_b32 v72, s6, 12
	v_mov_b64_e32 v[4:5], 0x600
	s_waitcnt lgkmcnt(0)
	v_writelane_b32 v72, s7, 13
	v_cmp_gt_u32_e64 s[6:7], 2, v0
	s_barrier
	s_nop 0
	v_writelane_b32 v72, s6, 14
	s_load_dword s3, s[10:11], 0xc
	v_mov_b32_e32 v3, 0
	v_writelane_b32 v72, s7, 15
	v_cmp_gt_i64_e64 s[6:7], s[56:57], v[4:5]
	v_mov_b32_e32 v1, v3
	s_waitcnt lgkmcnt(0)
	s_and_b32 s78, s3, 0xffff
	v_writelane_b32 v72, s6, 16
	s_bfe_u32 s3, s3, 0xa0006
	s_cmp_gt_u32 s78, 63
	v_writelane_b32 v72, s7, 17
	v_mad_u64_u32 v[6:7], s[6:7], s62, v0, 0
	v_mov_b32_e32 v2, v7
	v_mad_u64_u32 v[4:5], s[6:7], s63, v0, v[2:3]
	v_cmp_gt_i64_e64 s[6:7], s[56:57], v[0:1]
	v_lshlrev_b32_e32 v2, 2, v48
	v_and_b32_e32 v51, 0x100, v2
	v_writelane_b32 v72, s6, 18
	v_lshrrev_b32_e32 v2, 1, v0
	v_and_b32_e32 v2, 0x1e0, v2
	v_writelane_b32 v72, s7, 19
	s_cselect_b64 s[6:7], -1, 0
	v_writelane_b32 v72, s6, 20
	v_lshlrev_b64 v[8:9], v48, -1
	v_or_b32_e32 v52, 0xc00, v2
	v_writelane_b32 v72, s7, 21
	s_add_u32 s6, s78, -1
	v_add_u32_e32 v2, 2, v0
	v_not_b32_e32 v18, v8
	s_addc_u32 s7, 0, -1
	v_mov_b32_e32 v8, s57
	v_cmp_gt_i64_e32 vcc, s[56:57], v[2:3]
	v_not_b32_e32 v19, v9
	v_writelane_b32 v72, s6, 22
	s_add_u32 s93, s6, s56
	v_cndmask_b32_e32 v9, 0, v8, vcc
	v_mov_b32_e32 v8, s56
	v_writelane_b32 v72, s7, 23
	s_addc_u32 s7, s7, s57
	v_cndmask_b32_e32 v8, v2, v8, vcc
	v_mov_b32_e32 v21, -1
	v_not_b32_e32 v20, v0
	v_writelane_b32 v72, s6, 24
	v_lshl_add_u64 v[8:9], v[8:9], 0, v[20:21]
	s_cmp_lt_u32 s2, s12
	v_writelane_b32 v72, s7, 25
	v_cmp_lt_u64_e64 s[6:7], 3, v[8:9]
	s_cselect_b32 s2, 12, 18
	s_add_u32 s74, s10, s2
	v_writelane_b32 v72, s6, 26
	v_and_b32_e32 v22, -4, v8
	v_mov_b32_e32 v23, v9
	v_writelane_b32 v72, s7, 27
	s_mov_b32 s2, s62
	v_writelane_b32 v72, s2, 28
	v_cmp_ne_u64_e64 s[6:7], v[8:9], v[22:23]
	s_addc_u32 s75, s11, 0
	s_add_i32 s2, s3, -1
	v_writelane_b32 v72, s6, 29
	s_and_b32 s2, s2, 0xffff
	v_lshlrev_b32_e32 v20, 3, v0
	v_writelane_b32 v72, s7, 30
	s_bfe_u32 s6, s78, 0x30006
	s_cmp_gt_u32 s2, 6
	s_cselect_b64 s[10:11], -1, 0
	v_writelane_b32 v72, s10, 31
	s_and_b32 s64, s3, 0x3f8
	s_cmp_lg_u32 s6, 0
	v_writelane_b32 v72, s11, 32
	v_writelane_b32 v72, s6, 33
	s_cselect_b64 s[2:3], -1, 0
	v_writelane_b32 v72, s2, 34
	v_or_b32_e32 v10, 6, v20
	v_mov_b64_e32 v[8:9], s[8:9]
	v_writelane_b32 v72, s3, 35
	s_add_u32 s2, s0, s82
	s_addc_u32 s3, s1, s83
	s_add_u32 s2, s16, s2
	s_addc_u32 s3, s17, s3
	v_writelane_b32 v72, s2, 36
	v_mov_b32_e32 v7, v4
	v_lshlrev_b64 v[4:5], 1, v[6:7]
	v_writelane_b32 v72, s3, 37
	s_lshl_b64 s[2:3], s[62:63], 1
	v_writelane_b32 v72, s2, 38
	s_mov_b32 s55, s63
	s_mov_b32 s54, s62
	v_writelane_b32 v72, s3, 39
	v_mad_u64_u32 v[26:27], s[2:3], s62, v10, v[8:9]
	v_mov_b32_e32 v2, v27
	v_mad_u64_u32 v[10:11], s[2:3], s63, v10, v[2:3]
	s_lshl_b64 s[2:3], s[62:63], 3
	v_mov_b32_e32 v27, v10
	v_writelane_b32 v72, s2, 40
	v_or_b32_e32 v10, 4, v20
	s_mov_b32 s49, s63
	v_writelane_b32 v72, s3, 41
	v_mad_u64_u32 v[28:29], s[2:3], s62, v10, v[8:9]
	v_mov_b32_e32 v2, v29
	v_mad_u64_u32 v[10:11], s[2:3], s63, v10, v[2:3]
	v_mov_b32_e32 v29, v10
	v_or_b32_e32 v10, 2, v20
	v_mad_u64_u32 v[30:31], s[2:3], s62, v10, v[8:9]
	v_mov_b32_e32 v2, v31
	v_mad_u64_u32 v[8:9], s[2:3], s63, v10, v[2:3]
	s_add_u32 s2, s16, s82
	s_addc_u32 s3, s17, s83
	s_add_u32 s0, s2, s0
	s_addc_u32 s1, s3, s1
	v_lshl_add_u64 v[12:13], s[0:1], 0, v[4:5]
	s_mul_i32 s0, s63, s78
	s_mul_hi_u32 s1, s62, s78
	s_add_i32 s1, s1, s0
	s_mul_i32 s0, s62, s78
	s_lshl_b64 s[94:95], s[0:1], 1
	s_mov_b32 s0, 0
	v_writelane_b32 v72, s0, 42
	v_writelane_b32 v72, s70, 43
	s_mov_b32 s50, s62
	s_mov_b32 s51, s63
	v_writelane_b32 v72, s71, 44
	v_writelane_b32 v72, s74, 45
	s_mov_b32 s88, s62
	v_lshlrev_b32_e32 v49, 1, v0
	v_writelane_b32 v72, s75, 46
	v_writelane_b32 v72, s55, 47
	;; [unrolled: 1-line block ×6, first 2 shown]
	s_mov_b32 s89, s63
	v_mov_b32_e32 v2, 0xc00
	v_writelane_b32 v72, s88, 52
	v_cmp_eq_u32_e64 s[4:5], 0, v48
	v_add_u32_e32 v50, 0xc00, v49
	v_lshl_add_u64 v[14:15], s[84:85], 0, v[4:5]
	v_lshlrev_b32_e32 v16, 2, v0
	v_mov_b32_e32 v17, v3
	s_mov_b32 s33, 0xffff
	s_mov_b32 s79, s81
	v_lshl_add_u64 v[24:25], v[22:23], 0, v[0:1]
	v_mov_b32_e32 v31, v8
	v_lshl_add_u64 v[32:33], v[6:7], 3, s[8:9]
	v_lshl_add_u64 v[34:35], s[56:57], 0, v[0:1]
	v_lshl_or_b32 v53, v48, 3, v2
	s_lshl_b32 s90, s78, 1
	s_mov_b32 s65, 14
	s_mov_b64 s[76:77], 0
	v_mov_b64_e32 v[36:37], s[58:59]
	s_mov_b32 s91, 0x5040100
	v_mov_b64_e32 v[60:61], s[56:57]
	s_movk_i32 s92, 0x3c00
	v_mov_b32_e32 v55, 0xffff
	v_mov_b32_e32 v56, 0x8000
	;; [unrolled: 1-line block ×6, first 2 shown]
	v_writelane_b32 v72, s89, 53
                                        ; implicit-def: $sgpr2_sgpr3
                                        ; implicit-def: $sgpr10_sgpr11
                                        ; implicit-def: $sgpr12_sgpr13
                                        ; implicit-def: $sgpr58_sgpr59
                                        ; implicit-def: $sgpr30_sgpr31
                                        ; implicit-def: $sgpr98_sgpr99
	v_writelane_b32 v72, s90, 54
	s_branch .LBB63_32
.LBB63_29:                              ;   in Loop: Header=BB63_32 Depth=1
	s_or_b64 exec, exec, s[14:15]
	s_and_b64 s[6:7], s[6:7], exec
	s_andn2_b64 s[24:25], s[24:25], exec
	s_andn2_b64 s[2:3], s[2:3], exec
	s_orn2_b64 s[18:19], s[8:9], exec
.LBB63_30:                              ;   in Loop: Header=BB63_32 Depth=1
	s_or_b64 exec, exec, s[0:1]
	s_andn2_b64 s[0:1], s[96:97], exec
	s_and_b64 s[6:7], s[6:7], exec
	s_or_b64 s[96:97], s[0:1], s[6:7]
	s_andn2_b64 s[0:1], s[86:87], exec
	s_and_b64 s[6:7], s[24:25], exec
	s_or_b64 s[86:87], s[0:1], s[6:7]
	;; [unrolled: 3-line block ×3, first 2 shown]
	s_orn2_b64 s[0:1], s[18:19], exec
.LBB63_31:                              ;   in Loop: Header=BB63_32 Depth=1
	s_or_b64 exec, exec, s[16:17]
	s_and_b64 s[0:1], exec, s[0:1]
	s_or_b64 s[76:77], s[0:1], s[76:77]
	s_andn2_b64 s[0:1], s[12:13], exec
	s_and_b64 s[2:3], s[96:97], exec
	s_or_b64 s[12:13], s[0:1], s[2:3]
	s_andn2_b64 s[0:1], s[10:11], exec
	s_and_b64 s[2:3], s[86:87], exec
	s_or_b64 s[10:11], s[0:1], s[2:3]
	v_readlane_b32 s0, v72, 55
	s_mov_b64 s[6:7], s[98:99]
	v_readlane_b32 s1, v72, 56
	s_andn2_b64 s[0:1], s[0:1], exec
	s_and_b64 s[2:3], s[6:7], exec
	s_mov_b64 s[98:99], s[96:97]
	s_mov_b64 s[30:31], s[86:87]
	;; [unrolled: 1-line block ×3, first 2 shown]
	s_or_b64 s[2:3], s[0:1], s[2:3]
	v_mov_b64_e32 v[36:37], v[8:9]
	s_andn2_b64 exec, exec, s[76:77]
	s_cbranch_execz .LBB63_303
.LBB63_32:                              ; =>This Loop Header: Depth=1
                                        ;     Child Loop BB63_37 Depth 2
                                        ;     Child Loop BB63_51 Depth 2
	;; [unrolled: 1-line block ×17, first 2 shown]
	ds_read_b128 v[4:7], v3 offset:5120
	v_writelane_b32 v72, s2, 55
	s_waitcnt lgkmcnt(0)
	v_readfirstlane_b32 s1, v5
	v_readfirstlane_b32 s0, v4
	v_writelane_b32 v72, s3, 56
	s_nop 0
	v_cmp_gt_i64_e64 s[2:3], s[0:1], 0
	s_and_b64 vcc, exec, s[2:3]
	s_cbranch_vccnz .LBB63_64
; %bb.33:                               ;   in Loop: Header=BB63_32 Depth=1
	v_readlane_b32 s2, v72, 16
	v_readlane_b32 s3, v72, 17
	s_and_b64 vcc, exec, s[2:3]
	s_cbranch_vccz .LBB63_45
; %bb.34:                               ;   in Loop: Header=BB63_32 Depth=1
	s_mov_b64 s[2:3], 0x601
	v_cmp_gt_i64_e32 vcc, s[2:3], v[6:7]
	s_mov_b64 s[6:7], 0
	s_mov_b64 s[2:3], 0
	s_cbranch_vccz .LBB63_46
; %bb.35:                               ;   in Loop: Header=BB63_32 Depth=1
	global_load_ushort v6, v3, s[74:75]
	global_load_ushort v8, v[14:15], off
	v_readlane_b32 s2, v72, 36
	v_readlane_b32 s3, v72, 37
	v_readlane_b32 s14, v72, 38
	v_readlane_b32 s15, v72, 39
	v_mov_b64_e32 v[4:5], s[2:3]
	s_mov_b64 s[8:9], 0
	s_waitcnt vmcnt(1)
	v_and_b32_e32 v2, 0xffff, v6
	v_readfirstlane_b32 s1, v6
	v_lshl_add_u64 v[6:7], v[0:1], 0, v[2:3]
	s_and_b32 s1, 0xffff, s1
	v_mad_u64_u32 v[4:5], s[2:3], s14, v6, v[4:5]
	v_mul_lo_u32 v7, s14, v7
	v_mul_lo_u32 v9, s15, v6
	s_mul_i32 s2, s15, s1
	s_mul_hi_u32 s3, s14, s1
	s_mul_i32 s16, s14, s1
	v_add3_u32 v5, v9, v5, v7
	s_add_i32 s17, s3, s2
	v_mov_b64_e32 v[6:7], v[0:1]
	s_branch .LBB63_37
.LBB63_36:                              ;   in Loop: Header=BB63_37 Depth=2
	s_or_b64 exec, exec, s[2:3]
	v_lshl_add_u64 v[4:5], v[4:5], 0, s[16:17]
	v_mov_b32_e32 v8, v9
	s_andn2_b64 exec, exec, s[8:9]
	s_cbranch_execz .LBB63_98
.LBB63_37:                              ;   Parent Loop BB63_32 Depth=1
                                        ; =>  This Inner Loop Header: Depth=2
	v_lshl_add_u64 v[6:7], v[6:7], 0, v[2:3]
	v_cmp_gt_i64_e64 s[2:3], s[56:57], v[6:7]
	v_cmp_le_i64_e32 vcc, s[56:57], v[6:7]
	s_waitcnt lgkmcnt(0)
	v_mov_b32_e32 v10, 0
	v_mov_b32_e32 v9, 0
	s_and_saveexec_b64 s[14:15], s[2:3]
	s_cbranch_execz .LBB63_39
; %bb.38:                               ;   in Loop: Header=BB63_37 Depth=2
	global_load_ushort v9, v[4:5], off
.LBB63_39:                              ;   in Loop: Header=BB63_37 Depth=2
	s_or_b64 exec, exec, s[14:15]
	s_waitcnt vmcnt(0)
	v_cmp_lt_i16_e64 s[2:3], -1, v8
	s_nop 1
	v_cndmask_b32_e64 v11, v55, v56, s[2:3]
	v_xor_b32_sdwa v11, v11, v8 dst_sel:DWORD dst_unused:UNUSED_PAD src0_sel:DWORD src1_sel:WORD_0
	v_cmp_o_f16_e64 s[2:3], v8, v8
	s_nop 1
	v_cndmask_b32_e64 v11, v55, v11, s[2:3]
	v_and_b32_e32 v11, v11, v58
	v_cmp_eq_u32_e64 s[14:15], v11, v54
	s_cmp_lg_u64 s[14:15], 0
	s_cselect_b64 s[2:3], -1, 0
	s_and_b64 s[2:3], s[4:5], s[2:3]
	s_and_saveexec_b64 s[18:19], s[2:3]
	s_cbranch_execz .LBB63_43
; %bb.40:                               ;   in Loop: Header=BB63_37 Depth=2
	s_mov_b64 s[22:23], exec
	v_mbcnt_lo_u32_b32 v10, s22, 0
	v_mbcnt_hi_u32_b32 v10, s23, v10
	s_bcnt1_i32_b64 s1, s[14:15]
	v_cmp_eq_u32_e64 s[2:3], 0, v10
                                        ; implicit-def: $vgpr11
	s_and_saveexec_b64 s[20:21], s[2:3]
; %bb.41:                               ;   in Loop: Header=BB63_37 Depth=2
	s_bcnt1_i32_b64 s2, s[22:23]
	s_mul_i32 s2, s1, s2
	v_mov_b32_e32 v11, s2
	ds_add_rtn_u32 v11, v3, v11 offset:5136
; %bb.42:                               ;   in Loop: Header=BB63_37 Depth=2
	s_or_b64 exec, exec, s[20:21]
	s_waitcnt lgkmcnt(0)
	v_readfirstlane_b32 s2, v11
	s_nop 1
	v_mov_b32_e32 v11, s2
	v_mad_u32_u24 v10, s1, v10, v11
.LBB63_43:                              ;   in Loop: Header=BB63_37 Depth=2
	s_or_b64 exec, exec, s[18:19]
	ds_bpermute_b32 v10, v51, v10
	s_and_b64 s[2:3], exec, vcc
	s_or_b64 s[8:9], s[2:3], s[8:9]
	s_and_saveexec_b64 s[2:3], s[14:15]
	s_cbranch_execz .LBB63_36
; %bb.44:                               ;   in Loop: Header=BB63_37 Depth=2
	v_and_b32_e32 v38, s14, v18
	v_and_b32_e32 v11, s15, v19
	v_bcnt_u32_b32 v38, v38, 0
	v_bcnt_u32_b32 v11, v11, v38
	v_lshlrev_b32_e32 v11, 1, v11
	s_waitcnt lgkmcnt(0)
	v_lshl_add_u32 v10, v10, 1, v11
	ds_write_b16 v10, v8
	s_branch .LBB63_36
.LBB63_45:                              ;   in Loop: Header=BB63_32 Depth=1
	s_mov_b64 s[6:7], -1
	s_mov_b64 s[2:3], 0
.LBB63_46:                              ;   in Loop: Header=BB63_32 Depth=1
	s_and_b64 vcc, exec, s[6:7]
	s_cbranch_vccz .LBB63_62
.LBB63_47:                              ;   in Loop: Header=BB63_32 Depth=1
	s_mov_b64 s[2:3], exec
	v_readlane_b32 s6, v72, 18
	v_readlane_b32 s7, v72, 19
	s_and_b64 s[6:7], s[2:3], s[6:7]
	s_mov_b64 exec, s[6:7]
	s_cbranch_execz .LBB63_59
; %bb.48:                               ;   in Loop: Header=BB63_32 Depth=1
	global_load_ushort v2, v3, s[74:75]
	global_load_ushort v40, v[14:15], off
	v_mov_b32_e32 v8, v0
	s_waitcnt vmcnt(1)
	v_readfirstlane_b32 s1, v2
	v_add_u32_sdwa v2, v2, v0 dst_sel:DWORD dst_unused:UNUSED_PAD src0_sel:WORD_0 src1_sel:DWORD
	v_cmp_gt_i64_e32 vcc, s[56:57], v[2:3]
	s_and_saveexec_b64 s[6:7], vcc
	s_cbranch_execz .LBB63_58
; %bb.49:                               ;   in Loop: Header=BB63_32 Depth=1
	s_and_b32 s80, s1, 0xffff
	s_cmp_eq_u32 s80, 1
	v_readlane_b32 s14, v72, 26
	s_cselect_b64 s[8:9], -1, 0
	v_readlane_b32 s15, v72, 27
	s_and_b64 s[16:17], s[14:15], s[8:9]
	s_mov_b64 s[14:15], -1
	v_mov_b64_e32 v[6:7], v[0:1]
	v_mov_b64_e32 v[4:5], v[2:3]
                                        ; implicit-def: $vgpr8_vgpr9
	s_and_saveexec_b64 s[8:9], s[16:17]
	s_cbranch_execz .LBB63_53
; %bb.50:                               ;   in Loop: Header=BB63_32 Depth=1
	v_lshl_add_u64 v[8:9], v[2:3], 0, 3
	v_lshl_add_u64 v[6:7], v[2:3], 0, 2
	;; [unrolled: 1-line block ×3, first 2 shown]
	v_mov_b64_e32 v[10:11], v[8:9]
	s_waitcnt vmcnt(0)
	v_lshlrev_b32_e32 v42, 16, v40
	s_mov_b64 s[14:15], 0
	v_mov_b64_e32 v[38:39], v[22:23]
	v_mov_b32_e32 v41, v49
	v_mov_b64_e32 v[8:9], v[6:7]
	v_mov_b64_e32 v[6:7], v[4:5]
	;; [unrolled: 1-line block ×3, first 2 shown]
	v_readlane_b32 s1, v72, 28
.LBB63_51:                              ;   Parent Loop BB63_32 Depth=1
                                        ; =>  This Inner Loop Header: Depth=2
	v_mul_lo_u32 v40, v11, s88
	v_mul_lo_u32 v43, v10, s89
	v_mad_u64_u32 v[44:45], s[16:17], v10, s88, 0
	v_mul_lo_u32 v66, v9, s50
	v_mul_lo_u32 v67, v8, s51
	v_mad_u64_u32 v[46:47], s[16:17], v8, s50, 0
	;; [unrolled: 3-line block ×4, first 2 shown]
	v_add3_u32 v45, v45, v43, v40
	v_add3_u32 v47, v47, v67, v66
	;; [unrolled: 1-line block ×4, first 2 shown]
	v_lshl_add_u64 v[46:47], v[46:47], 1, s[84:85]
	v_lshl_add_u64 v[44:45], v[44:45], 1, s[84:85]
	;; [unrolled: 1-line block ×4, first 2 shown]
	global_load_ushort v43, v[46:47], off
	global_load_ushort v40, v[44:45], off
	s_nop 0
	global_load_ushort v44, v[62:63], off
	global_load_ushort v45, v[64:65], off
	v_lshl_add_u64 v[38:39], v[38:39], 0, -4
	v_cmp_eq_u64_e32 vcc, 0, v[38:39]
	v_lshl_add_u64 v[10:11], v[10:11], 0, 4
	v_lshl_add_u64 v[8:9], v[8:9], 0, 4
	;; [unrolled: 1-line block ×4, first 2 shown]
	s_or_b64 s[14:15], vcc, s[14:15]
	s_waitcnt vmcnt(2)
	v_perm_b32 v46, v40, v43, s91
	s_waitcnt vmcnt(1)
	v_perm_b32 v43, v43, v44, s91
	s_waitcnt vmcnt(0)
	v_alignbit_b32 v42, v45, v42, 16
	ds_write_b64 v41, v[42:43]
	v_add_u32_e32 v41, 8, v41
	v_mov_b32_e32 v42, v46
	s_andn2_b64 exec, exec, s[14:15]
	s_cbranch_execnz .LBB63_51
; %bb.52:                               ;   in Loop: Header=BB63_32 Depth=1
	s_or_b64 exec, exec, s[14:15]
	v_readlane_b32 s14, v72, 29
	v_lshl_add_u64 v[4:5], v[2:3], 0, v[22:23]
	v_readlane_b32 s15, v72, 30
	v_lshl_add_u64 v[8:9], v[4:5], 0, -1
	s_orn2_b64 s[14:15], s[14:15], exec
	v_mov_b64_e32 v[6:7], v[24:25]
.LBB63_53:                              ;   in Loop: Header=BB63_32 Depth=1
	s_or_b64 exec, exec, s[8:9]
	s_and_saveexec_b64 s[8:9], s[14:15]
	s_cbranch_execz .LBB63_57
; %bb.54:                               ;   in Loop: Header=BB63_32 Depth=1
	v_readlane_b32 s18, v72, 36
	v_readlane_b32 s19, v72, 37
	;; [unrolled: 1-line block ×4, first 2 shown]
	v_mov_b64_e32 v[8:9], s[18:19]
	v_mad_u64_u32 v[8:9], s[18:19], s20, v4, v[8:9]
	s_sub_u32 s14, 0, s80
	v_mul_lo_u32 v2, s20, v5
	v_mul_lo_u32 v7, s21, v4
	s_mul_i32 s1, s21, s80
	s_mul_hi_u32 s18, s20, s80
	s_mov_b64 s[16:17], 0
	s_subb_u32 s15, 0, 0
	v_add3_u32 v9, v7, v9, v2
	s_add_i32 s19, s18, s1
	s_mul_i32 s18, s20, s80
.LBB63_55:                              ;   Parent Loop BB63_32 Depth=1
                                        ; =>  This Inner Loop Header: Depth=2
	s_waitcnt vmcnt(0)
	v_mov_b32_e32 v2, v40
	global_load_ushort v40, v[8:9], off
	v_mov_b64_e32 v[10:11], v[4:5]
	v_lshlrev_b32_e32 v4, 1, v6
	ds_write_b16 v4, v2
	v_lshl_add_u64 v[4:5], v[10:11], 0, s[80:81]
	v_cmp_le_i64_e32 vcc, s[56:57], v[4:5]
	v_lshl_add_u64 v[8:9], v[8:9], 0, s[18:19]
	s_or_b64 s[16:17], vcc, s[16:17]
	v_mov_b64_e32 v[6:7], v[10:11]
	s_andn2_b64 exec, exec, s[16:17]
	s_cbranch_execnz .LBB63_55
; %bb.56:                               ;   in Loop: Header=BB63_32 Depth=1
	s_or_b64 exec, exec, s[16:17]
	v_lshl_add_u64 v[8:9], s[14:15], 0, v[4:5]
.LBB63_57:                              ;   in Loop: Header=BB63_32 Depth=1
	s_or_b64 exec, exec, s[8:9]
.LBB63_58:                              ;   in Loop: Header=BB63_32 Depth=1
	s_or_b64 exec, exec, s[6:7]
	v_lshlrev_b32_e32 v2, 1, v8
	s_waitcnt vmcnt(0)
	ds_write_b16 v2, v40
.LBB63_59:                              ;   in Loop: Header=BB63_32 Depth=1
	s_or_b64 exec, exec, s[2:3]
	s_waitcnt lgkmcnt(0)
	s_barrier
	s_mov_b64 s[2:3], exec
	v_readlane_b32 s6, v72, 10
	v_readlane_b32 s7, v72, 11
	s_and_b64 s[6:7], s[2:3], s[6:7]
	s_mov_b64 exec, s[6:7]
; %bb.60:                               ;   in Loop: Header=BB63_32 Depth=1
	ds_write_b64 v3, v[60:61] offset:5120
; %bb.61:                               ;   in Loop: Header=BB63_32 Depth=1
	s_or_b64 exec, exec, s[2:3]
	s_waitcnt lgkmcnt(0)
	s_barrier
	s_mov_b64 s[2:3], -1
.LBB63_62:                              ;   in Loop: Header=BB63_32 Depth=1
	s_and_b64 vcc, exec, s[2:3]
	s_cbranch_vccz .LBB63_64
; %bb.63:                               ;   in Loop: Header=BB63_32 Depth=1
	ds_read_b64 v[4:5], v3 offset:5120
	s_waitcnt lgkmcnt(0)
	v_readfirstlane_b32 s0, v4
.LBB63_64:                              ;   in Loop: Header=BB63_32 Depth=1
	s_cmp_lt_i32 s0, 1
	s_mov_b64 s[2:3], -1
                                        ; implicit-def: $vgpr4_vgpr5
                                        ; implicit-def: $vgpr8_vgpr9
	s_cbranch_scc0 .LBB63_79
; %bb.65:                               ;   in Loop: Header=BB63_32 Depth=1
	global_load_ushort v2, v3, s[74:75]
	s_mov_b32 s2, s81
	s_mov_b32 s3, s57
	s_waitcnt vmcnt(0)
	v_readfirstlane_b32 s1, v2
	s_and_b32 s72, s1, 0xffff
	s_lshl_b32 s80, s72, 2
	s_cmp_lg_u64 s[2:3], 0
	s_cbranch_scc0 .LBB63_97
; %bb.66:                               ;   in Loop: Header=BB63_32 Depth=1
	s_add_u32 s2, s80, 0
	s_addc_u32 s3, 0, 0
	s_xor_b64 s[2:3], s[2:3], 0
	v_cvt_f32_u32_e32 v2, s2
	v_cvt_f32_u32_e32 v4, s3
	s_sub_u32 s1, 0, s2
	s_subb_u32 s8, 0, s3
	v_fmac_f32_e32 v2, 0x4f800000, v4
	v_rcp_f32_e32 v2, v2
	s_nop 0
	v_mul_f32_e32 v2, 0x5f7ffffc, v2
	v_mul_f32_e32 v4, 0x2f800000, v2
	v_trunc_f32_e32 v4, v4
	v_fmac_f32_e32 v2, 0xcf800000, v4
	v_cvt_u32_f32_e32 v4, v4
	v_cvt_u32_f32_e32 v2, v2
	v_readfirstlane_b32 s9, v4
	v_readfirstlane_b32 s6, v2
	s_mul_i32 s7, s1, s9
	s_mul_hi_u32 s15, s1, s6
	s_mul_i32 s14, s8, s6
	s_add_i32 s7, s15, s7
	s_mul_i32 s16, s1, s6
	s_add_i32 s7, s7, s14
	s_mul_i32 s15, s6, s7
	s_mul_hi_u32 s17, s6, s16
	s_mul_hi_u32 s14, s6, s7
	s_add_u32 s15, s17, s15
	s_addc_u32 s14, 0, s14
	s_mul_hi_u32 s18, s9, s16
	s_mul_i32 s16, s9, s16
	s_add_u32 s15, s15, s16
	s_mul_hi_u32 s17, s9, s7
	s_addc_u32 s14, s14, s18
	s_addc_u32 s15, s17, 0
	s_mul_i32 s7, s9, s7
	s_add_u32 s7, s14, s7
	s_addc_u32 s14, 0, s15
	s_add_u32 s15, s6, s7
	s_cselect_b64 s[6:7], -1, 0
	s_cmp_lg_u64 s[6:7], 0
	s_addc_u32 s9, s9, s14
	s_mul_i32 s6, s1, s9
	s_mul_hi_u32 s7, s1, s15
	s_add_i32 s6, s7, s6
	s_mul_i32 s8, s8, s15
	s_add_i32 s6, s6, s8
	s_mul_i32 s1, s1, s15
	s_mul_hi_u32 s8, s9, s1
	s_mul_i32 s14, s9, s1
	s_mul_i32 s17, s15, s6
	s_mul_hi_u32 s1, s15, s1
	s_mul_hi_u32 s16, s15, s6
	s_add_u32 s1, s1, s17
	s_addc_u32 s16, 0, s16
	s_add_u32 s1, s1, s14
	s_mul_hi_u32 s7, s9, s6
	s_addc_u32 s1, s16, s8
	s_addc_u32 s7, s7, 0
	s_mul_i32 s6, s9, s6
	s_add_u32 s1, s1, s6
	s_addc_u32 s8, 0, s7
	s_add_u32 s1, s15, s1
	s_cselect_b64 s[6:7], -1, 0
	s_cmp_lg_u64 s[6:7], 0
	s_addc_u32 s14, s9, s8
	s_ashr_i32 s6, s57, 31
	s_add_u32 s8, s56, s6
	s_mov_b32 s7, s6
	s_addc_u32 s9, s57, s6
	s_xor_b64 s[8:9], s[8:9], s[6:7]
	s_mul_i32 s16, s8, s14
	s_mul_hi_u32 s17, s8, s1
	s_mul_hi_u32 s15, s8, s14
	s_add_u32 s16, s17, s16
	s_addc_u32 s15, 0, s15
	s_mul_hi_u32 s18, s9, s1
	s_mul_i32 s1, s9, s1
	s_add_u32 s1, s16, s1
	s_mul_hi_u32 s17, s9, s14
	s_addc_u32 s1, s15, s18
	s_addc_u32 s15, s17, 0
	s_mul_i32 s14, s9, s14
	s_add_u32 s1, s1, s14
	s_addc_u32 s14, 0, s15
	s_mul_i32 s14, s2, s14
	s_mul_hi_u32 s15, s2, s1
	s_add_i32 s14, s15, s14
	s_mul_i32 s15, s3, s1
	s_add_i32 s18, s14, s15
	s_sub_i32 s16, s9, s18
	s_mul_i32 s1, s2, s1
	s_sub_u32 s1, s8, s1
	s_cselect_b64 s[14:15], -1, 0
	s_cmp_lg_u64 s[14:15], 0
	s_subb_u32 s8, s16, s3
	s_sub_u32 s19, s1, s2
	s_cselect_b64 s[16:17], -1, 0
	s_cmp_lg_u64 s[16:17], 0
	s_subb_u32 s20, s8, 0
	s_cmp_ge_u32 s20, s3
	s_cselect_b32 s21, -1, 0
	s_cmp_ge_u32 s19, s2
	s_cselect_b32 s22, -1, 0
	s_cmp_eq_u32 s20, s3
	s_cselect_b32 s21, s22, s21
	s_cmp_lg_u64 s[16:17], 0
	s_subb_u32 s8, s8, s3
	s_sub_u32 s22, s19, s2
	s_cselect_b64 s[16:17], -1, 0
	s_cmp_lg_u64 s[16:17], 0
	s_subb_u32 s8, s8, 0
	s_cmp_lg_u32 s21, 0
	s_cselect_b32 s16, s22, s19
	s_cselect_b32 s8, s8, s20
	s_cmp_lg_u64 s[14:15], 0
	s_subb_u32 s9, s9, s18
	s_cmp_ge_u32 s9, s3
	s_cselect_b32 s14, -1, 0
	s_cmp_ge_u32 s1, s2
	s_cselect_b32 s2, -1, 0
	s_cmp_eq_u32 s9, s3
	s_cselect_b32 s2, s2, s14
	s_cmp_lg_u32 s2, 0
	s_cselect_b32 s3, s8, s9
	s_cselect_b32 s2, s16, s1
	s_xor_b64 s[2:3], s[2:3], s[6:7]
	s_sub_u32 s8, s2, s6
	s_subb_u32 s9, s3, s6
	s_cbranch_execnz .LBB63_68
.LBB63_67:                              ;   in Loop: Header=BB63_32 Depth=1
	v_cvt_f32_u32_e32 v2, s80
	s_sub_i32 s1, 0, s80
	s_mov_b32 s9, s81
	v_rcp_iflag_f32_e32 v2, v2
	s_nop 0
	v_mul_f32_e32 v2, 0x4f7ffffe, v2
	v_cvt_u32_f32_e32 v2, v2
	s_nop 0
	v_readfirstlane_b32 s2, v2
	s_mul_i32 s1, s1, s2
	s_mul_hi_u32 s1, s2, s1
	s_add_i32 s2, s2, s1
	s_mul_hi_u32 s1, s56, s2
	s_mul_i32 s1, s1, s80
	s_sub_i32 s1, s56, s1
	s_sub_i32 s2, s1, s80
	s_cmp_ge_u32 s1, s80
	s_cselect_b32 s1, s2, s1
	s_sub_i32 s2, s1, s80
	s_cmp_ge_u32 s1, s80
	s_cselect_b32 s8, s2, s1
.LBB63_68:                              ;   in Loop: Header=BB63_32 Depth=1
	s_sub_u32 s90, s56, s8
	s_subb_u32 s91, s57, s9
	s_mov_b32 s73, s81
	v_cmp_gt_i64_e32 vcc, s[90:91], v[16:17]
	v_mov_b64_e32 v[4:5], 0
	v_mov_b64_e32 v[6:7], 0
	;; [unrolled: 1-line block ×4, first 2 shown]
	s_and_saveexec_b64 s[6:7], vcc
	s_cbranch_execz .LBB63_72
; %bb.69:                               ;   in Loop: Header=BB63_32 Depth=1
	v_readlane_b32 s14, v72, 40
	v_readlane_b32 s15, v72, 41
	s_mul_i32 s1, s15, s72
	s_mul_hi_u32 s2, s14, s72
	s_mov_b32 s96, s93
	s_mov_b64 s[70:71], s[94:95]
	s_add_i32 s69, s2, s1
	s_mul_i32 s68, s14, s72
	s_mov_b64 s[88:89], 0
	v_mov_b64_e32 v[38:39], v[32:33]
	v_mov_b64_e32 v[40:41], v[30:31]
	;; [unrolled: 1-line block ×4, first 2 shown]
	s_mov_b64 s[94:95], 0
	s_mov_b64 s[92:93], 0
	s_mov_b64 s[74:75], 0
	s_mov_b64 s[86:87], 0
	v_mov_b64_e32 v[46:47], v[16:17]
.LBB63_70:                              ;   Parent Loop BB63_32 Depth=1
                                        ; =>  This Inner Loop Header: Depth=2
	v_lshl_add_u64 v[4:5], v[38:39], 0, s[82:83]
	v_lshl_add_u64 v[6:7], v[40:41], 0, s[82:83]
	;; [unrolled: 1-line block ×4, first 2 shown]
	global_load_ushort v2, v[4:5], off
	s_nop 0
	global_load_ushort v4, v[6:7], off
	global_load_ushort v5, v[8:9], off
	s_nop 0
	global_load_ushort v6, v[10:11], off
	v_lshl_add_u64 v[46:47], v[46:47], 0, s[80:81]
	v_cmp_le_i64_e32 vcc, s[90:91], v[46:47]
	v_lshl_add_u64 v[44:45], v[44:45], 0, s[68:69]
	v_lshl_add_u64 v[42:43], v[42:43], 0, s[68:69]
	;; [unrolled: 1-line block ×4, first 2 shown]
	s_waitcnt vmcnt(3)
	v_cmp_lt_i16_e64 s[2:3], -1, v2
	s_nop 1
	v_cndmask_b32_e64 v7, v55, v56, s[2:3]
	s_waitcnt vmcnt(2)
	v_cmp_lt_i16_e64 s[2:3], -1, v4
	s_waitcnt vmcnt(1)
	v_cmp_o_f16_e64 s[14:15], v5, v5
	s_waitcnt vmcnt(0)
	v_cmp_o_f16_e64 s[16:17], v6, v6
	v_cndmask_b32_e64 v8, v55, v56, s[2:3]
	v_cmp_lt_i16_e64 s[2:3], -1, v5
	v_xor_b32_sdwa v8, v8, v4 dst_sel:DWORD dst_unused:UNUSED_PAD src0_sel:DWORD src1_sel:WORD_0
	v_cmp_o_f16_e64 s[18:19], v2, v2
	v_cndmask_b32_e64 v9, v55, v56, s[2:3]
	v_cmp_lt_i16_e64 s[2:3], -1, v6
	s_nop 1
	v_cndmask_b32_e64 v10, v55, v56, s[2:3]
	v_cmp_o_f16_e64 s[2:3], v4, v4
	v_xor_b32_sdwa v4, v9, v5 dst_sel:DWORD dst_unused:UNUSED_PAD src0_sel:DWORD src1_sel:WORD_0
	v_xor_b32_sdwa v5, v10, v6 dst_sel:DWORD dst_unused:UNUSED_PAD src0_sel:DWORD src1_sel:WORD_0
	;; [unrolled: 1-line block ×3, first 2 shown]
	v_cndmask_b32_e64 v2, v55, v6, s[18:19]
	v_cndmask_b32_e64 v6, v55, v8, s[2:3]
	v_and_b32_e32 v7, v2, v58
	v_bfe_u32 v2, v2, s65, 2
	v_cndmask_b32_e64 v4, v55, v4, s[14:15]
	v_and_b32_e32 v8, v6, v58
	v_bfe_u32 v6, v6, s65, 2
	v_cmp_eq_u32_e64 s[20:21], v7, v54
	v_cmp_eq_u32_e64 s[2:3], 0, v2
	v_cndmask_b32_e64 v5, v55, v5, s[16:17]
	v_and_b32_e32 v9, v4, v58
	v_bfe_u32 v4, v4, s65, 2
	v_cmp_eq_u32_e64 s[18:19], v8, v54
	v_cmp_eq_u32_e64 s[34:35], 0, v6
	s_and_b64 s[2:3], s[20:21], s[2:3]
	v_and_b32_e32 v10, v5, v58
	v_bfe_u32 v5, v5, s65, 2
	v_cmp_eq_u32_e64 s[16:17], v9, v54
	v_cmp_eq_u32_e64 s[36:37], 0, v4
	;; [unrolled: 1-line block ×5, first 2 shown]
	v_cndmask_b32_e64 v2, 0, 1, s[2:3]
	s_and_b64 s[2:3], s[18:19], s[34:35]
	v_cmp_eq_u32_e64 s[14:15], v10, v54
	v_cmp_eq_u32_e64 s[38:39], 0, v5
	;; [unrolled: 1-line block ×5, first 2 shown]
	v_cndmask_b32_e64 v4, 0, 1, s[2:3]
	s_and_b64 s[2:3], s[16:17], s[36:37]
	v_cmp_eq_u32_e64 s[46:47], 1, v5
	v_cmp_eq_u32_e64 s[54:55], 2, v5
	v_cmp_eq_u32_e64 s[22:23], 3, v5
	v_cndmask_b32_e64 v5, 0, 1, s[2:3]
	s_and_b64 s[2:3], s[14:15], s[38:39]
	v_cmp_eq_u32_e64 s[42:43], 1, v6
	v_cmp_eq_u32_e64 s[50:51], 2, v6
	;; [unrolled: 1-line block ×3, first 2 shown]
	v_cndmask_b32_e64 v6, 0, 1, s[2:3]
	v_cmp_ne_u32_e64 s[2:3], 0, v2
	v_cmp_ne_u32_e64 s[34:35], 0, v4
	v_cmp_ne_u32_e64 s[36:37], 0, v5
	v_cmp_ne_u32_e64 s[38:39], 0, v6
	s_bcnt1_i32_b64 s1, s[2:3]
	s_bcnt1_i32_b64 s2, s[34:35]
	s_bcnt1_i32_b64 s3, s[36:37]
	s_bcnt1_i32_b64 s34, s[38:39]
	s_add_u32 s1, s1, s86
	s_addc_u32 s35, 0, s87
	s_add_u32 s1, s1, s2
	s_addc_u32 s2, s35, 0
	s_add_u32 s1, s1, s3
	s_addc_u32 s2, s2, 0
	s_add_u32 s86, s1, s34
	s_addc_u32 s87, s2, 0
	s_and_b64 s[2:3], s[20:21], s[40:41]
	v_cndmask_b32_e64 v2, 0, 1, s[2:3]
	s_and_b64 s[2:3], s[18:19], s[42:43]
	v_cndmask_b32_e64 v6, 0, 1, s[2:3]
	s_and_b64 s[2:3], s[16:17], s[44:45]
	v_cndmask_b32_e64 v7, 0, 1, s[2:3]
	s_and_b64 s[2:3], s[14:15], s[46:47]
	v_cndmask_b32_e64 v8, 0, 1, s[2:3]
	v_cmp_ne_u32_e64 s[2:3], 0, v2
	v_cmp_ne_u32_e64 s[34:35], 0, v6
	v_cmp_ne_u32_e64 s[36:37], 0, v7
	v_cmp_ne_u32_e64 s[38:39], 0, v8
	s_bcnt1_i32_b64 s1, s[2:3]
	s_bcnt1_i32_b64 s2, s[34:35]
	s_bcnt1_i32_b64 s3, s[36:37]
	s_bcnt1_i32_b64 s34, s[38:39]
	s_add_u32 s1, s1, s74
	s_addc_u32 s35, 0, s75
	s_add_u32 s1, s1, s2
	s_addc_u32 s2, s35, 0
	s_add_u32 s1, s1, s3
	s_addc_u32 s2, s2, 0
	s_add_u32 s74, s1, s34
	s_addc_u32 s75, s2, 0
	s_and_b64 s[2:3], s[20:21], s[48:49]
	v_cndmask_b32_e64 v2, 0, 1, s[2:3]
	s_and_b64 s[2:3], s[18:19], s[50:51]
	v_cndmask_b32_e64 v8, 0, 1, s[2:3]
	s_and_b64 s[2:3], s[16:17], s[52:53]
	v_cndmask_b32_e64 v9, 0, 1, s[2:3]
	s_and_b64 s[2:3], s[14:15], s[54:55]
	;; [unrolled: 24-line block ×3, first 2 shown]
	v_cndmask_b32_e64 v62, 0, 1, s[2:3]
	v_cmp_ne_u32_e64 s[2:3], 0, v2
	v_cmp_ne_u32_e64 s[14:15], 0, v10
	;; [unrolled: 1-line block ×4, first 2 shown]
	s_bcnt1_i32_b64 s1, s[2:3]
	s_bcnt1_i32_b64 s2, s[14:15]
	;; [unrolled: 1-line block ×4, first 2 shown]
	s_add_u32 s1, s1, s94
	s_addc_u32 s15, 0, s95
	s_add_u32 s1, s1, s2
	s_addc_u32 s2, s15, 0
	;; [unrolled: 2-line block ×4, first 2 shown]
	v_mov_b64_e32 v[4:5], s[86:87]
	v_mov_b64_e32 v[6:7], s[74:75]
	;; [unrolled: 1-line block ×3, first 2 shown]
	s_or_b64 s[88:89], vcc, s[88:89]
	v_mov_b64_e32 v[10:11], s[94:95]
	s_andn2_b64 exec, exec, s[88:89]
	s_cbranch_execnz .LBB63_70
; %bb.71:                               ;   in Loop: Header=BB63_32 Depth=1
	s_or_b64 exec, exec, s[88:89]
	s_mov_b64 s[94:95], s[70:71]
	v_readlane_b32 s70, v72, 43
	v_readlane_b32 s74, v72, 45
	;; [unrolled: 1-line block ×3, first 2 shown]
	s_mov_b32 s93, s96
	v_readlane_b32 s75, v72, 46
	v_readlane_b32 s55, v72, 47
	;; [unrolled: 1-line block ×6, first 2 shown]
	s_movk_i32 s92, 0x3c00
.LBB63_72:                              ;   in Loop: Header=BB63_32 Depth=1
	s_or_b64 exec, exec, s[6:7]
	v_lshl_add_u64 v[38:39], s[90:91], 0, v[0:1]
	v_cmp_gt_i64_e32 vcc, s[56:57], v[38:39]
	s_and_saveexec_b64 s[6:7], vcc
	v_readlane_b32 s88, v72, 52
	v_readlane_b32 s89, v72, 53
	;; [unrolled: 1-line block ×3, first 2 shown]
	s_mov_b32 s91, 0x5040100
	s_cbranch_execz .LBB63_78
; %bb.73:                               ;   in Loop: Header=BB63_32 Depth=1
	v_mul_lo_u32 v2, v39, s62
	v_mul_lo_u32 v42, v38, s63
	v_mad_u64_u32 v[40:41], s[2:3], v38, s62, 0
	v_add3_u32 v41, v41, v42, v2
	v_lshl_add_u64 v[40:41], v[40:41], 1, s[84:85]
	global_load_ushort v2, v[40:41], off
	v_lshl_add_u64 v[40:41], v[34:35], 0, s[72:73]
	v_mov_b32_e32 v42, s9
	v_subrev_co_u32_e32 v43, vcc, s8, v40
	v_readlane_b32 s2, v72, 36
	s_nop 0
	v_subb_co_u32_e32 v40, vcc, v41, v42, vcc
	v_readlane_b32 s8, v72, 38
	v_readlane_b32 s3, v72, 37
	;; [unrolled: 1-line block ×3, first 2 shown]
	v_mul_lo_u32 v42, s8, v40
	v_mov_b64_e32 v[40:41], s[2:3]
	v_mad_u64_u32 v[40:41], s[2:3], s8, v43, v[40:41]
	v_mul_lo_u32 v44, s9, v43
	s_mul_i32 s1, s9, s72
	s_mul_hi_u32 s2, s8, s72
	v_add3_u32 v41, v44, v41, v42
	s_add_i32 s9, s2, s1
	s_mul_i32 s8, s8, s72
	s_mov_b64 s[14:15], 0
	s_branch .LBB63_75
.LBB63_74:                              ;   in Loop: Header=BB63_75 Depth=2
	s_or_b64 exec, exec, s[16:17]
	s_and_b64 s[2:3], exec, vcc
	s_waitcnt vmcnt(0)
	v_cmp_lt_i16_e32 vcc, -1, v2
	s_or_b64 s[14:15], s[2:3], s[14:15]
	v_lshl_add_u64 v[40:41], v[40:41], 0, s[8:9]
	v_cndmask_b32_e32 v43, v55, v56, vcc
	v_xor_b32_sdwa v43, v43, v2 dst_sel:DWORD dst_unused:UNUSED_PAD src0_sel:DWORD src1_sel:WORD_0
	v_cmp_o_f16_e32 vcc, v2, v2
	s_nop 1
	v_cndmask_b32_e32 v2, v55, v43, vcc
	v_and_b32_e32 v43, v2, v58
	v_bfe_u32 v2, v2, s65, 2
	v_cmp_eq_u32_e32 vcc, v43, v54
	v_cmp_eq_u32_e64 s[2:3], 0, v2
	s_and_b64 s[2:3], vcc, s[2:3]
	s_nop 0
	v_cndmask_b32_e64 v43, 0, 1, s[2:3]
	v_cmp_ne_u32_e64 s[2:3], 0, v43
	s_bcnt1_i32_b64 s80, s[2:3]
	v_cmp_eq_u32_e64 s[2:3], 1, v2
	s_and_b64 s[2:3], vcc, s[2:3]
	v_lshl_add_u64 v[4:5], s[80:81], 0, v[4:5]
	v_cndmask_b32_e64 v43, 0, 1, s[2:3]
	v_cmp_ne_u32_e64 s[2:3], 0, v43
	s_bcnt1_i32_b64 s80, s[2:3]
	v_cmp_eq_u32_e64 s[2:3], 2, v2
	s_and_b64 s[2:3], vcc, s[2:3]
	v_lshl_add_u64 v[6:7], s[80:81], 0, v[6:7]
	;; [unrolled: 6-line block ×3, first 2 shown]
	v_cndmask_b32_e64 v2, 0, 1, s[2:3]
	v_cmp_ne_u32_e32 vcc, 0, v2
	s_bcnt1_i32_b64 s80, vcc
	v_lshl_add_u64 v[10:11], s[80:81], 0, v[10:11]
	v_mov_b32_e32 v2, v42
	s_andn2_b64 exec, exec, s[14:15]
	s_cbranch_execz .LBB63_77
.LBB63_75:                              ;   Parent Loop BB63_32 Depth=1
                                        ; =>  This Inner Loop Header: Depth=2
	v_lshl_add_u64 v[38:39], v[38:39], 0, s[72:73]
	v_cmp_gt_i64_e64 s[2:3], s[56:57], v[38:39]
	v_cmp_le_i64_e32 vcc, s[56:57], v[38:39]
	v_mov_b32_e32 v42, 0
	s_and_saveexec_b64 s[16:17], s[2:3]
	s_cbranch_execz .LBB63_74
; %bb.76:                               ;   in Loop: Header=BB63_75 Depth=2
	global_load_ushort v42, v[40:41], off
	s_branch .LBB63_74
.LBB63_77:                              ;   in Loop: Header=BB63_32 Depth=1
	s_or_b64 exec, exec, s[14:15]
.LBB63_78:                              ;   in Loop: Header=BB63_32 Depth=1
	s_or_b64 exec, exec, s[6:7]
	s_mov_b64 s[2:3], 0
.LBB63_79:                              ;   in Loop: Header=BB63_32 Depth=1
	s_and_b64 vcc, exec, s[2:3]
	s_cbranch_vccz .LBB63_89
; %bb.80:                               ;   in Loop: Header=BB63_32 Depth=1
	global_load_ushort v2, v3, s[74:75]
	v_mov_b64_e32 v[8:9], 0
	s_waitcnt vmcnt(0)
	v_readfirstlane_b32 s1, v2
	s_and_b32 s92, 0xffff, s1
	s_lshl_b32 s80, s92, 2
	v_cvt_f32_u32_e32 v4, s80
	s_sub_i32 s1, 0, s80
	v_rcp_iflag_f32_e32 v6, v4
	v_mov_b64_e32 v[4:5], 0
	v_mul_f32_e32 v6, 0x4f7ffffe, v6
	v_cvt_u32_f32_e32 v10, v6
	v_mov_b64_e32 v[6:7], 0
	v_readfirstlane_b32 s2, v10
	s_mul_i32 s1, s1, s2
	s_mul_hi_u32 s1, s2, s1
	s_add_i32 s2, s2, s1
	s_mul_hi_u32 s1, s0, s2
	s_mul_i32 s2, s1, s80
	s_sub_i32 s2, s0, s2
	s_add_i32 s3, s1, 1
	s_sub_i32 s6, s2, s80
	s_cmp_ge_u32 s2, s80
	s_cselect_b32 s1, s3, s1
	s_cselect_b32 s2, s6, s2
	s_add_i32 s3, s1, 1
	s_cmp_ge_u32 s2, s80
	s_cselect_b32 s1, s3, s1
	s_mul_hi_u32 s9, s92, s1
	s_mul_i32 s8, s92, s1
	s_lshl_b64 s[6:7], s[8:9], 2
	v_cmp_gt_u64_e32 vcc, s[6:7], v[16:17]
	v_mov_b64_e32 v[10:11], 0
	s_and_saveexec_b64 s[68:69], vcc
	s_cbranch_execz .LBB63_84
; %bb.81:                               ;   in Loop: Header=BB63_32 Depth=1
	s_lshl_b32 s1, s92, 3
	s_mov_b64 s[72:73], 0
	v_mov_b32_e32 v40, v20
	s_mov_b64 s[74:75], 0
	s_mov_b64 s[86:87], 0
	s_mov_b64 s[88:89], 0
	s_mov_b64 s[90:91], 0
	v_mov_b64_e32 v[38:39], v[16:17]
.LBB63_82:                              ;   Parent Loop BB63_32 Depth=1
                                        ; =>  This Inner Loop Header: Depth=2
	ds_read_b64 v[4:5], v40
	v_lshl_add_u64 v[38:39], v[38:39], 0, s[80:81]
	v_cmp_le_u64_e32 vcc, s[6:7], v[38:39]
	v_add_u32_e32 v40, s1, v40
	s_waitcnt lgkmcnt(0)
	v_cmp_lt_i16_e64 s[2:3], -1, v4
	v_cmp_o_f16_e64 s[14:15], v5, v5
	s_nop 0
	v_cndmask_b32_e64 v6, v55, v56, s[2:3]
	v_cmp_gt_i16_sdwa s[2:3], v4, v21 src0_sel:WORD_1 src1_sel:DWORD
	v_cmp_o_f16_sdwa s[16:17], v5, v5 src0_sel:WORD_1 src1_sel:WORD_1
	v_cmp_o_f16_e64 s[18:19], v4, v4
	v_cndmask_b32_e64 v7, v55, v56, s[2:3]
	v_cmp_lt_i16_e64 s[2:3], -1, v5
	v_xor_b32_sdwa v7, v7, v4 dst_sel:DWORD dst_unused:UNUSED_PAD src0_sel:DWORD src1_sel:WORD_1
	s_nop 0
	v_cndmask_b32_e64 v8, v55, v56, s[2:3]
	v_cmp_gt_i16_sdwa s[2:3], v5, v21 src0_sel:WORD_1 src1_sel:DWORD
	v_bitop3_b32 v8, v8, v5, s33 bitop3:0x78
	s_nop 0
	v_cndmask_b32_e64 v9, v55, v56, s[2:3]
	v_xor_b32_sdwa v9, v9, v5 dst_sel:DWORD dst_unused:UNUSED_PAD src0_sel:DWORD src1_sel:WORD_1
	v_bitop3_b32 v5, v6, v4, s33 bitop3:0x78
	v_cmp_o_f16_sdwa s[2:3], v4, v4 src0_sel:WORD_1 src1_sel:WORD_1
	v_cndmask_b32_e64 v4, v55, v5, s[18:19]
	v_cndmask_b32_e64 v6, v55, v8, s[14:15]
	;; [unrolled: 1-line block ×3, first 2 shown]
	v_and_b32_e32 v8, v4, v58
	v_bfe_u32 v4, v4, s65, 2
	v_cndmask_b32_e64 v7, v55, v9, s[16:17]
	v_and_b32_e32 v9, v5, v58
	v_bfe_u32 v5, v5, s65, 2
	v_cmp_eq_u32_e64 s[20:21], v8, v54
	v_cmp_eq_u32_e64 s[2:3], 0, v4
	v_and_b32_e32 v10, v6, v58
	v_bfe_u32 v6, v6, s65, 2
	v_cmp_eq_u32_e64 s[18:19], v9, v54
	v_cmp_eq_u32_e64 s[34:35], 0, v5
	s_and_b64 s[2:3], s[20:21], s[2:3]
	v_and_b32_e32 v11, v7, v58
	v_bfe_u32 v7, v7, s65, 2
	v_cmp_eq_u32_e64 s[16:17], v10, v54
	v_cmp_eq_u32_e64 s[36:37], 0, v6
	;; [unrolled: 1-line block ×5, first 2 shown]
	v_cndmask_b32_e64 v4, 0, 1, s[2:3]
	s_and_b64 s[2:3], s[18:19], s[34:35]
	v_cmp_eq_u32_e64 s[14:15], v11, v54
	v_cmp_eq_u32_e64 s[38:39], 0, v7
	;; [unrolled: 1-line block ×5, first 2 shown]
	v_cndmask_b32_e64 v5, 0, 1, s[2:3]
	s_and_b64 s[2:3], s[16:17], s[36:37]
	v_cmp_eq_u32_e64 s[44:45], 1, v6
	v_cmp_eq_u32_e64 s[52:53], 2, v6
	;; [unrolled: 1-line block ×3, first 2 shown]
	v_cndmask_b32_e64 v6, 0, 1, s[2:3]
	s_and_b64 s[2:3], s[14:15], s[38:39]
	v_cmp_eq_u32_e64 s[46:47], 1, v7
	v_cmp_eq_u32_e64 s[54:55], 2, v7
	;; [unrolled: 1-line block ×3, first 2 shown]
	v_cndmask_b32_e64 v7, 0, 1, s[2:3]
	v_cmp_ne_u32_e64 s[2:3], 0, v4
	v_cmp_ne_u32_e64 s[34:35], 0, v5
	v_cmp_ne_u32_e64 s[36:37], 0, v6
	v_cmp_ne_u32_e64 s[38:39], 0, v7
	s_bcnt1_i32_b64 s2, s[2:3]
	s_bcnt1_i32_b64 s3, s[34:35]
	s_bcnt1_i32_b64 s9, s[36:37]
	s_bcnt1_i32_b64 s34, s[38:39]
	s_add_u32 s2, s2, s90
	s_addc_u32 s35, 0, s91
	s_add_u32 s2, s2, s3
	s_addc_u32 s3, s35, 0
	s_add_u32 s2, s2, s9
	s_addc_u32 s3, s3, 0
	s_add_u32 s90, s2, s34
	s_addc_u32 s91, s3, 0
	s_and_b64 s[2:3], s[20:21], s[40:41]
	v_cndmask_b32_e64 v6, 0, 1, s[2:3]
	s_and_b64 s[2:3], s[18:19], s[42:43]
	v_cndmask_b32_e64 v7, 0, 1, s[2:3]
	s_and_b64 s[2:3], s[16:17], s[44:45]
	v_cndmask_b32_e64 v8, 0, 1, s[2:3]
	s_and_b64 s[2:3], s[14:15], s[46:47]
	v_cndmask_b32_e64 v9, 0, 1, s[2:3]
	v_cmp_ne_u32_e64 s[2:3], 0, v6
	v_cmp_ne_u32_e64 s[34:35], 0, v7
	v_cmp_ne_u32_e64 s[36:37], 0, v8
	v_cmp_ne_u32_e64 s[38:39], 0, v9
	s_bcnt1_i32_b64 s2, s[2:3]
	s_bcnt1_i32_b64 s3, s[34:35]
	s_bcnt1_i32_b64 s9, s[36:37]
	s_bcnt1_i32_b64 s34, s[38:39]
	s_add_u32 s2, s2, s88
	s_addc_u32 s35, 0, s89
	s_add_u32 s2, s2, s3
	s_addc_u32 s3, s35, 0
	s_add_u32 s2, s2, s9
	s_addc_u32 s3, s3, 0
	s_add_u32 s88, s2, s34
	s_addc_u32 s89, s3, 0
	s_and_b64 s[2:3], s[20:21], s[48:49]
	v_cndmask_b32_e64 v8, 0, 1, s[2:3]
	s_and_b64 s[2:3], s[18:19], s[50:51]
	v_cndmask_b32_e64 v9, 0, 1, s[2:3]
	s_and_b64 s[2:3], s[16:17], s[52:53]
	v_cndmask_b32_e64 v10, 0, 1, s[2:3]
	s_and_b64 s[2:3], s[14:15], s[54:55]
	;; [unrolled: 24-line block ×3, first 2 shown]
	v_cndmask_b32_e64 v42, 0, 1, s[2:3]
	v_cmp_ne_u32_e64 s[2:3], 0, v10
	v_cmp_ne_u32_e64 s[14:15], 0, v11
	;; [unrolled: 1-line block ×4, first 2 shown]
	s_bcnt1_i32_b64 s2, s[2:3]
	s_bcnt1_i32_b64 s3, s[14:15]
	;; [unrolled: 1-line block ×4, first 2 shown]
	s_add_u32 s2, s2, s74
	s_addc_u32 s15, 0, s75
	s_add_u32 s2, s2, s3
	s_addc_u32 s3, s15, 0
	;; [unrolled: 2-line block ×4, first 2 shown]
	v_mov_b64_e32 v[4:5], s[90:91]
	v_mov_b64_e32 v[6:7], s[88:89]
	;; [unrolled: 1-line block ×3, first 2 shown]
	s_or_b64 s[72:73], vcc, s[72:73]
	v_mov_b64_e32 v[10:11], s[74:75]
	s_andn2_b64 exec, exec, s[72:73]
	s_cbranch_execnz .LBB63_82
; %bb.83:                               ;   in Loop: Header=BB63_32 Depth=1
	s_or_b64 exec, exec, s[72:73]
	v_readlane_b32 s70, v72, 43
	v_readlane_b32 s74, v72, 45
	;; [unrolled: 1-line block ×12, first 2 shown]
	s_mov_b32 s91, 0x5040100
.LBB63_84:                              ;   in Loop: Header=BB63_32 Depth=1
	s_or_b64 exec, exec, s[68:69]
	s_bitset0_b32 s0, 31
	s_mov_b32 s1, s81
	v_lshl_add_u64 v[38:39], s[6:7], 0, v[0:1]
	v_and_b32_e32 v2, 0xffff, v2
	v_cmp_gt_u64_e32 vcc, s[0:1], v[38:39]
	s_and_saveexec_b64 s[6:7], vcc
	s_cbranch_execz .LBB63_88
; %bb.85:                               ;   in Loop: Header=BB63_32 Depth=1
	v_lshl_add_u32 v40, s8, 3, v49
	s_lshl_b32 s22, s92, 1
	s_mov_b64 s[8:9], 0
.LBB63_86:                              ;   Parent Loop BB63_32 Depth=1
                                        ; =>  This Inner Loop Header: Depth=2
	ds_read_u16 v41, v40
	v_lshl_add_u64 v[38:39], v[38:39], 0, v[2:3]
	v_cmp_le_u64_e32 vcc, s[0:1], v[38:39]
	v_add_u32_e32 v40, s22, v40
	s_waitcnt lgkmcnt(0)
	v_cmp_lt_i16_e64 s[2:3], -1, v41
	s_nop 1
	v_cndmask_b32_e64 v42, v55, v56, s[2:3]
	v_xor_b32_sdwa v42, v42, v41 dst_sel:DWORD dst_unused:UNUSED_PAD src0_sel:DWORD src1_sel:WORD_0
	v_cmp_o_f16_e64 s[2:3], v41, v41
	s_nop 1
	v_cndmask_b32_e64 v41, v55, v42, s[2:3]
	v_and_b32_e32 v42, v41, v58
	v_bfe_u32 v41, v41, s65, 2
	v_cmp_eq_u32_e64 s[2:3], v42, v54
	v_cmp_eq_u32_e64 s[14:15], 0, v41
	;; [unrolled: 1-line block ×3, first 2 shown]
	s_and_b64 s[14:15], s[2:3], s[14:15]
	v_cmp_eq_u32_e64 s[18:19], 2, v41
	v_cmp_eq_u32_e64 s[20:21], 3, v41
	v_cndmask_b32_e64 v41, 0, 1, s[14:15]
	s_and_b64 s[14:15], s[2:3], s[16:17]
	v_cndmask_b32_e64 v42, 0, 1, s[14:15]
	s_and_b64 s[14:15], s[2:3], s[18:19]
	s_and_b64 s[2:3], s[2:3], s[20:21]
	v_cndmask_b32_e64 v44, 0, 1, s[2:3]
	v_cmp_ne_u32_e64 s[2:3], 0, v41
	v_cndmask_b32_e64 v43, 0, 1, s[14:15]
	v_cmp_ne_u32_e64 s[14:15], 0, v42
	s_bcnt1_i32_b64 s80, s[2:3]
	v_cmp_ne_u32_e64 s[16:17], 0, v43
	v_lshl_add_u64 v[4:5], s[80:81], 0, v[4:5]
	s_bcnt1_i32_b64 s80, s[14:15]
	v_cmp_ne_u32_e64 s[18:19], 0, v44
	v_lshl_add_u64 v[6:7], s[80:81], 0, v[6:7]
	s_bcnt1_i32_b64 s80, s[16:17]
	v_lshl_add_u64 v[8:9], s[80:81], 0, v[8:9]
	s_bcnt1_i32_b64 s80, s[18:19]
	s_or_b64 s[8:9], vcc, s[8:9]
	v_lshl_add_u64 v[10:11], s[80:81], 0, v[10:11]
	s_andn2_b64 exec, exec, s[8:9]
	s_cbranch_execnz .LBB63_86
; %bb.87:                               ;   in Loop: Header=BB63_32 Depth=1
	s_or_b64 exec, exec, s[8:9]
.LBB63_88:                              ;   in Loop: Header=BB63_32 Depth=1
	s_or_b64 exec, exec, s[6:7]
	s_movk_i32 s92, 0x3c00
.LBB63_89:                              ;   in Loop: Header=BB63_32 Depth=1
	v_readlane_b32 s0, v72, 42
	s_lshl_b32 s2, s0, 6
	s_and_saveexec_b64 s[0:1], s[4:5]
	s_cbranch_execz .LBB63_91
; %bb.90:                               ;   in Loop: Header=BB63_32 Depth=1
	v_lshl_add_u32 v2, s2, 3, v52
	ds_write_b128 v2, v[4:7]
	ds_write_b128 v2, v[8:11] offset:16
.LBB63_91:                              ;   in Loop: Header=BB63_32 Depth=1
	s_or_b64 exec, exec, s[0:1]
	s_waitcnt lgkmcnt(0)
	s_barrier
	s_mov_b64 s[0:1], exec
	v_readlane_b32 s6, v72, 12
	v_readlane_b32 s7, v72, 13
	s_and_b64 s[6:7], s[0:1], s[6:7]
	s_mov_b64 exec, s[6:7]
	s_cbranch_execz .LBB63_106
; %bb.92:                               ;   in Loop: Header=BB63_32 Depth=1
	v_readlane_b32 s6, v72, 20
	v_readlane_b32 s7, v72, 21
	s_andn2_b64 vcc, exec, s[6:7]
	v_mov_b64_e32 v[4:5], 0
	s_cbranch_vccnz .LBB63_105
; %bb.93:                               ;   in Loop: Header=BB63_32 Depth=1
	v_readlane_b32 s6, v72, 31
	v_readlane_b32 s7, v72, 32
	s_andn2_b64 vcc, exec, s[6:7]
	s_cbranch_vccnz .LBB63_101
; %bb.94:                               ;   in Loop: Header=BB63_32 Depth=1
	v_readlane_b32 s3, v72, 42
	v_mov_b64_e32 v[4:5], 0
	s_nop 0
	v_lshl_add_u32 v2, s3, 9, v53
	s_mov_b32 s3, 0
.LBB63_95:                              ;   Parent Loop BB63_32 Depth=1
                                        ; =>  This Inner Loop Header: Depth=2
	ds_read2_b64 v[6:9], v2 offset1:4
	ds_read2_b64 v[38:41], v2 offset0:8 offset1:12
	ds_read2_b64 v[42:45], v2 offset0:16 offset1:20
	;; [unrolled: 1-line block ×3, first 2 shown]
	s_add_i32 s3, s3, 8
	s_waitcnt lgkmcnt(3)
	v_lshl_add_u64 v[4:5], v[6:7], 0, v[4:5]
	v_lshl_add_u64 v[4:5], v[8:9], 0, v[4:5]
	s_waitcnt lgkmcnt(2)
	v_lshl_add_u64 v[4:5], v[38:39], 0, v[4:5]
	v_lshl_add_u64 v[4:5], v[40:41], 0, v[4:5]
	;; [unrolled: 3-line block ×3, first 2 shown]
	s_waitcnt lgkmcnt(0)
	v_lshl_add_u64 v[4:5], v[62:63], 0, v[4:5]
	v_add_u32_e32 v2, 0x100, v2
	s_cmp_eq_u32 s64, s3
	v_lshl_add_u64 v[4:5], v[64:65], 0, v[4:5]
	s_cbranch_scc0 .LBB63_95
; %bb.96:                               ;   in Loop: Header=BB63_32 Depth=1
	s_mov_b32 s3, s64
	s_branch .LBB63_102
.LBB63_97:                              ;   in Loop: Header=BB63_32 Depth=1
                                        ; implicit-def: $sgpr8_sgpr9
	s_branch .LBB63_67
.LBB63_98:                              ;   in Loop: Header=BB63_32 Depth=1
	s_or_b64 exec, exec, s[8:9]
	s_waitcnt lgkmcnt(0)
	s_barrier
	s_mov_b64 s[2:3], exec
	v_readlane_b32 s8, v72, 10
	v_readlane_b32 s9, v72, 11
	s_and_b64 s[8:9], s[2:3], s[8:9]
	s_mov_b64 exec, s[8:9]
	s_cbranch_execz .LBB63_100
; %bb.99:                               ;   in Loop: Header=BB63_32 Depth=1
	ds_read_b32 v4, v3 offset:5136
	s_waitcnt lgkmcnt(0)
	v_ashrrev_i32_e32 v5, 31, v4
	ds_write_b64 v3, v[4:5] offset:5120
.LBB63_100:                             ;   in Loop: Header=BB63_32 Depth=1
	s_or_b64 exec, exec, s[2:3]
	s_waitcnt lgkmcnt(0)
	s_barrier
	s_mov_b64 s[2:3], -1
	s_and_b64 vcc, exec, s[6:7]
	s_cbranch_vccnz .LBB63_47
	s_branch .LBB63_62
.LBB63_101:                             ;   in Loop: Header=BB63_32 Depth=1
	s_mov_b32 s3, 0
	v_mov_b64_e32 v[4:5], 0
.LBB63_102:                             ;   in Loop: Header=BB63_32 Depth=1
	v_readlane_b32 s6, v72, 34
	v_readlane_b32 s7, v72, 35
	s_andn2_b64 vcc, exec, s[6:7]
	s_cbranch_vccnz .LBB63_105
; %bb.103:                              ;   in Loop: Header=BB63_32 Depth=1
	v_readlane_b32 s6, v72, 42
	s_lshl_b32 s6, s6, 9
	s_lshl_b32 s3, s3, 5
	s_add_i32 s6, s6, s3
	v_add_u32_e32 v2, s6, v53
	v_readlane_b32 s3, v72, 33
.LBB63_104:                             ;   Parent Loop BB63_32 Depth=1
                                        ; =>  This Inner Loop Header: Depth=2
	ds_read_b64 v[6:7], v2
	s_add_i32 s3, s3, -1
	v_add_u32_e32 v2, 32, v2
	s_cmp_lg_u32 s3, 0
	s_waitcnt lgkmcnt(0)
	v_lshl_add_u64 v[4:5], v[6:7], 0, v[4:5]
	s_cbranch_scc1 .LBB63_104
.LBB63_105:                             ;   in Loop: Header=BB63_32 Depth=1
	v_add_lshl_u32 v2, s2, v48, 3
	ds_write_b64 v2, v[4:5] offset:3072
.LBB63_106:                             ;   in Loop: Header=BB63_32 Depth=1
	s_or_b64 exec, exec, s[0:1]
	s_lshl_b32 s0, s2, 3
	v_mov_b32_e32 v2, s0
	s_waitcnt lgkmcnt(0)
	s_barrier
	ds_read_b128 v[8:11], v2 offset:3088
	ds_read_b128 v[4:7], v2 offset:3072
	s_lshl_b32 s72, 3, s65
	v_cmp_eq_u64_e64 s[2:3], 1, v[36:37]
	s_not_b32 s52, s72
	s_waitcnt lgkmcnt(1)
	v_readfirstlane_b32 s22, v8
	s_waitcnt lgkmcnt(0)
	v_cmp_eq_u64_e32 vcc, 1, v[4:5]
	v_readfirstlane_b32 s23, v9
	v_readfirstlane_b32 s14, v10
	v_readfirstlane_b32 s15, v11
	s_and_b64 s[2:3], vcc, s[2:3]
	s_mov_b64 s[0:1], -1
	s_mov_b64 s[18:19], -1
                                        ; implicit-def: $sgpr8_sgpr9
                                        ; implicit-def: $sgpr6_sgpr7
	s_and_saveexec_b64 s[16:17], s[2:3]
	s_cbranch_execz .LBB63_140
; %bb.107:                              ;   in Loop: Header=BB63_32 Depth=1
	ds_read_b64 v[8:9], v3 offset:5120
	s_waitcnt lgkmcnt(0)
	s_barrier
	v_readfirstlane_b32 s18, v8
	v_readfirstlane_b32 s19, v9
	s_mov_b64 s[6:7], exec
	v_readlane_b32 s8, v72, 14
	v_readlane_b32 s9, v72, 15
	s_and_b64 s[8:9], s[6:7], s[8:9]
	s_mov_b64 exec, s[8:9]
; %bb.108:                              ;   in Loop: Header=BB63_32 Depth=1
	ds_write_b16 v50, v3
; %bb.109:                              ;   in Loop: Header=BB63_32 Depth=1
	s_or_b64 exec, exec, s[6:7]
	v_cmp_lt_i64_e64 s[20:21], s[18:19], 1
	v_and_b32_e32 v54, s52, v54
	v_or_b32_e32 v58, s72, v58
	s_mov_b64 s[6:7], -1
	s_mov_b64 s[8:9], 0
	s_and_b64 vcc, exec, s[20:21]
	s_mov_b64 s[20:21], 0
	s_mov_b64 s[24:25], -1
	s_waitcnt lgkmcnt(0)
	s_barrier
                                        ; implicit-def: $vgpr59
	s_cbranch_vccz .LBB63_124
; %bb.110:                              ;   in Loop: Header=BB63_32 Depth=1
	v_readlane_b32 s38, v72, 24
	v_readlane_b32 s39, v72, 25
	s_mov_b32 s38, s81
	s_cmp_lg_u64 s[38:39], 0
	v_writelane_b32 v72, s38, 24
	s_nop 1
	v_writelane_b32 v72, s39, 25
	s_cbranch_scc0 .LBB63_167
; %bb.111:                              ;   in Loop: Header=BB63_32 Depth=1
	s_add_u32 s20, s78, 0
	s_addc_u32 s21, 0, 0
	s_xor_b64 s[20:21], s[20:21], 0
	v_cvt_f32_u32_e32 v2, s20
	v_cvt_f32_u32_e32 v8, s21
	s_sub_u32 s26, 0, s20
	s_subb_u32 s27, 0, s21
	v_fmac_f32_e32 v2, 0x4f800000, v8
	v_rcp_f32_e32 v2, v2
	s_nop 0
	v_mul_f32_e32 v2, 0x5f7ffffc, v2
	v_mul_f32_e32 v8, 0x2f800000, v2
	v_trunc_f32_e32 v8, v8
	v_fmac_f32_e32 v2, 0xcf800000, v8
	v_cvt_u32_f32_e32 v8, v8
	v_cvt_u32_f32_e32 v2, v2
	v_readfirstlane_b32 s28, v8
	v_readfirstlane_b32 s24, v2
	s_mul_i32 s25, s26, s28
	s_mul_hi_u32 s34, s26, s24
	s_mul_i32 s29, s27, s24
	s_add_i32 s25, s34, s25
	s_mul_i32 s35, s26, s24
	s_add_i32 s25, s25, s29
	s_mul_i32 s34, s24, s25
	s_mul_hi_u32 s36, s24, s35
	s_mul_hi_u32 s29, s24, s25
	s_add_u32 s34, s36, s34
	s_addc_u32 s29, 0, s29
	s_mul_hi_u32 s37, s28, s35
	s_mul_i32 s35, s28, s35
	s_add_u32 s34, s34, s35
	s_mul_hi_u32 s36, s28, s25
	s_addc_u32 s29, s29, s37
	s_addc_u32 s34, s36, 0
	s_mul_i32 s25, s28, s25
	s_add_u32 s25, s29, s25
	s_addc_u32 s29, 0, s34
	s_add_u32 s34, s24, s25
	s_cselect_b64 s[24:25], -1, 0
	s_cmp_lg_u64 s[24:25], 0
	s_addc_u32 s28, s28, s29
	s_mul_i32 s24, s26, s28
	s_mul_hi_u32 s25, s26, s34
	s_add_i32 s24, s25, s24
	s_mul_i32 s27, s27, s34
	s_add_i32 s24, s24, s27
	s_mul_i32 s26, s26, s34
	s_mul_hi_u32 s27, s28, s26
	s_mul_i32 s29, s28, s26
	s_mul_i32 s36, s34, s24
	s_mul_hi_u32 s26, s34, s26
	s_mul_hi_u32 s35, s34, s24
	s_add_u32 s26, s26, s36
	s_addc_u32 s35, 0, s35
	s_add_u32 s26, s26, s29
	s_mul_hi_u32 s25, s28, s24
	s_addc_u32 s26, s35, s27
	s_addc_u32 s25, s25, 0
	s_mul_i32 s24, s28, s24
	s_add_u32 s24, s26, s24
	s_addc_u32 s26, 0, s25
	s_add_u32 s29, s34, s24
	s_cselect_b64 s[24:25], -1, 0
	s_cmp_lg_u64 s[24:25], 0
	s_addc_u32 s28, s28, s26
	s_ashr_i32 s24, s39, 31
	s_add_u32 s26, s93, s24
	s_mov_b32 s25, s24
	s_addc_u32 s27, s39, s24
	s_xor_b64 s[26:27], s[26:27], s[24:25]
	s_mul_i32 s35, s26, s28
	s_mul_hi_u32 s36, s26, s29
	s_mul_hi_u32 s34, s26, s28
	s_add_u32 s35, s36, s35
	s_addc_u32 s34, 0, s34
	s_mul_hi_u32 s37, s27, s29
	s_mul_i32 s29, s27, s29
	s_add_u32 s29, s35, s29
	s_mul_hi_u32 s36, s27, s28
	s_addc_u32 s29, s34, s37
	s_addc_u32 s34, s36, 0
	s_mul_i32 s28, s27, s28
	s_add_u32 s28, s29, s28
	s_addc_u32 s29, 0, s34
	s_mul_i32 s29, s20, s29
	s_mul_hi_u32 s34, s20, s28
	s_add_i32 s29, s34, s29
	s_mul_i32 s34, s21, s28
	s_add_i32 s36, s29, s34
	s_sub_i32 s34, s27, s36
	s_mul_i32 s28, s20, s28
	s_sub_u32 s26, s26, s28
	s_cselect_b64 s[28:29], -1, 0
	s_cmp_lg_u64 s[28:29], 0
	s_subb_u32 s37, s34, s21
	s_sub_u32 s38, s26, s20
	s_cselect_b64 s[34:35], -1, 0
	s_cmp_lg_u64 s[34:35], 0
	s_subb_u32 s39, s37, 0
	s_cmp_ge_u32 s39, s21
	s_cselect_b32 s40, -1, 0
	s_cmp_ge_u32 s38, s20
	s_cselect_b32 s41, -1, 0
	s_cmp_eq_u32 s39, s21
	s_cselect_b32 s40, s41, s40
	s_cmp_lg_u64 s[34:35], 0
	s_subb_u32 s37, s37, s21
	s_sub_u32 s41, s38, s20
	s_cselect_b64 s[34:35], -1, 0
	s_cmp_lg_u64 s[34:35], 0
	s_subb_u32 s34, s37, 0
	s_cmp_lg_u32 s40, 0
	s_cselect_b32 s35, s41, s38
	s_cselect_b32 s34, s34, s39
	s_cmp_lg_u64 s[28:29], 0
	s_subb_u32 s27, s27, s36
	s_cmp_ge_u32 s27, s21
	s_cselect_b32 s28, -1, 0
	s_cmp_ge_u32 s26, s20
	s_cselect_b32 s20, -1, 0
	s_cmp_eq_u32 s27, s21
	s_cselect_b32 s20, s20, s28
	s_cmp_lg_u32 s20, 0
	s_cselect_b32 s21, s34, s27
	s_cselect_b32 s20, s35, s26
	s_xor_b64 s[20:21], s[20:21], s[24:25]
	s_sub_u32 s20, s20, s24
	s_subb_u32 s21, s21, s24
	s_cbranch_execnz .LBB63_113
.LBB63_112:                             ;   in Loop: Header=BB63_32 Depth=1
	v_cvt_f32_u32_e32 v2, s78
	s_sub_i32 s20, 0, s78
	v_rcp_iflag_f32_e32 v2, v2
	s_nop 0
	v_mul_f32_e32 v2, 0x4f7ffffe, v2
	v_cvt_u32_f32_e32 v2, v2
	s_nop 0
	v_readfirstlane_b32 s21, v2
	s_mul_i32 s20, s20, s21
	s_mul_hi_u32 s20, s21, s20
	s_add_i32 s21, s21, s20
	s_mul_hi_u32 s20, s93, s21
	s_mul_i32 s20, s20, s78
	s_sub_i32 s20, s93, s20
	s_sub_i32 s21, s20, s78
	s_cmp_ge_u32 s20, s78
	s_cselect_b32 s20, s21, s20
	s_sub_i32 s21, s20, s78
	s_cmp_ge_u32 s20, s78
	s_cselect_b32 s80, s21, s20
	s_mov_b64 s[20:21], s[80:81]
.LBB63_113:                             ;   in Loop: Header=BB63_32 Depth=1
	v_readlane_b32 s24, v72, 24
	s_sub_u32 s28, s93, s20
	v_readlane_b32 s25, v72, 25
	s_subb_u32 s29, s25, s21
	v_cmp_gt_i64_e32 vcc, s[28:29], v[0:1]
	s_mov_b64 s[24:25], 0
	s_mov_b64 s[20:21], 0
                                        ; implicit-def: $vgpr59
	s_and_saveexec_b64 s[26:27], vcc
	s_cbranch_execz .LBB63_123
; %bb.114:                              ;   in Loop: Header=BB63_32 Depth=1
	v_mov_b64_e32 v[8:9], v[12:13]
	v_mov_b64_e32 v[10:11], v[0:1]
                                        ; implicit-def: $sgpr34_sgpr35
	s_branch .LBB63_118
.LBB63_115:                             ;   in Loop: Header=BB63_118 Depth=2
	s_or_b64 exec, exec, s[36:37]
	s_waitcnt lgkmcnt(0)
	s_barrier
	ds_read_b32 v2, v3 offset:3072
	s_waitcnt lgkmcnt(0)
	s_barrier
	v_cmp_neq_f16_e32 vcc, 0, v2
	s_cbranch_vccnz .LBB63_121
; %bb.116:                              ;   in Loop: Header=BB63_118 Depth=2
	v_lshl_add_u64 v[10:11], v[10:11], 0, s[78:79]
	v_cmp_le_i64_e32 vcc, s[28:29], v[10:11]
	v_lshl_add_u64 v[8:9], v[8:9], 0, s[94:95]
	s_mov_b64 s[36:37], 0
	s_orn2_b64 s[38:39], vcc, exec
.LBB63_117:                             ;   in Loop: Header=BB63_118 Depth=2
	s_and_b64 s[38:39], exec, s[38:39]
	s_or_b64 s[20:21], s[38:39], s[20:21]
	s_andn2_b64 s[34:35], s[34:35], exec
	s_and_b64 s[36:37], s[36:37], exec
	s_or_b64 s[34:35], s[34:35], s[36:37]
	s_andn2_b64 exec, exec, s[20:21]
	s_cbranch_execz .LBB63_122
.LBB63_118:                             ;   Parent Loop BB63_32 Depth=1
                                        ; =>  This Inner Loop Header: Depth=2
	v_cmp_gt_i64_e32 vcc, s[56:57], v[10:11]
	s_and_saveexec_b64 s[36:37], vcc
	s_cbranch_execz .LBB63_115
; %bb.119:                              ;   in Loop: Header=BB63_118 Depth=2
	global_load_ushort v2, v[8:9], off
	s_waitcnt vmcnt(0)
	v_cmp_lt_i16_e32 vcc, -1, v2
	s_nop 1
	v_cndmask_b32_e32 v38, v55, v56, vcc
	v_xor_b32_sdwa v38, v38, v2 dst_sel:DWORD dst_unused:UNUSED_PAD src0_sel:DWORD src1_sel:WORD_0
	v_cmp_o_f16_e32 vcc, v2, v2
	s_nop 1
	v_cndmask_b32_e32 v38, v55, v38, vcc
	v_and_b32_e32 v38, v38, v58
	v_cmp_eq_u32_e32 vcc, v38, v54
	s_and_b64 exec, exec, vcc
	s_cbranch_execz .LBB63_115
; %bb.120:                              ;   in Loop: Header=BB63_118 Depth=2
	v_perm_b32 v2, v2, s92, v57
	ds_write_b32 v3, v2 offset:3072
	s_branch .LBB63_115
.LBB63_121:                             ;   in Loop: Header=BB63_118 Depth=2
	s_mov_b64 s[38:39], -1
                                        ; implicit-def: $vgpr10_vgpr11
                                        ; implicit-def: $vgpr8_vgpr9
	s_mov_b64 s[36:37], -1
	s_branch .LBB63_117
.LBB63_122:                             ;   in Loop: Header=BB63_32 Depth=1
	s_or_b64 exec, exec, s[20:21]
	v_lshrrev_b32_e32 v59, 16, v2
	s_and_b64 s[20:21], s[34:35], exec
.LBB63_123:                             ;   in Loop: Header=BB63_32 Depth=1
	s_or_b64 exec, exec, s[26:27]
.LBB63_124:                             ;   in Loop: Header=BB63_32 Depth=1
	s_and_b64 vcc, exec, s[24:25]
	s_cbranch_vccz .LBB63_139
; %bb.125:                              ;   in Loop: Header=BB63_32 Depth=1
	v_readlane_b32 s6, v72, 22
	s_add_u32 s26, s18, s6
	v_readlane_b32 s6, v72, 23
	s_addc_u32 s7, s19, s6
	s_mov_b32 s6, s81
	s_cmp_lg_u64 s[6:7], 0
	s_cbranch_scc0 .LBB63_168
; %bb.126:                              ;   in Loop: Header=BB63_32 Depth=1
	s_add_u32 s8, s78, 0
	s_addc_u32 s9, 0, 0
	s_xor_b64 s[8:9], s[8:9], 0
	v_cvt_f32_u32_e32 v2, s8
	v_cvt_f32_u32_e32 v8, s9
	s_sub_u32 s6, 0, s8
	s_subb_u32 s27, 0, s9
	v_fmac_f32_e32 v2, 0x4f800000, v8
	v_rcp_f32_e32 v2, v2
	s_nop 0
	v_mul_f32_e32 v2, 0x5f7ffffc, v2
	v_mul_f32_e32 v8, 0x2f800000, v2
	v_trunc_f32_e32 v8, v8
	v_fmac_f32_e32 v2, 0xcf800000, v8
	v_cvt_u32_f32_e32 v8, v8
	v_cvt_u32_f32_e32 v2, v2
	v_readfirstlane_b32 s28, v8
	v_readfirstlane_b32 s24, v2
	s_mul_i32 s25, s6, s28
	s_mul_hi_u32 s34, s6, s24
	s_mul_i32 s29, s27, s24
	s_add_i32 s25, s34, s25
	s_mul_i32 s35, s6, s24
	s_add_i32 s25, s25, s29
	s_mul_i32 s34, s24, s25
	s_mul_hi_u32 s36, s24, s35
	s_mul_hi_u32 s29, s24, s25
	s_add_u32 s34, s36, s34
	s_addc_u32 s29, 0, s29
	s_mul_hi_u32 s37, s28, s35
	s_mul_i32 s35, s28, s35
	s_add_u32 s34, s34, s35
	s_mul_hi_u32 s36, s28, s25
	s_addc_u32 s29, s29, s37
	s_addc_u32 s34, s36, 0
	s_mul_i32 s25, s28, s25
	s_add_u32 s25, s29, s25
	s_addc_u32 s29, 0, s34
	s_add_u32 s34, s24, s25
	s_cselect_b64 s[24:25], -1, 0
	s_cmp_lg_u64 s[24:25], 0
	s_addc_u32 s28, s28, s29
	s_mul_i32 s24, s6, s28
	s_mul_hi_u32 s25, s6, s34
	s_add_i32 s24, s25, s24
	s_mul_i32 s27, s27, s34
	s_add_i32 s24, s24, s27
	s_mul_i32 s6, s6, s34
	s_mul_hi_u32 s27, s28, s6
	s_mul_i32 s29, s28, s6
	s_mul_i32 s36, s34, s24
	s_mul_hi_u32 s6, s34, s6
	s_mul_hi_u32 s35, s34, s24
	s_add_u32 s6, s6, s36
	s_addc_u32 s35, 0, s35
	s_add_u32 s6, s6, s29
	s_mul_hi_u32 s25, s28, s24
	s_addc_u32 s6, s35, s27
	s_addc_u32 s25, s25, 0
	s_mul_i32 s24, s28, s24
	s_add_u32 s6, s6, s24
	s_addc_u32 s27, 0, s25
	s_add_u32 s6, s34, s6
	s_cselect_b64 s[24:25], -1, 0
	s_cmp_lg_u64 s[24:25], 0
	s_addc_u32 s27, s28, s27
	s_ashr_i32 s24, s7, 31
	s_add_u32 s28, s26, s24
	s_mov_b32 s25, s24
	s_addc_u32 s29, s7, s24
	s_xor_b64 s[28:29], s[28:29], s[24:25]
	s_mul_i32 s35, s28, s27
	s_mul_hi_u32 s36, s28, s6
	s_mul_hi_u32 s34, s28, s27
	s_add_u32 s35, s36, s35
	s_addc_u32 s34, 0, s34
	s_mul_hi_u32 s37, s29, s6
	s_mul_i32 s6, s29, s6
	s_add_u32 s6, s35, s6
	s_mul_hi_u32 s36, s29, s27
	s_addc_u32 s6, s34, s37
	s_addc_u32 s34, s36, 0
	s_mul_i32 s27, s29, s27
	s_add_u32 s6, s6, s27
	s_addc_u32 s27, 0, s34
	s_mul_i32 s27, s8, s27
	s_mul_hi_u32 s34, s8, s6
	s_add_i32 s27, s34, s27
	s_mul_i32 s34, s9, s6
	s_add_i32 s27, s27, s34
	s_sub_i32 s36, s29, s27
	s_mul_i32 s6, s8, s6
	s_sub_u32 s6, s28, s6
	s_cselect_b64 s[34:35], -1, 0
	s_cmp_lg_u64 s[34:35], 0
	s_subb_u32 s28, s36, s9
	s_sub_u32 s38, s6, s8
	s_cselect_b64 s[36:37], -1, 0
	s_cmp_lg_u64 s[36:37], 0
	s_subb_u32 s39, s28, 0
	s_cmp_ge_u32 s39, s9
	s_cselect_b32 s40, -1, 0
	s_cmp_ge_u32 s38, s8
	s_cselect_b32 s41, -1, 0
	s_cmp_eq_u32 s39, s9
	s_cselect_b32 s40, s41, s40
	s_cmp_lg_u64 s[36:37], 0
	s_subb_u32 s28, s28, s9
	s_sub_u32 s41, s38, s8
	s_cselect_b64 s[36:37], -1, 0
	s_cmp_lg_u64 s[36:37], 0
	s_subb_u32 s28, s28, 0
	s_cmp_lg_u32 s40, 0
	s_cselect_b32 s36, s41, s38
	s_cselect_b32 s28, s28, s39
	s_cmp_lg_u64 s[34:35], 0
	s_subb_u32 s27, s29, s27
	s_cmp_ge_u32 s27, s9
	s_cselect_b32 s29, -1, 0
	s_cmp_ge_u32 s6, s8
	s_cselect_b32 s8, -1, 0
	s_cmp_eq_u32 s27, s9
	s_cselect_b32 s8, s8, s29
	s_cmp_lg_u32 s8, 0
	s_cselect_b32 s9, s28, s27
	s_cselect_b32 s8, s36, s6
	s_xor_b64 s[8:9], s[8:9], s[24:25]
	s_sub_u32 s8, s8, s24
	s_subb_u32 s9, s9, s24
	s_cbranch_execnz .LBB63_128
.LBB63_127:                             ;   in Loop: Header=BB63_32 Depth=1
	v_cvt_f32_u32_e32 v2, s78
	s_sub_i32 s6, 0, s78
	v_rcp_iflag_f32_e32 v2, v2
	s_nop 0
	v_mul_f32_e32 v2, 0x4f7ffffe, v2
	v_cvt_u32_f32_e32 v2, v2
	s_nop 0
	v_readfirstlane_b32 s8, v2
	s_mul_i32 s6, s6, s8
	s_mul_hi_u32 s6, s8, s6
	s_add_i32 s8, s8, s6
	s_mul_hi_u32 s6, s26, s8
	s_mul_i32 s6, s6, s78
	s_sub_i32 s6, s26, s6
	s_sub_i32 s8, s6, s78
	s_cmp_ge_u32 s6, s78
	s_cselect_b32 s6, s8, s6
	s_sub_i32 s8, s6, s78
	s_cmp_ge_u32 s6, s78
	s_cselect_b32 s80, s8, s6
	s_mov_b64 s[8:9], s[80:81]
.LBB63_128:                             ;   in Loop: Header=BB63_32 Depth=1
	s_sub_u32 s8, s26, s8
	s_subb_u32 s9, s7, s9
	v_cmp_gt_i64_e32 vcc, s[8:9], v[0:1]
                                        ; implicit-def: $vgpr59
	s_and_saveexec_b64 s[6:7], vcc
	s_cbranch_execz .LBB63_138
; %bb.129:                              ;   in Loop: Header=BB63_32 Depth=1
	s_mov_b64 s[24:25], 0
	v_mov_b32_e32 v2, v49
	v_mov_b64_e32 v[8:9], v[0:1]
                                        ; implicit-def: $sgpr26_sgpr27
	s_branch .LBB63_133
.LBB63_130:                             ;   in Loop: Header=BB63_133 Depth=2
	s_or_b64 exec, exec, s[28:29]
	s_waitcnt lgkmcnt(0)
	s_barrier
	ds_read_b32 v10, v3 offset:3072
	s_waitcnt lgkmcnt(0)
	s_barrier
	v_cmp_neq_f16_e32 vcc, 0, v10
	s_cbranch_vccnz .LBB63_136
; %bb.131:                              ;   in Loop: Header=BB63_133 Depth=2
	v_lshl_add_u64 v[8:9], v[8:9], 0, s[78:79]
	v_cmp_le_i64_e32 vcc, s[8:9], v[8:9]
	v_add_u32_e32 v2, s90, v2
	s_mov_b64 s[28:29], 0
	s_orn2_b64 s[34:35], vcc, exec
.LBB63_132:                             ;   in Loop: Header=BB63_133 Depth=2
	s_and_b64 s[34:35], exec, s[34:35]
	s_or_b64 s[24:25], s[34:35], s[24:25]
	s_andn2_b64 s[26:27], s[26:27], exec
	s_and_b64 s[28:29], s[28:29], exec
	s_or_b64 s[26:27], s[26:27], s[28:29]
	s_andn2_b64 exec, exec, s[24:25]
	s_cbranch_execz .LBB63_137
.LBB63_133:                             ;   Parent Loop BB63_32 Depth=1
                                        ; =>  This Inner Loop Header: Depth=2
	v_cmp_gt_u64_e32 vcc, s[18:19], v[8:9]
	s_and_saveexec_b64 s[28:29], vcc
	s_cbranch_execz .LBB63_130
; %bb.134:                              ;   in Loop: Header=BB63_133 Depth=2
	ds_read_u16 v10, v2
	s_waitcnt lgkmcnt(0)
	v_cmp_lt_i16_e32 vcc, -1, v10
	s_nop 1
	v_cndmask_b32_e32 v11, v55, v56, vcc
	v_xor_b32_sdwa v11, v11, v10 dst_sel:DWORD dst_unused:UNUSED_PAD src0_sel:DWORD src1_sel:WORD_0
	v_cmp_o_f16_e32 vcc, v10, v10
	s_nop 1
	v_cndmask_b32_e32 v11, v55, v11, vcc
	v_and_b32_e32 v11, v11, v58
	v_cmp_eq_u32_e32 vcc, v11, v54
	s_and_b64 exec, exec, vcc
	s_cbranch_execz .LBB63_130
; %bb.135:                              ;   in Loop: Header=BB63_133 Depth=2
	v_perm_b32 v10, v10, s92, v57
	ds_write_b32 v3, v10 offset:3072
	s_branch .LBB63_130
.LBB63_136:                             ;   in Loop: Header=BB63_133 Depth=2
	s_mov_b64 s[34:35], -1
                                        ; implicit-def: $vgpr8_vgpr9
                                        ; implicit-def: $vgpr2
	s_mov_b64 s[28:29], -1
	s_branch .LBB63_132
.LBB63_137:                             ;   in Loop: Header=BB63_32 Depth=1
	s_or_b64 exec, exec, s[24:25]
	s_andn2_b64 s[8:9], s[20:21], exec
	s_and_b64 s[18:19], s[26:27], exec
	v_lshrrev_b32_e32 v59, 16, v10
	s_or_b64 s[20:21], s[8:9], s[18:19]
.LBB63_138:                             ;   in Loop: Header=BB63_32 Depth=1
	s_or_b64 exec, exec, s[6:7]
	s_mov_b64 s[6:7], 0
	s_mov_b64 s[8:9], -1
.LBB63_139:                             ;   in Loop: Header=BB63_32 Depth=1
	s_orn2_b64 s[18:19], s[20:21], exec
.LBB63_140:                             ;   in Loop: Header=BB63_32 Depth=1
	s_or_b64 exec, exec, s[16:17]
	s_andn2_b64 s[16:17], s[30:31], exec
	s_and_b64 s[8:9], s[8:9], exec
	s_or_b64 s[86:87], s[16:17], s[8:9]
	s_andn2_b64 s[8:9], s[58:59], exec
	s_and_b64 s[6:7], s[6:7], exec
	s_andn2_b64 s[96:97], s[98:99], exec
	s_or_b64 s[98:99], s[8:9], s[6:7]
                                        ; implicit-def: $vgpr8_vgpr9
	s_and_saveexec_b64 s[16:17], s[18:19]
	s_cbranch_execz .LBB63_31
; %bb.141:                              ;   in Loop: Header=BB63_32 Depth=1
	s_xor_b64 s[2:3], s[2:3], -1
	v_mov_b32_e32 v2, 1
	s_mov_b64 s[6:7], 0
	v_mov_b64_e32 v[8:9], 1
	s_and_saveexec_b64 s[0:1], s[2:3]
	s_cbranch_execz .LBB63_150
; %bb.142:                              ;   in Loop: Header=BB63_32 Depth=1
	v_cmp_le_i64_e32 vcc, v[36:37], v[4:5]
	s_and_saveexec_b64 s[2:3], vcc
	s_xor_b64 s[2:3], exec, s[2:3]
	s_cbranch_execz .LBB63_147
; %bb.143:                              ;   in Loop: Header=BB63_32 Depth=1
	ds_read_b64 v[8:9], v3 offset:5120
	v_and_b32_e32 v54, s52, v54
	v_or_b32_e32 v58, s72, v58
	s_waitcnt lgkmcnt(0)
	v_cmp_ne_u64_e32 vcc, 0, v[8:9]
	s_cbranch_vccnz .LBB63_147
; %bb.144:                              ;   in Loop: Header=BB63_32 Depth=1
	s_mov_b64 s[6:7], exec
	v_readlane_b32 s8, v72, 10
	v_readlane_b32 s9, v72, 11
	s_and_b64 s[8:9], s[6:7], s[8:9]
	s_mov_b64 exec, s[8:9]
; %bb.145:                              ;   in Loop: Header=BB63_32 Depth=1
	ds_write_b64 v3, v[4:5] offset:5128
; %bb.146:                              ;   in Loop: Header=BB63_32 Depth=1
	s_or_b64 exec, exec, s[6:7]
	s_waitcnt lgkmcnt(0)
	s_barrier
.LBB63_147:                             ;   in Loop: Header=BB63_32 Depth=1
	s_or_saveexec_b64 s[2:3], s[2:3]
	s_mov_b64 s[6:7], 0
	v_mov_b32_e32 v2, 8
	s_xor_b64 exec, exec, s[2:3]
; %bb.148:                              ;   in Loop: Header=BB63_32 Depth=1
	v_sub_co_u32_e32 v36, vcc, v36, v4
	s_mov_b64 s[6:7], exec
	s_nop 0
	v_subb_co_u32_e32 v37, vcc, v37, v5, vcc
	v_mov_b32_e32 v2, 0
; %bb.149:                              ;   in Loop: Header=BB63_32 Depth=1
	s_or_b64 exec, exec, s[2:3]
	s_and_b64 s[6:7], s[6:7], exec
	v_mov_b64_e32 v[8:9], v[36:37]
.LBB63_150:                             ;   in Loop: Header=BB63_32 Depth=1
	s_or_b64 exec, exec, s[0:1]
	s_mov_b64 s[18:19], -1
	s_mov_b64 s[0:1], -1
                                        ; implicit-def: $sgpr2_sgpr3
                                        ; implicit-def: $sgpr24_sgpr25
	s_and_saveexec_b64 s[8:9], s[6:7]
	s_xor_b64 s[20:21], exec, s[8:9]
	s_cbranch_execz .LBB63_298
; %bb.151:                              ;   in Loop: Header=BB63_32 Depth=1
	v_cmp_eq_u64_e32 vcc, 1, v[6:7]
	v_cmp_eq_u64_e64 s[2:3], 1, v[8:9]
	s_and_b64 s[0:1], vcc, s[2:3]
	s_mov_b64 s[6:7], -1
                                        ; implicit-def: $sgpr24_sgpr25
                                        ; implicit-def: $sgpr2_sgpr3
	s_and_saveexec_b64 s[26:27], s[0:1]
	s_cbranch_execz .LBB63_187
; %bb.152:                              ;   in Loop: Header=BB63_32 Depth=1
	ds_read_b64 v[4:5], v3 offset:5120
	s_waitcnt lgkmcnt(0)
	s_barrier
	v_readfirstlane_b32 s28, v4
	v_readfirstlane_b32 s29, v5
	s_mov_b64 s[2:3], exec
	v_readlane_b32 s6, v72, 14
	v_readlane_b32 s7, v72, 15
	s_and_b64 s[6:7], s[2:3], s[6:7]
	s_mov_b64 exec, s[6:7]
; %bb.153:                              ;   in Loop: Header=BB63_32 Depth=1
	ds_write_b16 v50, v3
; %bb.154:                              ;   in Loop: Header=BB63_32 Depth=1
	s_or_b64 exec, exec, s[2:3]
	v_and_b32_e32 v4, s52, v54
	v_cmp_gt_i64_e64 s[6:7], s[28:29], 0
	v_lshl_or_b32 v54, 1, s65, v4
	v_or_b32_e32 v58, s72, v58
	s_mov_b64 s[2:3], -1
	s_mov_b64 s[24:25], 0
	s_and_b64 vcc, exec, s[6:7]
	s_mov_b64 s[6:7], 0
	s_mov_b64 s[8:9], -1
	s_waitcnt lgkmcnt(0)
	s_barrier
                                        ; implicit-def: $vgpr59
	s_cbranch_vccnz .LBB63_171
; %bb.155:                              ;   in Loop: Header=BB63_32 Depth=1
	v_readlane_b32 s42, v72, 24
	v_readlane_b32 s43, v72, 25
	s_mov_b32 s42, s81
	s_cmp_lg_u64 s[42:43], 0
	v_writelane_b32 v72, s42, 24
	s_nop 1
	v_writelane_b32 v72, s43, 25
	s_cbranch_scc0 .LBB63_215
; %bb.156:                              ;   in Loop: Header=BB63_32 Depth=1
	s_add_u32 s6, s78, 0
	s_addc_u32 s7, 0, 0
	s_xor_b64 s[6:7], s[6:7], 0
	v_cvt_f32_u32_e32 v4, s6
	v_cvt_f32_u32_e32 v5, s7
	s_sub_u32 s34, 0, s6
	s_subb_u32 s35, 0, s7
	v_fmac_f32_e32 v4, 0x4f800000, v5
	v_rcp_f32_e32 v4, v4
	s_nop 0
	v_mul_f32_e32 v4, 0x5f7ffffc, v4
	v_mul_f32_e32 v5, 0x2f800000, v4
	v_trunc_f32_e32 v5, v5
	v_fmac_f32_e32 v4, 0xcf800000, v5
	v_cvt_u32_f32_e32 v5, v5
	v_cvt_u32_f32_e32 v4, v4
	v_readfirstlane_b32 s36, v5
	v_readfirstlane_b32 s8, v4
	s_mul_i32 s9, s34, s36
	s_mul_hi_u32 s38, s34, s8
	s_mul_i32 s37, s35, s8
	s_add_i32 s9, s38, s9
	s_mul_i32 s39, s34, s8
	s_add_i32 s9, s9, s37
	s_mul_i32 s38, s8, s9
	s_mul_hi_u32 s40, s8, s39
	s_mul_hi_u32 s37, s8, s9
	s_add_u32 s38, s40, s38
	s_addc_u32 s37, 0, s37
	s_mul_hi_u32 s41, s36, s39
	s_mul_i32 s39, s36, s39
	s_add_u32 s38, s38, s39
	s_mul_hi_u32 s40, s36, s9
	s_addc_u32 s37, s37, s41
	s_addc_u32 s38, s40, 0
	s_mul_i32 s9, s36, s9
	s_add_u32 s9, s37, s9
	s_addc_u32 s37, 0, s38
	s_add_u32 s38, s8, s9
	s_cselect_b64 s[8:9], -1, 0
	s_cmp_lg_u64 s[8:9], 0
	s_addc_u32 s36, s36, s37
	s_mul_i32 s8, s34, s36
	s_mul_hi_u32 s9, s34, s38
	s_add_i32 s8, s9, s8
	s_mul_i32 s35, s35, s38
	s_add_i32 s8, s8, s35
	s_mul_i32 s34, s34, s38
	s_mul_hi_u32 s35, s36, s34
	s_mul_i32 s37, s36, s34
	s_mul_i32 s40, s38, s8
	s_mul_hi_u32 s34, s38, s34
	s_mul_hi_u32 s39, s38, s8
	s_add_u32 s34, s34, s40
	s_addc_u32 s39, 0, s39
	s_add_u32 s34, s34, s37
	s_mul_hi_u32 s9, s36, s8
	s_addc_u32 s34, s39, s35
	s_addc_u32 s9, s9, 0
	s_mul_i32 s8, s36, s8
	s_add_u32 s8, s34, s8
	s_addc_u32 s34, 0, s9
	s_add_u32 s37, s38, s8
	s_cselect_b64 s[8:9], -1, 0
	s_cmp_lg_u64 s[8:9], 0
	s_addc_u32 s36, s36, s34
	s_ashr_i32 s8, s43, 31
	s_add_u32 s34, s93, s8
	s_mov_b32 s9, s8
	s_addc_u32 s35, s43, s8
	s_xor_b64 s[34:35], s[34:35], s[8:9]
	s_mul_i32 s39, s34, s36
	s_mul_hi_u32 s40, s34, s37
	s_mul_hi_u32 s38, s34, s36
	s_add_u32 s39, s40, s39
	s_addc_u32 s38, 0, s38
	s_mul_hi_u32 s41, s35, s37
	s_mul_i32 s37, s35, s37
	s_add_u32 s37, s39, s37
	s_mul_hi_u32 s40, s35, s36
	s_addc_u32 s37, s38, s41
	s_addc_u32 s38, s40, 0
	s_mul_i32 s36, s35, s36
	s_add_u32 s36, s37, s36
	s_addc_u32 s37, 0, s38
	s_mul_i32 s37, s6, s37
	s_mul_hi_u32 s38, s6, s36
	s_add_i32 s37, s38, s37
	s_mul_i32 s38, s7, s36
	s_add_i32 s40, s37, s38
	s_sub_i32 s38, s35, s40
	s_mul_i32 s36, s6, s36
	s_sub_u32 s34, s34, s36
	s_cselect_b64 s[36:37], -1, 0
	s_cmp_lg_u64 s[36:37], 0
	s_subb_u32 s41, s38, s7
	s_sub_u32 s42, s34, s6
	s_cselect_b64 s[38:39], -1, 0
	s_cmp_lg_u64 s[38:39], 0
	s_subb_u32 s43, s41, 0
	s_cmp_ge_u32 s43, s7
	s_cselect_b32 s44, -1, 0
	s_cmp_ge_u32 s42, s6
	s_cselect_b32 s45, -1, 0
	s_cmp_eq_u32 s43, s7
	s_cselect_b32 s44, s45, s44
	s_cmp_lg_u64 s[38:39], 0
	s_subb_u32 s41, s41, s7
	s_sub_u32 s45, s42, s6
	s_cselect_b64 s[38:39], -1, 0
	s_cmp_lg_u64 s[38:39], 0
	s_subb_u32 s38, s41, 0
	s_cmp_lg_u32 s44, 0
	s_cselect_b32 s39, s45, s42
	s_cselect_b32 s38, s38, s43
	s_cmp_lg_u64 s[36:37], 0
	s_subb_u32 s35, s35, s40
	s_cmp_ge_u32 s35, s7
	s_cselect_b32 s36, -1, 0
	s_cmp_ge_u32 s34, s6
	s_cselect_b32 s6, -1, 0
	s_cmp_eq_u32 s35, s7
	s_cselect_b32 s6, s6, s36
	s_cmp_lg_u32 s6, 0
	s_cselect_b32 s7, s38, s35
	s_cselect_b32 s6, s39, s34
	s_xor_b64 s[6:7], s[6:7], s[8:9]
	s_sub_u32 s6, s6, s8
	s_subb_u32 s7, s7, s8
	s_cbranch_execnz .LBB63_158
.LBB63_157:                             ;   in Loop: Header=BB63_32 Depth=1
	v_cvt_f32_u32_e32 v4, s78
	s_sub_i32 s6, 0, s78
	v_rcp_iflag_f32_e32 v4, v4
	s_nop 0
	v_mul_f32_e32 v4, 0x4f7ffffe, v4
	v_cvt_u32_f32_e32 v4, v4
	s_nop 0
	v_readfirstlane_b32 s7, v4
	s_mul_i32 s6, s6, s7
	s_mul_hi_u32 s6, s7, s6
	s_add_i32 s7, s7, s6
	s_mul_hi_u32 s6, s93, s7
	s_mul_i32 s6, s6, s78
	s_sub_i32 s6, s93, s6
	s_sub_i32 s7, s6, s78
	s_cmp_ge_u32 s6, s78
	s_cselect_b32 s6, s7, s6
	s_sub_i32 s7, s6, s78
	s_cmp_ge_u32 s6, s78
	s_cselect_b32 s80, s7, s6
	s_mov_b64 s[6:7], s[80:81]
.LBB63_158:                             ;   in Loop: Header=BB63_32 Depth=1
	v_readlane_b32 s8, v72, 24
	s_sub_u32 s36, s93, s6
	v_readlane_b32 s9, v72, 25
	s_subb_u32 s37, s9, s7
	v_cmp_gt_i64_e32 vcc, s[36:37], v[0:1]
	s_mov_b64 s[8:9], 0
	s_mov_b64 s[6:7], 0
                                        ; implicit-def: $vgpr59
	s_and_saveexec_b64 s[34:35], vcc
	s_cbranch_execz .LBB63_170
; %bb.159:                              ;   in Loop: Header=BB63_32 Depth=1
	v_mov_b64_e32 v[4:5], v[12:13]
	v_mov_b64_e32 v[10:11], v[0:1]
                                        ; implicit-def: $sgpr38_sgpr39
	s_branch .LBB63_163
.LBB63_160:                             ;   in Loop: Header=BB63_163 Depth=2
	s_or_b64 exec, exec, s[40:41]
	s_waitcnt lgkmcnt(0)
	s_barrier
	ds_read_b32 v36, v3 offset:3072
	s_waitcnt lgkmcnt(0)
	s_barrier
	v_cmp_neq_f16_e32 vcc, 0, v36
	s_cbranch_vccnz .LBB63_166
; %bb.161:                              ;   in Loop: Header=BB63_163 Depth=2
	v_lshl_add_u64 v[10:11], v[10:11], 0, s[78:79]
	v_cmp_le_i64_e32 vcc, s[36:37], v[10:11]
	v_lshl_add_u64 v[4:5], v[4:5], 0, s[94:95]
	s_mov_b64 s[40:41], 0
	s_orn2_b64 s[42:43], vcc, exec
.LBB63_162:                             ;   in Loop: Header=BB63_163 Depth=2
	s_and_b64 s[42:43], exec, s[42:43]
	s_or_b64 s[6:7], s[42:43], s[6:7]
	s_andn2_b64 s[38:39], s[38:39], exec
	s_and_b64 s[40:41], s[40:41], exec
	s_or_b64 s[38:39], s[38:39], s[40:41]
	s_andn2_b64 exec, exec, s[6:7]
	s_cbranch_execz .LBB63_169
.LBB63_163:                             ;   Parent Loop BB63_32 Depth=1
                                        ; =>  This Inner Loop Header: Depth=2
	v_cmp_gt_i64_e32 vcc, s[56:57], v[10:11]
	s_and_saveexec_b64 s[40:41], vcc
	s_cbranch_execz .LBB63_160
; %bb.164:                              ;   in Loop: Header=BB63_163 Depth=2
	global_load_ushort v36, v[4:5], off
	s_waitcnt vmcnt(0)
	v_cmp_lt_i16_e32 vcc, -1, v36
	s_nop 1
	v_cndmask_b32_e32 v37, v55, v56, vcc
	v_xor_b32_sdwa v37, v37, v36 dst_sel:DWORD dst_unused:UNUSED_PAD src0_sel:DWORD src1_sel:WORD_0
	v_cmp_o_f16_e32 vcc, v36, v36
	s_nop 1
	v_cndmask_b32_e32 v37, v55, v37, vcc
	v_and_b32_e32 v37, v37, v58
	v_cmp_eq_u32_e32 vcc, v37, v54
	s_and_b64 exec, exec, vcc
	s_cbranch_execz .LBB63_160
; %bb.165:                              ;   in Loop: Header=BB63_163 Depth=2
	v_perm_b32 v36, v36, s92, v57
	ds_write_b32 v3, v36 offset:3072
	s_branch .LBB63_160
.LBB63_166:                             ;   in Loop: Header=BB63_163 Depth=2
	s_mov_b64 s[42:43], -1
                                        ; implicit-def: $vgpr10_vgpr11
                                        ; implicit-def: $vgpr4_vgpr5
	s_mov_b64 s[40:41], -1
	s_branch .LBB63_162
.LBB63_167:                             ;   in Loop: Header=BB63_32 Depth=1
                                        ; implicit-def: $sgpr20_sgpr21
	s_andn2_b64 vcc, exec, s[24:25]
	s_cbranch_vccz .LBB63_112
	s_branch .LBB63_113
.LBB63_168:                             ;   in Loop: Header=BB63_32 Depth=1
                                        ; implicit-def: $sgpr8_sgpr9
	s_branch .LBB63_127
.LBB63_169:                             ;   in Loop: Header=BB63_32 Depth=1
	s_or_b64 exec, exec, s[6:7]
	v_lshrrev_b32_e32 v59, 16, v36
	s_and_b64 s[6:7], s[38:39], exec
.LBB63_170:                             ;   in Loop: Header=BB63_32 Depth=1
	s_or_b64 exec, exec, s[34:35]
.LBB63_171:                             ;   in Loop: Header=BB63_32 Depth=1
	s_and_b64 vcc, exec, s[8:9]
	s_cbranch_vccz .LBB63_186
; %bb.172:                              ;   in Loop: Header=BB63_32 Depth=1
	v_readlane_b32 s2, v72, 22
	s_add_u32 s34, s28, s2
	v_readlane_b32 s2, v72, 23
	s_addc_u32 s3, s29, s2
	s_mov_b32 s2, s81
	s_cmp_lg_u64 s[2:3], 0
	s_cbranch_scc0 .LBB63_216
; %bb.173:                              ;   in Loop: Header=BB63_32 Depth=1
	s_add_u32 s8, s78, 0
	s_addc_u32 s9, 0, 0
	s_xor_b64 s[8:9], s[8:9], 0
	v_cvt_f32_u32_e32 v4, s8
	v_cvt_f32_u32_e32 v5, s9
	s_sub_u32 s2, 0, s8
	s_subb_u32 s35, 0, s9
	v_fmac_f32_e32 v4, 0x4f800000, v5
	v_rcp_f32_e32 v4, v4
	s_nop 0
	v_mul_f32_e32 v4, 0x5f7ffffc, v4
	v_mul_f32_e32 v5, 0x2f800000, v4
	v_trunc_f32_e32 v5, v5
	v_fmac_f32_e32 v4, 0xcf800000, v5
	v_cvt_u32_f32_e32 v5, v5
	v_cvt_u32_f32_e32 v4, v4
	v_readfirstlane_b32 s36, v5
	v_readfirstlane_b32 s24, v4
	s_mul_i32 s25, s2, s36
	s_mul_hi_u32 s38, s2, s24
	s_mul_i32 s37, s35, s24
	s_add_i32 s25, s38, s25
	s_mul_i32 s39, s2, s24
	s_add_i32 s25, s25, s37
	s_mul_i32 s38, s24, s25
	s_mul_hi_u32 s40, s24, s39
	s_mul_hi_u32 s37, s24, s25
	s_add_u32 s38, s40, s38
	s_addc_u32 s37, 0, s37
	s_mul_hi_u32 s41, s36, s39
	s_mul_i32 s39, s36, s39
	s_add_u32 s38, s38, s39
	s_mul_hi_u32 s40, s36, s25
	s_addc_u32 s37, s37, s41
	s_addc_u32 s38, s40, 0
	s_mul_i32 s25, s36, s25
	s_add_u32 s25, s37, s25
	s_addc_u32 s37, 0, s38
	s_add_u32 s38, s24, s25
	s_cselect_b64 s[24:25], -1, 0
	s_cmp_lg_u64 s[24:25], 0
	s_addc_u32 s36, s36, s37
	s_mul_i32 s24, s2, s36
	s_mul_hi_u32 s25, s2, s38
	s_add_i32 s24, s25, s24
	s_mul_i32 s35, s35, s38
	s_add_i32 s24, s24, s35
	s_mul_i32 s2, s2, s38
	s_mul_hi_u32 s35, s36, s2
	s_mul_i32 s37, s36, s2
	s_mul_i32 s40, s38, s24
	s_mul_hi_u32 s2, s38, s2
	s_mul_hi_u32 s39, s38, s24
	s_add_u32 s2, s2, s40
	s_addc_u32 s39, 0, s39
	s_add_u32 s2, s2, s37
	s_mul_hi_u32 s25, s36, s24
	s_addc_u32 s2, s39, s35
	s_addc_u32 s25, s25, 0
	s_mul_i32 s24, s36, s24
	s_add_u32 s2, s2, s24
	s_addc_u32 s35, 0, s25
	s_add_u32 s2, s38, s2
	s_cselect_b64 s[24:25], -1, 0
	s_cmp_lg_u64 s[24:25], 0
	s_addc_u32 s35, s36, s35
	s_ashr_i32 s24, s3, 31
	s_add_u32 s36, s34, s24
	s_mov_b32 s25, s24
	s_addc_u32 s37, s3, s24
	s_xor_b64 s[36:37], s[36:37], s[24:25]
	s_mul_i32 s39, s36, s35
	s_mul_hi_u32 s40, s36, s2
	s_mul_hi_u32 s38, s36, s35
	s_add_u32 s39, s40, s39
	s_addc_u32 s38, 0, s38
	s_mul_hi_u32 s41, s37, s2
	s_mul_i32 s2, s37, s2
	s_add_u32 s2, s39, s2
	s_mul_hi_u32 s40, s37, s35
	s_addc_u32 s2, s38, s41
	s_addc_u32 s38, s40, 0
	s_mul_i32 s35, s37, s35
	s_add_u32 s2, s2, s35
	s_addc_u32 s35, 0, s38
	s_mul_i32 s35, s8, s35
	s_mul_hi_u32 s38, s8, s2
	s_add_i32 s35, s38, s35
	s_mul_i32 s38, s9, s2
	s_add_i32 s35, s35, s38
	s_sub_i32 s40, s37, s35
	s_mul_i32 s2, s8, s2
	s_sub_u32 s2, s36, s2
	s_cselect_b64 s[38:39], -1, 0
	s_cmp_lg_u64 s[38:39], 0
	s_subb_u32 s36, s40, s9
	s_sub_u32 s42, s2, s8
	s_cselect_b64 s[40:41], -1, 0
	s_cmp_lg_u64 s[40:41], 0
	s_subb_u32 s43, s36, 0
	s_cmp_ge_u32 s43, s9
	s_cselect_b32 s44, -1, 0
	s_cmp_ge_u32 s42, s8
	s_cselect_b32 s45, -1, 0
	s_cmp_eq_u32 s43, s9
	s_cselect_b32 s44, s45, s44
	s_cmp_lg_u64 s[40:41], 0
	s_subb_u32 s36, s36, s9
	s_sub_u32 s45, s42, s8
	s_cselect_b64 s[40:41], -1, 0
	s_cmp_lg_u64 s[40:41], 0
	s_subb_u32 s36, s36, 0
	s_cmp_lg_u32 s44, 0
	s_cselect_b32 s40, s45, s42
	s_cselect_b32 s36, s36, s43
	s_cmp_lg_u64 s[38:39], 0
	s_subb_u32 s35, s37, s35
	s_cmp_ge_u32 s35, s9
	s_cselect_b32 s37, -1, 0
	s_cmp_ge_u32 s2, s8
	s_cselect_b32 s8, -1, 0
	s_cmp_eq_u32 s35, s9
	s_cselect_b32 s8, s8, s37
	s_cmp_lg_u32 s8, 0
	s_cselect_b32 s9, s36, s35
	s_cselect_b32 s8, s40, s2
	s_xor_b64 s[8:9], s[8:9], s[24:25]
	s_sub_u32 s8, s8, s24
	s_subb_u32 s9, s9, s24
	s_cbranch_execnz .LBB63_175
.LBB63_174:                             ;   in Loop: Header=BB63_32 Depth=1
	v_cvt_f32_u32_e32 v4, s78
	s_sub_i32 s2, 0, s78
	v_rcp_iflag_f32_e32 v4, v4
	s_nop 0
	v_mul_f32_e32 v4, 0x4f7ffffe, v4
	v_cvt_u32_f32_e32 v4, v4
	s_nop 0
	v_readfirstlane_b32 s8, v4
	s_mul_i32 s2, s2, s8
	s_mul_hi_u32 s2, s8, s2
	s_add_i32 s8, s8, s2
	s_mul_hi_u32 s2, s34, s8
	s_mul_i32 s2, s2, s78
	s_sub_i32 s2, s34, s2
	s_sub_i32 s8, s2, s78
	s_cmp_ge_u32 s2, s78
	s_cselect_b32 s2, s8, s2
	s_sub_i32 s8, s2, s78
	s_cmp_ge_u32 s2, s78
	s_cselect_b32 s80, s8, s2
	s_mov_b64 s[8:9], s[80:81]
.LBB63_175:                             ;   in Loop: Header=BB63_32 Depth=1
	s_sub_u32 s8, s34, s8
	s_subb_u32 s9, s3, s9
	v_cmp_gt_i64_e32 vcc, s[8:9], v[0:1]
                                        ; implicit-def: $vgpr59
	s_and_saveexec_b64 s[2:3], vcc
	s_cbranch_execz .LBB63_185
; %bb.176:                              ;   in Loop: Header=BB63_32 Depth=1
	s_mov_b64 s[24:25], 0
	v_mov_b32_e32 v10, v49
	v_mov_b64_e32 v[4:5], v[0:1]
                                        ; implicit-def: $sgpr34_sgpr35
	s_branch .LBB63_180
.LBB63_177:                             ;   in Loop: Header=BB63_180 Depth=2
	s_or_b64 exec, exec, s[36:37]
	s_waitcnt lgkmcnt(0)
	s_barrier
	ds_read_b32 v11, v3 offset:3072
	s_waitcnt lgkmcnt(0)
	s_barrier
	v_cmp_eq_f16_e32 vcc, 0, v11
	s_cbranch_vccz .LBB63_183
; %bb.178:                              ;   in Loop: Header=BB63_180 Depth=2
	v_lshl_add_u64 v[4:5], v[4:5], 0, s[78:79]
	v_cmp_le_i64_e32 vcc, s[8:9], v[4:5]
	v_add_u32_e32 v10, s90, v10
	s_mov_b64 s[36:37], 0
	s_orn2_b64 s[38:39], vcc, exec
.LBB63_179:                             ;   in Loop: Header=BB63_180 Depth=2
	s_and_b64 s[38:39], exec, s[38:39]
	s_or_b64 s[24:25], s[38:39], s[24:25]
	s_andn2_b64 s[34:35], s[34:35], exec
	s_and_b64 s[36:37], s[36:37], exec
	s_or_b64 s[34:35], s[34:35], s[36:37]
	s_andn2_b64 exec, exec, s[24:25]
	s_cbranch_execz .LBB63_184
.LBB63_180:                             ;   Parent Loop BB63_32 Depth=1
                                        ; =>  This Inner Loop Header: Depth=2
	v_cmp_gt_u64_e32 vcc, s[28:29], v[4:5]
	s_and_saveexec_b64 s[36:37], vcc
	s_cbranch_execz .LBB63_177
; %bb.181:                              ;   in Loop: Header=BB63_180 Depth=2
	ds_read_u16 v11, v10
	s_waitcnt lgkmcnt(0)
	v_cmp_lt_i16_e32 vcc, -1, v11
	s_nop 1
	v_cndmask_b32_e32 v36, v55, v56, vcc
	v_xor_b32_sdwa v36, v36, v11 dst_sel:DWORD dst_unused:UNUSED_PAD src0_sel:DWORD src1_sel:WORD_0
	v_cmp_o_f16_e32 vcc, v11, v11
	s_nop 1
	v_cndmask_b32_e32 v36, v55, v36, vcc
	v_and_b32_e32 v36, v36, v58
	v_cmp_eq_u32_e32 vcc, v36, v54
	s_and_b64 exec, exec, vcc
	s_cbranch_execz .LBB63_177
; %bb.182:                              ;   in Loop: Header=BB63_180 Depth=2
	v_perm_b32 v11, v11, s92, v57
	ds_write_b32 v3, v11 offset:3072
	s_branch .LBB63_177
.LBB63_183:                             ;   in Loop: Header=BB63_180 Depth=2
	s_mov_b64 s[38:39], -1
                                        ; implicit-def: $vgpr4_vgpr5
                                        ; implicit-def: $vgpr10
	s_mov_b64 s[36:37], -1
	s_branch .LBB63_179
.LBB63_184:                             ;   in Loop: Header=BB63_32 Depth=1
	s_or_b64 exec, exec, s[24:25]
	s_andn2_b64 s[6:7], s[6:7], exec
	s_and_b64 s[8:9], s[34:35], exec
	v_lshrrev_b32_e32 v59, 16, v11
	s_or_b64 s[6:7], s[6:7], s[8:9]
.LBB63_185:                             ;   in Loop: Header=BB63_32 Depth=1
	s_or_b64 exec, exec, s[2:3]
	s_mov_b64 s[2:3], 0
	s_mov_b64 s[24:25], -1
.LBB63_186:                             ;   in Loop: Header=BB63_32 Depth=1
	s_orn2_b64 s[6:7], s[6:7], exec
.LBB63_187:                             ;   in Loop: Header=BB63_32 Depth=1
	s_or_b64 exec, exec, s[26:27]
	s_mov_b64 s[8:9], 0
	s_and_saveexec_b64 s[26:27], s[6:7]
	s_cbranch_execz .LBB63_297
; %bb.188:                              ;   in Loop: Header=BB63_32 Depth=1
	s_xor_b64 s[6:7], s[0:1], -1
	v_mov_b32_e32 v2, 1
	v_mov_b64_e32 v[4:5], 1
	s_and_saveexec_b64 s[0:1], s[6:7]
	s_cbranch_execz .LBB63_198
; %bb.189:                              ;   in Loop: Header=BB63_32 Depth=1
	v_cmp_le_i64_e32 vcc, v[8:9], v[6:7]
	s_and_saveexec_b64 s[6:7], vcc
	s_xor_b64 s[6:7], exec, s[6:7]
	s_cbranch_execz .LBB63_195
; %bb.190:                              ;   in Loop: Header=BB63_32 Depth=1
	ds_read_b64 v[4:5], v3 offset:5120
	v_and_b32_e32 v2, s52, v54
	v_lshl_or_b32 v54, 1, s65, v2
	v_or_b32_e32 v58, s72, v58
	s_waitcnt lgkmcnt(0)
	v_cmp_ne_u64_e32 vcc, 0, v[4:5]
	s_cbranch_vccnz .LBB63_194
; %bb.191:                              ;   in Loop: Header=BB63_32 Depth=1
	s_mov_b64 s[8:9], exec
	v_readlane_b32 s28, v72, 10
	v_readlane_b32 s29, v72, 11
	s_and_b64 s[28:29], s[8:9], s[28:29]
	s_mov_b64 exec, s[28:29]
; %bb.192:                              ;   in Loop: Header=BB63_32 Depth=1
	ds_write_b64 v3, v[6:7] offset:5128
; %bb.193:                              ;   in Loop: Header=BB63_32 Depth=1
	s_or_b64 exec, exec, s[8:9]
	s_waitcnt lgkmcnt(0)
	s_barrier
.LBB63_194:                             ;   in Loop: Header=BB63_32 Depth=1
                                        ; implicit-def: $vgpr4_vgpr5_vgpr6_vgpr7
.LBB63_195:                             ;   in Loop: Header=BB63_32 Depth=1
	s_or_saveexec_b64 s[6:7], s[6:7]
	s_mov_b64 s[8:9], 0
	v_mov_b32_e32 v2, 8
	s_xor_b64 exec, exec, s[6:7]
; %bb.196:                              ;   in Loop: Header=BB63_32 Depth=1
	v_sub_co_u32_e32 v8, vcc, v8, v6
	s_mov_b64 s[8:9], exec
	s_nop 0
	v_subb_co_u32_e32 v9, vcc, v9, v7, vcc
	v_mov_b32_e32 v2, 0
; %bb.197:                              ;   in Loop: Header=BB63_32 Depth=1
	s_or_b64 exec, exec, s[6:7]
	s_and_b64 s[8:9], s[8:9], exec
	v_mov_b64_e32 v[4:5], v[8:9]
.LBB63_198:                             ;   in Loop: Header=BB63_32 Depth=1
	s_or_b64 exec, exec, s[0:1]
	s_mov_b64 s[6:7], -1
                                        ; implicit-def: $sgpr28_sgpr29
                                        ; implicit-def: $sgpr34_sgpr35
	s_and_saveexec_b64 s[0:1], s[8:9]
	s_cbranch_execz .LBB63_296
; %bb.199:                              ;   in Loop: Header=BB63_32 Depth=1
	s_cmp_eq_u64 s[22:23], 1
	s_cselect_b64 s[6:7], -1, 0
	v_cmp_eq_u64_e32 vcc, 1, v[4:5]
	s_and_b64 s[38:39], s[6:7], vcc
	s_mov_b64 s[6:7], -1
                                        ; implicit-def: $sgpr34_sgpr35
                                        ; implicit-def: $sgpr28_sgpr29
	s_and_saveexec_b64 s[36:37], s[38:39]
	s_cbranch_execz .LBB63_235
; %bb.200:                              ;   in Loop: Header=BB63_32 Depth=1
	ds_read_b64 v[6:7], v3 offset:5120
	s_waitcnt lgkmcnt(0)
	s_barrier
	v_readfirstlane_b32 s40, v6
	v_readfirstlane_b32 s41, v7
	s_mov_b64 s[6:7], exec
	v_readlane_b32 s8, v72, 14
	v_readlane_b32 s9, v72, 15
	s_and_b64 s[8:9], s[6:7], s[8:9]
	s_mov_b64 exec, s[8:9]
; %bb.201:                              ;   in Loop: Header=BB63_32 Depth=1
	ds_write_b16 v50, v3
; %bb.202:                              ;   in Loop: Header=BB63_32 Depth=1
	s_or_b64 exec, exec, s[6:7]
	v_and_b32_e32 v6, s52, v54
	v_cmp_gt_i64_e64 s[6:7], s[40:41], 0
	v_lshl_or_b32 v54, 2, s65, v6
	v_or_b32_e32 v58, s72, v58
	s_mov_b64 s[28:29], -1
	s_mov_b64 s[34:35], 0
	s_and_b64 vcc, exec, s[6:7]
	s_mov_b64 s[6:7], 0
	s_mov_b64 s[8:9], -1
	s_waitcnt lgkmcnt(0)
	s_barrier
                                        ; implicit-def: $vgpr59
	s_cbranch_vccnz .LBB63_219
; %bb.203:                              ;   in Loop: Header=BB63_32 Depth=1
	v_readlane_b32 s50, v72, 24
	v_readlane_b32 s51, v72, 25
	s_mov_b32 s50, s81
	s_cmp_lg_u64 s[50:51], 0
	v_writelane_b32 v72, s50, 24
	s_nop 1
	v_writelane_b32 v72, s51, 25
	s_cbranch_scc0 .LBB63_262
; %bb.204:                              ;   in Loop: Header=BB63_32 Depth=1
	s_add_u32 s6, s78, 0
	s_addc_u32 s7, 0, 0
	s_xor_b64 s[6:7], s[6:7], 0
	v_cvt_f32_u32_e32 v6, s6
	v_cvt_f32_u32_e32 v7, s7
	s_sub_u32 s42, 0, s6
	s_subb_u32 s43, 0, s7
	v_fmac_f32_e32 v6, 0x4f800000, v7
	v_rcp_f32_e32 v6, v6
	s_nop 0
	v_mul_f32_e32 v6, 0x5f7ffffc, v6
	v_mul_f32_e32 v7, 0x2f800000, v6
	v_trunc_f32_e32 v7, v7
	v_fmac_f32_e32 v6, 0xcf800000, v7
	v_cvt_u32_f32_e32 v7, v7
	v_cvt_u32_f32_e32 v6, v6
	v_readfirstlane_b32 s44, v7
	v_readfirstlane_b32 s8, v6
	s_mul_i32 s9, s42, s44
	s_mul_hi_u32 s46, s42, s8
	s_mul_i32 s45, s43, s8
	s_add_i32 s9, s46, s9
	s_mul_i32 s47, s42, s8
	s_add_i32 s9, s9, s45
	s_mul_i32 s46, s8, s9
	s_mul_hi_u32 s48, s8, s47
	s_mul_hi_u32 s45, s8, s9
	s_add_u32 s46, s48, s46
	s_addc_u32 s45, 0, s45
	s_mul_hi_u32 s49, s44, s47
	s_mul_i32 s47, s44, s47
	s_add_u32 s46, s46, s47
	s_mul_hi_u32 s48, s44, s9
	s_addc_u32 s45, s45, s49
	s_addc_u32 s46, s48, 0
	s_mul_i32 s9, s44, s9
	s_add_u32 s9, s45, s9
	s_addc_u32 s45, 0, s46
	s_add_u32 s46, s8, s9
	s_cselect_b64 s[8:9], -1, 0
	s_cmp_lg_u64 s[8:9], 0
	s_addc_u32 s44, s44, s45
	s_mul_i32 s8, s42, s44
	s_mul_hi_u32 s9, s42, s46
	s_add_i32 s8, s9, s8
	s_mul_i32 s43, s43, s46
	s_add_i32 s8, s8, s43
	s_mul_i32 s42, s42, s46
	s_mul_hi_u32 s43, s44, s42
	s_mul_i32 s45, s44, s42
	s_mul_i32 s48, s46, s8
	s_mul_hi_u32 s42, s46, s42
	s_mul_hi_u32 s47, s46, s8
	s_add_u32 s42, s42, s48
	s_addc_u32 s47, 0, s47
	s_add_u32 s42, s42, s45
	s_mul_hi_u32 s9, s44, s8
	s_addc_u32 s42, s47, s43
	s_addc_u32 s9, s9, 0
	s_mul_i32 s8, s44, s8
	s_add_u32 s8, s42, s8
	s_addc_u32 s42, 0, s9
	s_add_u32 s45, s46, s8
	s_cselect_b64 s[8:9], -1, 0
	s_cmp_lg_u64 s[8:9], 0
	s_addc_u32 s44, s44, s42
	s_ashr_i32 s8, s51, 31
	s_add_u32 s42, s93, s8
	s_mov_b32 s9, s8
	s_addc_u32 s43, s51, s8
	s_xor_b64 s[42:43], s[42:43], s[8:9]
	s_mul_i32 s47, s42, s44
	s_mul_hi_u32 s48, s42, s45
	s_mul_hi_u32 s46, s42, s44
	s_add_u32 s47, s48, s47
	s_addc_u32 s46, 0, s46
	s_mul_hi_u32 s49, s43, s45
	s_mul_i32 s45, s43, s45
	s_add_u32 s45, s47, s45
	s_mul_hi_u32 s48, s43, s44
	s_addc_u32 s45, s46, s49
	s_addc_u32 s46, s48, 0
	s_mul_i32 s44, s43, s44
	s_add_u32 s44, s45, s44
	s_addc_u32 s45, 0, s46
	s_mul_i32 s45, s6, s45
	s_mul_hi_u32 s46, s6, s44
	s_add_i32 s45, s46, s45
	s_mul_i32 s46, s7, s44
	s_add_i32 s48, s45, s46
	s_sub_i32 s46, s43, s48
	s_mul_i32 s44, s6, s44
	s_sub_u32 s42, s42, s44
	s_cselect_b64 s[44:45], -1, 0
	s_cmp_lg_u64 s[44:45], 0
	s_subb_u32 s49, s46, s7
	s_sub_u32 s50, s42, s6
	s_cselect_b64 s[46:47], -1, 0
	s_cmp_lg_u64 s[46:47], 0
	s_subb_u32 s51, s49, 0
	s_cmp_ge_u32 s51, s7
	s_cselect_b32 s53, -1, 0
	s_cmp_ge_u32 s50, s6
	s_cselect_b32 s54, -1, 0
	s_cmp_eq_u32 s51, s7
	s_cselect_b32 s53, s54, s53
	s_cmp_lg_u64 s[46:47], 0
	s_subb_u32 s49, s49, s7
	s_sub_u32 s54, s50, s6
	s_cselect_b64 s[46:47], -1, 0
	s_cmp_lg_u64 s[46:47], 0
	s_subb_u32 s46, s49, 0
	s_cmp_lg_u32 s53, 0
	s_cselect_b32 s47, s54, s50
	s_cselect_b32 s46, s46, s51
	s_cmp_lg_u64 s[44:45], 0
	s_subb_u32 s43, s43, s48
	s_cmp_ge_u32 s43, s7
	s_cselect_b32 s44, -1, 0
	s_cmp_ge_u32 s42, s6
	s_cselect_b32 s6, -1, 0
	s_cmp_eq_u32 s43, s7
	s_cselect_b32 s6, s6, s44
	s_cmp_lg_u32 s6, 0
	s_cselect_b32 s7, s46, s43
	s_cselect_b32 s6, s47, s42
	s_xor_b64 s[6:7], s[6:7], s[8:9]
	s_sub_u32 s6, s6, s8
	s_subb_u32 s7, s7, s8
	s_cbranch_execnz .LBB63_206
.LBB63_205:                             ;   in Loop: Header=BB63_32 Depth=1
	v_cvt_f32_u32_e32 v6, s78
	s_sub_i32 s6, 0, s78
	v_rcp_iflag_f32_e32 v6, v6
	s_nop 0
	v_mul_f32_e32 v6, 0x4f7ffffe, v6
	v_cvt_u32_f32_e32 v6, v6
	s_nop 0
	v_readfirstlane_b32 s7, v6
	s_mul_i32 s6, s6, s7
	s_mul_hi_u32 s6, s7, s6
	s_add_i32 s7, s7, s6
	s_mul_hi_u32 s6, s93, s7
	s_mul_i32 s6, s6, s78
	s_sub_i32 s6, s93, s6
	s_sub_i32 s7, s6, s78
	s_cmp_ge_u32 s6, s78
	s_cselect_b32 s6, s7, s6
	s_sub_i32 s7, s6, s78
	s_cmp_ge_u32 s6, s78
	s_cselect_b32 s80, s7, s6
	s_mov_b64 s[6:7], s[80:81]
.LBB63_206:                             ;   in Loop: Header=BB63_32 Depth=1
	v_readlane_b32 s8, v72, 24
	s_sub_u32 s44, s93, s6
	v_readlane_b32 s9, v72, 25
	s_subb_u32 s45, s9, s7
	v_cmp_gt_i64_e32 vcc, s[44:45], v[0:1]
	s_mov_b64 s[8:9], 0
	s_mov_b64 s[6:7], 0
                                        ; implicit-def: $vgpr59
	s_and_saveexec_b64 s[42:43], vcc
	v_readlane_b32 s54, v72, 48
	s_cbranch_execz .LBB63_218
; %bb.207:                              ;   in Loop: Header=BB63_32 Depth=1
	v_mov_b64_e32 v[6:7], v[12:13]
	v_mov_b64_e32 v[8:9], v[0:1]
                                        ; implicit-def: $sgpr46_sgpr47
	s_branch .LBB63_211
.LBB63_208:                             ;   in Loop: Header=BB63_211 Depth=2
	s_or_b64 exec, exec, s[48:49]
	s_waitcnt lgkmcnt(0)
	s_barrier
	ds_read_b32 v10, v3 offset:3072
	s_waitcnt lgkmcnt(0)
	s_barrier
	v_cmp_neq_f16_e32 vcc, 0, v10
	s_cbranch_vccnz .LBB63_214
; %bb.209:                              ;   in Loop: Header=BB63_211 Depth=2
	v_lshl_add_u64 v[8:9], v[8:9], 0, s[78:79]
	v_cmp_le_i64_e32 vcc, s[44:45], v[8:9]
	v_lshl_add_u64 v[6:7], v[6:7], 0, s[94:95]
	s_mov_b64 s[48:49], 0
	s_orn2_b64 s[50:51], vcc, exec
.LBB63_210:                             ;   in Loop: Header=BB63_211 Depth=2
	s_and_b64 s[50:51], exec, s[50:51]
	s_or_b64 s[6:7], s[50:51], s[6:7]
	s_andn2_b64 s[46:47], s[46:47], exec
	s_and_b64 s[48:49], s[48:49], exec
	s_or_b64 s[46:47], s[46:47], s[48:49]
	s_andn2_b64 exec, exec, s[6:7]
	s_cbranch_execz .LBB63_217
.LBB63_211:                             ;   Parent Loop BB63_32 Depth=1
                                        ; =>  This Inner Loop Header: Depth=2
	v_cmp_gt_i64_e32 vcc, s[56:57], v[8:9]
	s_and_saveexec_b64 s[48:49], vcc
	s_cbranch_execz .LBB63_208
; %bb.212:                              ;   in Loop: Header=BB63_211 Depth=2
	global_load_ushort v10, v[6:7], off
	s_waitcnt vmcnt(0)
	v_cmp_lt_i16_e32 vcc, -1, v10
	s_nop 1
	v_cndmask_b32_e32 v11, v55, v56, vcc
	v_xor_b32_sdwa v11, v11, v10 dst_sel:DWORD dst_unused:UNUSED_PAD src0_sel:DWORD src1_sel:WORD_0
	v_cmp_o_f16_e32 vcc, v10, v10
	s_nop 1
	v_cndmask_b32_e32 v11, v55, v11, vcc
	v_and_b32_e32 v11, v11, v58
	v_cmp_eq_u32_e32 vcc, v11, v54
	s_and_b64 exec, exec, vcc
	s_cbranch_execz .LBB63_208
; %bb.213:                              ;   in Loop: Header=BB63_211 Depth=2
	v_perm_b32 v10, v10, s92, v57
	ds_write_b32 v3, v10 offset:3072
	s_branch .LBB63_208
.LBB63_214:                             ;   in Loop: Header=BB63_211 Depth=2
	s_mov_b64 s[50:51], -1
                                        ; implicit-def: $vgpr8_vgpr9
                                        ; implicit-def: $vgpr6_vgpr7
	s_mov_b64 s[48:49], -1
	s_branch .LBB63_210
.LBB63_215:                             ;   in Loop: Header=BB63_32 Depth=1
                                        ; implicit-def: $sgpr6_sgpr7
	s_andn2_b64 vcc, exec, s[8:9]
	s_cbranch_vccz .LBB63_157
	s_branch .LBB63_158
.LBB63_216:                             ;   in Loop: Header=BB63_32 Depth=1
                                        ; implicit-def: $sgpr8_sgpr9
	s_branch .LBB63_174
.LBB63_217:                             ;   in Loop: Header=BB63_32 Depth=1
	s_or_b64 exec, exec, s[6:7]
	v_lshrrev_b32_e32 v59, 16, v10
	s_and_b64 s[6:7], s[46:47], exec
.LBB63_218:                             ;   in Loop: Header=BB63_32 Depth=1
	s_or_b64 exec, exec, s[42:43]
	v_readlane_b32 s49, v72, 49
	v_readlane_b32 s50, v72, 50
	;; [unrolled: 1-line block ×3, first 2 shown]
.LBB63_219:                             ;   in Loop: Header=BB63_32 Depth=1
	s_and_b64 vcc, exec, s[8:9]
	s_cbranch_vccz .LBB63_234
; %bb.220:                              ;   in Loop: Header=BB63_32 Depth=1
	v_readlane_b32 s8, v72, 22
	s_add_u32 s42, s40, s8
	v_readlane_b32 s8, v72, 23
	s_addc_u32 s9, s41, s8
	s_mov_b32 s8, s81
	s_cmp_lg_u64 s[8:9], 0
	s_cbranch_scc0 .LBB63_263
; %bb.221:                              ;   in Loop: Header=BB63_32 Depth=1
	s_add_u32 s28, s78, 0
	s_addc_u32 s29, 0, 0
	s_xor_b64 s[28:29], s[28:29], 0
	v_cvt_f32_u32_e32 v6, s28
	v_cvt_f32_u32_e32 v7, s29
	s_sub_u32 s8, 0, s28
	s_subb_u32 s43, 0, s29
	v_fmac_f32_e32 v6, 0x4f800000, v7
	v_rcp_f32_e32 v6, v6
	s_nop 0
	v_mul_f32_e32 v6, 0x5f7ffffc, v6
	v_mul_f32_e32 v7, 0x2f800000, v6
	v_trunc_f32_e32 v7, v7
	v_fmac_f32_e32 v6, 0xcf800000, v7
	v_cvt_u32_f32_e32 v7, v7
	v_cvt_u32_f32_e32 v6, v6
	v_readfirstlane_b32 s44, v7
	v_readfirstlane_b32 s34, v6
	s_mul_i32 s35, s8, s44
	s_mul_hi_u32 s46, s8, s34
	s_mul_i32 s45, s43, s34
	s_add_i32 s35, s46, s35
	s_mul_i32 s47, s8, s34
	s_add_i32 s35, s35, s45
	s_mul_i32 s46, s34, s35
	s_mul_hi_u32 s48, s34, s47
	s_mul_hi_u32 s45, s34, s35
	s_add_u32 s46, s48, s46
	s_addc_u32 s45, 0, s45
	s_mul_hi_u32 s49, s44, s47
	s_mul_i32 s47, s44, s47
	s_add_u32 s46, s46, s47
	s_mul_hi_u32 s48, s44, s35
	s_addc_u32 s45, s45, s49
	s_addc_u32 s46, s48, 0
	s_mul_i32 s35, s44, s35
	s_add_u32 s35, s45, s35
	s_addc_u32 s45, 0, s46
	s_add_u32 s46, s34, s35
	s_cselect_b64 s[34:35], -1, 0
	s_cmp_lg_u64 s[34:35], 0
	s_addc_u32 s44, s44, s45
	s_mul_i32 s34, s8, s44
	s_mul_hi_u32 s35, s8, s46
	s_add_i32 s34, s35, s34
	s_mul_i32 s43, s43, s46
	s_add_i32 s34, s34, s43
	s_mul_i32 s8, s8, s46
	s_mul_hi_u32 s43, s44, s8
	s_mul_i32 s45, s44, s8
	s_mul_i32 s48, s46, s34
	s_mul_hi_u32 s8, s46, s8
	s_mul_hi_u32 s47, s46, s34
	s_add_u32 s8, s8, s48
	s_addc_u32 s47, 0, s47
	s_add_u32 s8, s8, s45
	s_mul_hi_u32 s35, s44, s34
	s_addc_u32 s8, s47, s43
	s_addc_u32 s35, s35, 0
	s_mul_i32 s34, s44, s34
	s_add_u32 s8, s8, s34
	s_addc_u32 s43, 0, s35
	s_add_u32 s8, s46, s8
	s_cselect_b64 s[34:35], -1, 0
	s_cmp_lg_u64 s[34:35], 0
	s_addc_u32 s43, s44, s43
	s_ashr_i32 s34, s9, 31
	s_add_u32 s44, s42, s34
	s_mov_b32 s35, s34
	s_addc_u32 s45, s9, s34
	s_xor_b64 s[44:45], s[44:45], s[34:35]
	s_mul_i32 s47, s44, s43
	s_mul_hi_u32 s48, s44, s8
	s_mul_hi_u32 s46, s44, s43
	s_add_u32 s47, s48, s47
	s_addc_u32 s46, 0, s46
	s_mul_hi_u32 s49, s45, s8
	s_mul_i32 s8, s45, s8
	s_add_u32 s8, s47, s8
	s_mul_hi_u32 s48, s45, s43
	s_addc_u32 s8, s46, s49
	s_addc_u32 s46, s48, 0
	s_mul_i32 s43, s45, s43
	s_add_u32 s8, s8, s43
	s_addc_u32 s43, 0, s46
	s_mul_i32 s43, s28, s43
	s_mul_hi_u32 s46, s28, s8
	s_add_i32 s43, s46, s43
	s_mul_i32 s46, s29, s8
	s_add_i32 s43, s43, s46
	s_sub_i32 s48, s45, s43
	s_mul_i32 s8, s28, s8
	s_sub_u32 s8, s44, s8
	s_cselect_b64 s[46:47], -1, 0
	s_cmp_lg_u64 s[46:47], 0
	s_subb_u32 s44, s48, s29
	s_sub_u32 s50, s8, s28
	s_cselect_b64 s[48:49], -1, 0
	s_cmp_lg_u64 s[48:49], 0
	s_subb_u32 s51, s44, 0
	s_cmp_ge_u32 s51, s29
	s_cselect_b32 s53, -1, 0
	s_cmp_ge_u32 s50, s28
	s_cselect_b32 s54, -1, 0
	s_cmp_eq_u32 s51, s29
	s_cselect_b32 s53, s54, s53
	s_cmp_lg_u64 s[48:49], 0
	s_subb_u32 s44, s44, s29
	s_sub_u32 s54, s50, s28
	s_cselect_b64 s[48:49], -1, 0
	s_cmp_lg_u64 s[48:49], 0
	s_subb_u32 s44, s44, 0
	s_cmp_lg_u32 s53, 0
	s_cselect_b32 s48, s54, s50
	s_cselect_b32 s44, s44, s51
	s_cmp_lg_u64 s[46:47], 0
	s_subb_u32 s43, s45, s43
	s_cmp_ge_u32 s43, s29
	s_cselect_b32 s45, -1, 0
	s_cmp_ge_u32 s8, s28
	s_cselect_b32 s28, -1, 0
	s_cmp_eq_u32 s43, s29
	s_cselect_b32 s28, s28, s45
	s_cmp_lg_u32 s28, 0
	s_cselect_b32 s29, s44, s43
	s_cselect_b32 s28, s48, s8
	s_xor_b64 s[28:29], s[28:29], s[34:35]
	s_sub_u32 s28, s28, s34
	v_readlane_b32 s50, v72, 50
	v_readlane_b32 s49, v72, 49
	v_readlane_b32 s54, v72, 48
	v_readlane_b32 s51, v72, 51
	s_subb_u32 s29, s29, s34
	s_cbranch_execnz .LBB63_223
.LBB63_222:                             ;   in Loop: Header=BB63_32 Depth=1
	v_cvt_f32_u32_e32 v6, s78
	s_sub_i32 s8, 0, s78
	v_rcp_iflag_f32_e32 v6, v6
	s_nop 0
	v_mul_f32_e32 v6, 0x4f7ffffe, v6
	v_cvt_u32_f32_e32 v6, v6
	s_nop 0
	v_readfirstlane_b32 s28, v6
	s_mul_i32 s8, s8, s28
	s_mul_hi_u32 s8, s28, s8
	s_add_i32 s28, s28, s8
	s_mul_hi_u32 s8, s42, s28
	s_mul_i32 s8, s8, s78
	s_sub_i32 s8, s42, s8
	s_sub_i32 s28, s8, s78
	s_cmp_ge_u32 s8, s78
	s_cselect_b32 s8, s28, s8
	s_sub_i32 s28, s8, s78
	s_cmp_ge_u32 s8, s78
	s_cselect_b32 s80, s28, s8
	s_mov_b64 s[28:29], s[80:81]
.LBB63_223:                             ;   in Loop: Header=BB63_32 Depth=1
	s_sub_u32 s28, s42, s28
	s_subb_u32 s29, s9, s29
	v_cmp_gt_i64_e32 vcc, s[28:29], v[0:1]
                                        ; implicit-def: $vgpr59
	s_and_saveexec_b64 s[8:9], vcc
	s_cbranch_execz .LBB63_233
; %bb.224:                              ;   in Loop: Header=BB63_32 Depth=1
	s_mov_b64 s[34:35], 0
	v_mov_b32_e32 v8, v49
	v_mov_b64_e32 v[6:7], v[0:1]
                                        ; implicit-def: $sgpr42_sgpr43
	s_branch .LBB63_228
.LBB63_225:                             ;   in Loop: Header=BB63_228 Depth=2
	s_or_b64 exec, exec, s[44:45]
	s_waitcnt lgkmcnt(0)
	s_barrier
	ds_read_b32 v9, v3 offset:3072
	s_waitcnt lgkmcnt(0)
	s_barrier
	v_cmp_eq_f16_e32 vcc, 0, v9
	s_cbranch_vccz .LBB63_231
; %bb.226:                              ;   in Loop: Header=BB63_228 Depth=2
	v_lshl_add_u64 v[6:7], v[6:7], 0, s[78:79]
	v_cmp_le_i64_e32 vcc, s[28:29], v[6:7]
	v_add_u32_e32 v8, s90, v8
	s_mov_b64 s[44:45], 0
	s_orn2_b64 s[46:47], vcc, exec
.LBB63_227:                             ;   in Loop: Header=BB63_228 Depth=2
	s_and_b64 s[46:47], exec, s[46:47]
	s_or_b64 s[34:35], s[46:47], s[34:35]
	s_andn2_b64 s[42:43], s[42:43], exec
	s_and_b64 s[44:45], s[44:45], exec
	s_or_b64 s[42:43], s[42:43], s[44:45]
	s_andn2_b64 exec, exec, s[34:35]
	s_cbranch_execz .LBB63_232
.LBB63_228:                             ;   Parent Loop BB63_32 Depth=1
                                        ; =>  This Inner Loop Header: Depth=2
	v_cmp_gt_u64_e32 vcc, s[40:41], v[6:7]
	s_and_saveexec_b64 s[44:45], vcc
	s_cbranch_execz .LBB63_225
; %bb.229:                              ;   in Loop: Header=BB63_228 Depth=2
	ds_read_u16 v9, v8
	s_waitcnt lgkmcnt(0)
	v_cmp_lt_i16_e32 vcc, -1, v9
	s_nop 1
	v_cndmask_b32_e32 v10, v55, v56, vcc
	v_xor_b32_sdwa v10, v10, v9 dst_sel:DWORD dst_unused:UNUSED_PAD src0_sel:DWORD src1_sel:WORD_0
	v_cmp_o_f16_e32 vcc, v9, v9
	s_nop 1
	v_cndmask_b32_e32 v10, v55, v10, vcc
	v_and_b32_e32 v10, v10, v58
	v_cmp_eq_u32_e32 vcc, v10, v54
	s_and_b64 exec, exec, vcc
	s_cbranch_execz .LBB63_225
; %bb.230:                              ;   in Loop: Header=BB63_228 Depth=2
	v_perm_b32 v9, v9, s92, v57
	ds_write_b32 v3, v9 offset:3072
	s_branch .LBB63_225
.LBB63_231:                             ;   in Loop: Header=BB63_228 Depth=2
	s_mov_b64 s[46:47], -1
                                        ; implicit-def: $vgpr6_vgpr7
                                        ; implicit-def: $vgpr8
	s_mov_b64 s[44:45], -1
	s_branch .LBB63_227
.LBB63_232:                             ;   in Loop: Header=BB63_32 Depth=1
	s_or_b64 exec, exec, s[34:35]
	s_andn2_b64 s[6:7], s[6:7], exec
	s_and_b64 s[28:29], s[42:43], exec
	v_lshrrev_b32_e32 v59, 16, v9
	s_or_b64 s[6:7], s[6:7], s[28:29]
.LBB63_233:                             ;   in Loop: Header=BB63_32 Depth=1
	s_or_b64 exec, exec, s[8:9]
	s_mov_b64 s[28:29], 0
	s_mov_b64 s[34:35], -1
.LBB63_234:                             ;   in Loop: Header=BB63_32 Depth=1
	s_orn2_b64 s[6:7], s[6:7], exec
.LBB63_235:                             ;   in Loop: Header=BB63_32 Depth=1
	s_or_b64 exec, exec, s[36:37]
	s_mov_b64 s[8:9], 0
	s_and_saveexec_b64 s[36:37], s[6:7]
	s_cbranch_execz .LBB63_295
; %bb.236:                              ;   in Loop: Header=BB63_32 Depth=1
	s_xor_b64 s[38:39], s[38:39], -1
	v_mov_b32_e32 v2, 1
	v_mov_b64_e32 v[6:7], 1
	s_and_saveexec_b64 s[6:7], s[38:39]
	s_cbranch_execz .LBB63_245
; %bb.237:                              ;   in Loop: Header=BB63_32 Depth=1
	v_cmp_ge_i64_e32 vcc, s[22:23], v[4:5]
	s_and_saveexec_b64 s[8:9], vcc
	s_xor_b64 s[8:9], exec, s[8:9]
	s_cbranch_execz .LBB63_242
; %bb.238:                              ;   in Loop: Header=BB63_32 Depth=1
	ds_read_b64 v[6:7], v3 offset:5120
	v_and_b32_e32 v2, s52, v54
	v_lshl_or_b32 v54, 2, s65, v2
	v_or_b32_e32 v58, s72, v58
	s_waitcnt lgkmcnt(0)
	v_cmp_ne_u64_e32 vcc, 0, v[6:7]
	s_cbranch_vccnz .LBB63_242
; %bb.239:                              ;   in Loop: Header=BB63_32 Depth=1
	s_mov_b64 s[38:39], exec
	v_readlane_b32 s40, v72, 10
	v_readlane_b32 s41, v72, 11
	s_and_b64 s[40:41], s[38:39], s[40:41]
	s_mov_b64 exec, s[40:41]
; %bb.240:                              ;   in Loop: Header=BB63_32 Depth=1
	v_mov_b64_e32 v[6:7], s[22:23]
	ds_write_b64 v3, v[6:7] offset:5128
; %bb.241:                              ;   in Loop: Header=BB63_32 Depth=1
	s_or_b64 exec, exec, s[38:39]
	s_waitcnt lgkmcnt(0)
	s_barrier
.LBB63_242:                             ;   in Loop: Header=BB63_32 Depth=1
	s_or_saveexec_b64 s[8:9], s[8:9]
	s_mov_b64 s[38:39], 0
	v_mov_b32_e32 v2, 8
	s_xor_b64 exec, exec, s[8:9]
; %bb.243:                              ;   in Loop: Header=BB63_32 Depth=1
	v_mov_b32_e32 v2, s23
	v_subrev_co_u32_e32 v4, vcc, s22, v4
	s_mov_b64 s[38:39], exec
	s_nop 0
	v_subb_co_u32_e32 v5, vcc, v5, v2, vcc
	v_mov_b32_e32 v2, 0
; %bb.244:                              ;   in Loop: Header=BB63_32 Depth=1
	s_or_b64 exec, exec, s[8:9]
	s_and_b64 s[8:9], s[38:39], exec
	v_mov_b64_e32 v[6:7], v[4:5]
.LBB63_245:                             ;   in Loop: Header=BB63_32 Depth=1
	s_or_b64 exec, exec, s[6:7]
	s_mov_b64 s[6:7], -1
                                        ; implicit-def: $sgpr46_sgpr47
                                        ; implicit-def: $sgpr44_sgpr45
	s_and_saveexec_b64 s[22:23], s[8:9]
	s_cbranch_execz .LBB63_294
; %bb.246:                              ;   in Loop: Header=BB63_32 Depth=1
	s_cmp_eq_u64 s[14:15], 1
	s_cselect_b64 s[6:7], -1, 0
	v_cmp_eq_u64_e32 vcc, 1, v[6:7]
	s_and_b64 s[38:39], s[6:7], vcc
	s_mov_b64 s[8:9], -1
                                        ; implicit-def: $sgpr46_sgpr47
                                        ; implicit-def: $sgpr44_sgpr45
	s_and_saveexec_b64 s[40:41], s[38:39]
	s_cbranch_execz .LBB63_282
; %bb.247:                              ;   in Loop: Header=BB63_32 Depth=1
	ds_read_b64 v[4:5], v3 offset:5120
	s_waitcnt lgkmcnt(0)
	s_barrier
	v_readfirstlane_b32 s42, v4
	v_readfirstlane_b32 s43, v5
	s_mov_b64 s[6:7], exec
	v_readlane_b32 s8, v72, 14
	v_readlane_b32 s9, v72, 15
	s_and_b64 s[8:9], s[6:7], s[8:9]
	s_mov_b64 exec, s[8:9]
; %bb.248:                              ;   in Loop: Header=BB63_32 Depth=1
	ds_write_b16 v50, v3
; %bb.249:                              ;   in Loop: Header=BB63_32 Depth=1
	s_or_b64 exec, exec, s[6:7]
	v_cmp_gt_i64_e64 s[6:7], s[42:43], 0
	v_or_b32_e32 v54, s72, v54
	v_or_b32_e32 v58, s72, v58
	s_mov_b64 s[44:45], -1
	s_mov_b64 s[46:47], 0
	s_and_b64 vcc, exec, s[6:7]
	s_mov_b64 s[6:7], 0
	s_mov_b64 s[8:9], -1
	s_waitcnt lgkmcnt(0)
	s_barrier
                                        ; implicit-def: $vgpr59
	s_cbranch_vccnz .LBB63_266
; %bb.250:                              ;   in Loop: Header=BB63_32 Depth=1
	v_readlane_b32 s68, v72, 24
	v_readlane_b32 s69, v72, 25
	s_mov_b32 s68, s81
	s_cmp_lg_u64 s[68:69], 0
	v_writelane_b32 v72, s68, 24
	s_nop 1
	v_writelane_b32 v72, s69, 25
	s_cbranch_scc0 .LBB63_301
; %bb.251:                              ;   in Loop: Header=BB63_32 Depth=1
	s_add_u32 s6, s78, 0
	s_addc_u32 s7, 0, 0
	s_xor_b64 s[6:7], s[6:7], 0
	v_cvt_f32_u32_e32 v4, s6
	v_cvt_f32_u32_e32 v5, s7
	s_sub_u32 s48, 0, s6
	s_subb_u32 s49, 0, s7
	v_fmac_f32_e32 v4, 0x4f800000, v5
	v_rcp_f32_e32 v4, v4
	s_nop 0
	v_mul_f32_e32 v4, 0x5f7ffffc, v4
	v_mul_f32_e32 v5, 0x2f800000, v4
	v_trunc_f32_e32 v5, v5
	v_fmac_f32_e32 v4, 0xcf800000, v5
	v_cvt_u32_f32_e32 v5, v5
	v_cvt_u32_f32_e32 v4, v4
	v_readfirstlane_b32 s50, v5
	v_readfirstlane_b32 s8, v4
	s_mul_i32 s9, s48, s50
	s_mul_hi_u32 s52, s48, s8
	s_mul_i32 s51, s49, s8
	s_add_i32 s9, s52, s9
	s_mul_i32 s53, s48, s8
	s_add_i32 s9, s9, s51
	s_mul_i32 s52, s8, s9
	s_mul_hi_u32 s54, s8, s53
	s_mul_hi_u32 s51, s8, s9
	s_add_u32 s52, s54, s52
	s_addc_u32 s51, 0, s51
	s_mul_hi_u32 s55, s50, s53
	s_mul_i32 s53, s50, s53
	s_add_u32 s52, s52, s53
	s_mul_hi_u32 s54, s50, s9
	s_addc_u32 s51, s51, s55
	s_addc_u32 s52, s54, 0
	s_mul_i32 s9, s50, s9
	s_add_u32 s9, s51, s9
	s_addc_u32 s51, 0, s52
	s_add_u32 s52, s8, s9
	s_cselect_b64 s[8:9], -1, 0
	s_cmp_lg_u64 s[8:9], 0
	s_addc_u32 s50, s50, s51
	s_mul_i32 s8, s48, s50
	s_mul_hi_u32 s9, s48, s52
	s_add_i32 s8, s9, s8
	s_mul_i32 s49, s49, s52
	s_add_i32 s8, s8, s49
	s_mul_i32 s48, s48, s52
	s_mul_hi_u32 s49, s50, s48
	s_mul_i32 s51, s50, s48
	s_mul_i32 s54, s52, s8
	s_mul_hi_u32 s48, s52, s48
	s_mul_hi_u32 s53, s52, s8
	s_add_u32 s48, s48, s54
	s_addc_u32 s53, 0, s53
	s_add_u32 s48, s48, s51
	s_mul_hi_u32 s9, s50, s8
	s_addc_u32 s48, s53, s49
	s_addc_u32 s9, s9, 0
	s_mul_i32 s8, s50, s8
	s_add_u32 s8, s48, s8
	s_addc_u32 s48, 0, s9
	s_add_u32 s51, s52, s8
	s_cselect_b64 s[8:9], -1, 0
	s_cmp_lg_u64 s[8:9], 0
	s_addc_u32 s50, s50, s48
	s_ashr_i32 s8, s69, 31
	s_add_u32 s48, s93, s8
	s_mov_b32 s9, s8
	s_addc_u32 s49, s69, s8
	s_xor_b64 s[48:49], s[48:49], s[8:9]
	s_mul_i32 s53, s48, s50
	s_mul_hi_u32 s54, s48, s51
	s_mul_hi_u32 s52, s48, s50
	s_add_u32 s53, s54, s53
	s_addc_u32 s52, 0, s52
	s_mul_hi_u32 s55, s49, s51
	s_mul_i32 s51, s49, s51
	s_add_u32 s51, s53, s51
	s_mul_hi_u32 s54, s49, s50
	s_addc_u32 s51, s52, s55
	s_addc_u32 s52, s54, 0
	s_mul_i32 s50, s49, s50
	s_add_u32 s50, s51, s50
	s_addc_u32 s51, 0, s52
	s_mul_i32 s51, s6, s51
	s_mul_hi_u32 s52, s6, s50
	s_add_i32 s51, s52, s51
	s_mul_i32 s52, s7, s50
	s_add_i32 s54, s51, s52
	s_sub_i32 s52, s49, s54
	s_mul_i32 s50, s6, s50
	s_sub_u32 s48, s48, s50
	s_cselect_b64 s[50:51], -1, 0
	s_cmp_lg_u64 s[50:51], 0
	s_subb_u32 s55, s52, s7
	s_sub_u32 s68, s48, s6
	s_cselect_b64 s[52:53], -1, 0
	s_cmp_lg_u64 s[52:53], 0
	s_subb_u32 s69, s55, 0
	s_cmp_ge_u32 s69, s7
	s_cselect_b32 s73, -1, 0
	s_cmp_ge_u32 s68, s6
	s_cselect_b32 s74, -1, 0
	s_cmp_eq_u32 s69, s7
	s_cselect_b32 s73, s74, s73
	s_cmp_lg_u64 s[52:53], 0
	s_subb_u32 s55, s55, s7
	s_sub_u32 s74, s68, s6
	s_cselect_b64 s[52:53], -1, 0
	s_cmp_lg_u64 s[52:53], 0
	s_subb_u32 s52, s55, 0
	s_cmp_lg_u32 s73, 0
	s_cselect_b32 s53, s74, s68
	s_cselect_b32 s52, s52, s69
	s_cmp_lg_u64 s[50:51], 0
	s_subb_u32 s49, s49, s54
	s_cmp_ge_u32 s49, s7
	s_cselect_b32 s50, -1, 0
	s_cmp_ge_u32 s48, s6
	s_cselect_b32 s6, -1, 0
	s_cmp_eq_u32 s49, s7
	s_cselect_b32 s6, s6, s50
	s_cmp_lg_u32 s6, 0
	s_cselect_b32 s7, s52, s49
	s_cselect_b32 s6, s53, s48
	s_xor_b64 s[6:7], s[6:7], s[8:9]
	s_sub_u32 s6, s6, s8
	s_subb_u32 s7, s7, s8
	s_cbranch_execnz .LBB63_253
.LBB63_252:                             ;   in Loop: Header=BB63_32 Depth=1
	v_cvt_f32_u32_e32 v4, s78
	s_sub_i32 s6, 0, s78
	v_rcp_iflag_f32_e32 v4, v4
	s_nop 0
	v_mul_f32_e32 v4, 0x4f7ffffe, v4
	v_cvt_u32_f32_e32 v4, v4
	s_nop 0
	v_readfirstlane_b32 s7, v4
	s_mul_i32 s6, s6, s7
	s_mul_hi_u32 s6, s7, s6
	s_add_i32 s7, s7, s6
	s_mul_hi_u32 s6, s93, s7
	s_mul_i32 s6, s6, s78
	s_sub_i32 s6, s93, s6
	s_sub_i32 s7, s6, s78
	s_cmp_ge_u32 s6, s78
	s_cselect_b32 s6, s7, s6
	s_sub_i32 s7, s6, s78
	s_cmp_ge_u32 s6, s78
	s_cselect_b32 s80, s7, s6
	s_mov_b64 s[6:7], s[80:81]
.LBB63_253:                             ;   in Loop: Header=BB63_32 Depth=1
	v_readlane_b32 s8, v72, 24
	s_sub_u32 s50, s93, s6
	v_readlane_b32 s9, v72, 25
	s_subb_u32 s51, s9, s7
	v_cmp_gt_i64_e32 vcc, s[50:51], v[0:1]
	s_mov_b64 s[8:9], 0
	s_mov_b64 s[6:7], 0
                                        ; implicit-def: $vgpr59
	s_and_saveexec_b64 s[48:49], vcc
	v_readlane_b32 s74, v72, 45
	v_readlane_b32 s75, v72, 46
	s_cbranch_execz .LBB63_265
; %bb.254:                              ;   in Loop: Header=BB63_32 Depth=1
	v_mov_b64_e32 v[4:5], v[12:13]
	v_mov_b64_e32 v[8:9], v[0:1]
                                        ; implicit-def: $sgpr52_sgpr53
	s_branch .LBB63_258
.LBB63_255:                             ;   in Loop: Header=BB63_258 Depth=2
	s_or_b64 exec, exec, s[54:55]
	s_waitcnt lgkmcnt(0)
	s_barrier
	ds_read_b32 v10, v3 offset:3072
	s_waitcnt lgkmcnt(0)
	s_barrier
	v_cmp_neq_f16_e32 vcc, 0, v10
	s_cbranch_vccnz .LBB63_261
; %bb.256:                              ;   in Loop: Header=BB63_258 Depth=2
	v_lshl_add_u64 v[8:9], v[8:9], 0, s[78:79]
	v_cmp_le_i64_e32 vcc, s[50:51], v[8:9]
	v_lshl_add_u64 v[4:5], v[4:5], 0, s[94:95]
	s_mov_b64 s[54:55], 0
	s_orn2_b64 s[68:69], vcc, exec
.LBB63_257:                             ;   in Loop: Header=BB63_258 Depth=2
	s_and_b64 s[68:69], exec, s[68:69]
	s_or_b64 s[6:7], s[68:69], s[6:7]
	s_andn2_b64 s[52:53], s[52:53], exec
	s_and_b64 s[54:55], s[54:55], exec
	s_or_b64 s[52:53], s[52:53], s[54:55]
	s_andn2_b64 exec, exec, s[6:7]
	s_cbranch_execz .LBB63_264
.LBB63_258:                             ;   Parent Loop BB63_32 Depth=1
                                        ; =>  This Inner Loop Header: Depth=2
	v_cmp_gt_i64_e32 vcc, s[56:57], v[8:9]
	s_and_saveexec_b64 s[54:55], vcc
	s_cbranch_execz .LBB63_255
; %bb.259:                              ;   in Loop: Header=BB63_258 Depth=2
	global_load_ushort v10, v[4:5], off
	s_waitcnt vmcnt(0)
	v_cmp_lt_i16_e32 vcc, -1, v10
	s_nop 1
	v_cndmask_b32_e32 v11, v55, v56, vcc
	v_xor_b32_sdwa v11, v11, v10 dst_sel:DWORD dst_unused:UNUSED_PAD src0_sel:DWORD src1_sel:WORD_0
	v_cmp_o_f16_e32 vcc, v10, v10
	s_nop 1
	v_cndmask_b32_e32 v11, v55, v11, vcc
	v_and_b32_e32 v11, v11, v58
	v_cmp_eq_u32_e32 vcc, v11, v54
	s_and_b64 exec, exec, vcc
	s_cbranch_execz .LBB63_255
; %bb.260:                              ;   in Loop: Header=BB63_258 Depth=2
	v_perm_b32 v10, v10, s92, v57
	ds_write_b32 v3, v10 offset:3072
	s_branch .LBB63_255
.LBB63_261:                             ;   in Loop: Header=BB63_258 Depth=2
	s_mov_b64 s[68:69], -1
                                        ; implicit-def: $vgpr8_vgpr9
                                        ; implicit-def: $vgpr4_vgpr5
	s_mov_b64 s[54:55], -1
	s_branch .LBB63_257
.LBB63_262:                             ;   in Loop: Header=BB63_32 Depth=1
                                        ; implicit-def: $sgpr6_sgpr7
	s_andn2_b64 vcc, exec, s[8:9]
	s_cbranch_vccz .LBB63_205
	s_branch .LBB63_206
.LBB63_263:                             ;   in Loop: Header=BB63_32 Depth=1
                                        ; implicit-def: $sgpr28_sgpr29
	s_branch .LBB63_222
.LBB63_264:                             ;   in Loop: Header=BB63_32 Depth=1
	s_or_b64 exec, exec, s[6:7]
	v_lshrrev_b32_e32 v59, 16, v10
	s_and_b64 s[6:7], s[52:53], exec
.LBB63_265:                             ;   in Loop: Header=BB63_32 Depth=1
	s_or_b64 exec, exec, s[48:49]
	v_readlane_b32 s55, v72, 47
	v_readlane_b32 s54, v72, 48
	;; [unrolled: 1-line block ×5, first 2 shown]
.LBB63_266:                             ;   in Loop: Header=BB63_32 Depth=1
	s_and_b64 vcc, exec, s[8:9]
	s_cbranch_vccz .LBB63_281
; %bb.267:                              ;   in Loop: Header=BB63_32 Depth=1
	v_readlane_b32 s8, v72, 22
	s_add_u32 s48, s42, s8
	v_readlane_b32 s8, v72, 23
	s_addc_u32 s9, s43, s8
	s_mov_b32 s8, s81
	s_cmp_lg_u64 s[8:9], 0
	s_cbranch_scc0 .LBB63_302
; %bb.268:                              ;   in Loop: Header=BB63_32 Depth=1
	s_add_u32 s44, s78, 0
	s_addc_u32 s45, 0, 0
	s_xor_b64 s[44:45], s[44:45], 0
	v_cvt_f32_u32_e32 v4, s44
	v_cvt_f32_u32_e32 v5, s45
	s_sub_u32 s8, 0, s44
	s_subb_u32 s49, 0, s45
	v_fmac_f32_e32 v4, 0x4f800000, v5
	v_rcp_f32_e32 v4, v4
	s_nop 0
	v_mul_f32_e32 v4, 0x5f7ffffc, v4
	v_mul_f32_e32 v5, 0x2f800000, v4
	v_trunc_f32_e32 v5, v5
	v_fmac_f32_e32 v4, 0xcf800000, v5
	v_cvt_u32_f32_e32 v5, v5
	v_cvt_u32_f32_e32 v4, v4
	v_readfirstlane_b32 s50, v5
	v_readfirstlane_b32 s46, v4
	s_mul_i32 s47, s8, s50
	s_mul_hi_u32 s52, s8, s46
	s_mul_i32 s51, s49, s46
	s_add_i32 s47, s52, s47
	s_mul_i32 s53, s8, s46
	s_add_i32 s47, s47, s51
	s_mul_i32 s52, s46, s47
	s_mul_hi_u32 s54, s46, s53
	s_mul_hi_u32 s51, s46, s47
	s_add_u32 s52, s54, s52
	s_addc_u32 s51, 0, s51
	s_mul_hi_u32 s55, s50, s53
	s_mul_i32 s53, s50, s53
	s_add_u32 s52, s52, s53
	s_mul_hi_u32 s54, s50, s47
	s_addc_u32 s51, s51, s55
	s_addc_u32 s52, s54, 0
	s_mul_i32 s47, s50, s47
	s_add_u32 s47, s51, s47
	s_addc_u32 s51, 0, s52
	s_add_u32 s52, s46, s47
	s_cselect_b64 s[46:47], -1, 0
	s_cmp_lg_u64 s[46:47], 0
	s_addc_u32 s50, s50, s51
	s_mul_i32 s46, s8, s50
	s_mul_hi_u32 s47, s8, s52
	s_add_i32 s46, s47, s46
	s_mul_i32 s49, s49, s52
	s_add_i32 s46, s46, s49
	s_mul_i32 s8, s8, s52
	s_mul_hi_u32 s49, s50, s8
	s_mul_i32 s51, s50, s8
	s_mul_i32 s54, s52, s46
	s_mul_hi_u32 s8, s52, s8
	s_mul_hi_u32 s53, s52, s46
	s_add_u32 s8, s8, s54
	s_addc_u32 s53, 0, s53
	s_add_u32 s8, s8, s51
	s_mul_hi_u32 s47, s50, s46
	s_addc_u32 s8, s53, s49
	s_addc_u32 s47, s47, 0
	s_mul_i32 s46, s50, s46
	s_add_u32 s8, s8, s46
	s_addc_u32 s49, 0, s47
	s_add_u32 s8, s52, s8
	s_cselect_b64 s[46:47], -1, 0
	s_cmp_lg_u64 s[46:47], 0
	s_addc_u32 s49, s50, s49
	s_ashr_i32 s46, s9, 31
	s_add_u32 s50, s48, s46
	s_mov_b32 s47, s46
	s_addc_u32 s51, s9, s46
	s_xor_b64 s[50:51], s[50:51], s[46:47]
	s_mul_i32 s53, s50, s49
	s_mul_hi_u32 s54, s50, s8
	s_mul_hi_u32 s52, s50, s49
	s_add_u32 s53, s54, s53
	s_addc_u32 s52, 0, s52
	s_mul_hi_u32 s55, s51, s8
	s_mul_i32 s8, s51, s8
	s_add_u32 s8, s53, s8
	s_mul_hi_u32 s54, s51, s49
	s_addc_u32 s8, s52, s55
	s_addc_u32 s52, s54, 0
	s_mul_i32 s49, s51, s49
	s_add_u32 s8, s8, s49
	s_addc_u32 s49, 0, s52
	s_mul_i32 s49, s44, s49
	s_mul_hi_u32 s52, s44, s8
	s_add_i32 s49, s52, s49
	s_mul_i32 s52, s45, s8
	s_add_i32 s49, s49, s52
	s_sub_i32 s54, s51, s49
	s_mul_i32 s8, s44, s8
	s_sub_u32 s8, s50, s8
	s_cselect_b64 s[52:53], -1, 0
	s_cmp_lg_u64 s[52:53], 0
	s_subb_u32 s50, s54, s45
	s_sub_u32 s68, s8, s44
	s_cselect_b64 s[54:55], -1, 0
	s_cmp_lg_u64 s[54:55], 0
	s_subb_u32 s69, s50, 0
	s_cmp_ge_u32 s69, s45
	s_cselect_b32 s73, -1, 0
	s_cmp_ge_u32 s68, s44
	s_cselect_b32 s74, -1, 0
	s_cmp_eq_u32 s69, s45
	s_cselect_b32 s73, s74, s73
	s_cmp_lg_u64 s[54:55], 0
	s_subb_u32 s50, s50, s45
	s_sub_u32 s74, s68, s44
	s_cselect_b64 s[54:55], -1, 0
	s_cmp_lg_u64 s[54:55], 0
	s_subb_u32 s50, s50, 0
	s_cmp_lg_u32 s73, 0
	s_cselect_b32 s54, s74, s68
	s_cselect_b32 s50, s50, s69
	s_cmp_lg_u64 s[52:53], 0
	s_subb_u32 s49, s51, s49
	s_cmp_ge_u32 s49, s45
	s_cselect_b32 s51, -1, 0
	s_cmp_ge_u32 s8, s44
	s_cselect_b32 s44, -1, 0
	s_cmp_eq_u32 s49, s45
	s_cselect_b32 s44, s44, s51
	s_cmp_lg_u32 s44, 0
	s_cselect_b32 s45, s50, s49
	s_cselect_b32 s44, s54, s8
	s_xor_b64 s[44:45], s[44:45], s[46:47]
	v_readlane_b32 s74, v72, 45
	s_sub_u32 s44, s44, s46
	v_readlane_b32 s55, v72, 47
	v_readlane_b32 s75, v72, 46
	;; [unrolled: 1-line block ×6, first 2 shown]
	s_subb_u32 s45, s45, s46
	s_cbranch_execnz .LBB63_270
.LBB63_269:                             ;   in Loop: Header=BB63_32 Depth=1
	v_cvt_f32_u32_e32 v4, s78
	s_sub_i32 s8, 0, s78
	v_rcp_iflag_f32_e32 v4, v4
	s_nop 0
	v_mul_f32_e32 v4, 0x4f7ffffe, v4
	v_cvt_u32_f32_e32 v4, v4
	s_nop 0
	v_readfirstlane_b32 s44, v4
	s_mul_i32 s8, s8, s44
	s_mul_hi_u32 s8, s44, s8
	s_add_i32 s44, s44, s8
	s_mul_hi_u32 s8, s48, s44
	s_mul_i32 s8, s8, s78
	s_sub_i32 s8, s48, s8
	s_sub_i32 s44, s8, s78
	s_cmp_ge_u32 s8, s78
	s_cselect_b32 s8, s44, s8
	s_sub_i32 s44, s8, s78
	s_cmp_ge_u32 s8, s78
	s_cselect_b32 s80, s44, s8
	s_mov_b64 s[44:45], s[80:81]
.LBB63_270:                             ;   in Loop: Header=BB63_32 Depth=1
	s_sub_u32 s44, s48, s44
	s_subb_u32 s45, s9, s45
	v_cmp_gt_i64_e32 vcc, s[44:45], v[0:1]
                                        ; implicit-def: $vgpr59
	s_and_saveexec_b64 s[8:9], vcc
	s_cbranch_execz .LBB63_280
; %bb.271:                              ;   in Loop: Header=BB63_32 Depth=1
	s_mov_b64 s[46:47], 0
	v_mov_b32_e32 v8, v49
	v_mov_b64_e32 v[4:5], v[0:1]
                                        ; implicit-def: $sgpr48_sgpr49
	s_branch .LBB63_275
.LBB63_272:                             ;   in Loop: Header=BB63_275 Depth=2
	s_or_b64 exec, exec, s[50:51]
	s_waitcnt lgkmcnt(0)
	s_barrier
	ds_read_b32 v9, v3 offset:3072
	s_waitcnt lgkmcnt(0)
	s_barrier
	v_cmp_eq_f16_e32 vcc, 0, v9
	s_cbranch_vccz .LBB63_278
; %bb.273:                              ;   in Loop: Header=BB63_275 Depth=2
	v_lshl_add_u64 v[4:5], v[4:5], 0, s[78:79]
	v_cmp_le_i64_e32 vcc, s[44:45], v[4:5]
	v_add_u32_e32 v8, s90, v8
	s_mov_b64 s[50:51], 0
	s_orn2_b64 s[52:53], vcc, exec
.LBB63_274:                             ;   in Loop: Header=BB63_275 Depth=2
	s_and_b64 s[52:53], exec, s[52:53]
	s_or_b64 s[46:47], s[52:53], s[46:47]
	s_andn2_b64 s[48:49], s[48:49], exec
	s_and_b64 s[50:51], s[50:51], exec
	s_or_b64 s[48:49], s[48:49], s[50:51]
	s_andn2_b64 exec, exec, s[46:47]
	s_cbranch_execz .LBB63_279
.LBB63_275:                             ;   Parent Loop BB63_32 Depth=1
                                        ; =>  This Inner Loop Header: Depth=2
	v_cmp_gt_u64_e32 vcc, s[42:43], v[4:5]
	s_and_saveexec_b64 s[50:51], vcc
	s_cbranch_execz .LBB63_272
; %bb.276:                              ;   in Loop: Header=BB63_275 Depth=2
	ds_read_u16 v9, v8
	s_waitcnt lgkmcnt(0)
	v_cmp_lt_i16_e32 vcc, -1, v9
	s_nop 1
	v_cndmask_b32_e32 v10, v55, v56, vcc
	v_xor_b32_sdwa v10, v10, v9 dst_sel:DWORD dst_unused:UNUSED_PAD src0_sel:DWORD src1_sel:WORD_0
	v_cmp_o_f16_e32 vcc, v9, v9
	s_nop 1
	v_cndmask_b32_e32 v10, v55, v10, vcc
	v_and_b32_e32 v10, v10, v58
	v_cmp_eq_u32_e32 vcc, v10, v54
	s_and_b64 exec, exec, vcc
	s_cbranch_execz .LBB63_272
; %bb.277:                              ;   in Loop: Header=BB63_275 Depth=2
	v_perm_b32 v9, v9, s92, v57
	ds_write_b32 v3, v9 offset:3072
	s_branch .LBB63_272
.LBB63_278:                             ;   in Loop: Header=BB63_275 Depth=2
	s_mov_b64 s[52:53], -1
                                        ; implicit-def: $vgpr4_vgpr5
                                        ; implicit-def: $vgpr8
	s_mov_b64 s[50:51], -1
	s_branch .LBB63_274
.LBB63_279:                             ;   in Loop: Header=BB63_32 Depth=1
	s_or_b64 exec, exec, s[46:47]
	s_andn2_b64 s[6:7], s[6:7], exec
	s_and_b64 s[42:43], s[48:49], exec
	v_lshrrev_b32_e32 v59, 16, v9
	s_or_b64 s[6:7], s[6:7], s[42:43]
	v_readlane_b32 s49, v72, 49
	v_readlane_b32 s50, v72, 50
	;; [unrolled: 1-line block ×3, first 2 shown]
.LBB63_280:                             ;   in Loop: Header=BB63_32 Depth=1
	s_or_b64 exec, exec, s[8:9]
	s_mov_b64 s[44:45], 0
	s_mov_b64 s[46:47], -1
.LBB63_281:                             ;   in Loop: Header=BB63_32 Depth=1
	s_orn2_b64 s[8:9], s[6:7], exec
.LBB63_282:                             ;   in Loop: Header=BB63_32 Depth=1
	s_or_b64 exec, exec, s[40:41]
	s_mov_b64 s[40:41], 0
	s_and_saveexec_b64 s[6:7], s[8:9]
	s_cbranch_execz .LBB63_293
; %bb.283:                              ;   in Loop: Header=BB63_32 Depth=1
	s_xor_b64 s[38:39], s[38:39], -1
	v_mov_b64_e32 v[4:5], 1
	v_mov_b32_e32 v2, 1
	s_and_saveexec_b64 s[8:9], s[38:39]
	s_cbranch_execz .LBB63_292
; %bb.284:                              ;   in Loop: Header=BB63_32 Depth=1
	v_cmp_ge_i64_e32 vcc, s[14:15], v[6:7]
	s_and_saveexec_b64 s[38:39], vcc
	s_xor_b64 s[38:39], exec, s[38:39]
	s_cbranch_execz .LBB63_289
; %bb.285:                              ;   in Loop: Header=BB63_32 Depth=1
	ds_read_b64 v[4:5], v3 offset:5120
	v_or_b32_e32 v54, s72, v54
	v_or_b32_e32 v58, s72, v58
	s_waitcnt lgkmcnt(0)
	v_cmp_ne_u64_e32 vcc, 0, v[4:5]
	s_cbranch_vccnz .LBB63_289
; %bb.286:                              ;   in Loop: Header=BB63_32 Depth=1
	s_mov_b64 s[40:41], exec
	v_readlane_b32 s42, v72, 10
	v_readlane_b32 s43, v72, 11
	s_and_b64 s[42:43], s[40:41], s[42:43]
	s_mov_b64 exec, s[42:43]
; %bb.287:                              ;   in Loop: Header=BB63_32 Depth=1
	v_mov_b64_e32 v[4:5], s[14:15]
	ds_write_b64 v3, v[4:5] offset:5128
; %bb.288:                              ;   in Loop: Header=BB63_32 Depth=1
	s_or_b64 exec, exec, s[40:41]
	s_waitcnt lgkmcnt(0)
	s_barrier
.LBB63_289:                             ;   in Loop: Header=BB63_32 Depth=1
	s_andn2_saveexec_b64 s[38:39], s[38:39]
; %bb.290:                              ;   in Loop: Header=BB63_32 Depth=1
	v_mov_b32_e32 v2, s15
	v_subrev_co_u32_e32 v6, vcc, s14, v6
	s_nop 1
	v_subb_co_u32_e32 v7, vcc, v7, v2, vcc
; %bb.291:                              ;   in Loop: Header=BB63_32 Depth=1
	s_or_b64 exec, exec, s[38:39]
	v_mov_b32_e32 v2, 8
	v_mov_b64_e32 v[4:5], v[6:7]
.LBB63_292:                             ;   in Loop: Header=BB63_32 Depth=1
	s_or_b64 exec, exec, s[8:9]
	s_mov_b64 s[40:41], exec
	v_mov_b64_e32 v[6:7], v[4:5]
.LBB63_293:                             ;   in Loop: Header=BB63_32 Depth=1
	s_or_b64 exec, exec, s[6:7]
	s_orn2_b64 s[6:7], s[40:41], exec
.LBB63_294:                             ;   in Loop: Header=BB63_32 Depth=1
	s_or_b64 exec, exec, s[22:23]
	s_andn2_b64 s[8:9], s[34:35], exec
	s_and_b64 s[14:15], s[46:47], exec
	s_or_b64 s[34:35], s[8:9], s[14:15]
	s_andn2_b64 s[8:9], s[28:29], exec
	s_and_b64 s[14:15], s[44:45], exec
	s_or_b64 s[28:29], s[8:9], s[14:15]
	s_and_b64 s[8:9], s[6:7], exec
	v_mov_b64_e32 v[4:5], v[6:7]
.LBB63_295:                             ;   in Loop: Header=BB63_32 Depth=1
	s_or_b64 exec, exec, s[36:37]
	s_orn2_b64 s[6:7], s[8:9], exec
.LBB63_296:                             ;   in Loop: Header=BB63_32 Depth=1
	s_or_b64 exec, exec, s[0:1]
	s_andn2_b64 s[0:1], s[24:25], exec
	s_and_b64 s[8:9], s[34:35], exec
	s_or_b64 s[24:25], s[0:1], s[8:9]
	s_andn2_b64 s[0:1], s[2:3], exec
	s_and_b64 s[2:3], s[28:29], exec
	s_or_b64 s[2:3], s[0:1], s[2:3]
	s_and_b64 s[8:9], s[6:7], exec
	v_mov_b64_e32 v[8:9], v[4:5]
.LBB63_297:                             ;   in Loop: Header=BB63_32 Depth=1
	s_or_b64 exec, exec, s[26:27]
	s_orn2_b64 s[0:1], s[8:9], exec
.LBB63_298:                             ;   in Loop: Header=BB63_32 Depth=1
	s_or_b64 exec, exec, s[20:21]
	s_mov_b64 s[6:7], 0
	s_and_saveexec_b64 s[8:9], s[0:1]
	s_xor_b64 s[0:1], exec, s[8:9]
	s_cbranch_execz .LBB63_30
; %bb.299:                              ;   in Loop: Header=BB63_32 Depth=1
	v_and_b32_e32 v2, 7, v2
	v_cmp_eq_u32_e32 vcc, 0, v2
	s_mov_b64 s[8:9], -1
	s_mov_b64 s[6:7], -1
	s_and_saveexec_b64 s[14:15], vcc
	s_cbranch_execz .LBB63_29
; %bb.300:                              ;   in Loop: Header=BB63_32 Depth=1
	v_readlane_b32 s6, v72, 42
	s_xor_b32 s6, s6, 1
	s_add_i32 s18, s65, -2
	s_cmp_eq_u32 s65, 0
	s_cselect_b64 s[8:9], -1, 0
	v_writelane_b32 v72, s6, 42
	s_xor_b64 s[6:7], exec, -1
	s_orn2_b64 s[8:9], s[8:9], exec
	s_mov_b32 s65, s18
	s_branch .LBB63_29
.LBB63_301:                             ;   in Loop: Header=BB63_32 Depth=1
                                        ; implicit-def: $sgpr6_sgpr7
	s_andn2_b64 vcc, exec, s[8:9]
	s_cbranch_vccz .LBB63_252
	s_branch .LBB63_253
.LBB63_302:                             ;   in Loop: Header=BB63_32 Depth=1
                                        ; implicit-def: $sgpr44_sgpr45
	s_branch .LBB63_269
.LBB63_303:
	s_or_b64 exec, exec, s[76:77]
	s_xor_b64 s[4:5], s[10:11], -1
	s_xor_b64 s[0:1], s[2:3], -1
	;; [unrolled: 1-line block ×3, first 2 shown]
	s_mov_b64 s[2:3], 0
	s_and_saveexec_b64 s[8:9], s[0:1]
	s_xor_b64 s[0:1], exec, s[8:9]
	s_cbranch_execnz .LBB63_308
; %bb.304:
	s_andn2_saveexec_b64 s[0:1], s[0:1]
	s_cbranch_execnz .LBB63_330
.LBB63_305:
	s_or_b64 exec, exec, s[0:1]
	s_and_saveexec_b64 s[0:1], s[2:3]
.LBB63_306:
	; divergent unreachable
.LBB63_307:
	s_endpgm
.LBB63_308:
	s_and_saveexec_b64 s[2:3], s[4:5]
	s_xor_b64 s[4:5], exec, s[2:3]
	s_cbranch_execz .LBB63_328
; %bb.309:
	s_and_saveexec_b64 s[2:3], s[6:7]
	s_xor_b64 s[2:3], exec, s[2:3]
; %bb.310:
	v_and_b32_e32 v2, 0x8000, v54
	v_mov_b32_e32 v3, 0x8000
	v_mov_b32_e32 v4, 0xffff
	v_cmp_eq_u32_e32 vcc, 0, v2
	s_nop 1
	v_cndmask_b32_e32 v2, v3, v4, vcc
	v_xor_b32_e32 v59, v2, v54
; %bb.311:
	s_or_b64 exec, exec, s[2:3]
	s_mov_b64 s[2:3], exec
	v_readlane_b32 s6, v72, 10
	v_readlane_b32 s7, v72, 11
	s_and_b64 s[6:7], s[2:3], s[6:7]
	s_mov_b64 exec, s[6:7]
; %bb.312:
	v_mov_b32_e32 v2, 0
	v_mov_b32_e32 v3, s56
	ds_write_b32 v2, v3 offset:5140
; %bb.313:
	s_or_b64 exec, exec, s[2:3]
	s_waitcnt lgkmcnt(0)
	s_barrier
	s_mov_b64 s[6:7], exec
	v_readlane_b32 s2, v72, 18
	v_readlane_b32 s3, v72, 19
	s_and_b64 s[2:3], s[6:7], s[2:3]
	s_mov_b64 exec, s[2:3]
	s_cbranch_execz .LBB63_325
; %bb.314:
	v_mov_b32_e32 v2, 0
	ds_read_b32 v4, v2 offset:5140
	v_cmp_u_f16_e32 vcc, v59, v59
	s_mov_b64 s[8:9], 0
	s_xor_b64 s[10:11], vcc, -1
                                        ; implicit-def: $sgpr12_sgpr13
                                        ; implicit-def: $sgpr14_sgpr15
                                        ; implicit-def: $sgpr16_sgpr17
	s_waitcnt lgkmcnt(0)
	v_ashrrev_i32_e32 v5, 31, v4
	s_branch .LBB63_317
.LBB63_315:                             ;   in Loop: Header=BB63_317 Depth=1
	s_or_b64 exec, exec, s[22:23]
	s_andn2_b64 s[16:17], s[16:17], exec
	s_and_b64 s[2:3], s[2:3], exec
	s_or_b64 s[16:17], s[16:17], s[2:3]
	s_andn2_b64 s[2:3], s[14:15], exec
	s_and_b64 s[14:15], s[20:21], exec
	s_or_b64 s[14:15], s[2:3], s[14:15]
.LBB63_316:                             ;   in Loop: Header=BB63_317 Depth=1
	s_or_b64 exec, exec, s[18:19]
	s_and_b64 s[2:3], exec, s[14:15]
	s_or_b64 s[8:9], s[2:3], s[8:9]
	s_andn2_b64 s[2:3], s[12:13], exec
	s_and_b64 s[12:13], s[16:17], exec
	s_or_b64 s[12:13], s[2:3], s[12:13]
	s_andn2_b64 exec, exec, s[8:9]
	s_cbranch_execz .LBB63_320
.LBB63_317:                             ; =>This Inner Loop Header: Depth=1
	v_mov_b64_e32 v[2:3], v[0:1]
	v_cmp_lt_i64_e32 vcc, v[2:3], v[4:5]
	s_or_b64 s[16:17], s[16:17], exec
	s_or_b64 s[14:15], s[14:15], exec
                                        ; implicit-def: $vgpr0_vgpr1
	s_and_saveexec_b64 s[18:19], vcc
	s_cbranch_execz .LBB63_316
; %bb.318:                              ;   in Loop: Header=BB63_317 Depth=1
	global_load_ushort v0, v[12:13], off
	s_mov_b64 s[20:21], -1
	s_waitcnt vmcnt(0)
	v_cmp_o_f16_e64 s[2:3], v0, v0
	v_cmp_neq_f16_e32 vcc, v0, v59
	s_or_b64 s[2:3], s[10:11], s[2:3]
	s_and_b64 s[24:25], vcc, s[2:3]
	s_mov_b64 s[2:3], 0
                                        ; implicit-def: $vgpr0_vgpr1
	s_and_saveexec_b64 s[22:23], s[24:25]
	s_cbranch_execz .LBB63_315
; %bb.319:                              ;   in Loop: Header=BB63_317 Depth=1
	v_lshl_add_u64 v[0:1], v[2:3], 0, s[78:79]
	v_cmp_le_i64_e32 vcc, s[56:57], v[0:1]
	s_mov_b64 s[2:3], exec
	v_lshl_add_u64 v[12:13], v[12:13], 0, s[94:95]
	s_orn2_b64 s[20:21], vcc, exec
	s_branch .LBB63_315
.LBB63_320:
	s_or_b64 exec, exec, s[8:9]
	s_xor_b64 s[2:3], s[12:13], -1
	s_and_saveexec_b64 s[8:9], s[2:3]
	s_xor_b64 s[8:9], exec, s[8:9]
	s_cbranch_execz .LBB63_325
; %bb.321:
	s_mov_b64 s[2:3], exec
	s_brev_b32 s8, -2
.LBB63_322:                             ; =>This Inner Loop Header: Depth=1
	s_ff1_i32_b64 s9, s[2:3]
	v_readlane_b32 s12, v2, s9
	s_lshl_b64 s[10:11], 1, s9
	s_min_i32 s8, s8, s12
	s_andn2_b64 s[2:3], s[2:3], s[10:11]
	s_cmp_lg_u64 s[2:3], 0
	s_cbranch_scc1 .LBB63_322
; %bb.323:
	v_mbcnt_lo_u32_b32 v0, exec_lo, 0
	v_mbcnt_hi_u32_b32 v0, exec_hi, v0
	v_cmp_eq_u32_e32 vcc, 0, v0
	s_and_saveexec_b64 s[2:3], vcc
	s_xor_b64 s[2:3], exec, s[2:3]
; %bb.324:
	v_mov_b32_e32 v0, 0
	v_mov_b32_e32 v1, s8
	ds_min_i32 v0, v1 offset:5140
.LBB63_325:
	s_or_b64 exec, exec, s[6:7]
	s_waitcnt lgkmcnt(0)
	s_barrier
	s_mov_b64 s[2:3], exec
	v_readlane_b32 s6, v72, 10
	v_readlane_b32 s7, v72, 11
	s_and_b64 s[6:7], s[2:3], s[6:7]
	s_mov_b64 exec, s[6:7]
	s_cbranch_execz .LBB63_327
; %bb.326:
	v_readlane_b32 s8, v72, 0
	v_readlane_b32 s9, v72, 1
	;; [unrolled: 1-line block ×4, first 2 shown]
	s_mul_i32 s6, s10, s9
	s_mul_hi_u32 s7, s10, s8
	s_add_i32 s6, s7, s6
	s_mul_i32 s7, s11, s8
	s_add_i32 s7, s6, s7
	s_mul_i32 s6, s10, s8
	v_readlane_b32 s10, v72, 4
	v_readlane_b32 s11, v72, 5
	s_mul_i32 s8, s10, s71
	s_mul_hi_u32 s9, s10, s70
	s_add_i32 s8, s9, s8
	s_mul_i32 s9, s11, s70
	s_add_i32 s9, s8, s9
	s_mul_i32 s8, s10, s70
	s_lshl_b64 s[6:7], s[6:7], 1
	v_readlane_b32 s10, v72, 6
	v_readlane_b32 s11, v72, 7
	s_add_u32 s10, s10, s6
	s_addc_u32 s11, s11, s7
	s_lshl_b64 s[6:7], s[60:61], 1
	v_mov_b32_e32 v2, 0
	s_add_u32 s6, s10, s6
	ds_read_b32 v0, v2 offset:5140
	s_addc_u32 s7, s11, s7
	s_lshl_b64 s[8:9], s[8:9], 3
	v_readlane_b32 s10, v72, 8
	v_readlane_b32 s11, v72, 9
	s_add_u32 s10, s10, s8
	s_addc_u32 s11, s11, s9
	s_lshl_b64 s[8:9], s[66:67], 3
	s_add_u32 s8, s10, s8
	s_addc_u32 s9, s11, s9
	s_waitcnt lgkmcnt(0)
	v_ashrrev_i32_e32 v1, 31, v0
	global_store_dwordx2 v2, v[0:1], s[8:9]
	global_store_short v2, v59, s[6:7]
.LBB63_327:
	s_or_b64 exec, exec, s[2:3]
.LBB63_328:
	s_or_saveexec_b64 s[2:3], s[4:5]
	s_mov_b64 s[4:5], 0
	s_xor_b64 exec, exec, s[2:3]
	s_cbranch_execnz .LBB63_331
.LBB63_329:
	s_or_b64 exec, exec, s[2:3]
	s_and_b64 s[2:3], s[4:5], exec
	s_andn2_saveexec_b64 s[0:1], s[0:1]
	s_cbranch_execz .LBB63_305
.LBB63_330:
	s_or_b64 s[2:3], s[2:3], exec
	s_trap 2
	s_or_b64 exec, exec, s[0:1]
	s_and_saveexec_b64 s[0:1], s[2:3]
	s_cbranch_execnz .LBB63_306
	s_branch .LBB63_307
.LBB63_331:
	s_mov_b64 s[4:5], exec
	s_trap 2
	s_branch .LBB63_329
	.section	.rodata,"a",@progbits
	.p2align	6, 0x0
	.amdhsa_kernel _ZN2at6native12_GLOBAL__N_114gatherKthValueIN3c104HalfElLin1EEEvNS_4cuda6detail10TensorInfoIKT_T0_EESA_SA_SA_SA_NS7_IS8_SA_EENS7_IlSA_EE
		.amdhsa_group_segment_fixed_size 5144
		.amdhsa_private_segment_fixed_size 0
		.amdhsa_kernarg_size 1536
		.amdhsa_user_sgpr_count 2
		.amdhsa_user_sgpr_dispatch_ptr 0
		.amdhsa_user_sgpr_queue_ptr 0
		.amdhsa_user_sgpr_kernarg_segment_ptr 1
		.amdhsa_user_sgpr_dispatch_id 0
		.amdhsa_user_sgpr_kernarg_preload_length 0
		.amdhsa_user_sgpr_kernarg_preload_offset 0
		.amdhsa_user_sgpr_private_segment_size 0
		.amdhsa_uses_dynamic_stack 0
		.amdhsa_enable_private_segment 0
		.amdhsa_system_sgpr_workgroup_id_x 1
		.amdhsa_system_sgpr_workgroup_id_y 1
		.amdhsa_system_sgpr_workgroup_id_z 1
		.amdhsa_system_sgpr_workgroup_info 0
		.amdhsa_system_vgpr_workitem_id 0
		.amdhsa_next_free_vgpr 73
		.amdhsa_next_free_sgpr 100
		.amdhsa_accum_offset 76
		.amdhsa_reserve_vcc 1
		.amdhsa_float_round_mode_32 0
		.amdhsa_float_round_mode_16_64 0
		.amdhsa_float_denorm_mode_32 3
		.amdhsa_float_denorm_mode_16_64 3
		.amdhsa_dx10_clamp 1
		.amdhsa_ieee_mode 1
		.amdhsa_fp16_overflow 0
		.amdhsa_tg_split 0
		.amdhsa_exception_fp_ieee_invalid_op 0
		.amdhsa_exception_fp_denorm_src 0
		.amdhsa_exception_fp_ieee_div_zero 0
		.amdhsa_exception_fp_ieee_overflow 0
		.amdhsa_exception_fp_ieee_underflow 0
		.amdhsa_exception_fp_ieee_inexact 0
		.amdhsa_exception_int_div_zero 0
	.end_amdhsa_kernel
	.section	.text._ZN2at6native12_GLOBAL__N_114gatherKthValueIN3c104HalfElLin1EEEvNS_4cuda6detail10TensorInfoIKT_T0_EESA_SA_SA_SA_NS7_IS8_SA_EENS7_IlSA_EE,"axG",@progbits,_ZN2at6native12_GLOBAL__N_114gatherKthValueIN3c104HalfElLin1EEEvNS_4cuda6detail10TensorInfoIKT_T0_EESA_SA_SA_SA_NS7_IS8_SA_EENS7_IlSA_EE,comdat
.Lfunc_end63:
	.size	_ZN2at6native12_GLOBAL__N_114gatherKthValueIN3c104HalfElLin1EEEvNS_4cuda6detail10TensorInfoIKT_T0_EESA_SA_SA_SA_NS7_IS8_SA_EENS7_IlSA_EE, .Lfunc_end63-_ZN2at6native12_GLOBAL__N_114gatherKthValueIN3c104HalfElLin1EEEvNS_4cuda6detail10TensorInfoIKT_T0_EESA_SA_SA_SA_NS7_IS8_SA_EENS7_IlSA_EE
                                        ; -- End function
	.set _ZN2at6native12_GLOBAL__N_114gatherKthValueIN3c104HalfElLin1EEEvNS_4cuda6detail10TensorInfoIKT_T0_EESA_SA_SA_SA_NS7_IS8_SA_EENS7_IlSA_EE.num_vgpr, 73
	.set _ZN2at6native12_GLOBAL__N_114gatherKthValueIN3c104HalfElLin1EEEvNS_4cuda6detail10TensorInfoIKT_T0_EESA_SA_SA_SA_NS7_IS8_SA_EENS7_IlSA_EE.num_agpr, 0
	.set _ZN2at6native12_GLOBAL__N_114gatherKthValueIN3c104HalfElLin1EEEvNS_4cuda6detail10TensorInfoIKT_T0_EESA_SA_SA_SA_NS7_IS8_SA_EENS7_IlSA_EE.numbered_sgpr, 100
	.set _ZN2at6native12_GLOBAL__N_114gatherKthValueIN3c104HalfElLin1EEEvNS_4cuda6detail10TensorInfoIKT_T0_EESA_SA_SA_SA_NS7_IS8_SA_EENS7_IlSA_EE.num_named_barrier, 0
	.set _ZN2at6native12_GLOBAL__N_114gatherKthValueIN3c104HalfElLin1EEEvNS_4cuda6detail10TensorInfoIKT_T0_EESA_SA_SA_SA_NS7_IS8_SA_EENS7_IlSA_EE.private_seg_size, 0
	.set _ZN2at6native12_GLOBAL__N_114gatherKthValueIN3c104HalfElLin1EEEvNS_4cuda6detail10TensorInfoIKT_T0_EESA_SA_SA_SA_NS7_IS8_SA_EENS7_IlSA_EE.uses_vcc, 1
	.set _ZN2at6native12_GLOBAL__N_114gatherKthValueIN3c104HalfElLin1EEEvNS_4cuda6detail10TensorInfoIKT_T0_EESA_SA_SA_SA_NS7_IS8_SA_EENS7_IlSA_EE.uses_flat_scratch, 0
	.set _ZN2at6native12_GLOBAL__N_114gatherKthValueIN3c104HalfElLin1EEEvNS_4cuda6detail10TensorInfoIKT_T0_EESA_SA_SA_SA_NS7_IS8_SA_EENS7_IlSA_EE.has_dyn_sized_stack, 0
	.set _ZN2at6native12_GLOBAL__N_114gatherKthValueIN3c104HalfElLin1EEEvNS_4cuda6detail10TensorInfoIKT_T0_EESA_SA_SA_SA_NS7_IS8_SA_EENS7_IlSA_EE.has_recursion, 0
	.set _ZN2at6native12_GLOBAL__N_114gatherKthValueIN3c104HalfElLin1EEEvNS_4cuda6detail10TensorInfoIKT_T0_EESA_SA_SA_SA_NS7_IS8_SA_EENS7_IlSA_EE.has_indirect_call, 0
	.section	.AMDGPU.csdata,"",@progbits
; Kernel info:
; codeLenInByte = 20332
; TotalNumSgprs: 106
; NumVgprs: 73
; NumAgprs: 0
; TotalNumVgprs: 73
; ScratchSize: 0
; MemoryBound: 0
; FloatMode: 240
; IeeeMode: 1
; LDSByteSize: 5144 bytes/workgroup (compile time only)
; SGPRBlocks: 13
; VGPRBlocks: 9
; NumSGPRsForWavesPerEU: 106
; NumVGPRsForWavesPerEU: 73
; AccumOffset: 76
; Occupancy: 6
; WaveLimiterHint : 1
; COMPUTE_PGM_RSRC2:SCRATCH_EN: 0
; COMPUTE_PGM_RSRC2:USER_SGPR: 2
; COMPUTE_PGM_RSRC2:TRAP_HANDLER: 0
; COMPUTE_PGM_RSRC2:TGID_X_EN: 1
; COMPUTE_PGM_RSRC2:TGID_Y_EN: 1
; COMPUTE_PGM_RSRC2:TGID_Z_EN: 1
; COMPUTE_PGM_RSRC2:TIDIG_COMP_CNT: 0
; COMPUTE_PGM_RSRC3_GFX90A:ACCUM_OFFSET: 18
; COMPUTE_PGM_RSRC3_GFX90A:TG_SPLIT: 0
	.section	.text._ZN2at6native12_GLOBAL__N_114gatherKthValueIN3c108BFloat16EiLi1EEEvNS_4cuda6detail10TensorInfoIKT_T0_EESA_SA_SA_SA_NS7_IS8_SA_EENS7_IlSA_EE,"axG",@progbits,_ZN2at6native12_GLOBAL__N_114gatherKthValueIN3c108BFloat16EiLi1EEEvNS_4cuda6detail10TensorInfoIKT_T0_EESA_SA_SA_SA_NS7_IS8_SA_EENS7_IlSA_EE,comdat
	.globl	_ZN2at6native12_GLOBAL__N_114gatherKthValueIN3c108BFloat16EiLi1EEEvNS_4cuda6detail10TensorInfoIKT_T0_EESA_SA_SA_SA_NS7_IS8_SA_EENS7_IlSA_EE ; -- Begin function _ZN2at6native12_GLOBAL__N_114gatherKthValueIN3c108BFloat16EiLi1EEEvNS_4cuda6detail10TensorInfoIKT_T0_EESA_SA_SA_SA_NS7_IS8_SA_EENS7_IlSA_EE
	.p2align	8
	.type	_ZN2at6native12_GLOBAL__N_114gatherKthValueIN3c108BFloat16EiLi1EEEvNS_4cuda6detail10TensorInfoIKT_T0_EESA_SA_SA_SA_NS7_IS8_SA_EENS7_IlSA_EE,@function
_ZN2at6native12_GLOBAL__N_114gatherKthValueIN3c108BFloat16EiLi1EEEvNS_4cuda6detail10TensorInfoIKT_T0_EESA_SA_SA_SA_NS7_IS8_SA_EENS7_IlSA_EE: ; @_ZN2at6native12_GLOBAL__N_114gatherKthValueIN3c108BFloat16EiLi1EEEvNS_4cuda6detail10TensorInfoIKT_T0_EESA_SA_SA_SA_NS7_IS8_SA_EENS7_IlSA_EE
; %bb.0:
	s_load_dwordx2 s[12:13], s[0:1], 0x298
	s_load_dwordx4 s[60:63], s[0:1], 0xd8
	s_add_u32 s10, s0, 0x298
	s_addc_u32 s11, s1, 0
	s_waitcnt lgkmcnt(0)
	s_mul_i32 s4, s13, s4
	s_add_i32 s3, s4, s3
	s_mul_i32 s3, s3, s12
	s_add_i32 s13, s3, s2
	s_cmp_ge_i32 s13, s62
	s_cbranch_scc1 .LBB64_237
; %bb.1:
	s_load_dwordx2 s[4:5], s[0:1], 0x1c0
                                        ; implicit-def: $vgpr56 : SGPR spill to VGPR lane
	v_cmp_eq_u32_e64 s[18:19], 0, v0
	s_waitcnt lgkmcnt(0)
	v_writelane_b32 v56, s4, 0
	s_nop 1
	v_writelane_b32 v56, s5, 1
	s_load_dwordx2 s[4:5], s[0:1], 0xe8
	s_waitcnt lgkmcnt(0)
	v_writelane_b32 v56, s4, 2
	s_nop 1
	v_writelane_b32 v56, s5, 3
	s_load_dword s3, s[0:1], 0x6c
	s_load_dwordx2 s[4:5], s[0:1], 0x0
	s_and_saveexec_b64 s[6:7], s[18:19]
; %bb.2:
	v_mov_b32_e32 v2, 0
	v_mov_b32_e32 v3, s60
	;; [unrolled: 1-line block ×3, first 2 shown]
	ds_write_b96 v2, v[2:4] offset:4096
; %bb.3:
	s_or_b64 exec, exec, s[6:7]
	s_load_dword s6, s[0:1], 0x22c
                                        ; kill: killed $sgpr0 killed $sgpr1
	s_waitcnt lgkmcnt(0)
	s_barrier
	v_mbcnt_lo_u32_b32 v1, -1, 0
	v_writelane_b32 v56, s6, 4
	s_load_dword s6, s[0:1], 0x154
	s_mul_i32 s0, s3, s13
	s_load_dword s3, s[10:11], 0xc
	s_ashr_i32 s1, s0, 31
	s_lshl_b64 s[0:1], s[0:1], 1
	s_add_u32 s68, s4, s0
	s_addc_u32 s69, s5, s1
	s_waitcnt lgkmcnt(0)
	s_and_b32 s62, s3, 0xffff
	v_mbcnt_hi_u32_b32 v20, -1, v1
	v_writelane_b32 v56, s6, 5
	v_cmp_gt_u32_e32 vcc, 64, v0
	v_cmp_gt_i32_e64 s[4:5], 4, v20
	s_add_i32 s6, s62, -1
	v_writelane_b32 v56, s13, 6
	s_lshl_b32 s71, s62, 2
	s_and_b64 s[72:73], vcc, s[4:5]
	s_add_i32 s80, s6, s60
	v_writelane_b32 v56, s6, 7
	s_cmpk_gt_i32 s60, 0x600
	v_cmp_gt_u32_e64 s[6:7], s60, v0
	s_cselect_b64 s[74:75], -1, 0
	s_cmp_gt_u32 s62, 63
	v_writelane_b32 v56, s6, 8
	s_cselect_b64 s[76:77], -1, 0
	s_cmp_lt_u32 s2, s12
	v_writelane_b32 v56, s7, 9
	v_cmp_gt_i32_e64 s[6:7], s60, v0
	s_cselect_b32 s2, 12, 18
	v_lshlrev_b64 v[2:3], v20, -1
	v_writelane_b32 v56, s6, 10
	v_not_b32_e32 v12, v2
	v_lshrrev_b32_e32 v2, 2, v0
	v_writelane_b32 v56, s7, 11
	s_add_u32 s6, s10, s2
	s_addc_u32 s7, s11, 0
	v_writelane_b32 v56, s6, 12
	v_and_b32_e32 v2, 0xf0, v2
	v_or_b32_e32 v23, 0xc00, v2
	v_writelane_b32 v56, s7, 13
	s_bfe_u32 s6, s3, 0xa0006
	s_add_i32 s2, s6, -2
	s_lshr_b32 s3, s2, 1
	s_add_i32 s3, s3, 1
	s_cmpk_gt_u32 s62, 0x7f
	s_cselect_b64 s[8:9], -1, 0
	v_writelane_b32 v56, s8, 14
	v_cvt_f32_u32_e32 v2, s71
	s_and_b32 s7, s6, 0x3fe
	v_writelane_b32 v56, s9, 15
	s_and_b32 s8, s3, 7
	s_cmp_gt_u32 s2, 13
	s_cselect_b64 s[10:11], -1, 0
	v_writelane_b32 v56, s10, 16
	v_rcp_iflag_f32_e32 v2, v2
	s_and_b32 s2, s3, -8
	v_writelane_b32 v56, s11, 17
	v_writelane_b32 v56, s2, 18
	s_cmp_lg_u32 s8, 0
	v_writelane_b32 v56, s8, 19
	s_cselect_b64 s[2:3], -1, 0
	v_writelane_b32 v56, s2, 20
	v_mul_f32_e32 v2, 0x4f7ffffe, v2
	v_cvt_u32_f32_e32 v2, v2
	v_writelane_b32 v56, s3, 21
	v_writelane_b32 v56, s6, 22
	s_cmp_lg_u32 s7, s6
	v_writelane_b32 v56, s7, 23
	s_cselect_b64 s[2:3], -1, 0
	v_writelane_b32 v56, s2, 24
	v_not_b32_e32 v1, v3
	v_cvt_f32_u32_e32 v3, s62
	v_writelane_b32 v56, s3, 25
	s_sub_i32 s2, 0, s71
	v_readfirstlane_b32 s3, v2
	s_mul_i32 s2, s2, s3
	s_mul_hi_u32 s2, s3, s2
	s_add_i32 s7, s3, s2
	s_mul_hi_u32 s2, s60, s7
	s_mul_i32 s2, s2, s71
	s_sub_i32 s2, s60, s2
	s_sub_i32 s3, s2, s71
	s_cmp_ge_u32 s2, s71
	s_cselect_b32 s2, s3, s2
	s_sub_i32 s3, s2, s71
	s_cmp_ge_u32 s2, s71
	s_cselect_b32 s2, s3, s2
	s_sub_i32 s8, s60, s2
	v_rcp_iflag_f32_e32 v5, v3
	v_add_u32_e32 v24, s8, v0
	v_mul_lo_u32 v2, v24, s63
	v_ashrrev_i32_e32 v3, 31, v2
	v_lshl_add_u64 v[14:15], v[2:3], 1, s[68:69]
	v_mul_f32_e32 v2, 0x4f7ffffe, v5
	v_cvt_u32_f32_e32 v2, v2
	s_sub_i32 s9, 0, s62
	s_abs_i32 s6, s80
	s_ashr_i32 s3, s80, 31
	v_readfirstlane_b32 s16, v2
	s_mul_i32 s9, s9, s16
	s_mul_hi_u32 s9, s16, s9
	s_add_i32 s9, s16, s9
	s_mul_hi_u32 s16, s6, s9
	s_mul_i32 s16, s16, s62
	s_sub_i32 s6, s6, s16
	s_sub_i32 s16, s6, s62
	s_cmp_ge_u32 s6, s62
	s_cselect_b32 s6, s16, s6
	s_sub_i32 s16, s6, s62
	s_cmp_ge_u32 s6, s62
	s_cselect_b32 s6, s16, s6
	v_lshlrev_b32_e32 v13, 2, v0
	s_xor_b32 s6, s6, s3
	s_sub_i32 s3, s3, s6
	v_mul_lo_u32 v2, s63, v13
	s_add_i32 s80, s80, s3
	v_add_u32_e32 v25, s63, v2
	v_or_b32_e32 v2, 2, v13
	v_cmp_gt_i32_e64 s[16:17], s80, v0
	v_mul_lo_u32 v26, s63, v2
	v_or_b32_e32 v2, 3, v13
	s_add_i32 s3, s62, s60
	v_mov_b32_e32 v9, 0
	v_writelane_b32 v56, s16, 26
	v_mul_lo_u32 v27, s63, v2
	v_add_u32_e32 v2, s3, v0
	s_mov_b32 s20, 0
	s_mov_b32 s21, 1
	v_lshlrev_b32_e32 v21, 1, v0
	v_mul_lo_u32 v6, s63, v0
	v_mov_b32_e32 v7, v9
	v_lshlrev_b32_e32 v4, 2, v20
	v_writelane_b32 v56, s17, 27
	s_mul_i32 s33, s63, s62
	v_subrev_u32_e32 v2, s2, v2
	s_mov_b32 s70, 0xffff
	v_cmp_eq_u32_e64 s[0:1], 0, v20
	v_cmp_gt_u32_e64 s[4:5], 2, v0
	v_add_u32_e32 v22, 0xc00, v21
	v_lshl_add_u64 v[10:11], v[6:7], 1, s[68:69]
	v_and_b32_e32 v7, 0x100, v4
	v_cmp_gt_i32_e64 s[10:11], s8, v13
	v_cmp_gt_u32_e64 s[12:13], s60, v24
	v_cmp_gt_i32_e64 s[14:15], s60, v24
	s_lshl_b32 s81, s33, 2
	v_lshlrev_b32_e32 v28, 2, v6
	v_mul_lo_u32 v30, s63, v2
	v_lshlrev_b32_e32 v31, 3, v0
	s_lshl_b32 s78, s62, 3
	s_lshl_b32 s79, s62, 1
	v_or_b32_e32 v32, 0xc00, v4
	s_mov_b64 s[88:89], 0
	v_mov_b32_e32 v34, 14
	v_mov_b32_e32 v41, s61
	;; [unrolled: 1-line block ×3, first 2 shown]
	s_movk_i32 s61, 0x3f80
	v_mov_b32_e32 v33, 0xffff
	v_mov_b32_e32 v35, 0x8000
	v_mov_b32_e32 v36, -1
	v_mov_b32_e32 v37, 0xc00
	v_mov_b32_e32 v38, 0x5040100
	;; [unrolled: 1-line block ×3, first 2 shown]
	v_writelane_b32 v56, s20, 28
	s_mov_b32 s16, s20
	v_mov_b32_e32 v29, 0
	v_mov_b32_e32 v39, 0
                                        ; implicit-def: $sgpr90_sgpr91
                                        ; implicit-def: $sgpr94_sgpr95
                                        ; implicit-def: $sgpr92_sgpr93
                                        ; implicit-def: $sgpr98_sgpr99
                                        ; implicit-def: $sgpr64_sgpr65
                                        ; implicit-def: $sgpr96_sgpr97
	v_writelane_b32 v56, s21, 29
	s_branch .LBB64_7
.LBB64_4:                               ;   in Loop: Header=BB64_7 Depth=1
	s_or_b64 exec, exec, s[30:31]
	s_and_b64 s[30:31], s[28:29], exec
	s_andn2_b64 s[26:27], s[26:27], exec
	s_andn2_b64 s[24:25], s[24:25], exec
	s_orn2_b64 s[20:21], s[20:21], exec
.LBB64_5:                               ;   in Loop: Header=BB64_7 Depth=1
	s_or_b64 exec, exec, s[22:23]
	s_andn2_b64 s[16:17], s[96:97], exec
	s_and_b64 s[22:23], s[30:31], exec
	s_or_b64 s[96:97], s[16:17], s[22:23]
	s_andn2_b64 s[16:17], s[64:65], exec
	s_and_b64 s[22:23], s[26:27], exec
	s_or_b64 s[64:65], s[16:17], s[22:23]
	s_andn2_b64 s[16:17], s[98:99], exec
	s_and_b64 s[22:23], s[24:25], exec
	s_or_b64 s[98:99], s[16:17], s[22:23]
	s_orn2_b64 s[20:21], s[20:21], exec
.LBB64_6:                               ;   in Loop: Header=BB64_7 Depth=1
	s_or_b64 exec, exec, s[2:3]
	s_and_b64 s[2:3], exec, s[20:21]
	s_or_b64 s[88:89], s[2:3], s[88:89]
	s_andn2_b64 s[2:3], s[92:93], exec
	s_and_b64 s[16:17], s[96:97], exec
	s_or_b64 s[92:93], s[2:3], s[16:17]
	s_andn2_b64 s[2:3], s[94:95], exec
	s_and_b64 s[16:17], s[64:65], exec
	s_or_b64 s[94:95], s[2:3], s[16:17]
	s_andn2_b64 s[2:3], s[90:91], exec
	s_and_b64 s[16:17], s[98:99], exec
	s_or_b64 s[90:91], s[2:3], s[16:17]
	s_mov_b32 s16, s6
	v_mov_b32_e32 v41, v16
	s_andn2_b64 exec, exec, s[88:89]
	s_cbranch_execz .LBB64_233
.LBB64_7:                               ; =>This Loop Header: Depth=1
                                        ;     Child Loop BB64_12 Depth 2
                                        ;     Child Loop BB64_27 Depth 2
	;; [unrolled: 1-line block ×17, first 2 shown]
	ds_read_b64 v[2:3], v9 offset:4096
	s_waitcnt lgkmcnt(0)
	v_readfirstlane_b32 s17, v2
	s_cmp_gt_i32 s17, 0
	s_cbranch_scc1 .LBB64_34
; %bb.8:                                ;   in Loop: Header=BB64_7 Depth=1
	s_and_b64 vcc, exec, s[74:75]
	s_cbranch_vccz .LBB64_20
; %bb.9:                                ;   in Loop: Header=BB64_7 Depth=1
	s_movk_i32 s2, 0x601
	v_cmp_gt_i32_e32 vcc, s2, v3
	s_mov_b64 s[20:21], 0
	s_mov_b64 s[2:3], 0
	s_cbranch_vccz .LBB64_21
; %bb.10:                               ;   in Loop: Header=BB64_7 Depth=1
	v_readlane_b32 s2, v56, 12
	v_readlane_b32 s3, v56, 13
	s_nop 4
	global_load_ushort v2, v9, s[2:3]
	global_load_ushort v4, v[10:11], off
	s_mov_b64 s[22:23], 0
	s_waitcnt vmcnt(1)
	v_add_u32_e32 v5, v0, v2
	v_mul_lo_u32 v3, s63, v2
	v_mul_lo_u32 v8, s63, v5
	v_mov_b32_e32 v5, v0
	s_branch .LBB64_12
.LBB64_11:                              ;   in Loop: Header=BB64_12 Depth=2
	s_or_b64 exec, exec, s[2:3]
	v_cmp_le_i32_e32 vcc, s60, v5
	v_add_u32_e32 v8, v8, v3
	s_or_b64 s[22:23], vcc, s[22:23]
	v_mov_b32_e32 v4, v16
	s_andn2_b64 exec, exec, s[22:23]
	s_cbranch_execz .LBB64_66
.LBB64_12:                              ;   Parent Loop BB64_7 Depth=1
                                        ; =>  This Inner Loop Header: Depth=2
	v_add_u32_e32 v5, v5, v2
	v_cmp_gt_u32_e32 vcc, s60, v5
	s_waitcnt lgkmcnt(0)
	v_mov_b32_e32 v17, 0
	v_mov_b32_e32 v16, 0
	s_and_saveexec_b64 s[2:3], vcc
	s_cbranch_execz .LBB64_14
; %bb.13:                               ;   in Loop: Header=BB64_12 Depth=2
	v_lshl_add_u64 v[18:19], v[8:9], 1, s[68:69]
	global_load_ushort v16, v[18:19], off
.LBB64_14:                              ;   in Loop: Header=BB64_12 Depth=2
	s_or_b64 exec, exec, s[2:3]
	s_waitcnt vmcnt(0)
	v_cmp_lt_i16_e32 vcc, -1, v4
	v_lshlrev_b32_e32 v19, 16, v4
	s_nop 0
	v_cndmask_b32_e32 v18, v33, v35, vcc
	v_xor_b32_sdwa v18, v18, v4 dst_sel:DWORD dst_unused:UNUSED_PAD src0_sel:DWORD src1_sel:WORD_0
	v_cmp_o_f32_e32 vcc, v19, v19
	s_nop 1
	v_cndmask_b32_e32 v18, v33, v18, vcc
	v_and_b32_e32 v18, v18, v39
	v_cmp_eq_u32_e32 vcc, v18, v29
	s_cmp_lg_u64 vcc, 0
	s_cselect_b64 s[2:3], -1, 0
	s_and_b64 s[2:3], s[0:1], s[2:3]
	s_and_saveexec_b64 s[24:25], s[2:3]
	s_cbranch_execz .LBB64_18
; %bb.15:                               ;   in Loop: Header=BB64_12 Depth=2
	s_mov_b64 s[28:29], exec
	v_mbcnt_lo_u32_b32 v17, s28, 0
	v_mbcnt_hi_u32_b32 v17, s29, v17
	s_bcnt1_i32_b64 s6, vcc
	v_cmp_eq_u32_e64 s[2:3], 0, v17
                                        ; implicit-def: $vgpr18
	s_and_saveexec_b64 s[26:27], s[2:3]
; %bb.16:                               ;   in Loop: Header=BB64_12 Depth=2
	s_bcnt1_i32_b64 s2, s[28:29]
	s_mul_i32 s2, s6, s2
	v_mov_b32_e32 v18, s2
	ds_add_rtn_u32 v18, v9, v18 offset:4104
; %bb.17:                               ;   in Loop: Header=BB64_12 Depth=2
	s_or_b64 exec, exec, s[26:27]
	s_waitcnt lgkmcnt(0)
	v_readfirstlane_b32 s2, v18
	s_nop 1
	v_mov_b32_e32 v18, s2
	v_mad_u32_u24 v17, s6, v17, v18
.LBB64_18:                              ;   in Loop: Header=BB64_12 Depth=2
	s_or_b64 exec, exec, s[24:25]
	ds_bpermute_b32 v17, v7, v17
	s_and_saveexec_b64 s[2:3], vcc
	s_cbranch_execz .LBB64_11
; %bb.19:                               ;   in Loop: Header=BB64_12 Depth=2
	v_and_b32_e32 v19, vcc_lo, v12
	v_and_b32_e32 v18, vcc_hi, v1
	v_bcnt_u32_b32 v19, v19, 0
	v_bcnt_u32_b32 v18, v18, v19
	v_lshlrev_b32_e32 v18, 1, v18
	s_waitcnt lgkmcnt(0)
	v_lshl_add_u32 v17, v17, 1, v18
	ds_write_b16 v17, v4
	s_branch .LBB64_11
.LBB64_20:                              ;   in Loop: Header=BB64_7 Depth=1
	s_mov_b64 s[20:21], -1
	s_mov_b64 s[2:3], 0
.LBB64_21:                              ;   in Loop: Header=BB64_7 Depth=1
	s_and_b64 vcc, exec, s[20:21]
	s_cbranch_vccz .LBB64_32
.LBB64_22:                              ;   in Loop: Header=BB64_7 Depth=1
	v_mov_b32_e32 v2, 0
	s_mov_b64 s[2:3], exec
	v_readlane_b32 s20, v56, 8
	v_readlane_b32 s21, v56, 9
	s_and_b64 s[20:21], s[2:3], s[20:21]
	s_mov_b64 exec, s[20:21]
	s_cbranch_execz .LBB64_24
; %bb.23:                               ;   in Loop: Header=BB64_7 Depth=1
	global_load_ushort v2, v[10:11], off
.LBB64_24:                              ;   in Loop: Header=BB64_7 Depth=1
	s_or_b64 exec, exec, s[2:3]
	s_mov_b64 s[2:3], exec
	v_readlane_b32 s20, v56, 10
	v_readlane_b32 s21, v56, 11
	s_and_b64 s[20:21], s[2:3], s[20:21]
	s_mov_b64 exec, s[20:21]
	s_cbranch_execz .LBB64_29
; %bb.25:                               ;   in Loop: Header=BB64_7 Depth=1
	v_readlane_b32 s20, v56, 12
	v_readlane_b32 s21, v56, 13
	v_mov_b32_e32 v4, v21
	v_mov_b32_e32 v17, v0
	s_nop 2
	global_load_ushort v3, v9, s[20:21]
	s_mov_b64 s[20:21], 0
	s_waitcnt vmcnt(0)
	v_add_u32_e32 v8, v0, v3
	v_lshlrev_b32_e32 v5, 1, v3
	v_mul_lo_u32 v16, s63, v3
	v_mul_lo_u32 v8, s63, v8
	s_branch .LBB64_27
.LBB64_26:                              ;   in Loop: Header=BB64_27 Depth=2
	s_or_b64 exec, exec, s[22:23]
	v_cmp_le_i32_e32 vcc, s60, v17
	ds_write_b16 v4, v2
	v_add_u32_e32 v4, v4, v5
	v_add_u32_e32 v8, v8, v16
	s_or_b64 s[20:21], vcc, s[20:21]
	s_waitcnt vmcnt(0)
	v_mov_b32_e32 v2, v18
	s_andn2_b64 exec, exec, s[20:21]
	s_cbranch_execz .LBB64_29
.LBB64_27:                              ;   Parent Loop BB64_7 Depth=1
                                        ; =>  This Inner Loop Header: Depth=2
	v_add_u32_e32 v17, v17, v3
	v_cmp_gt_u32_e32 vcc, s60, v17
	v_mov_b32_e32 v18, 0
	s_and_saveexec_b64 s[22:23], vcc
	s_cbranch_execz .LBB64_26
; %bb.28:                               ;   in Loop: Header=BB64_27 Depth=2
	v_lshl_add_u64 v[18:19], v[8:9], 1, s[68:69]
	global_load_ushort v18, v[18:19], off
	s_branch .LBB64_26
.LBB64_29:                              ;   in Loop: Header=BB64_7 Depth=1
	s_or_b64 exec, exec, s[2:3]
	s_waitcnt lgkmcnt(0)
	s_barrier
	s_and_saveexec_b64 s[2:3], s[18:19]
; %bb.30:                               ;   in Loop: Header=BB64_7 Depth=1
	ds_write_b32 v9, v42 offset:4096
; %bb.31:                               ;   in Loop: Header=BB64_7 Depth=1
	s_or_b64 exec, exec, s[2:3]
	s_mov_b64 s[2:3], -1
	s_waitcnt lgkmcnt(0)
	s_barrier
.LBB64_32:                              ;   in Loop: Header=BB64_7 Depth=1
	s_and_b64 vcc, exec, s[2:3]
	s_cbranch_vccz .LBB64_34
; %bb.33:                               ;   in Loop: Header=BB64_7 Depth=1
	s_waitcnt vmcnt(0)
	ds_read_b32 v2, v9 offset:4096
	s_waitcnt lgkmcnt(0)
	v_readfirstlane_b32 s17, v2
.LBB64_34:                              ;   in Loop: Header=BB64_7 Depth=1
	s_cmp_lt_i32 s17, 1
	s_mov_b64 s[2:3], -1
                                        ; implicit-def: $vgpr4_vgpr5
	s_cbranch_scc1 .LBB64_44
; %bb.35:                               ;   in Loop: Header=BB64_7 Depth=1
	s_and_b64 vcc, exec, s[2:3]
	s_cbranch_vccnz .LBB64_57
.LBB64_36:                              ;   in Loop: Header=BB64_7 Depth=1
	s_lshl_b32 s6, s16, 6
	s_and_saveexec_b64 s[2:3], s[0:1]
	s_cbranch_execz .LBB64_38
.LBB64_37:                              ;   in Loop: Header=BB64_7 Depth=1
	v_lshl_add_u32 v8, s6, 2, v23
	s_waitcnt vmcnt(0)
	ds_write_b128 v8, v[2:5]
.LBB64_38:                              ;   in Loop: Header=BB64_7 Depth=1
	s_or_b64 exec, exec, s[2:3]
	s_waitcnt lgkmcnt(0)
	s_barrier
	s_and_saveexec_b64 s[2:3], s[72:73]
	s_cbranch_execz .LBB64_77
; %bb.39:                               ;   in Loop: Header=BB64_7 Depth=1
	v_add_u32_e32 v4, s6, v20
	s_andn2_b64 vcc, exec, s[76:77]
	s_waitcnt vmcnt(0)
	v_mov_b32_e32 v2, 0
	s_cbranch_vccnz .LBB64_76
; %bb.40:                               ;   in Loop: Header=BB64_7 Depth=1
	v_readlane_b32 s20, v56, 14
	v_readlane_b32 s21, v56, 15
	s_andn2_b64 vcc, exec, s[20:21]
	s_cbranch_vccnz .LBB64_69
; %bb.41:                               ;   in Loop: Header=BB64_7 Depth=1
	v_readlane_b32 s20, v56, 16
	v_readlane_b32 s21, v56, 17
	s_andn2_b64 vcc, exec, s[20:21]
	v_lshl_add_u32 v5, v4, 2, v37
	s_cbranch_vccnz .LBB64_70
; %bb.42:                               ;   in Loop: Header=BB64_7 Depth=1
	s_mov_b32 s21, 1
	s_mov_b32 s20, 0
	v_mov_b32_e32 v2, 0
	v_mov_b32_e32 v3, 0
	v_readlane_b32 s17, v56, 18
.LBB64_43:                              ;   Parent Loop BB64_7 Depth=1
                                        ; =>  This Inner Loop Header: Depth=2
	v_lshl_add_u32 v8, s20, 4, v5
	v_lshl_add_u32 v43, s21, 4, v5
	ds_read2_b32 v[16:17], v8 offset1:8
	ds_read2_b32 v[18:19], v43 offset1:8
	ds_read2_b32 v[44:45], v8 offset0:16 offset1:24
	ds_read2_b32 v[46:47], v43 offset0:16 offset1:24
	;; [unrolled: 1-line block ×6, first 2 shown]
	s_waitcnt lgkmcnt(7)
	v_add3_u32 v2, v16, v2, v17
	s_waitcnt lgkmcnt(6)
	v_add3_u32 v3, v18, v3, v19
	;; [unrolled: 2-line block ×3, first 2 shown]
	v_add3_u32 v2, v44, v2, v45
	s_add_i32 s21, s21, 16
	s_add_i32 s20, s20, 16
	s_add_i32 s17, s17, -8
	s_waitcnt lgkmcnt(3)
	v_add3_u32 v2, v48, v2, v49
	s_waitcnt lgkmcnt(2)
	v_add3_u32 v3, v50, v3, v51
	s_cmp_lg_u32 s17, 0
	s_waitcnt lgkmcnt(0)
	v_add3_u32 v3, v54, v3, v55
	v_add3_u32 v2, v52, v2, v53
	s_cbranch_scc1 .LBB64_43
	s_branch .LBB64_71
.LBB64_44:                              ;   in Loop: Header=BB64_7 Depth=1
	v_mov_b32_e32 v8, v9
	v_mov_b64_e32 v[4:5], v[8:9]
	s_waitcnt vmcnt(0)
	v_mov_b64_e32 v[2:3], v[8:9]
	s_and_saveexec_b64 s[66:67], s[10:11]
	s_cbranch_execnz .LBB64_47
; %bb.45:                               ;   in Loop: Header=BB64_7 Depth=1
	s_or_b64 exec, exec, s[66:67]
	v_mov_b32_e32 v18, 0
	s_and_saveexec_b64 s[2:3], s[12:13]
	s_cbranch_execnz .LBB64_50
.LBB64_46:                              ;   in Loop: Header=BB64_7 Depth=1
	s_or_b64 exec, exec, s[2:3]
	s_and_saveexec_b64 s[20:21], s[14:15]
	s_cbranch_execnz .LBB64_51
	s_branch .LBB64_56
.LBB64_47:                              ;   in Loop: Header=BB64_7 Depth=1
	s_mov_b32 s6, 0
	s_mov_b64 s[82:83], 0
	v_mov_b32_e32 v8, v13
	s_mov_b32 s84, 0
	s_mov_b32 s85, s6
	;; [unrolled: 1-line block ×4, first 2 shown]
.LBB64_48:                              ;   Parent Loop BB64_7 Depth=1
                                        ; =>  This Inner Loop Header: Depth=2
	v_add_u32_e32 v2, s6, v28
	v_add_u32_e32 v4, s6, v25
	;; [unrolled: 1-line block ×4, first 2 shown]
	v_ashrrev_i32_e32 v3, 31, v2
	v_ashrrev_i32_e32 v5, 31, v4
	;; [unrolled: 1-line block ×4, first 2 shown]
	v_lshl_add_u64 v[2:3], v[2:3], 1, s[68:69]
	v_lshl_add_u64 v[4:5], v[4:5], 1, s[68:69]
	;; [unrolled: 1-line block ×4, first 2 shown]
	global_load_ushort v2, v[2:3], off
	s_nop 0
	global_load_ushort v3, v[4:5], off
	s_nop 0
	global_load_ushort v4, v[16:17], off
	global_load_ushort v5, v[18:19], off
	v_add_u32_e32 v8, s71, v8
	s_add_i32 s6, s6, s81
	v_cmp_le_i32_e32 vcc, s8, v8
	s_waitcnt vmcnt(3)
	v_cmp_lt_i16_e64 s[2:3], -1, v2
	s_nop 1
	v_cndmask_b32_e64 v43, v33, v35, s[2:3]
	s_waitcnt vmcnt(2)
	v_cmp_lt_i16_e64 s[2:3], -1, v3
	v_lshlrev_b32_e32 v16, 16, v2
	v_lshlrev_b32_e32 v17, 16, v3
	v_cndmask_b32_e64 v44, v33, v35, s[2:3]
	s_waitcnt vmcnt(1)
	v_cmp_lt_i16_e64 s[2:3], -1, v4
	v_xor_b32_sdwa v2, v43, v2 dst_sel:DWORD dst_unused:UNUSED_PAD src0_sel:DWORD src1_sel:WORD_0
	v_cmp_o_f32_e64 s[24:25], v16, v16
	v_cndmask_b32_e64 v45, v33, v35, s[2:3]
	s_waitcnt vmcnt(0)
	v_cmp_lt_i16_e64 s[2:3], -1, v5
	v_lshlrev_b32_e32 v18, 16, v4
	v_xor_b32_sdwa v3, v44, v3 dst_sel:DWORD dst_unused:UNUSED_PAD src0_sel:DWORD src1_sel:WORD_0
	v_cndmask_b32_e64 v46, v33, v35, s[2:3]
	v_cmp_o_f32_e64 s[2:3], v17, v17
	v_cndmask_b32_e64 v2, v33, v2, s[24:25]
	v_lshlrev_b32_e32 v19, 16, v5
	v_xor_b32_sdwa v4, v45, v4 dst_sel:DWORD dst_unused:UNUSED_PAD src0_sel:DWORD src1_sel:WORD_0
	v_cmp_o_f32_e64 s[20:21], v18, v18
	v_cndmask_b32_e64 v3, v33, v3, s[2:3]
	v_and_b32_e32 v16, v2, v39
	v_bfe_u32 v2, v2, v34, 2
	v_xor_b32_sdwa v5, v46, v5 dst_sel:DWORD dst_unused:UNUSED_PAD src0_sel:DWORD src1_sel:WORD_0
	v_cmp_o_f32_e64 s[22:23], v19, v19
	v_cndmask_b32_e64 v4, v33, v4, s[20:21]
	v_and_b32_e32 v17, v3, v39
	v_bfe_u32 v3, v3, v34, 2
	v_cmp_eq_u32_e64 s[2:3], v16, v29
	v_cmp_eq_u32_e64 s[26:27], 0, v2
	v_cndmask_b32_e64 v5, v33, v5, s[22:23]
	v_and_b32_e32 v18, v4, v39
	v_bfe_u32 v4, v4, v34, 2
	v_cmp_eq_u32_e64 s[20:21], v17, v29
	v_cmp_eq_u32_e64 s[28:29], 0, v3
	s_and_b64 s[26:27], s[2:3], s[26:27]
	v_and_b32_e32 v19, v5, v39
	v_bfe_u32 v5, v5, v34, 2
	v_cmp_eq_u32_e64 s[22:23], v18, v29
	v_cmp_eq_u32_e64 s[30:31], 0, v4
	;; [unrolled: 1-line block ×5, first 2 shown]
	v_cndmask_b32_e64 v2, 0, 1, s[26:27]
	s_and_b64 s[26:27], s[20:21], s[28:29]
	v_cmp_eq_u32_e64 s[24:25], v19, v29
	v_cmp_eq_u32_e64 s[34:35], 0, v5
	;; [unrolled: 1-line block ×5, first 2 shown]
	v_cndmask_b32_e64 v3, 0, 1, s[26:27]
	s_and_b64 s[26:27], s[22:23], s[30:31]
	v_cmp_eq_u32_e64 s[40:41], 1, v4
	v_cmp_eq_u32_e64 s[48:49], 2, v4
	;; [unrolled: 1-line block ×3, first 2 shown]
	v_cndmask_b32_e64 v4, 0, 1, s[26:27]
	s_and_b64 s[26:27], s[24:25], s[34:35]
	v_cmp_eq_u32_e64 s[42:43], 1, v5
	v_cmp_eq_u32_e64 s[50:51], 2, v5
	v_cmp_eq_u32_e64 s[58:59], 3, v5
	v_cndmask_b32_e64 v5, 0, 1, s[26:27]
	s_and_b64 s[26:27], s[2:3], s[36:37]
	v_cndmask_b32_e64 v16, 0, 1, s[26:27]
	s_and_b64 s[26:27], s[20:21], s[38:39]
	;; [unrolled: 2-line block ×5, first 2 shown]
	s_and_b64 s[2:3], s[2:3], s[52:53]
	v_cndmask_b32_e64 v43, 0, 1, s[26:27]
	s_and_b64 s[26:27], s[20:21], s[46:47]
	v_cndmask_b32_e64 v47, 0, 1, s[2:3]
	;; [unrolled: 2-line block ×7, first 2 shown]
	v_cndmask_b32_e64 v50, 0, 1, s[2:3]
	v_cmp_ne_u32_e64 s[2:3], 0, v2
	v_cmp_ne_u32_e64 s[20:21], 0, v3
	;; [unrolled: 1-line block ×11, first 2 shown]
	s_bcnt1_i32_b64 s2, s[2:3]
	s_bcnt1_i32_b64 s3, s[20:21]
	;; [unrolled: 1-line block ×8, first 2 shown]
	v_cmp_ne_u32_e64 s[34:35], 0, v19
	v_cmp_ne_u32_e64 s[40:41], 0, v45
	v_cmp_ne_u32_e64 s[48:49], 0, v49
	s_bcnt1_i32_b64 s23, s[28:29]
	s_bcnt1_i32_b64 s27, s[38:39]
	;; [unrolled: 1-line block ×3, first 2 shown]
	s_add_i32 s2, s84, s2
	s_add_i32 s22, s85, s22
	s_add_i32 s26, s86, s26
	s_add_i32 s30, s87, s30
	v_cmp_ne_u32_e64 s[42:43], 0, v46
	v_cmp_ne_u32_e64 s[50:51], 0, v50
	s_bcnt1_i32_b64 s25, s[34:35]
	s_bcnt1_i32_b64 s28, s[40:41]
	;; [unrolled: 1-line block ×3, first 2 shown]
	s_add_i32 s22, s22, s23
	s_add_i32 s2, s2, s3
	;; [unrolled: 1-line block ×4, first 2 shown]
	s_bcnt1_i32_b64 s29, s[42:43]
	s_bcnt1_i32_b64 s35, s[50:51]
	s_add_i32 s2, s2, s20
	s_add_i32 s20, s22, s24
	;; [unrolled: 1-line block ×8, first 2 shown]
	s_or_b64 s[82:83], vcc, s[82:83]
	v_mov_b64_e32 v[2:3], s[84:85]
	v_mov_b64_e32 v[4:5], s[86:87]
	s_andn2_b64 exec, exec, s[82:83]
	s_cbranch_execnz .LBB64_48
; %bb.49:                               ;   in Loop: Header=BB64_7 Depth=1
	s_or_b64 exec, exec, s[82:83]
	s_or_b64 exec, exec, s[66:67]
	v_mov_b32_e32 v18, 0
	s_and_saveexec_b64 s[2:3], s[12:13]
	s_cbranch_execz .LBB64_46
.LBB64_50:                              ;   in Loop: Header=BB64_7 Depth=1
	global_load_ushort v18, v[14:15], off
	s_or_b64 exec, exec, s[2:3]
	s_and_saveexec_b64 s[20:21], s[14:15]
	s_cbranch_execz .LBB64_56
.LBB64_51:                              ;   in Loop: Header=BB64_7 Depth=1
	s_mov_b64 s[22:23], 0
	v_mov_b32_e32 v16, v30
	v_mov_b32_e32 v8, v24
	s_branch .LBB64_53
.LBB64_52:                              ;   in Loop: Header=BB64_53 Depth=2
	s_or_b64 exec, exec, s[2:3]
	s_waitcnt vmcnt(0)
	v_cmp_lt_i16_e32 vcc, -1, v18
	v_lshlrev_b32_e32 v43, 16, v18
	v_add_u32_e32 v16, s33, v16
	v_cndmask_b32_e32 v19, v33, v35, vcc
	v_xor_b32_sdwa v18, v19, v18 dst_sel:DWORD dst_unused:UNUSED_PAD src0_sel:DWORD src1_sel:WORD_0
	v_cmp_o_f32_e32 vcc, v43, v43
	s_nop 1
	v_cndmask_b32_e32 v18, v33, v18, vcc
	v_and_b32_e32 v19, v18, v39
	v_bfe_u32 v18, v18, v34, 2
	v_cmp_eq_u32_e32 vcc, v19, v29
	v_cmp_eq_u32_e64 s[2:3], 0, v18
	s_and_b64 s[2:3], vcc, s[2:3]
	s_nop 0
	v_cndmask_b32_e64 v19, 0, 1, s[2:3]
	v_cmp_ne_u32_e64 s[2:3], 0, v19
	s_bcnt1_i32_b64 s6, s[2:3]
	v_cmp_eq_u32_e64 s[2:3], 1, v18
	s_and_b64 s[2:3], vcc, s[2:3]
	v_add_u32_e32 v2, s6, v2
	v_cndmask_b32_e64 v19, 0, 1, s[2:3]
	v_cmp_ne_u32_e64 s[2:3], 0, v19
	s_bcnt1_i32_b64 s2, s[2:3]
	s_nop 0
	v_add_u32_e32 v3, s2, v3
	v_cmp_eq_u32_e64 s[2:3], 2, v18
	s_and_b64 s[2:3], vcc, s[2:3]
	s_nop 0
	v_cndmask_b32_e64 v19, 0, 1, s[2:3]
	v_cmp_ne_u32_e64 s[2:3], 0, v19
	s_bcnt1_i32_b64 s6, s[2:3]
	v_cmp_eq_u32_e64 s[2:3], 3, v18
	s_and_b64 s[2:3], vcc, s[2:3]
	v_add_u32_e32 v4, s6, v4
	v_cndmask_b32_e64 v18, 0, 1, s[2:3]
	v_cmp_ne_u32_e32 vcc, 0, v18
	s_bcnt1_i32_b64 s2, vcc
	v_cmp_le_i32_e32 vcc, s60, v8
	v_add_u32_e32 v5, s2, v5
	s_or_b64 s[22:23], vcc, s[22:23]
	v_mov_b32_e32 v18, v17
	s_andn2_b64 exec, exec, s[22:23]
	s_cbranch_execz .LBB64_55
.LBB64_53:                              ;   Parent Loop BB64_7 Depth=1
                                        ; =>  This Inner Loop Header: Depth=2
	v_add_u32_e32 v8, s62, v8
	v_cmp_gt_u32_e32 vcc, s60, v8
	v_mov_b32_e32 v17, 0
	s_and_saveexec_b64 s[2:3], vcc
	s_cbranch_execz .LBB64_52
; %bb.54:                               ;   in Loop: Header=BB64_53 Depth=2
	v_ashrrev_i32_e32 v17, 31, v16
	v_lshl_add_u64 v[44:45], v[16:17], 1, s[68:69]
	global_load_ushort v17, v[44:45], off
	s_branch .LBB64_52
.LBB64_55:                              ;   in Loop: Header=BB64_7 Depth=1
	s_or_b64 exec, exec, s[22:23]
.LBB64_56:                              ;   in Loop: Header=BB64_7 Depth=1
	s_or_b64 exec, exec, s[20:21]
	s_branch .LBB64_36
.LBB64_57:                              ;   in Loop: Header=BB64_7 Depth=1
	s_mul_hi_u32 s2, s17, s7
	s_mul_i32 s2, s2, s71
	s_sub_i32 s2, s17, s2
	s_sub_i32 s3, s2, s71
	s_cmp_ge_u32 s2, s71
	s_cselect_b32 s2, s3, s2
	s_sub_i32 s3, s2, s71
	s_cmp_ge_u32 s2, s71
	s_cselect_b32 s2, s3, s2
	s_sub_i32 s6, s17, s2
	v_mov_b32_e32 v8, v9
	v_cmp_gt_u32_e32 vcc, s6, v13
	v_mov_b64_e32 v[4:5], v[8:9]
	s_waitcnt vmcnt(0)
	v_mov_b64_e32 v[2:3], v[8:9]
	s_and_saveexec_b64 s[66:67], vcc
	s_cbranch_execz .LBB64_61
; %bb.58:                               ;   in Loop: Header=BB64_7 Depth=1
	s_mov_b32 s84, 0
	s_mov_b64 s[82:83], 0
	v_mov_b32_e32 v8, v31
	v_mov_b32_e32 v16, v13
	s_mov_b32 s85, s84
	s_mov_b32 s86, s84
	;; [unrolled: 1-line block ×3, first 2 shown]
.LBB64_59:                              ;   Parent Loop BB64_7 Depth=1
                                        ; =>  This Inner Loop Header: Depth=2
	ds_read_b64 v[2:3], v8
	v_add_u32_e32 v16, s71, v16
	v_cmp_le_i32_e32 vcc, s6, v16
	v_add_u32_e32 v8, s78, v8
	s_waitcnt lgkmcnt(0)
	v_cmp_lt_i16_e64 s[2:3], -1, v2
	v_lshlrev_b32_e32 v4, 16, v2
	s_nop 0
	v_cndmask_b32_e64 v19, v33, v35, s[2:3]
	v_cmp_gt_i16_sdwa s[2:3], v2, v36 src0_sel:WORD_1 src1_sel:DWORD
	v_and_b32_e32 v5, 0xffff0000, v2
	v_cmp_o_f32_e64 s[24:25], v4, v4
	v_cndmask_b32_e64 v43, v33, v35, s[2:3]
	v_cmp_lt_i16_e64 s[2:3], -1, v3
	v_xor_b32_sdwa v43, v43, v2 dst_sel:DWORD dst_unused:UNUSED_PAD src0_sel:DWORD src1_sel:WORD_1
	v_bitop3_b32 v2, v19, v2, s70 bitop3:0x78
	v_cndmask_b32_e64 v44, v33, v35, s[2:3]
	v_cmp_gt_i16_sdwa s[2:3], v3, v36 src0_sel:WORD_1 src1_sel:DWORD
	v_lshlrev_b32_e32 v17, 16, v3
	v_cndmask_b32_e64 v2, v33, v2, s[24:25]
	v_cndmask_b32_e64 v45, v33, v35, s[2:3]
	v_cmp_o_f32_e64 s[2:3], v5, v5
	v_and_b32_e32 v18, 0xffff0000, v3
	v_bitop3_b32 v5, v44, v3, s70 bitop3:0x78
	v_cmp_o_f32_e64 s[20:21], v17, v17
	v_cndmask_b32_e64 v4, v33, v43, s[2:3]
	v_and_b32_e32 v17, v2, v39
	v_bfe_u32 v2, v2, v34, 2
	v_xor_b32_sdwa v3, v45, v3 dst_sel:DWORD dst_unused:UNUSED_PAD src0_sel:DWORD src1_sel:WORD_1
	v_cmp_o_f32_e64 s[22:23], v18, v18
	v_cndmask_b32_e64 v5, v33, v5, s[20:21]
	v_and_b32_e32 v18, v4, v39
	v_bfe_u32 v4, v4, v34, 2
	v_cmp_eq_u32_e64 s[2:3], v17, v29
	v_cmp_eq_u32_e64 s[26:27], 0, v2
	v_cndmask_b32_e64 v3, v33, v3, s[22:23]
	v_and_b32_e32 v19, v5, v39
	v_bfe_u32 v5, v5, v34, 2
	v_cmp_eq_u32_e64 s[20:21], v18, v29
	v_cmp_eq_u32_e64 s[28:29], 0, v4
	s_and_b64 s[26:27], s[2:3], s[26:27]
	v_and_b32_e32 v43, v3, v39
	v_bfe_u32 v3, v3, v34, 2
	v_cmp_eq_u32_e64 s[22:23], v19, v29
	v_cmp_eq_u32_e64 s[30:31], 0, v5
	;; [unrolled: 1-line block ×5, first 2 shown]
	v_cndmask_b32_e64 v2, 0, 1, s[26:27]
	s_and_b64 s[26:27], s[20:21], s[28:29]
	v_cmp_eq_u32_e64 s[24:25], v43, v29
	v_cmp_eq_u32_e64 s[34:35], 0, v3
	;; [unrolled: 1-line block ×5, first 2 shown]
	v_cndmask_b32_e64 v3, 0, 1, s[26:27]
	s_and_b64 s[26:27], s[22:23], s[30:31]
	v_cmp_eq_u32_e64 s[38:39], 1, v4
	v_cmp_eq_u32_e64 s[46:47], 2, v4
	v_cmp_eq_u32_e64 s[54:55], 3, v4
	v_cndmask_b32_e64 v4, 0, 1, s[26:27]
	s_and_b64 s[26:27], s[24:25], s[34:35]
	v_cmp_eq_u32_e64 s[40:41], 1, v5
	v_cmp_eq_u32_e64 s[48:49], 2, v5
	;; [unrolled: 1-line block ×3, first 2 shown]
	v_cndmask_b32_e64 v5, 0, 1, s[26:27]
	s_and_b64 s[26:27], s[2:3], s[36:37]
	v_cndmask_b32_e64 v17, 0, 1, s[26:27]
	s_and_b64 s[26:27], s[20:21], s[38:39]
	;; [unrolled: 2-line block ×5, first 2 shown]
	s_and_b64 s[2:3], s[2:3], s[52:53]
	v_cndmask_b32_e64 v44, 0, 1, s[26:27]
	s_and_b64 s[26:27], s[20:21], s[46:47]
	v_cndmask_b32_e64 v48, 0, 1, s[2:3]
	;; [unrolled: 2-line block ×7, first 2 shown]
	v_cndmask_b32_e64 v51, 0, 1, s[2:3]
	v_cmp_ne_u32_e64 s[2:3], 0, v2
	v_cmp_ne_u32_e64 s[20:21], 0, v3
	v_cmp_ne_u32_e64 s[22:23], 0, v4
	v_cmp_ne_u32_e64 s[24:25], 0, v5
	v_cmp_ne_u32_e64 s[26:27], 0, v17
	v_cmp_ne_u32_e64 s[30:31], 0, v19
	v_cmp_ne_u32_e64 s[36:37], 0, v44
	v_cmp_ne_u32_e64 s[44:45], 0, v48
	v_cmp_ne_u32_e64 s[28:29], 0, v18
	v_cmp_ne_u32_e64 s[38:39], 0, v45
	v_cmp_ne_u32_e64 s[46:47], 0, v49
	s_bcnt1_i32_b64 s2, s[2:3]
	s_bcnt1_i32_b64 s3, s[20:21]
	s_bcnt1_i32_b64 s20, s[22:23]
	s_bcnt1_i32_b64 s21, s[24:25]
	s_bcnt1_i32_b64 s22, s[26:27]
	s_bcnt1_i32_b64 s24, s[30:31]
	s_bcnt1_i32_b64 s26, s[36:37]
	s_bcnt1_i32_b64 s30, s[44:45]
	v_cmp_ne_u32_e64 s[34:35], 0, v43
	v_cmp_ne_u32_e64 s[40:41], 0, v46
	;; [unrolled: 1-line block ×3, first 2 shown]
	s_bcnt1_i32_b64 s23, s[28:29]
	s_bcnt1_i32_b64 s27, s[38:39]
	;; [unrolled: 1-line block ×3, first 2 shown]
	s_add_i32 s2, s84, s2
	s_add_i32 s22, s85, s22
	;; [unrolled: 1-line block ×4, first 2 shown]
	v_cmp_ne_u32_e64 s[42:43], 0, v47
	v_cmp_ne_u32_e64 s[50:51], 0, v51
	s_bcnt1_i32_b64 s25, s[34:35]
	s_bcnt1_i32_b64 s28, s[40:41]
	;; [unrolled: 1-line block ×3, first 2 shown]
	s_add_i32 s22, s22, s23
	s_add_i32 s2, s2, s3
	;; [unrolled: 1-line block ×4, first 2 shown]
	s_bcnt1_i32_b64 s29, s[42:43]
	s_bcnt1_i32_b64 s35, s[50:51]
	s_add_i32 s2, s2, s20
	s_add_i32 s20, s22, s24
	;; [unrolled: 1-line block ×8, first 2 shown]
	s_or_b64 s[82:83], vcc, s[82:83]
	v_mov_b64_e32 v[2:3], s[84:85]
	v_mov_b64_e32 v[4:5], s[86:87]
	s_andn2_b64 exec, exec, s[82:83]
	s_cbranch_execnz .LBB64_59
; %bb.60:                               ;   in Loop: Header=BB64_7 Depth=1
	s_or_b64 exec, exec, s[82:83]
.LBB64_61:                              ;   in Loop: Header=BB64_7 Depth=1
	s_or_b64 exec, exec, s[66:67]
	v_add_u32_e32 v8, s6, v0
	v_cmp_gt_i32_e32 vcc, s17, v8
	s_and_saveexec_b64 s[28:29], vcc
	s_cbranch_execz .LBB64_65
; %bb.62:                               ;   in Loop: Header=BB64_7 Depth=1
	v_lshlrev_b32_e32 v16, 1, v8
	s_mov_b64 s[30:31], 0
.LBB64_63:                              ;   Parent Loop BB64_7 Depth=1
                                        ; =>  This Inner Loop Header: Depth=2
	ds_read_u16 v17, v16
	v_add_u32_e32 v8, s62, v8
	v_cmp_le_i32_e32 vcc, s17, v8
	v_add_u32_e32 v16, s79, v16
	s_waitcnt lgkmcnt(0)
	v_cmp_lt_i16_e64 s[2:3], -1, v17
	v_lshlrev_b32_e32 v19, 16, v17
	s_nop 0
	v_cndmask_b32_e64 v18, v33, v35, s[2:3]
	v_xor_b32_sdwa v17, v18, v17 dst_sel:DWORD dst_unused:UNUSED_PAD src0_sel:DWORD src1_sel:WORD_0
	v_cmp_o_f32_e64 s[2:3], v19, v19
	s_nop 1
	v_cndmask_b32_e64 v17, v33, v17, s[2:3]
	v_and_b32_e32 v18, v17, v39
	v_bfe_u32 v17, v17, v34, 2
	v_cmp_eq_u32_e64 s[2:3], v18, v29
	v_cmp_eq_u32_e64 s[20:21], 0, v17
	;; [unrolled: 1-line block ×3, first 2 shown]
	s_and_b64 s[20:21], s[2:3], s[20:21]
	v_cmp_eq_u32_e64 s[24:25], 2, v17
	v_cmp_eq_u32_e64 s[26:27], 3, v17
	v_cndmask_b32_e64 v17, 0, 1, s[20:21]
	s_and_b64 s[20:21], s[2:3], s[22:23]
	v_cndmask_b32_e64 v18, 0, 1, s[20:21]
	s_and_b64 s[20:21], s[2:3], s[24:25]
	s_and_b64 s[2:3], s[2:3], s[26:27]
	v_cndmask_b32_e64 v19, 0, 1, s[20:21]
	v_cndmask_b32_e64 v43, 0, 1, s[2:3]
	v_cmp_ne_u32_e64 s[2:3], 0, v17
	v_cmp_ne_u32_e64 s[20:21], 0, v18
	;; [unrolled: 1-line block ×4, first 2 shown]
	s_bcnt1_i32_b64 s2, s[2:3]
	s_bcnt1_i32_b64 s3, s[20:21]
	;; [unrolled: 1-line block ×4, first 2 shown]
	v_add_u32_e32 v3, s3, v3
	v_add_u32_e32 v2, s2, v2
	;; [unrolled: 1-line block ×3, first 2 shown]
	s_or_b64 s[30:31], vcc, s[30:31]
	v_add_u32_e32 v4, s6, v4
	s_andn2_b64 exec, exec, s[30:31]
	s_cbranch_execnz .LBB64_63
; %bb.64:                               ;   in Loop: Header=BB64_7 Depth=1
	s_or_b64 exec, exec, s[30:31]
.LBB64_65:                              ;   in Loop: Header=BB64_7 Depth=1
	s_or_b64 exec, exec, s[28:29]
	s_lshl_b32 s6, s16, 6
	s_and_saveexec_b64 s[2:3], s[0:1]
	s_cbranch_execnz .LBB64_37
	s_branch .LBB64_38
.LBB64_66:                              ;   in Loop: Header=BB64_7 Depth=1
	s_or_b64 exec, exec, s[22:23]
	s_waitcnt lgkmcnt(0)
	s_barrier
	s_and_saveexec_b64 s[2:3], s[18:19]
	s_cbranch_execz .LBB64_68
; %bb.67:                               ;   in Loop: Header=BB64_7 Depth=1
	ds_read_b32 v2, v9 offset:4104
	s_waitcnt lgkmcnt(0)
	ds_write_b32 v9, v2 offset:4096
.LBB64_68:                              ;   in Loop: Header=BB64_7 Depth=1
	s_or_b64 exec, exec, s[2:3]
	s_waitcnt lgkmcnt(0)
	s_barrier
	s_mov_b64 s[2:3], -1
	s_and_b64 vcc, exec, s[20:21]
	s_cbranch_vccnz .LBB64_22
	s_branch .LBB64_32
.LBB64_69:                              ;   in Loop: Header=BB64_7 Depth=1
	v_mov_b32_e32 v2, 0
	s_mov_b32 s17, 0
	s_cbranch_execnz .LBB64_74
	s_branch .LBB64_76
.LBB64_70:                              ;   in Loop: Header=BB64_7 Depth=1
	v_mov_b32_e32 v8, v9
	v_readlane_b32 s20, v56, 28
	v_mov_b64_e32 v[2:3], v[8:9]
	v_readlane_b32 s21, v56, 29
.LBB64_71:                              ;   in Loop: Header=BB64_7 Depth=1
	v_readlane_b32 s22, v56, 20
	v_readlane_b32 s23, v56, 21
	s_andn2_b64 vcc, exec, s[22:23]
	v_readlane_b32 s17, v56, 19
	s_cbranch_vccnz .LBB64_73
.LBB64_72:                              ;   Parent Loop BB64_7 Depth=1
                                        ; =>  This Inner Loop Header: Depth=2
	v_lshl_add_u32 v8, s20, 4, v5
	v_lshl_add_u32 v16, s21, 4, v5
	ds_read_b32 v16, v16
	ds_read_b32 v8, v8
	s_add_i32 s21, s21, 2
	s_add_i32 s20, s20, 2
	s_add_i32 s17, s17, -1
	s_cmp_lg_u32 s17, 0
	s_waitcnt lgkmcnt(1)
	v_add_u32_e32 v3, v16, v3
	s_waitcnt lgkmcnt(0)
	v_add_u32_e32 v2, v8, v2
	s_cbranch_scc1 .LBB64_72
.LBB64_73:                              ;   in Loop: Header=BB64_7 Depth=1
	v_readlane_b32 s20, v56, 24
	v_add_u32_e32 v2, v2, v3
	v_readlane_b32 s17, v56, 23
	v_readlane_b32 s21, v56, 25
	s_and_b64 vcc, exec, s[20:21]
	s_cbranch_vccz .LBB64_76
.LBB64_74:                              ;   in Loop: Header=BB64_7 Depth=1
	s_lshl_b32 s20, s16, 8
	s_lshl_b32 s21, s17, 4
	s_add_i32 s20, s20, s21
	v_add_u32_e32 v3, s20, v32
	v_readlane_b32 s20, v56, 22
	s_sub_i32 s17, s20, s17
.LBB64_75:                              ;   Parent Loop BB64_7 Depth=1
                                        ; =>  This Inner Loop Header: Depth=2
	ds_read_b32 v5, v3
	s_add_i32 s17, s17, -1
	v_add_u32_e32 v3, 16, v3
	s_cmp_eq_u32 s17, 0
	s_waitcnt lgkmcnt(0)
	v_add_u32_e32 v2, v5, v2
	s_cbranch_scc0 .LBB64_75
.LBB64_76:                              ;   in Loop: Header=BB64_7 Depth=1
	v_lshlrev_b32_e32 v3, 2, v4
	ds_write_b32 v3, v2 offset:3072
.LBB64_77:                              ;   in Loop: Header=BB64_7 Depth=1
	s_or_b64 exec, exec, s[2:3]
	s_lshl_b32 s2, s6, 2
	s_waitcnt vmcnt(0)
	v_mov_b32_e32 v2, s2
	s_waitcnt lgkmcnt(0)
	s_barrier
	ds_read_b128 v[2:5], v2 offset:3072
	v_cmp_eq_u32_e32 vcc, 1, v41
	s_mov_b64 s[20:21], -1
	s_mov_b64 s[28:29], -1
                                        ; implicit-def: $sgpr26_sgpr27
                                        ; implicit-def: $sgpr24_sgpr25
	s_waitcnt lgkmcnt(0)
	v_readfirstlane_b32 s42, v2
	s_cmp_eq_u32 s42, 1
	v_readfirstlane_b32 s54, v4
	v_lshlrev_b32_e64 v4, v34, 3
	s_cselect_b64 s[2:3], -1, 0
	v_readfirstlane_b32 s46, v3
	v_readfirstlane_b32 s17, v5
	v_not_b32_e32 v8, v4
	s_and_b64 s[22:23], s[2:3], vcc
	s_and_saveexec_b64 s[2:3], s[22:23]
	s_cbranch_execz .LBB64_103
; %bb.78:                               ;   in Loop: Header=BB64_7 Depth=1
	ds_read_b32 v2, v9 offset:4096
	s_waitcnt lgkmcnt(0)
	s_barrier
	v_readfirstlane_b32 s6, v2
	s_and_saveexec_b64 s[24:25], s[4:5]
; %bb.79:                               ;   in Loop: Header=BB64_7 Depth=1
	ds_write_b16 v22, v9
; %bb.80:                               ;   in Loop: Header=BB64_7 Depth=1
	s_or_b64 exec, exec, s[24:25]
	v_and_b32_e32 v29, v29, v8
	v_or_b32_e32 v39, v39, v4
	s_mov_b64 s[24:25], -1
	s_mov_b64 s[26:27], 0
	s_cmp_lt_i32 s6, 1
	s_mov_b64 s[28:29], 0
	s_mov_b64 s[30:31], -1
	s_waitcnt lgkmcnt(0)
	s_barrier
                                        ; implicit-def: $vgpr40
	s_cbranch_scc0 .LBB64_91
; %bb.81:                               ;   in Loop: Header=BB64_7 Depth=1
	s_mov_b64 s[30:31], 0
                                        ; implicit-def: $vgpr40
	s_mov_b64 s[34:35], exec
	v_readlane_b32 s36, v56, 26
	v_readlane_b32 s37, v56, 27
	s_and_b64 s[36:37], s[34:35], s[36:37]
	s_mov_b64 exec, s[36:37]
	s_cbranch_execz .LBB64_90
; %bb.82:                               ;   in Loop: Header=BB64_7 Depth=1
	v_mov_b32_e32 v2, v6
	v_mov_b32_e32 v5, v0
                                        ; implicit-def: $sgpr36_sgpr37
	s_branch .LBB64_85
.LBB64_83:                              ;   in Loop: Header=BB64_85 Depth=2
	s_or_b64 exec, exec, s[38:39]
	s_waitcnt lgkmcnt(0)
	s_barrier
	ds_read_b32 v3, v9 offset:3072
	s_mov_b64 s[38:39], -1
	s_mov_b64 s[40:41], -1
	s_waitcnt lgkmcnt(0)
	s_barrier
	v_and_b32_e32 v16, 0x7fff, v3
	v_cmp_ne_u32_e32 vcc, 0, v16
	s_cbranch_vccz .LBB64_88
.LBB64_84:                              ;   in Loop: Header=BB64_85 Depth=2
	s_and_b64 s[38:39], exec, s[38:39]
	s_or_b64 s[28:29], s[38:39], s[28:29]
	s_andn2_b64 s[36:37], s[36:37], exec
	s_and_b64 s[38:39], s[40:41], exec
	s_or_b64 s[36:37], s[36:37], s[38:39]
	s_andn2_b64 exec, exec, s[28:29]
	s_cbranch_execz .LBB64_89
.LBB64_85:                              ;   Parent Loop BB64_7 Depth=1
                                        ; =>  This Inner Loop Header: Depth=2
	v_cmp_gt_i32_e32 vcc, s60, v5
	s_and_saveexec_b64 s[38:39], vcc
	s_cbranch_execz .LBB64_83
; %bb.86:                               ;   in Loop: Header=BB64_85 Depth=2
	v_ashrrev_i32_e32 v3, 31, v2
	v_lshl_add_u64 v[16:17], v[2:3], 1, s[68:69]
	global_load_ushort v3, v[16:17], off
	s_waitcnt vmcnt(0)
	v_cmp_lt_i16_e32 vcc, -1, v3
	v_lshlrev_b32_e32 v16, 16, v3
	s_nop 0
	v_cndmask_b32_e32 v17, v33, v35, vcc
	v_xor_b32_sdwa v17, v17, v3 dst_sel:DWORD dst_unused:UNUSED_PAD src0_sel:DWORD src1_sel:WORD_0
	v_cmp_o_f32_e32 vcc, v16, v16
	s_nop 1
	v_cndmask_b32_e32 v16, v33, v17, vcc
	v_and_b32_e32 v16, v16, v39
	v_cmp_eq_u32_e32 vcc, v16, v29
	s_and_b64 exec, exec, vcc
	s_cbranch_execz .LBB64_83
; %bb.87:                               ;   in Loop: Header=BB64_85 Depth=2
	v_perm_b32 v3, v3, s61, v38
	ds_write_b32 v9, v3 offset:3072
	s_branch .LBB64_83
.LBB64_88:                              ;   in Loop: Header=BB64_85 Depth=2
	v_add_u32_e32 v5, s62, v5
	v_cmp_le_i32_e32 vcc, s80, v5
	v_add_u32_e32 v2, s33, v2
	s_mov_b64 s[40:41], 0
	s_orn2_b64 s[38:39], vcc, exec
	s_branch .LBB64_84
.LBB64_89:                              ;   in Loop: Header=BB64_7 Depth=1
	s_or_b64 exec, exec, s[28:29]
	v_lshrrev_b32_e32 v40, 16, v3
	s_and_b64 s[28:29], s[36:37], exec
.LBB64_90:                              ;   in Loop: Header=BB64_7 Depth=1
	s_or_b64 exec, exec, s[34:35]
.LBB64_91:                              ;   in Loop: Header=BB64_7 Depth=1
	s_and_b64 vcc, exec, s[30:31]
	s_cbranch_vccz .LBB64_102
; %bb.92:                               ;   in Loop: Header=BB64_7 Depth=1
	v_readlane_b32 s24, v56, 7
	s_add_i32 s38, s6, s24
	s_abs_i32 s25, s38
	s_mul_hi_u32 s26, s25, s9
	s_mul_i32 s26, s26, s62
	s_sub_i32 s25, s25, s26
	s_ashr_i32 s24, s38, 31
	s_sub_i32 s26, s25, s62
	s_cmp_ge_u32 s25, s62
	s_cselect_b32 s25, s26, s25
	s_sub_i32 s26, s25, s62
	s_cmp_ge_u32 s25, s62
	s_cselect_b32 s25, s26, s25
	s_xor_b32 s25, s25, s24
	s_sub_i32 s24, s24, s25
	s_add_i32 s38, s38, s24
	v_cmp_gt_i32_e32 vcc, s38, v0
                                        ; implicit-def: $vgpr40
	s_and_saveexec_b64 s[24:25], vcc
	s_cbranch_execz .LBB64_101
; %bb.93:                               ;   in Loop: Header=BB64_7 Depth=1
	s_mov_b64 s[26:27], 0
	v_mov_b32_e32 v2, v21
	v_mov_b32_e32 v3, v0
                                        ; implicit-def: $sgpr30_sgpr31
	s_branch .LBB64_96
.LBB64_94:                              ;   in Loop: Header=BB64_96 Depth=2
	s_or_b64 exec, exec, s[34:35]
	s_waitcnt lgkmcnt(0)
	s_barrier
	ds_read_b32 v5, v9 offset:3072
	s_mov_b64 s[34:35], -1
	s_mov_b64 s[36:37], -1
	s_waitcnt lgkmcnt(0)
	s_barrier
	v_and_b32_e32 v16, 0x7fff, v5
	v_cmp_ne_u32_e32 vcc, 0, v16
	s_cbranch_vccz .LBB64_99
.LBB64_95:                              ;   in Loop: Header=BB64_96 Depth=2
	s_and_b64 s[34:35], exec, s[34:35]
	s_or_b64 s[26:27], s[34:35], s[26:27]
	s_andn2_b64 s[30:31], s[30:31], exec
	s_and_b64 s[34:35], s[36:37], exec
	s_or_b64 s[30:31], s[30:31], s[34:35]
	s_andn2_b64 exec, exec, s[26:27]
	s_cbranch_execz .LBB64_100
.LBB64_96:                              ;   Parent Loop BB64_7 Depth=1
                                        ; =>  This Inner Loop Header: Depth=2
	v_cmp_gt_i32_e32 vcc, s6, v3
	s_and_saveexec_b64 s[34:35], vcc
	s_cbranch_execz .LBB64_94
; %bb.97:                               ;   in Loop: Header=BB64_96 Depth=2
	ds_read_u16 v5, v2
	s_waitcnt lgkmcnt(0)
	v_cmp_lt_i16_e32 vcc, -1, v5
	v_lshlrev_b32_e32 v16, 16, v5
	s_nop 0
	v_cndmask_b32_e32 v17, v33, v35, vcc
	v_xor_b32_sdwa v17, v17, v5 dst_sel:DWORD dst_unused:UNUSED_PAD src0_sel:DWORD src1_sel:WORD_0
	v_cmp_o_f32_e32 vcc, v16, v16
	s_nop 1
	v_cndmask_b32_e32 v16, v33, v17, vcc
	v_and_b32_e32 v16, v16, v39
	v_cmp_eq_u32_e32 vcc, v16, v29
	s_and_b64 exec, exec, vcc
	s_cbranch_execz .LBB64_94
; %bb.98:                               ;   in Loop: Header=BB64_96 Depth=2
	v_perm_b32 v5, v5, s61, v38
	ds_write_b32 v9, v5 offset:3072
	s_branch .LBB64_94
.LBB64_99:                              ;   in Loop: Header=BB64_96 Depth=2
	v_add_u32_e32 v3, s62, v3
	v_cmp_le_i32_e32 vcc, s38, v3
	v_add_u32_e32 v2, s79, v2
	s_mov_b64 s[36:37], 0
	s_orn2_b64 s[34:35], vcc, exec
	s_branch .LBB64_95
.LBB64_100:                             ;   in Loop: Header=BB64_7 Depth=1
	s_or_b64 exec, exec, s[26:27]
	s_andn2_b64 s[26:27], s[28:29], exec
	s_and_b64 s[28:29], s[30:31], exec
	v_lshrrev_b32_e32 v40, 16, v5
	s_or_b64 s[28:29], s[26:27], s[28:29]
.LBB64_101:                             ;   in Loop: Header=BB64_7 Depth=1
	s_or_b64 exec, exec, s[24:25]
	s_mov_b64 s[24:25], 0
	s_mov_b64 s[26:27], -1
.LBB64_102:                             ;   in Loop: Header=BB64_7 Depth=1
	s_orn2_b64 s[28:29], s[28:29], exec
.LBB64_103:                             ;   in Loop: Header=BB64_7 Depth=1
	s_or_b64 exec, exec, s[2:3]
	s_andn2_b64 s[2:3], s[64:65], exec
	s_and_b64 s[26:27], s[26:27], exec
	s_or_b64 s[64:65], s[2:3], s[26:27]
	s_andn2_b64 s[2:3], s[98:99], exec
	s_and_b64 s[24:25], s[24:25], exec
	v_readfirstlane_b32 s6, v0
	s_andn2_b64 s[96:97], s[96:97], exec
	s_or_b64 s[98:99], s[2:3], s[24:25]
                                        ; implicit-def: $vgpr16
	s_and_saveexec_b64 s[2:3], s[28:29]
	s_cbranch_execz .LBB64_6
; %bb.104:                              ;   in Loop: Header=BB64_7 Depth=1
	s_xor_b64 s[24:25], s[22:23], -1
	s_mov_b64 s[22:23], 0
	v_mov_b32_e32 v16, 1
	v_mov_b32_e32 v5, 1
	s_and_saveexec_b64 s[20:21], s[24:25]
	s_cbranch_execz .LBB64_113
; %bb.105:                              ;   in Loop: Header=BB64_7 Depth=1
	v_cmp_ge_i32_e32 vcc, s42, v41
	s_and_saveexec_b64 s[22:23], vcc
	s_xor_b64 s[22:23], exec, s[22:23]
	s_cbranch_execz .LBB64_110
; %bb.106:                              ;   in Loop: Header=BB64_7 Depth=1
	ds_read_b32 v2, v9 offset:4096
	v_and_b32_e32 v29, v29, v8
	v_or_b32_e32 v39, v39, v4
	s_waitcnt lgkmcnt(0)
	v_cmp_ne_u32_e32 vcc, 0, v2
	s_cbranch_vccnz .LBB64_110
; %bb.107:                              ;   in Loop: Header=BB64_7 Depth=1
	s_and_saveexec_b64 s[24:25], s[18:19]
; %bb.108:                              ;   in Loop: Header=BB64_7 Depth=1
	v_mov_b32_e32 v2, s42
	ds_write_b32 v9, v2 offset:4100
; %bb.109:                              ;   in Loop: Header=BB64_7 Depth=1
	s_or_b64 exec, exec, s[24:25]
	s_waitcnt lgkmcnt(0)
	s_barrier
.LBB64_110:                             ;   in Loop: Header=BB64_7 Depth=1
	s_or_saveexec_b64 s[22:23], s[22:23]
	s_mov_b64 s[24:25], 0
	v_mov_b32_e32 v5, 8
	s_xor_b64 exec, exec, s[22:23]
; %bb.111:                              ;   in Loop: Header=BB64_7 Depth=1
	s_mov_b64 s[24:25], exec
	v_subrev_u32_e32 v41, s42, v41
	v_mov_b32_e32 v5, 0
; %bb.112:                              ;   in Loop: Header=BB64_7 Depth=1
	s_or_b64 exec, exec, s[22:23]
	s_and_b64 s[22:23], s[24:25], exec
	v_mov_b32_e32 v16, v41
.LBB64_113:                             ;   in Loop: Header=BB64_7 Depth=1
	s_or_b64 exec, exec, s[20:21]
	s_mov_b64 s[20:21], -1
	s_mov_b64 s[28:29], -1
                                        ; implicit-def: $sgpr24_sgpr25
                                        ; implicit-def: $sgpr26_sgpr27
	s_and_saveexec_b64 s[30:31], s[22:23]
	s_xor_b64 s[22:23], exec, s[30:31]
	s_cbranch_execz .LBB64_230
; %bb.114:                              ;   in Loop: Header=BB64_7 Depth=1
	s_cmp_eq_u32 s46, 1
	s_cselect_b64 s[24:25], -1, 0
	v_cmp_eq_u32_e32 vcc, 1, v16
	s_and_b64 s[30:31], s[24:25], vcc
	s_mov_b64 s[34:35], -1
                                        ; implicit-def: $sgpr26_sgpr27
                                        ; implicit-def: $sgpr24_sgpr25
	s_and_saveexec_b64 s[28:29], s[30:31]
	s_cbranch_execz .LBB64_140
; %bb.115:                              ;   in Loop: Header=BB64_7 Depth=1
	ds_read_b32 v2, v9 offset:4096
	s_waitcnt lgkmcnt(0)
	s_barrier
	v_readfirstlane_b32 s6, v2
	s_and_saveexec_b64 s[24:25], s[4:5]
; %bb.116:                              ;   in Loop: Header=BB64_7 Depth=1
	ds_write_b16 v22, v9
; %bb.117:                              ;   in Loop: Header=BB64_7 Depth=1
	s_or_b64 exec, exec, s[24:25]
	v_and_b32_e32 v2, v29, v8
	v_lshl_or_b32 v29, 1, v34, v2
	v_or_b32_e32 v39, v39, v4
	s_mov_b64 s[24:25], -1
	s_mov_b64 s[26:27], 0
	s_cmp_gt_i32 s6, 0
	s_mov_b64 s[34:35], 0
	s_mov_b64 s[36:37], -1
	s_waitcnt lgkmcnt(0)
	s_barrier
                                        ; implicit-def: $vgpr40
	s_cbranch_scc1 .LBB64_128
; %bb.118:                              ;   in Loop: Header=BB64_7 Depth=1
	s_mov_b64 s[36:37], 0
                                        ; implicit-def: $vgpr40
	s_mov_b64 s[38:39], exec
	v_readlane_b32 s40, v56, 26
	v_readlane_b32 s41, v56, 27
	s_and_b64 s[40:41], s[38:39], s[40:41]
	s_mov_b64 exec, s[40:41]
	s_cbranch_execz .LBB64_127
; %bb.119:                              ;   in Loop: Header=BB64_7 Depth=1
	v_mov_b32_e32 v2, v6
	v_mov_b32_e32 v17, v0
                                        ; implicit-def: $sgpr40_sgpr41
	s_branch .LBB64_122
.LBB64_120:                             ;   in Loop: Header=BB64_122 Depth=2
	s_or_b64 exec, exec, s[42:43]
	s_waitcnt lgkmcnt(0)
	s_barrier
	ds_read_b32 v3, v9 offset:3072
	s_mov_b64 s[42:43], -1
	s_mov_b64 s[44:45], -1
	s_waitcnt lgkmcnt(0)
	s_barrier
	v_and_b32_e32 v18, 0x7fff, v3
	v_cmp_ne_u32_e32 vcc, 0, v18
	s_cbranch_vccz .LBB64_125
.LBB64_121:                             ;   in Loop: Header=BB64_122 Depth=2
	s_and_b64 s[42:43], exec, s[42:43]
	s_or_b64 s[34:35], s[42:43], s[34:35]
	s_andn2_b64 s[40:41], s[40:41], exec
	s_and_b64 s[42:43], s[44:45], exec
	s_or_b64 s[40:41], s[40:41], s[42:43]
	s_andn2_b64 exec, exec, s[34:35]
	s_cbranch_execz .LBB64_126
.LBB64_122:                             ;   Parent Loop BB64_7 Depth=1
                                        ; =>  This Inner Loop Header: Depth=2
	v_cmp_gt_i32_e32 vcc, s60, v17
	s_and_saveexec_b64 s[42:43], vcc
	s_cbranch_execz .LBB64_120
; %bb.123:                              ;   in Loop: Header=BB64_122 Depth=2
	v_ashrrev_i32_e32 v3, 31, v2
	v_lshl_add_u64 v[18:19], v[2:3], 1, s[68:69]
	global_load_ushort v3, v[18:19], off
	s_waitcnt vmcnt(0)
	v_cmp_lt_i16_e32 vcc, -1, v3
	v_lshlrev_b32_e32 v18, 16, v3
	s_nop 0
	v_cndmask_b32_e32 v19, v33, v35, vcc
	v_xor_b32_sdwa v19, v19, v3 dst_sel:DWORD dst_unused:UNUSED_PAD src0_sel:DWORD src1_sel:WORD_0
	v_cmp_o_f32_e32 vcc, v18, v18
	s_nop 1
	v_cndmask_b32_e32 v18, v33, v19, vcc
	v_and_b32_e32 v18, v18, v39
	v_cmp_eq_u32_e32 vcc, v18, v29
	s_and_b64 exec, exec, vcc
	s_cbranch_execz .LBB64_120
; %bb.124:                              ;   in Loop: Header=BB64_122 Depth=2
	v_perm_b32 v3, v3, s61, v38
	ds_write_b32 v9, v3 offset:3072
	s_branch .LBB64_120
.LBB64_125:                             ;   in Loop: Header=BB64_122 Depth=2
	v_add_u32_e32 v17, s62, v17
	v_cmp_le_i32_e32 vcc, s80, v17
	v_add_u32_e32 v2, s33, v2
	s_mov_b64 s[44:45], 0
	s_orn2_b64 s[42:43], vcc, exec
	s_branch .LBB64_121
.LBB64_126:                             ;   in Loop: Header=BB64_7 Depth=1
	s_or_b64 exec, exec, s[34:35]
	v_lshrrev_b32_e32 v40, 16, v3
	s_and_b64 s[34:35], s[40:41], exec
.LBB64_127:                             ;   in Loop: Header=BB64_7 Depth=1
	s_or_b64 exec, exec, s[38:39]
.LBB64_128:                             ;   in Loop: Header=BB64_7 Depth=1
	s_and_b64 vcc, exec, s[36:37]
	s_cbranch_vccz .LBB64_139
; %bb.129:                              ;   in Loop: Header=BB64_7 Depth=1
	v_readlane_b32 s24, v56, 7
	s_add_i32 s42, s6, s24
	s_abs_i32 s25, s42
	s_mul_hi_u32 s26, s25, s9
	s_mul_i32 s26, s26, s62
	s_sub_i32 s25, s25, s26
	s_ashr_i32 s24, s42, 31
	s_sub_i32 s26, s25, s62
	s_cmp_ge_u32 s25, s62
	s_cselect_b32 s25, s26, s25
	s_sub_i32 s26, s25, s62
	s_cmp_ge_u32 s25, s62
	s_cselect_b32 s25, s26, s25
	s_xor_b32 s25, s25, s24
	s_sub_i32 s24, s24, s25
	s_add_i32 s42, s42, s24
	v_cmp_gt_i32_e32 vcc, s42, v0
                                        ; implicit-def: $vgpr40
	s_and_saveexec_b64 s[24:25], vcc
	s_cbranch_execz .LBB64_138
; %bb.130:                              ;   in Loop: Header=BB64_7 Depth=1
	s_mov_b64 s[26:27], 0
	v_mov_b32_e32 v2, v21
	v_mov_b32_e32 v3, v0
                                        ; implicit-def: $sgpr36_sgpr37
	s_branch .LBB64_133
.LBB64_131:                             ;   in Loop: Header=BB64_133 Depth=2
	s_or_b64 exec, exec, s[38:39]
	s_waitcnt lgkmcnt(0)
	s_barrier
	ds_read_b32 v17, v9 offset:3072
	s_mov_b64 s[38:39], -1
	s_mov_b64 s[40:41], -1
	s_waitcnt lgkmcnt(0)
	s_barrier
	v_and_b32_e32 v18, 0x7fff, v17
	v_cmp_eq_u32_e32 vcc, 0, v18
	s_cbranch_vccnz .LBB64_136
.LBB64_132:                             ;   in Loop: Header=BB64_133 Depth=2
	s_and_b64 s[38:39], exec, s[38:39]
	s_or_b64 s[26:27], s[38:39], s[26:27]
	s_andn2_b64 s[36:37], s[36:37], exec
	s_and_b64 s[38:39], s[40:41], exec
	s_or_b64 s[36:37], s[36:37], s[38:39]
	s_andn2_b64 exec, exec, s[26:27]
	s_cbranch_execz .LBB64_137
.LBB64_133:                             ;   Parent Loop BB64_7 Depth=1
                                        ; =>  This Inner Loop Header: Depth=2
	v_cmp_gt_i32_e32 vcc, s6, v3
	s_and_saveexec_b64 s[38:39], vcc
	s_cbranch_execz .LBB64_131
; %bb.134:                              ;   in Loop: Header=BB64_133 Depth=2
	ds_read_u16 v17, v2
	s_waitcnt lgkmcnt(0)
	v_cmp_lt_i16_e32 vcc, -1, v17
	v_lshlrev_b32_e32 v18, 16, v17
	s_nop 0
	v_cndmask_b32_e32 v19, v33, v35, vcc
	v_xor_b32_sdwa v19, v19, v17 dst_sel:DWORD dst_unused:UNUSED_PAD src0_sel:DWORD src1_sel:WORD_0
	v_cmp_o_f32_e32 vcc, v18, v18
	s_nop 1
	v_cndmask_b32_e32 v18, v33, v19, vcc
	v_and_b32_e32 v18, v18, v39
	v_cmp_eq_u32_e32 vcc, v18, v29
	s_and_b64 exec, exec, vcc
	s_cbranch_execz .LBB64_131
; %bb.135:                              ;   in Loop: Header=BB64_133 Depth=2
	v_perm_b32 v17, v17, s61, v38
	ds_write_b32 v9, v17 offset:3072
	s_branch .LBB64_131
.LBB64_136:                             ;   in Loop: Header=BB64_133 Depth=2
	v_add_u32_e32 v3, s62, v3
	v_cmp_le_i32_e32 vcc, s42, v3
	v_add_u32_e32 v2, s79, v2
	s_mov_b64 s[40:41], 0
	s_orn2_b64 s[38:39], vcc, exec
	s_branch .LBB64_132
.LBB64_137:                             ;   in Loop: Header=BB64_7 Depth=1
	s_or_b64 exec, exec, s[26:27]
	s_andn2_b64 s[26:27], s[34:35], exec
	s_and_b64 s[34:35], s[36:37], exec
	v_lshrrev_b32_e32 v40, 16, v17
	s_or_b64 s[34:35], s[26:27], s[34:35]
.LBB64_138:                             ;   in Loop: Header=BB64_7 Depth=1
	s_or_b64 exec, exec, s[24:25]
	s_mov_b64 s[24:25], 0
	s_mov_b64 s[26:27], -1
.LBB64_139:                             ;   in Loop: Header=BB64_7 Depth=1
	s_orn2_b64 s[34:35], s[34:35], exec
.LBB64_140:                             ;   in Loop: Header=BB64_7 Depth=1
	s_or_b64 exec, exec, s[28:29]
	s_mov_b64 s[36:37], 0
	s_and_saveexec_b64 s[28:29], s[34:35]
	s_cbranch_execz .LBB64_229
; %bb.141:                              ;   in Loop: Header=BB64_7 Depth=1
	s_xor_b64 s[34:35], s[30:31], -1
	s_mov_b64 s[40:41], 0
	v_mov_b32_e32 v17, 1
	v_mov_b32_e32 v5, 1
	s_and_saveexec_b64 s[30:31], s[34:35]
	s_cbranch_execz .LBB64_150
; %bb.142:                              ;   in Loop: Header=BB64_7 Depth=1
	v_cmp_ge_i32_e32 vcc, s46, v16
	s_and_saveexec_b64 s[34:35], vcc
	s_xor_b64 s[34:35], exec, s[34:35]
	s_cbranch_execz .LBB64_147
; %bb.143:                              ;   in Loop: Header=BB64_7 Depth=1
	ds_read_b32 v2, v9 offset:4096
	v_and_b32_e32 v3, v29, v8
	v_lshl_or_b32 v29, 1, v34, v3
	v_or_b32_e32 v39, v39, v4
	s_waitcnt lgkmcnt(0)
	v_cmp_ne_u32_e32 vcc, 0, v2
	s_cbranch_vccnz .LBB64_147
; %bb.144:                              ;   in Loop: Header=BB64_7 Depth=1
	s_and_saveexec_b64 s[36:37], s[18:19]
; %bb.145:                              ;   in Loop: Header=BB64_7 Depth=1
	v_mov_b32_e32 v2, s46
	ds_write_b32 v9, v2 offset:4100
; %bb.146:                              ;   in Loop: Header=BB64_7 Depth=1
	s_or_b64 exec, exec, s[36:37]
	s_waitcnt lgkmcnt(0)
	s_barrier
.LBB64_147:                             ;   in Loop: Header=BB64_7 Depth=1
	s_or_saveexec_b64 s[34:35], s[34:35]
	s_mov_b64 s[36:37], 0
	v_mov_b32_e32 v5, 8
	s_xor_b64 exec, exec, s[34:35]
; %bb.148:                              ;   in Loop: Header=BB64_7 Depth=1
	s_mov_b64 s[36:37], exec
	v_subrev_u32_e32 v16, s46, v16
	v_mov_b32_e32 v5, 0
; %bb.149:                              ;   in Loop: Header=BB64_7 Depth=1
	s_or_b64 exec, exec, s[34:35]
	s_and_b64 s[40:41], s[36:37], exec
	v_mov_b32_e32 v17, v16
.LBB64_150:                             ;   in Loop: Header=BB64_7 Depth=1
	s_or_b64 exec, exec, s[30:31]
	s_mov_b64 s[38:39], -1
                                        ; implicit-def: $sgpr34_sgpr35
                                        ; implicit-def: $sgpr36_sgpr37
	s_and_saveexec_b64 s[30:31], s[40:41]
	s_cbranch_execz .LBB64_228
; %bb.151:                              ;   in Loop: Header=BB64_7 Depth=1
	s_cmp_eq_u32 s54, 1
	s_cselect_b64 s[34:35], -1, 0
	v_cmp_eq_u32_e32 vcc, 1, v17
	s_and_b64 s[40:41], s[34:35], vcc
	s_mov_b64 s[42:43], -1
                                        ; implicit-def: $sgpr36_sgpr37
                                        ; implicit-def: $sgpr34_sgpr35
	s_and_saveexec_b64 s[38:39], s[40:41]
	s_cbranch_execz .LBB64_177
; %bb.152:                              ;   in Loop: Header=BB64_7 Depth=1
	ds_read_b32 v2, v9 offset:4096
	s_waitcnt lgkmcnt(0)
	s_barrier
	v_readfirstlane_b32 s6, v2
	s_and_saveexec_b64 s[34:35], s[4:5]
; %bb.153:                              ;   in Loop: Header=BB64_7 Depth=1
	ds_write_b16 v22, v9
; %bb.154:                              ;   in Loop: Header=BB64_7 Depth=1
	s_or_b64 exec, exec, s[34:35]
	v_and_b32_e32 v2, v29, v8
	v_lshl_or_b32 v29, 2, v34, v2
	v_or_b32_e32 v39, v39, v4
	s_mov_b64 s[34:35], -1
	s_mov_b64 s[36:37], 0
	s_cmp_gt_i32 s6, 0
	s_mov_b64 s[42:43], 0
	s_mov_b64 s[44:45], -1
	s_waitcnt lgkmcnt(0)
	s_barrier
                                        ; implicit-def: $vgpr40
	s_cbranch_scc1 .LBB64_165
; %bb.155:                              ;   in Loop: Header=BB64_7 Depth=1
	s_mov_b64 s[44:45], 0
                                        ; implicit-def: $vgpr40
	s_mov_b64 s[46:47], exec
	v_readlane_b32 s48, v56, 26
	v_readlane_b32 s49, v56, 27
	s_and_b64 s[48:49], s[46:47], s[48:49]
	s_mov_b64 exec, s[48:49]
	s_cbranch_execz .LBB64_164
; %bb.156:                              ;   in Loop: Header=BB64_7 Depth=1
	v_mov_b32_e32 v2, v6
	v_mov_b32_e32 v16, v0
                                        ; implicit-def: $sgpr48_sgpr49
	s_branch .LBB64_159
.LBB64_157:                             ;   in Loop: Header=BB64_159 Depth=2
	s_or_b64 exec, exec, s[50:51]
	s_waitcnt lgkmcnt(0)
	s_barrier
	ds_read_b32 v3, v9 offset:3072
	s_mov_b64 s[50:51], -1
	s_mov_b64 s[52:53], -1
	s_waitcnt lgkmcnt(0)
	s_barrier
	v_and_b32_e32 v18, 0x7fff, v3
	v_cmp_ne_u32_e32 vcc, 0, v18
	s_cbranch_vccz .LBB64_162
.LBB64_158:                             ;   in Loop: Header=BB64_159 Depth=2
	s_and_b64 s[50:51], exec, s[50:51]
	s_or_b64 s[42:43], s[50:51], s[42:43]
	s_andn2_b64 s[48:49], s[48:49], exec
	s_and_b64 s[50:51], s[52:53], exec
	s_or_b64 s[48:49], s[48:49], s[50:51]
	s_andn2_b64 exec, exec, s[42:43]
	s_cbranch_execz .LBB64_163
.LBB64_159:                             ;   Parent Loop BB64_7 Depth=1
                                        ; =>  This Inner Loop Header: Depth=2
	v_cmp_gt_i32_e32 vcc, s60, v16
	s_and_saveexec_b64 s[50:51], vcc
	s_cbranch_execz .LBB64_157
; %bb.160:                              ;   in Loop: Header=BB64_159 Depth=2
	v_ashrrev_i32_e32 v3, 31, v2
	v_lshl_add_u64 v[18:19], v[2:3], 1, s[68:69]
	global_load_ushort v3, v[18:19], off
	s_waitcnt vmcnt(0)
	v_cmp_lt_i16_e32 vcc, -1, v3
	v_lshlrev_b32_e32 v18, 16, v3
	s_nop 0
	v_cndmask_b32_e32 v19, v33, v35, vcc
	v_xor_b32_sdwa v19, v19, v3 dst_sel:DWORD dst_unused:UNUSED_PAD src0_sel:DWORD src1_sel:WORD_0
	v_cmp_o_f32_e32 vcc, v18, v18
	s_nop 1
	v_cndmask_b32_e32 v18, v33, v19, vcc
	v_and_b32_e32 v18, v18, v39
	v_cmp_eq_u32_e32 vcc, v18, v29
	s_and_b64 exec, exec, vcc
	s_cbranch_execz .LBB64_157
; %bb.161:                              ;   in Loop: Header=BB64_159 Depth=2
	v_perm_b32 v3, v3, s61, v38
	ds_write_b32 v9, v3 offset:3072
	s_branch .LBB64_157
.LBB64_162:                             ;   in Loop: Header=BB64_159 Depth=2
	v_add_u32_e32 v16, s62, v16
	v_cmp_le_i32_e32 vcc, s80, v16
	v_add_u32_e32 v2, s33, v2
	s_mov_b64 s[52:53], 0
	s_orn2_b64 s[50:51], vcc, exec
	s_branch .LBB64_158
.LBB64_163:                             ;   in Loop: Header=BB64_7 Depth=1
	s_or_b64 exec, exec, s[42:43]
	v_lshrrev_b32_e32 v40, 16, v3
	s_and_b64 s[42:43], s[48:49], exec
.LBB64_164:                             ;   in Loop: Header=BB64_7 Depth=1
	s_or_b64 exec, exec, s[46:47]
.LBB64_165:                             ;   in Loop: Header=BB64_7 Depth=1
	s_and_b64 vcc, exec, s[44:45]
	s_cbranch_vccz .LBB64_176
; %bb.166:                              ;   in Loop: Header=BB64_7 Depth=1
	v_readlane_b32 s34, v56, 7
	s_add_i32 s50, s6, s34
	s_abs_i32 s35, s50
	s_mul_hi_u32 s36, s35, s9
	s_mul_i32 s36, s36, s62
	s_sub_i32 s35, s35, s36
	s_ashr_i32 s34, s50, 31
	s_sub_i32 s36, s35, s62
	s_cmp_ge_u32 s35, s62
	s_cselect_b32 s35, s36, s35
	s_sub_i32 s36, s35, s62
	s_cmp_ge_u32 s35, s62
	s_cselect_b32 s35, s36, s35
	s_xor_b32 s35, s35, s34
	s_sub_i32 s34, s34, s35
	s_add_i32 s50, s50, s34
	v_cmp_gt_i32_e32 vcc, s50, v0
                                        ; implicit-def: $vgpr40
	s_and_saveexec_b64 s[34:35], vcc
	s_cbranch_execz .LBB64_175
; %bb.167:                              ;   in Loop: Header=BB64_7 Depth=1
	s_mov_b64 s[36:37], 0
	v_mov_b32_e32 v2, v21
	v_mov_b32_e32 v3, v0
                                        ; implicit-def: $sgpr44_sgpr45
	s_branch .LBB64_170
.LBB64_168:                             ;   in Loop: Header=BB64_170 Depth=2
	s_or_b64 exec, exec, s[46:47]
	s_waitcnt lgkmcnt(0)
	s_barrier
	ds_read_b32 v16, v9 offset:3072
	s_mov_b64 s[46:47], -1
	s_mov_b64 s[48:49], -1
	s_waitcnt lgkmcnt(0)
	s_barrier
	v_and_b32_e32 v18, 0x7fff, v16
	v_cmp_eq_u32_e32 vcc, 0, v18
	s_cbranch_vccnz .LBB64_173
.LBB64_169:                             ;   in Loop: Header=BB64_170 Depth=2
	s_and_b64 s[46:47], exec, s[46:47]
	s_or_b64 s[36:37], s[46:47], s[36:37]
	s_andn2_b64 s[44:45], s[44:45], exec
	s_and_b64 s[46:47], s[48:49], exec
	s_or_b64 s[44:45], s[44:45], s[46:47]
	s_andn2_b64 exec, exec, s[36:37]
	s_cbranch_execz .LBB64_174
.LBB64_170:                             ;   Parent Loop BB64_7 Depth=1
                                        ; =>  This Inner Loop Header: Depth=2
	v_cmp_gt_i32_e32 vcc, s6, v3
	s_and_saveexec_b64 s[46:47], vcc
	s_cbranch_execz .LBB64_168
; %bb.171:                              ;   in Loop: Header=BB64_170 Depth=2
	ds_read_u16 v16, v2
	s_waitcnt lgkmcnt(0)
	v_cmp_lt_i16_e32 vcc, -1, v16
	v_lshlrev_b32_e32 v18, 16, v16
	s_nop 0
	v_cndmask_b32_e32 v19, v33, v35, vcc
	v_xor_b32_sdwa v19, v19, v16 dst_sel:DWORD dst_unused:UNUSED_PAD src0_sel:DWORD src1_sel:WORD_0
	v_cmp_o_f32_e32 vcc, v18, v18
	s_nop 1
	v_cndmask_b32_e32 v18, v33, v19, vcc
	v_and_b32_e32 v18, v18, v39
	v_cmp_eq_u32_e32 vcc, v18, v29
	s_and_b64 exec, exec, vcc
	s_cbranch_execz .LBB64_168
; %bb.172:                              ;   in Loop: Header=BB64_170 Depth=2
	v_perm_b32 v16, v16, s61, v38
	ds_write_b32 v9, v16 offset:3072
	s_branch .LBB64_168
.LBB64_173:                             ;   in Loop: Header=BB64_170 Depth=2
	v_add_u32_e32 v3, s62, v3
	v_cmp_le_i32_e32 vcc, s50, v3
	v_add_u32_e32 v2, s79, v2
	s_mov_b64 s[48:49], 0
	s_orn2_b64 s[46:47], vcc, exec
	s_branch .LBB64_169
.LBB64_174:                             ;   in Loop: Header=BB64_7 Depth=1
	s_or_b64 exec, exec, s[36:37]
	s_andn2_b64 s[36:37], s[42:43], exec
	s_and_b64 s[42:43], s[44:45], exec
	v_lshrrev_b32_e32 v40, 16, v16
	s_or_b64 s[42:43], s[36:37], s[42:43]
.LBB64_175:                             ;   in Loop: Header=BB64_7 Depth=1
	s_or_b64 exec, exec, s[34:35]
	s_mov_b64 s[34:35], 0
	s_mov_b64 s[36:37], -1
.LBB64_176:                             ;   in Loop: Header=BB64_7 Depth=1
	s_orn2_b64 s[42:43], s[42:43], exec
.LBB64_177:                             ;   in Loop: Header=BB64_7 Depth=1
	s_or_b64 exec, exec, s[38:39]
	s_mov_b64 s[44:45], 0
	s_and_saveexec_b64 s[38:39], s[42:43]
	s_cbranch_execz .LBB64_227
; %bb.178:                              ;   in Loop: Header=BB64_7 Depth=1
	s_xor_b64 s[42:43], s[40:41], -1
	s_mov_b64 s[48:49], 0
	v_mov_b32_e32 v16, 1
	v_mov_b32_e32 v5, 1
	s_and_saveexec_b64 s[40:41], s[42:43]
	s_cbranch_execz .LBB64_187
; %bb.179:                              ;   in Loop: Header=BB64_7 Depth=1
	v_cmp_ge_i32_e32 vcc, s54, v17
	s_and_saveexec_b64 s[42:43], vcc
	s_xor_b64 s[42:43], exec, s[42:43]
	s_cbranch_execz .LBB64_184
; %bb.180:                              ;   in Loop: Header=BB64_7 Depth=1
	ds_read_b32 v2, v9 offset:4096
	v_and_b32_e32 v3, v29, v8
	v_lshl_or_b32 v29, 2, v34, v3
	v_or_b32_e32 v39, v39, v4
	s_waitcnt lgkmcnt(0)
	v_cmp_ne_u32_e32 vcc, 0, v2
	s_cbranch_vccnz .LBB64_184
; %bb.181:                              ;   in Loop: Header=BB64_7 Depth=1
	s_and_saveexec_b64 s[44:45], s[18:19]
; %bb.182:                              ;   in Loop: Header=BB64_7 Depth=1
	v_mov_b32_e32 v2, s54
	ds_write_b32 v9, v2 offset:4100
; %bb.183:                              ;   in Loop: Header=BB64_7 Depth=1
	s_or_b64 exec, exec, s[44:45]
	s_waitcnt lgkmcnt(0)
	s_barrier
.LBB64_184:                             ;   in Loop: Header=BB64_7 Depth=1
	s_or_saveexec_b64 s[42:43], s[42:43]
	s_mov_b64 s[44:45], 0
	v_mov_b32_e32 v5, 8
	s_xor_b64 exec, exec, s[42:43]
; %bb.185:                              ;   in Loop: Header=BB64_7 Depth=1
	s_mov_b64 s[44:45], exec
	v_subrev_u32_e32 v17, s54, v17
	v_mov_b32_e32 v5, 0
; %bb.186:                              ;   in Loop: Header=BB64_7 Depth=1
	s_or_b64 exec, exec, s[42:43]
	s_and_b64 s[48:49], s[44:45], exec
	v_mov_b32_e32 v16, v17
.LBB64_187:                             ;   in Loop: Header=BB64_7 Depth=1
	s_or_b64 exec, exec, s[40:41]
	s_mov_b64 s[42:43], -1
                                        ; implicit-def: $sgpr46_sgpr47
                                        ; implicit-def: $sgpr44_sgpr45
	s_and_saveexec_b64 s[40:41], s[48:49]
	s_cbranch_execz .LBB64_226
; %bb.188:                              ;   in Loop: Header=BB64_7 Depth=1
	s_cmp_eq_u32 s17, 1
	s_cselect_b64 s[42:43], -1, 0
	v_cmp_eq_u32_e32 vcc, 1, v16
	s_and_b64 s[42:43], s[42:43], vcc
	s_mov_b64 s[50:51], -1
                                        ; implicit-def: $sgpr46_sgpr47
                                        ; implicit-def: $sgpr44_sgpr45
	s_and_saveexec_b64 s[48:49], s[42:43]
	s_cbranch_execz .LBB64_214
; %bb.189:                              ;   in Loop: Header=BB64_7 Depth=1
	ds_read_b32 v2, v9 offset:4096
	s_waitcnt lgkmcnt(0)
	s_barrier
	v_readfirstlane_b32 s6, v2
	s_and_saveexec_b64 s[44:45], s[4:5]
; %bb.190:                              ;   in Loop: Header=BB64_7 Depth=1
	ds_write_b16 v22, v9
; %bb.191:                              ;   in Loop: Header=BB64_7 Depth=1
	s_or_b64 exec, exec, s[44:45]
	v_or_b32_e32 v29, v29, v4
	v_or_b32_e32 v39, v39, v4
	s_mov_b64 s[44:45], -1
	s_mov_b64 s[46:47], 0
	s_cmp_gt_i32 s6, 0
	s_mov_b64 s[50:51], 0
	s_mov_b64 s[52:53], -1
	s_waitcnt lgkmcnt(0)
	s_barrier
                                        ; implicit-def: $vgpr40
	s_cbranch_scc1 .LBB64_202
; %bb.192:                              ;   in Loop: Header=BB64_7 Depth=1
	s_mov_b64 s[52:53], 0
                                        ; implicit-def: $vgpr40
	s_mov_b64 s[54:55], exec
	v_readlane_b32 s56, v56, 26
	v_readlane_b32 s57, v56, 27
	s_and_b64 s[56:57], s[54:55], s[56:57]
	s_mov_b64 exec, s[56:57]
	s_cbranch_execz .LBB64_201
; %bb.193:                              ;   in Loop: Header=BB64_7 Depth=1
	v_mov_b32_e32 v2, v6
	v_mov_b32_e32 v8, v0
                                        ; implicit-def: $sgpr56_sgpr57
	s_branch .LBB64_196
.LBB64_194:                             ;   in Loop: Header=BB64_196 Depth=2
	s_or_b64 exec, exec, s[58:59]
	s_waitcnt lgkmcnt(0)
	s_barrier
	ds_read_b32 v3, v9 offset:3072
	s_mov_b64 s[58:59], -1
	s_mov_b64 s[66:67], -1
	s_waitcnt lgkmcnt(0)
	s_barrier
	v_and_b32_e32 v17, 0x7fff, v3
	v_cmp_ne_u32_e32 vcc, 0, v17
	s_cbranch_vccz .LBB64_199
.LBB64_195:                             ;   in Loop: Header=BB64_196 Depth=2
	s_and_b64 s[58:59], exec, s[58:59]
	s_or_b64 s[50:51], s[58:59], s[50:51]
	s_andn2_b64 s[56:57], s[56:57], exec
	s_and_b64 s[58:59], s[66:67], exec
	s_or_b64 s[56:57], s[56:57], s[58:59]
	s_andn2_b64 exec, exec, s[50:51]
	s_cbranch_execz .LBB64_200
.LBB64_196:                             ;   Parent Loop BB64_7 Depth=1
                                        ; =>  This Inner Loop Header: Depth=2
	v_cmp_gt_i32_e32 vcc, s60, v8
	s_and_saveexec_b64 s[58:59], vcc
	s_cbranch_execz .LBB64_194
; %bb.197:                              ;   in Loop: Header=BB64_196 Depth=2
	v_ashrrev_i32_e32 v3, 31, v2
	v_lshl_add_u64 v[18:19], v[2:3], 1, s[68:69]
	global_load_ushort v3, v[18:19], off
	s_waitcnt vmcnt(0)
	v_cmp_lt_i16_e32 vcc, -1, v3
	v_lshlrev_b32_e32 v17, 16, v3
	s_nop 0
	v_cndmask_b32_e32 v18, v33, v35, vcc
	v_xor_b32_sdwa v18, v18, v3 dst_sel:DWORD dst_unused:UNUSED_PAD src0_sel:DWORD src1_sel:WORD_0
	v_cmp_o_f32_e32 vcc, v17, v17
	s_nop 1
	v_cndmask_b32_e32 v17, v33, v18, vcc
	v_and_b32_e32 v17, v17, v39
	v_cmp_eq_u32_e32 vcc, v17, v29
	s_and_b64 exec, exec, vcc
	s_cbranch_execz .LBB64_194
; %bb.198:                              ;   in Loop: Header=BB64_196 Depth=2
	v_perm_b32 v3, v3, s61, v38
	ds_write_b32 v9, v3 offset:3072
	s_branch .LBB64_194
.LBB64_199:                             ;   in Loop: Header=BB64_196 Depth=2
	v_add_u32_e32 v8, s62, v8
	v_cmp_le_i32_e32 vcc, s80, v8
	v_add_u32_e32 v2, s33, v2
	s_mov_b64 s[66:67], 0
	s_orn2_b64 s[58:59], vcc, exec
	s_branch .LBB64_195
.LBB64_200:                             ;   in Loop: Header=BB64_7 Depth=1
	s_or_b64 exec, exec, s[50:51]
	v_lshrrev_b32_e32 v40, 16, v3
	s_and_b64 s[50:51], s[56:57], exec
.LBB64_201:                             ;   in Loop: Header=BB64_7 Depth=1
	s_or_b64 exec, exec, s[54:55]
.LBB64_202:                             ;   in Loop: Header=BB64_7 Depth=1
	s_and_b64 vcc, exec, s[52:53]
	s_cbranch_vccz .LBB64_213
; %bb.203:                              ;   in Loop: Header=BB64_7 Depth=1
	v_readlane_b32 s44, v56, 7
	s_add_i32 s58, s6, s44
	s_abs_i32 s45, s58
	s_mul_hi_u32 s46, s45, s9
	s_mul_i32 s46, s46, s62
	s_sub_i32 s45, s45, s46
	s_ashr_i32 s44, s58, 31
	s_sub_i32 s46, s45, s62
	s_cmp_ge_u32 s45, s62
	s_cselect_b32 s45, s46, s45
	s_sub_i32 s46, s45, s62
	s_cmp_ge_u32 s45, s62
	s_cselect_b32 s45, s46, s45
	s_xor_b32 s45, s45, s44
	s_sub_i32 s44, s44, s45
	s_add_i32 s58, s58, s44
	v_cmp_gt_i32_e32 vcc, s58, v0
                                        ; implicit-def: $vgpr40
	s_and_saveexec_b64 s[44:45], vcc
	s_cbranch_execz .LBB64_212
; %bb.204:                              ;   in Loop: Header=BB64_7 Depth=1
	s_mov_b64 s[46:47], 0
	v_mov_b32_e32 v2, v21
	v_mov_b32_e32 v3, v0
                                        ; implicit-def: $sgpr52_sgpr53
	s_branch .LBB64_207
.LBB64_205:                             ;   in Loop: Header=BB64_207 Depth=2
	s_or_b64 exec, exec, s[54:55]
	s_waitcnt lgkmcnt(0)
	s_barrier
	ds_read_b32 v8, v9 offset:3072
	s_mov_b64 s[54:55], -1
	s_mov_b64 s[56:57], -1
	s_waitcnt lgkmcnt(0)
	s_barrier
	v_and_b32_e32 v17, 0x7fff, v8
	v_cmp_eq_u32_e32 vcc, 0, v17
	s_cbranch_vccnz .LBB64_210
.LBB64_206:                             ;   in Loop: Header=BB64_207 Depth=2
	s_and_b64 s[54:55], exec, s[54:55]
	s_or_b64 s[46:47], s[54:55], s[46:47]
	s_andn2_b64 s[52:53], s[52:53], exec
	s_and_b64 s[54:55], s[56:57], exec
	s_or_b64 s[52:53], s[52:53], s[54:55]
	s_andn2_b64 exec, exec, s[46:47]
	s_cbranch_execz .LBB64_211
.LBB64_207:                             ;   Parent Loop BB64_7 Depth=1
                                        ; =>  This Inner Loop Header: Depth=2
	v_cmp_gt_i32_e32 vcc, s6, v3
	s_and_saveexec_b64 s[54:55], vcc
	s_cbranch_execz .LBB64_205
; %bb.208:                              ;   in Loop: Header=BB64_207 Depth=2
	ds_read_u16 v8, v2
	s_waitcnt lgkmcnt(0)
	v_cmp_lt_i16_e32 vcc, -1, v8
	v_lshlrev_b32_e32 v17, 16, v8
	s_nop 0
	v_cndmask_b32_e32 v18, v33, v35, vcc
	v_xor_b32_sdwa v18, v18, v8 dst_sel:DWORD dst_unused:UNUSED_PAD src0_sel:DWORD src1_sel:WORD_0
	v_cmp_o_f32_e32 vcc, v17, v17
	s_nop 1
	v_cndmask_b32_e32 v17, v33, v18, vcc
	v_and_b32_e32 v17, v17, v39
	v_cmp_eq_u32_e32 vcc, v17, v29
	s_and_b64 exec, exec, vcc
	s_cbranch_execz .LBB64_205
; %bb.209:                              ;   in Loop: Header=BB64_207 Depth=2
	v_perm_b32 v8, v8, s61, v38
	ds_write_b32 v9, v8 offset:3072
	s_branch .LBB64_205
.LBB64_210:                             ;   in Loop: Header=BB64_207 Depth=2
	v_add_u32_e32 v3, s62, v3
	v_cmp_le_i32_e32 vcc, s58, v3
	v_add_u32_e32 v2, s79, v2
	s_mov_b64 s[56:57], 0
	s_orn2_b64 s[54:55], vcc, exec
	s_branch .LBB64_206
.LBB64_211:                             ;   in Loop: Header=BB64_7 Depth=1
	s_or_b64 exec, exec, s[46:47]
	s_andn2_b64 s[46:47], s[50:51], exec
	s_and_b64 s[50:51], s[52:53], exec
	v_lshrrev_b32_e32 v40, 16, v8
	s_or_b64 s[50:51], s[46:47], s[50:51]
.LBB64_212:                             ;   in Loop: Header=BB64_7 Depth=1
	s_or_b64 exec, exec, s[44:45]
	s_mov_b64 s[44:45], 0
	s_mov_b64 s[46:47], -1
.LBB64_213:                             ;   in Loop: Header=BB64_7 Depth=1
	s_orn2_b64 s[50:51], s[50:51], exec
.LBB64_214:                             ;   in Loop: Header=BB64_7 Depth=1
	s_or_b64 exec, exec, s[48:49]
	s_mov_b64 s[52:53], 0
	s_and_saveexec_b64 s[48:49], s[50:51]
	s_cbranch_execz .LBB64_225
; %bb.215:                              ;   in Loop: Header=BB64_7 Depth=1
	s_xor_b64 s[50:51], s[42:43], -1
	v_mov_b32_e32 v5, 1
	v_mov_b32_e32 v2, 1
	s_and_saveexec_b64 s[42:43], s[50:51]
	s_cbranch_execz .LBB64_224
; %bb.216:                              ;   in Loop: Header=BB64_7 Depth=1
	v_cmp_ge_i32_e32 vcc, s17, v16
	s_and_saveexec_b64 s[50:51], vcc
	s_xor_b64 s[50:51], exec, s[50:51]
	s_cbranch_execz .LBB64_221
; %bb.217:                              ;   in Loop: Header=BB64_7 Depth=1
	ds_read_b32 v2, v9 offset:4096
	v_or_b32_e32 v29, v29, v4
	v_or_b32_e32 v39, v39, v4
	s_waitcnt lgkmcnt(0)
	v_cmp_ne_u32_e32 vcc, 0, v2
	s_cbranch_vccnz .LBB64_221
; %bb.218:                              ;   in Loop: Header=BB64_7 Depth=1
	s_and_saveexec_b64 s[52:53], s[18:19]
; %bb.219:                              ;   in Loop: Header=BB64_7 Depth=1
	v_mov_b32_e32 v2, s17
	ds_write_b32 v9, v2 offset:4100
; %bb.220:                              ;   in Loop: Header=BB64_7 Depth=1
	s_or_b64 exec, exec, s[52:53]
	s_waitcnt lgkmcnt(0)
	s_barrier
.LBB64_221:                             ;   in Loop: Header=BB64_7 Depth=1
	s_andn2_saveexec_b64 s[50:51], s[50:51]
; %bb.222:                              ;   in Loop: Header=BB64_7 Depth=1
	v_subrev_u32_e32 v16, s17, v16
; %bb.223:                              ;   in Loop: Header=BB64_7 Depth=1
	s_or_b64 exec, exec, s[50:51]
	v_mov_b32_e32 v5, 8
	v_mov_b32_e32 v2, v16
.LBB64_224:                             ;   in Loop: Header=BB64_7 Depth=1
	s_or_b64 exec, exec, s[42:43]
	s_mov_b64 s[52:53], exec
	v_mov_b32_e32 v16, v2
.LBB64_225:                             ;   in Loop: Header=BB64_7 Depth=1
	s_or_b64 exec, exec, s[48:49]
	s_orn2_b64 s[42:43], s[52:53], exec
.LBB64_226:                             ;   in Loop: Header=BB64_7 Depth=1
	s_or_b64 exec, exec, s[40:41]
	s_andn2_b64 s[36:37], s[36:37], exec
	s_and_b64 s[40:41], s[46:47], exec
	s_or_b64 s[36:37], s[36:37], s[40:41]
	s_andn2_b64 s[34:35], s[34:35], exec
	s_and_b64 s[40:41], s[44:45], exec
	s_or_b64 s[34:35], s[34:35], s[40:41]
	s_and_b64 s[44:45], s[42:43], exec
	v_mov_b32_e32 v17, v16
.LBB64_227:                             ;   in Loop: Header=BB64_7 Depth=1
	s_or_b64 exec, exec, s[38:39]
	s_orn2_b64 s[38:39], s[44:45], exec
.LBB64_228:                             ;   in Loop: Header=BB64_7 Depth=1
	s_or_b64 exec, exec, s[30:31]
	s_andn2_b64 s[26:27], s[26:27], exec
	s_and_b64 s[30:31], s[36:37], exec
	s_or_b64 s[26:27], s[26:27], s[30:31]
	s_andn2_b64 s[24:25], s[24:25], exec
	s_and_b64 s[30:31], s[34:35], exec
	s_or_b64 s[24:25], s[24:25], s[30:31]
	s_and_b64 s[36:37], s[38:39], exec
	v_mov_b32_e32 v16, v17
.LBB64_229:                             ;   in Loop: Header=BB64_7 Depth=1
	s_or_b64 exec, exec, s[28:29]
	s_orn2_b64 s[28:29], s[36:37], exec
.LBB64_230:                             ;   in Loop: Header=BB64_7 Depth=1
	s_or_b64 exec, exec, s[22:23]
	s_mov_b64 s[30:31], 0
                                        ; implicit-def: $sgpr6
	s_and_saveexec_b64 s[22:23], s[28:29]
	s_xor_b64 s[22:23], exec, s[22:23]
	s_cbranch_execz .LBB64_5
; %bb.231:                              ;   in Loop: Header=BB64_7 Depth=1
	v_and_b32_e32 v2, 7, v5
	v_cmp_eq_u32_e32 vcc, 0, v2
	s_mov_b64 s[20:21], -1
	s_mov_b64 s[28:29], -1
                                        ; implicit-def: $sgpr6
	s_and_saveexec_b64 s[30:31], vcc
	s_cbranch_execz .LBB64_4
; %bb.232:                              ;   in Loop: Header=BB64_7 Depth=1
	v_add_u32_e32 v2, -2, v34
	v_cmp_eq_u32_e32 vcc, 0, v34
	s_xor_b32 s6, s16, 1
	s_xor_b64 s[28:29], exec, -1
	s_orn2_b64 s[20:21], vcc, exec
	v_mov_b32_e32 v34, v2
	s_branch .LBB64_4
.LBB64_233:
	s_or_b64 exec, exec, s[88:89]
	s_xor_b64 s[4:5], s[94:95], -1
	s_xor_b64 s[2:3], s[90:91], -1
	;; [unrolled: 1-line block ×3, first 2 shown]
	s_mov_b64 s[0:1], 0
	s_and_saveexec_b64 s[8:9], s[2:3]
	s_xor_b64 s[2:3], exec, s[8:9]
	s_cbranch_execnz .LBB64_238
; %bb.234:
	s_andn2_saveexec_b64 s[2:3], s[2:3]
	s_cbranch_execnz .LBB64_258
.LBB64_235:
	s_or_b64 exec, exec, s[2:3]
	s_and_saveexec_b64 s[2:3], s[0:1]
.LBB64_236:
	; divergent unreachable
.LBB64_237:
	s_endpgm
.LBB64_238:
	s_and_saveexec_b64 s[0:1], s[4:5]
	s_xor_b64 s[4:5], exec, s[0:1]
	s_cbranch_execz .LBB64_256
; %bb.239:
	s_and_saveexec_b64 s[0:1], s[6:7]
	s_xor_b64 s[0:1], exec, s[0:1]
; %bb.240:
	v_and_b32_e32 v1, 0x8000, v29
	v_mov_b32_e32 v2, 0x8000
	v_mov_b32_e32 v3, 0xffff
	v_cmp_eq_u32_e32 vcc, 0, v1
	s_nop 1
	v_cndmask_b32_e32 v1, v2, v3, vcc
	v_xor_b32_e32 v40, v1, v29
; %bb.241:
	s_or_b64 exec, exec, s[0:1]
	s_and_saveexec_b64 s[0:1], s[18:19]
	v_readlane_b32 s22, v56, 6
; %bb.242:
	v_mov_b32_e32 v1, 0
	v_mov_b32_e32 v2, s60
	ds_write_b32 v1, v2 offset:4108
; %bb.243:
	s_or_b64 exec, exec, s[0:1]
	v_mov_b32_e32 v1, 0
	s_waitcnt lgkmcnt(0)
	s_barrier
	ds_read_b32 v1, v1 offset:4108
	s_waitcnt lgkmcnt(0)
	v_min_i32_e32 v1, s60, v1
	v_cmp_lt_i32_e32 vcc, v0, v1
	s_and_saveexec_b64 s[6:7], vcc
	s_cbranch_execz .LBB64_253
; %bb.244:
	v_lshlrev_b32_e32 v3, 16, v40
	v_cmp_u_f32_e32 vcc, v3, v3
	s_mov_b64 s[8:9], 0
	s_xor_b64 s[12:13], vcc, -1
                                        ; implicit-def: $sgpr10_sgpr11
                                        ; implicit-def: $sgpr16_sgpr17
                                        ; implicit-def: $sgpr14_sgpr15
	s_branch .LBB64_246
.LBB64_245:                             ;   in Loop: Header=BB64_246 Depth=1
	s_or_b64 exec, exec, s[0:1]
	s_and_b64 s[0:1], exec, s[16:17]
	s_or_b64 s[8:9], s[0:1], s[8:9]
	s_andn2_b64 s[0:1], s[10:11], exec
	s_and_b64 s[10:11], s[14:15], exec
	s_or_b64 s[10:11], s[0:1], s[10:11]
	s_andn2_b64 exec, exec, s[8:9]
	s_cbranch_execz .LBB64_248
.LBB64_246:                             ; =>This Inner Loop Header: Depth=1
	v_ashrrev_i32_e32 v7, 31, v6
	v_lshl_add_u64 v[4:5], v[6:7], 1, s[68:69]
	global_load_ushort v4, v[4:5], off
	v_mov_b32_e32 v2, v0
	s_or_b64 s[14:15], s[14:15], exec
	s_or_b64 s[16:17], s[16:17], exec
	s_waitcnt vmcnt(0)
	v_lshlrev_b32_e32 v0, 16, v4
	v_cmp_o_f32_e64 s[0:1], v0, v0
	v_cmp_neq_f32_e32 vcc, v0, v3
	s_or_b64 s[0:1], s[12:13], s[0:1]
	s_and_b64 s[20:21], vcc, s[0:1]
                                        ; implicit-def: $vgpr0
	s_and_saveexec_b64 s[0:1], s[20:21]
	s_cbranch_execz .LBB64_245
; %bb.247:                              ;   in Loop: Header=BB64_246 Depth=1
	v_add_u32_e32 v0, s62, v2
	v_cmp_ge_i32_e32 vcc, v0, v1
	s_andn2_b64 s[16:17], s[16:17], exec
	s_and_b64 s[20:21], vcc, exec
	v_add_u32_e32 v6, s33, v6
	s_andn2_b64 s[14:15], s[14:15], exec
	s_or_b64 s[16:17], s[16:17], s[20:21]
	s_branch .LBB64_245
.LBB64_248:
	s_or_b64 exec, exec, s[8:9]
	s_and_saveexec_b64 s[0:1], s[10:11]
	s_xor_b64 s[0:1], exec, s[0:1]
	s_cbranch_execz .LBB64_253
; %bb.249:
	s_mov_b64 s[0:1], exec
	s_brev_b32 s8, -2
.LBB64_250:                             ; =>This Inner Loop Header: Depth=1
	s_ff1_i32_b64 s9, s[0:1]
	v_readlane_b32 s12, v2, s9
	s_lshl_b64 s[10:11], 1, s9
	s_min_i32 s8, s8, s12
	s_andn2_b64 s[0:1], s[0:1], s[10:11]
	s_cmp_lg_u64 s[0:1], 0
	s_cbranch_scc1 .LBB64_250
; %bb.251:
	v_mbcnt_lo_u32_b32 v0, exec_lo, 0
	v_mbcnt_hi_u32_b32 v0, exec_hi, v0
	v_cmp_eq_u32_e32 vcc, 0, v0
	s_and_saveexec_b64 s[0:1], vcc
	s_xor_b64 s[0:1], exec, s[0:1]
; %bb.252:
	v_mov_b32_e32 v0, 0
	v_mov_b32_e32 v1, s8
	ds_min_i32 v0, v1 offset:4108
.LBB64_253:
	s_or_b64 exec, exec, s[6:7]
	s_waitcnt lgkmcnt(0)
	s_barrier
	s_and_saveexec_b64 s[0:1], s[18:19]
	s_cbranch_execz .LBB64_255
; %bb.254:
	v_readlane_b32 s6, v56, 5
	s_mul_i32 s6, s6, s22
	v_readlane_b32 s7, v56, 4
	s_mul_i32 s8, s7, s22
	s_ashr_i32 s7, s6, 31
	v_mov_b32_e32 v2, 0
	s_lshl_b64 s[6:7], s[6:7], 1
	v_readlane_b32 s10, v56, 2
	ds_read_b32 v0, v2 offset:4108
	v_readlane_b32 s11, v56, 3
	s_add_u32 s6, s10, s6
	s_addc_u32 s7, s11, s7
	s_ashr_i32 s9, s8, 31
	s_lshl_b64 s[8:9], s[8:9], 3
	v_readlane_b32 s10, v56, 0
	v_readlane_b32 s11, v56, 1
	s_add_u32 s8, s10, s8
	s_addc_u32 s9, s11, s9
	s_waitcnt lgkmcnt(0)
	v_ashrrev_i32_e32 v1, 31, v0
	global_store_dwordx2 v2, v[0:1], s[8:9]
	global_store_short v2, v40, s[6:7]
.LBB64_255:
	s_or_b64 exec, exec, s[0:1]
.LBB64_256:
	s_or_saveexec_b64 s[0:1], s[4:5]
	s_mov_b64 s[4:5], 0
	s_xor_b64 exec, exec, s[0:1]
	s_cbranch_execnz .LBB64_259
.LBB64_257:
	s_or_b64 exec, exec, s[0:1]
	s_and_b64 s[0:1], s[4:5], exec
	s_andn2_saveexec_b64 s[2:3], s[2:3]
	s_cbranch_execz .LBB64_235
.LBB64_258:
	s_or_b64 s[0:1], s[0:1], exec
	s_trap 2
	s_or_b64 exec, exec, s[2:3]
	s_and_saveexec_b64 s[2:3], s[0:1]
	s_cbranch_execnz .LBB64_236
	s_branch .LBB64_237
.LBB64_259:
	s_mov_b64 s[4:5], exec
	s_trap 2
	s_branch .LBB64_257
	.section	.rodata,"a",@progbits
	.p2align	6, 0x0
	.amdhsa_kernel _ZN2at6native12_GLOBAL__N_114gatherKthValueIN3c108BFloat16EiLi1EEEvNS_4cuda6detail10TensorInfoIKT_T0_EESA_SA_SA_SA_NS7_IS8_SA_EENS7_IlSA_EE
		.amdhsa_group_segment_fixed_size 4112
		.amdhsa_private_segment_fixed_size 0
		.amdhsa_kernarg_size 920
		.amdhsa_user_sgpr_count 2
		.amdhsa_user_sgpr_dispatch_ptr 0
		.amdhsa_user_sgpr_queue_ptr 0
		.amdhsa_user_sgpr_kernarg_segment_ptr 1
		.amdhsa_user_sgpr_dispatch_id 0
		.amdhsa_user_sgpr_kernarg_preload_length 0
		.amdhsa_user_sgpr_kernarg_preload_offset 0
		.amdhsa_user_sgpr_private_segment_size 0
		.amdhsa_uses_dynamic_stack 0
		.amdhsa_enable_private_segment 0
		.amdhsa_system_sgpr_workgroup_id_x 1
		.amdhsa_system_sgpr_workgroup_id_y 1
		.amdhsa_system_sgpr_workgroup_id_z 1
		.amdhsa_system_sgpr_workgroup_info 0
		.amdhsa_system_vgpr_workitem_id 0
		.amdhsa_next_free_vgpr 57
		.amdhsa_next_free_sgpr 100
		.amdhsa_accum_offset 60
		.amdhsa_reserve_vcc 1
		.amdhsa_float_round_mode_32 0
		.amdhsa_float_round_mode_16_64 0
		.amdhsa_float_denorm_mode_32 3
		.amdhsa_float_denorm_mode_16_64 3
		.amdhsa_dx10_clamp 1
		.amdhsa_ieee_mode 1
		.amdhsa_fp16_overflow 0
		.amdhsa_tg_split 0
		.amdhsa_exception_fp_ieee_invalid_op 0
		.amdhsa_exception_fp_denorm_src 0
		.amdhsa_exception_fp_ieee_div_zero 0
		.amdhsa_exception_fp_ieee_overflow 0
		.amdhsa_exception_fp_ieee_underflow 0
		.amdhsa_exception_fp_ieee_inexact 0
		.amdhsa_exception_int_div_zero 0
	.end_amdhsa_kernel
	.section	.text._ZN2at6native12_GLOBAL__N_114gatherKthValueIN3c108BFloat16EiLi1EEEvNS_4cuda6detail10TensorInfoIKT_T0_EESA_SA_SA_SA_NS7_IS8_SA_EENS7_IlSA_EE,"axG",@progbits,_ZN2at6native12_GLOBAL__N_114gatherKthValueIN3c108BFloat16EiLi1EEEvNS_4cuda6detail10TensorInfoIKT_T0_EESA_SA_SA_SA_NS7_IS8_SA_EENS7_IlSA_EE,comdat
.Lfunc_end64:
	.size	_ZN2at6native12_GLOBAL__N_114gatherKthValueIN3c108BFloat16EiLi1EEEvNS_4cuda6detail10TensorInfoIKT_T0_EESA_SA_SA_SA_NS7_IS8_SA_EENS7_IlSA_EE, .Lfunc_end64-_ZN2at6native12_GLOBAL__N_114gatherKthValueIN3c108BFloat16EiLi1EEEvNS_4cuda6detail10TensorInfoIKT_T0_EESA_SA_SA_SA_NS7_IS8_SA_EENS7_IlSA_EE
                                        ; -- End function
	.set _ZN2at6native12_GLOBAL__N_114gatherKthValueIN3c108BFloat16EiLi1EEEvNS_4cuda6detail10TensorInfoIKT_T0_EESA_SA_SA_SA_NS7_IS8_SA_EENS7_IlSA_EE.num_vgpr, 57
	.set _ZN2at6native12_GLOBAL__N_114gatherKthValueIN3c108BFloat16EiLi1EEEvNS_4cuda6detail10TensorInfoIKT_T0_EESA_SA_SA_SA_NS7_IS8_SA_EENS7_IlSA_EE.num_agpr, 0
	.set _ZN2at6native12_GLOBAL__N_114gatherKthValueIN3c108BFloat16EiLi1EEEvNS_4cuda6detail10TensorInfoIKT_T0_EESA_SA_SA_SA_NS7_IS8_SA_EENS7_IlSA_EE.numbered_sgpr, 100
	.set _ZN2at6native12_GLOBAL__N_114gatherKthValueIN3c108BFloat16EiLi1EEEvNS_4cuda6detail10TensorInfoIKT_T0_EESA_SA_SA_SA_NS7_IS8_SA_EENS7_IlSA_EE.num_named_barrier, 0
	.set _ZN2at6native12_GLOBAL__N_114gatherKthValueIN3c108BFloat16EiLi1EEEvNS_4cuda6detail10TensorInfoIKT_T0_EESA_SA_SA_SA_NS7_IS8_SA_EENS7_IlSA_EE.private_seg_size, 0
	.set _ZN2at6native12_GLOBAL__N_114gatherKthValueIN3c108BFloat16EiLi1EEEvNS_4cuda6detail10TensorInfoIKT_T0_EESA_SA_SA_SA_NS7_IS8_SA_EENS7_IlSA_EE.uses_vcc, 1
	.set _ZN2at6native12_GLOBAL__N_114gatherKthValueIN3c108BFloat16EiLi1EEEvNS_4cuda6detail10TensorInfoIKT_T0_EESA_SA_SA_SA_NS7_IS8_SA_EENS7_IlSA_EE.uses_flat_scratch, 0
	.set _ZN2at6native12_GLOBAL__N_114gatherKthValueIN3c108BFloat16EiLi1EEEvNS_4cuda6detail10TensorInfoIKT_T0_EESA_SA_SA_SA_NS7_IS8_SA_EENS7_IlSA_EE.has_dyn_sized_stack, 0
	.set _ZN2at6native12_GLOBAL__N_114gatherKthValueIN3c108BFloat16EiLi1EEEvNS_4cuda6detail10TensorInfoIKT_T0_EESA_SA_SA_SA_NS7_IS8_SA_EENS7_IlSA_EE.has_recursion, 0
	.set _ZN2at6native12_GLOBAL__N_114gatherKthValueIN3c108BFloat16EiLi1EEEvNS_4cuda6detail10TensorInfoIKT_T0_EESA_SA_SA_SA_NS7_IS8_SA_EENS7_IlSA_EE.has_indirect_call, 0
	.section	.AMDGPU.csdata,"",@progbits
; Kernel info:
; codeLenInByte = 9864
; TotalNumSgprs: 106
; NumVgprs: 57
; NumAgprs: 0
; TotalNumVgprs: 57
; ScratchSize: 0
; MemoryBound: 0
; FloatMode: 240
; IeeeMode: 1
; LDSByteSize: 4112 bytes/workgroup (compile time only)
; SGPRBlocks: 13
; VGPRBlocks: 7
; NumSGPRsForWavesPerEU: 106
; NumVGPRsForWavesPerEU: 57
; AccumOffset: 60
; Occupancy: 7
; WaveLimiterHint : 1
; COMPUTE_PGM_RSRC2:SCRATCH_EN: 0
; COMPUTE_PGM_RSRC2:USER_SGPR: 2
; COMPUTE_PGM_RSRC2:TRAP_HANDLER: 0
; COMPUTE_PGM_RSRC2:TGID_X_EN: 1
; COMPUTE_PGM_RSRC2:TGID_Y_EN: 1
; COMPUTE_PGM_RSRC2:TGID_Z_EN: 1
; COMPUTE_PGM_RSRC2:TIDIG_COMP_CNT: 0
; COMPUTE_PGM_RSRC3_GFX90A:ACCUM_OFFSET: 14
; COMPUTE_PGM_RSRC3_GFX90A:TG_SPLIT: 0
	.section	.text._ZN2at6native12_GLOBAL__N_114gatherKthValueIN3c108BFloat16EiLi2EEEvNS_4cuda6detail10TensorInfoIKT_T0_EESA_SA_SA_SA_NS7_IS8_SA_EENS7_IlSA_EE,"axG",@progbits,_ZN2at6native12_GLOBAL__N_114gatherKthValueIN3c108BFloat16EiLi2EEEvNS_4cuda6detail10TensorInfoIKT_T0_EESA_SA_SA_SA_NS7_IS8_SA_EENS7_IlSA_EE,comdat
	.globl	_ZN2at6native12_GLOBAL__N_114gatherKthValueIN3c108BFloat16EiLi2EEEvNS_4cuda6detail10TensorInfoIKT_T0_EESA_SA_SA_SA_NS7_IS8_SA_EENS7_IlSA_EE ; -- Begin function _ZN2at6native12_GLOBAL__N_114gatherKthValueIN3c108BFloat16EiLi2EEEvNS_4cuda6detail10TensorInfoIKT_T0_EESA_SA_SA_SA_NS7_IS8_SA_EENS7_IlSA_EE
	.p2align	8
	.type	_ZN2at6native12_GLOBAL__N_114gatherKthValueIN3c108BFloat16EiLi2EEEvNS_4cuda6detail10TensorInfoIKT_T0_EESA_SA_SA_SA_NS7_IS8_SA_EENS7_IlSA_EE,@function
_ZN2at6native12_GLOBAL__N_114gatherKthValueIN3c108BFloat16EiLi2EEEvNS_4cuda6detail10TensorInfoIKT_T0_EESA_SA_SA_SA_NS7_IS8_SA_EENS7_IlSA_EE: ; @_ZN2at6native12_GLOBAL__N_114gatherKthValueIN3c108BFloat16EiLi2EEEvNS_4cuda6detail10TensorInfoIKT_T0_EESA_SA_SA_SA_NS7_IS8_SA_EENS7_IlSA_EE
; %bb.0:
	s_load_dwordx2 s[12:13], s[0:1], 0x298
	s_load_dwordx4 s[60:63], s[0:1], 0xd8
	s_add_u32 s10, s0, 0x298
	s_addc_u32 s11, s1, 0
	s_waitcnt lgkmcnt(0)
	s_mul_i32 s4, s13, s4
	s_add_i32 s3, s4, s3
	s_mul_i32 s3, s3, s12
	s_add_i32 s18, s3, s2
	s_cmp_ge_i32 s18, s62
	s_cbranch_scc1 .LBB65_237
; %bb.1:
	s_load_dword s3, s[0:1], 0xc
	s_load_dwordx2 s[4:5], s[0:1], 0xe8
                                        ; implicit-def: $vgpr56 : SGPR spill to VGPR lane
                                        ; kill: killed $sgpr0 killed $sgpr1
	s_abs_i32 s21, s18
	s_ashr_i32 s20, s18, 31
	s_load_dword s22, s[0:1], 0xf4
	s_waitcnt lgkmcnt(0)
	s_abs_i32 s13, s3
	v_writelane_b32 v56, s4, 0
	v_cvt_f32_u32_e32 v1, s13
	s_ashr_i32 s14, s3, 31
	v_writelane_b32 v56, s5, 1
	s_load_dwordx2 s[6:7], s[0:1], 0x6c
	s_load_dwordx2 s[4:5], s[0:1], 0x0
	;; [unrolled: 1-line block ×3, first 2 shown]
	v_rcp_iflag_f32_e32 v1, v1
	s_waitcnt lgkmcnt(0)
	v_writelane_b32 v56, s8, 2
	s_nop 1
	v_writelane_b32 v56, s9, 3
	s_load_dword s19, s[0:1], 0x1cc
	s_load_dwordx2 s[8:9], s[0:1], 0x1c0
	v_mul_f32_e32 v1, 0x4f7ffffe, v1
	v_cvt_u32_f32_e32 v1, v1
	s_waitcnt lgkmcnt(0)
	v_writelane_b32 v56, s8, 4
	s_nop 1
	v_writelane_b32 v56, s9, 5
	s_load_dwordx2 s[8:9], s[0:1], 0x154
	v_readfirstlane_b32 s1, v1
	s_sub_i32 s0, 0, s13
	s_mul_i32 s0, s0, s1
	s_mul_hi_u32 s0, s1, s0
	s_waitcnt lgkmcnt(0)
	v_writelane_b32 v56, s8, 6
	s_add_i32 s1, s1, s0
	s_mul_hi_u32 s15, s21, s1
	v_writelane_b32 v56, s9, 7
	s_abs_i32 s9, s22
	v_cvt_f32_u32_e32 v2, s9
	s_abs_i32 s8, s19
	s_sub_i32 s0, 0, s9
	v_writelane_b32 v56, s9, 8
	v_rcp_iflag_f32_e32 v1, v2
	v_cvt_f32_u32_e32 v2, s8
	v_mul_f32_e32 v1, 0x4f7ffffe, v1
	v_cvt_u32_f32_e32 v1, v1
	v_rcp_iflag_f32_e32 v2, v2
	v_readfirstlane_b32 s1, v1
	v_mul_f32_e32 v1, 0x4f7ffffe, v2
	s_mul_i32 s0, s0, s1
	v_cvt_u32_f32_e32 v1, v1
	s_mul_hi_u32 s0, s1, s0
	s_add_i32 s1, s1, s0
	s_mul_hi_u32 s0, s21, s1
	v_writelane_b32 v56, s0, 9
	s_sub_i32 s0, 0, s8
	v_readfirstlane_b32 s1, v1
	s_mul_i32 s0, s0, s1
	s_mul_hi_u32 s0, s1, s0
	s_add_i32 s1, s1, s0
	v_writelane_b32 v56, s8, 10
	s_mul_hi_u32 s0, s21, s1
	v_writelane_b32 v56, s0, 11
	v_cmp_eq_u32_e64 s[0:1], 0, v0
	s_and_saveexec_b64 s[8:9], s[0:1]
; %bb.2:
	v_mov_b32_e32 v2, 0
	v_mov_b32_e32 v3, s60
	;; [unrolled: 1-line block ×3, first 2 shown]
	ds_write_b96 v2, v[2:4] offset:4096
; %bb.3:
	s_or_b64 exec, exec, s[8:9]
	v_writelane_b32 v56, s22, 12
	s_ashr_i32 s8, s22, 31
	v_writelane_b32 v56, s8, 13
	s_mul_i32 s9, s15, s13
	v_writelane_b32 v56, s19, 14
	s_ashr_i32 s8, s19, 31
	s_sub_i32 s9, s21, s9
	v_writelane_b32 v56, s8, 15
	s_xor_b32 s8, s20, s14
	s_add_i32 s14, s15, 1
	s_sub_i32 s16, s9, s13
	s_cmp_ge_u32 s9, s13
	s_cselect_b32 s14, s14, s15
	s_cselect_b32 s9, s16, s9
	s_add_i32 s15, s14, 1
	s_cmp_ge_u32 s9, s13
	s_cselect_b32 s9, s15, s14
	s_xor_b32 s9, s9, s8
	s_sub_i32 s8, s9, s8
	s_mul_i32 s3, s8, s3
	s_sub_i32 s3, s18, s3
	s_mul_i32 s3, s3, s7
	s_mul_i32 s6, s8, s6
	s_add_i32 s6, s6, s3
	s_waitcnt lgkmcnt(0)
	s_barrier
	s_load_dword s3, s[10:11], 0xc
	s_ashr_i32 s7, s6, 31
	s_lshl_b64 s[6:7], s[6:7], 1
	s_add_u32 s72, s4, s6
	v_mbcnt_lo_u32_b32 v1, -1, 0
	v_writelane_b32 v56, s20, 16
	s_addc_u32 s73, s5, s7
	s_waitcnt lgkmcnt(0)
	s_and_b32 s62, s3, 0xffff
	v_mbcnt_hi_u32_b32 v20, -1, v1
	v_writelane_b32 v56, s21, 17
	v_cmp_gt_u32_e32 vcc, 64, v0
	v_cmp_gt_i32_e64 s[4:5], 4, v20
	s_add_i32 s6, s62, -1
	v_writelane_b32 v56, s18, 18
	s_lshl_b32 s33, s62, 2
	s_and_b64 s[76:77], vcc, s[4:5]
	s_add_i32 s84, s6, s60
	v_writelane_b32 v56, s6, 19
	s_cmpk_gt_i32 s60, 0x600
	v_cmp_gt_u32_e64 s[6:7], s60, v0
	s_cselect_b64 s[78:79], -1, 0
	s_cmp_gt_u32 s62, 63
	v_writelane_b32 v56, s6, 20
	s_cselect_b64 s[80:81], -1, 0
	s_cmp_lt_u32 s2, s12
	v_writelane_b32 v56, s7, 21
	v_cmp_gt_i32_e64 s[6:7], s60, v0
	s_cselect_b32 s2, 12, 18
	v_lshlrev_b64 v[2:3], v20, -1
	v_writelane_b32 v56, s6, 22
	v_not_b32_e32 v12, v2
	v_lshrrev_b32_e32 v2, 2, v0
	v_writelane_b32 v56, s7, 23
	s_add_u32 s6, s10, s2
	s_addc_u32 s7, s11, 0
	v_writelane_b32 v56, s6, 24
	v_and_b32_e32 v2, 0xf0, v2
	v_or_b32_e32 v23, 0xc00, v2
	v_writelane_b32 v56, s7, 25
	s_bfe_u32 s6, s3, 0xa0006
	s_add_i32 s2, s6, -2
	s_lshr_b32 s3, s2, 1
	s_add_i32 s3, s3, 1
	s_cmpk_gt_u32 s62, 0x7f
	s_cselect_b64 s[8:9], -1, 0
	v_writelane_b32 v56, s8, 26
	v_cvt_f32_u32_e32 v2, s33
	s_and_b32 s7, s6, 0x3fe
	v_writelane_b32 v56, s9, 27
	s_and_b32 s8, s3, 7
	s_cmp_gt_u32 s2, 13
	s_cselect_b64 s[10:11], -1, 0
	v_writelane_b32 v56, s10, 28
	v_rcp_iflag_f32_e32 v2, v2
	s_and_b32 s2, s3, -8
	v_writelane_b32 v56, s11, 29
	v_writelane_b32 v56, s2, 30
	s_cmp_lg_u32 s8, 0
	v_writelane_b32 v56, s8, 31
	s_cselect_b64 s[2:3], -1, 0
	v_writelane_b32 v56, s2, 32
	v_mul_f32_e32 v2, 0x4f7ffffe, v2
	v_cvt_u32_f32_e32 v2, v2
	v_writelane_b32 v56, s3, 33
	v_writelane_b32 v56, s6, 34
	s_cmp_lg_u32 s7, s6
	v_writelane_b32 v56, s7, 35
	s_cselect_b64 s[2:3], -1, 0
	v_writelane_b32 v56, s2, 36
	v_not_b32_e32 v1, v3
	v_cvt_f32_u32_e32 v3, s62
	v_writelane_b32 v56, s3, 37
	s_sub_i32 s2, 0, s33
	v_readfirstlane_b32 s3, v2
	s_mul_i32 s2, s2, s3
	s_mul_hi_u32 s2, s3, s2
	s_add_i32 s7, s3, s2
	s_mul_hi_u32 s2, s60, s7
	s_mul_i32 s2, s2, s33
	s_sub_i32 s2, s60, s2
	s_sub_i32 s3, s2, s33
	s_cmp_ge_u32 s2, s33
	s_cselect_b32 s2, s3, s2
	s_sub_i32 s3, s2, s33
	s_cmp_ge_u32 s2, s33
	s_cselect_b32 s2, s3, s2
	s_sub_i32 s8, s60, s2
	v_rcp_iflag_f32_e32 v5, v3
	v_add_u32_e32 v24, s8, v0
	v_mul_lo_u32 v2, v24, s63
	v_ashrrev_i32_e32 v3, 31, v2
	v_lshl_add_u64 v[14:15], v[2:3], 1, s[72:73]
	v_mul_f32_e32 v2, 0x4f7ffffe, v5
	v_cvt_u32_f32_e32 v2, v2
	s_sub_i32 s9, 0, s62
	s_abs_i32 s6, s84
	s_ashr_i32 s3, s84, 31
	v_readfirstlane_b32 s16, v2
	s_mul_i32 s9, s9, s16
	s_mul_hi_u32 s9, s16, s9
	s_add_i32 s9, s16, s9
	s_mul_hi_u32 s16, s6, s9
	s_mul_i32 s16, s16, s62
	s_sub_i32 s6, s6, s16
	s_sub_i32 s16, s6, s62
	s_cmp_ge_u32 s6, s62
	s_cselect_b32 s6, s16, s6
	s_sub_i32 s16, s6, s62
	s_cmp_ge_u32 s6, s62
	s_cselect_b32 s6, s16, s6
	v_lshlrev_b32_e32 v13, 2, v0
	s_xor_b32 s6, s6, s3
	s_sub_i32 s3, s3, s6
	v_mul_lo_u32 v2, s63, v13
	s_add_i32 s84, s84, s3
	v_add_u32_e32 v25, s63, v2
	v_or_b32_e32 v2, 2, v13
	v_cmp_gt_i32_e64 s[16:17], s84, v0
	v_mul_lo_u32 v26, s63, v2
	v_or_b32_e32 v2, 3, v13
	s_add_i32 s3, s62, s60
	v_mov_b32_e32 v9, 0
	v_writelane_b32 v56, s16, 38
	v_mul_lo_u32 v27, s63, v2
	v_add_u32_e32 v2, s3, v0
	s_mov_b32 s20, 0
	s_mov_b32 s21, 1
	v_lshlrev_b32_e32 v21, 1, v0
	v_mul_lo_u32 v6, s63, v0
	v_mov_b32_e32 v7, v9
	v_lshlrev_b32_e32 v4, 2, v20
	v_writelane_b32 v56, s17, 39
	s_mul_i32 s74, s63, s62
	v_subrev_u32_e32 v2, s2, v2
	s_mov_b32 s75, 0xffff
	v_cmp_eq_u32_e64 s[18:19], 0, v20
	v_cmp_gt_u32_e64 s[4:5], 2, v0
	v_add_u32_e32 v22, 0xc00, v21
	v_lshl_add_u64 v[10:11], v[6:7], 1, s[72:73]
	v_and_b32_e32 v7, 0x100, v4
	v_cmp_gt_i32_e64 s[10:11], s8, v13
	v_cmp_gt_u32_e64 s[12:13], s60, v24
	v_cmp_gt_i32_e64 s[14:15], s60, v24
	s_lshl_b32 s85, s74, 2
	v_lshlrev_b32_e32 v28, 2, v6
	v_mul_lo_u32 v30, s63, v2
	v_lshlrev_b32_e32 v31, 3, v0
	s_lshl_b32 s82, s62, 3
	s_lshl_b32 s83, s62, 1
	v_or_b32_e32 v32, 0xc00, v4
	s_mov_b64 s[92:93], 0
	v_mov_b32_e32 v34, 14
	v_mov_b32_e32 v41, s61
	v_mov_b32_e32 v42, s60
	s_movk_i32 s61, 0x3f80
	v_mov_b32_e32 v33, 0xffff
	v_mov_b32_e32 v35, 0x8000
	v_mov_b32_e32 v36, -1
	v_mov_b32_e32 v37, 0xc00
	v_mov_b32_e32 v38, 0x5040100
	;; [unrolled: 1-line block ×3, first 2 shown]
	v_writelane_b32 v56, s20, 40
	s_mov_b32 s16, s20
	v_mov_b32_e32 v29, 0
	v_mov_b32_e32 v39, 0
                                        ; implicit-def: $sgpr94_sgpr95
                                        ; implicit-def: $sgpr98_sgpr99
                                        ; implicit-def: $sgpr96_sgpr97
                                        ; implicit-def: $sgpr64_sgpr65
	v_writelane_b32 v56, s21, 41
                                        ; implicit-def: $sgpr68_sgpr69
                                        ; implicit-def: $sgpr66_sgpr67
	s_branch .LBB65_7
.LBB65_4:                               ;   in Loop: Header=BB65_7 Depth=1
	s_or_b64 exec, exec, s[30:31]
	s_and_b64 s[30:31], s[28:29], exec
	s_andn2_b64 s[26:27], s[26:27], exec
	s_andn2_b64 s[24:25], s[24:25], exec
	s_orn2_b64 s[20:21], s[20:21], exec
.LBB65_5:                               ;   in Loop: Header=BB65_7 Depth=1
	s_or_b64 exec, exec, s[22:23]
	s_andn2_b64 s[16:17], s[66:67], exec
	s_and_b64 s[22:23], s[30:31], exec
	s_or_b64 s[66:67], s[16:17], s[22:23]
	s_andn2_b64 s[16:17], s[68:69], exec
	s_and_b64 s[22:23], s[26:27], exec
	s_or_b64 s[68:69], s[16:17], s[22:23]
	s_andn2_b64 s[16:17], s[64:65], exec
	s_and_b64 s[22:23], s[24:25], exec
	s_or_b64 s[64:65], s[16:17], s[22:23]
	s_orn2_b64 s[20:21], s[20:21], exec
.LBB65_6:                               ;   in Loop: Header=BB65_7 Depth=1
	s_or_b64 exec, exec, s[2:3]
	s_and_b64 s[2:3], exec, s[20:21]
	s_or_b64 s[92:93], s[2:3], s[92:93]
	s_andn2_b64 s[2:3], s[96:97], exec
	s_and_b64 s[16:17], s[66:67], exec
	s_or_b64 s[96:97], s[2:3], s[16:17]
	s_andn2_b64 s[2:3], s[98:99], exec
	s_and_b64 s[16:17], s[68:69], exec
	;; [unrolled: 3-line block ×3, first 2 shown]
	s_or_b64 s[94:95], s[2:3], s[16:17]
	s_mov_b32 s16, s6
	v_mov_b32_e32 v41, v16
	s_andn2_b64 exec, exec, s[92:93]
	s_cbranch_execz .LBB65_233
.LBB65_7:                               ; =>This Loop Header: Depth=1
                                        ;     Child Loop BB65_12 Depth 2
                                        ;     Child Loop BB65_27 Depth 2
                                        ;     Child Loop BB65_59 Depth 2
                                        ;     Child Loop BB65_63 Depth 2
                                        ;     Child Loop BB65_48 Depth 2
                                        ;     Child Loop BB65_53 Depth 2
                                        ;     Child Loop BB65_43 Depth 2
                                        ;     Child Loop BB65_72 Depth 2
                                        ;     Child Loop BB65_75 Depth 2
                                        ;     Child Loop BB65_85 Depth 2
                                        ;     Child Loop BB65_96 Depth 2
                                        ;     Child Loop BB65_122 Depth 2
                                        ;     Child Loop BB65_133 Depth 2
                                        ;     Child Loop BB65_159 Depth 2
                                        ;     Child Loop BB65_170 Depth 2
                                        ;     Child Loop BB65_196 Depth 2
                                        ;     Child Loop BB65_207 Depth 2
	ds_read_b64 v[2:3], v9 offset:4096
	s_waitcnt lgkmcnt(0)
	v_readfirstlane_b32 s17, v2
	s_cmp_gt_i32 s17, 0
	s_cbranch_scc1 .LBB65_34
; %bb.8:                                ;   in Loop: Header=BB65_7 Depth=1
	s_and_b64 vcc, exec, s[78:79]
	s_cbranch_vccz .LBB65_20
; %bb.9:                                ;   in Loop: Header=BB65_7 Depth=1
	s_movk_i32 s2, 0x601
	v_cmp_gt_i32_e32 vcc, s2, v3
	s_mov_b64 s[20:21], 0
	s_mov_b64 s[2:3], 0
	s_cbranch_vccz .LBB65_21
; %bb.10:                               ;   in Loop: Header=BB65_7 Depth=1
	v_readlane_b32 s2, v56, 24
	v_readlane_b32 s3, v56, 25
	s_nop 4
	global_load_ushort v2, v9, s[2:3]
	global_load_ushort v4, v[10:11], off
	s_mov_b64 s[22:23], 0
	s_waitcnt vmcnt(1)
	v_add_u32_e32 v5, v0, v2
	v_mul_lo_u32 v3, s63, v2
	v_mul_lo_u32 v8, s63, v5
	v_mov_b32_e32 v5, v0
	s_branch .LBB65_12
.LBB65_11:                              ;   in Loop: Header=BB65_12 Depth=2
	s_or_b64 exec, exec, s[2:3]
	v_cmp_le_i32_e32 vcc, s60, v5
	v_add_u32_e32 v8, v8, v3
	s_or_b64 s[22:23], vcc, s[22:23]
	v_mov_b32_e32 v4, v16
	s_andn2_b64 exec, exec, s[22:23]
	s_cbranch_execz .LBB65_66
.LBB65_12:                              ;   Parent Loop BB65_7 Depth=1
                                        ; =>  This Inner Loop Header: Depth=2
	v_add_u32_e32 v5, v5, v2
	v_cmp_gt_u32_e32 vcc, s60, v5
	s_waitcnt lgkmcnt(0)
	v_mov_b32_e32 v17, 0
	v_mov_b32_e32 v16, 0
	s_and_saveexec_b64 s[2:3], vcc
	s_cbranch_execz .LBB65_14
; %bb.13:                               ;   in Loop: Header=BB65_12 Depth=2
	v_lshl_add_u64 v[18:19], v[8:9], 1, s[72:73]
	global_load_ushort v16, v[18:19], off
.LBB65_14:                              ;   in Loop: Header=BB65_12 Depth=2
	s_or_b64 exec, exec, s[2:3]
	s_waitcnt vmcnt(0)
	v_cmp_lt_i16_e32 vcc, -1, v4
	v_lshlrev_b32_e32 v19, 16, v4
	s_nop 0
	v_cndmask_b32_e32 v18, v33, v35, vcc
	v_xor_b32_sdwa v18, v18, v4 dst_sel:DWORD dst_unused:UNUSED_PAD src0_sel:DWORD src1_sel:WORD_0
	v_cmp_o_f32_e32 vcc, v19, v19
	s_nop 1
	v_cndmask_b32_e32 v18, v33, v18, vcc
	v_and_b32_e32 v18, v18, v39
	v_cmp_eq_u32_e32 vcc, v18, v29
	s_cmp_lg_u64 vcc, 0
	s_cselect_b64 s[2:3], -1, 0
	s_and_b64 s[2:3], s[18:19], s[2:3]
	s_and_saveexec_b64 s[24:25], s[2:3]
	s_cbranch_execz .LBB65_18
; %bb.15:                               ;   in Loop: Header=BB65_12 Depth=2
	s_mov_b64 s[28:29], exec
	v_mbcnt_lo_u32_b32 v17, s28, 0
	v_mbcnt_hi_u32_b32 v17, s29, v17
	s_bcnt1_i32_b64 s6, vcc
	v_cmp_eq_u32_e64 s[2:3], 0, v17
                                        ; implicit-def: $vgpr18
	s_and_saveexec_b64 s[26:27], s[2:3]
; %bb.16:                               ;   in Loop: Header=BB65_12 Depth=2
	s_bcnt1_i32_b64 s2, s[28:29]
	s_mul_i32 s2, s6, s2
	v_mov_b32_e32 v18, s2
	ds_add_rtn_u32 v18, v9, v18 offset:4104
; %bb.17:                               ;   in Loop: Header=BB65_12 Depth=2
	s_or_b64 exec, exec, s[26:27]
	s_waitcnt lgkmcnt(0)
	v_readfirstlane_b32 s2, v18
	s_nop 1
	v_mov_b32_e32 v18, s2
	v_mad_u32_u24 v17, s6, v17, v18
.LBB65_18:                              ;   in Loop: Header=BB65_12 Depth=2
	s_or_b64 exec, exec, s[24:25]
	ds_bpermute_b32 v17, v7, v17
	s_and_saveexec_b64 s[2:3], vcc
	s_cbranch_execz .LBB65_11
; %bb.19:                               ;   in Loop: Header=BB65_12 Depth=2
	v_and_b32_e32 v19, vcc_lo, v12
	v_and_b32_e32 v18, vcc_hi, v1
	v_bcnt_u32_b32 v19, v19, 0
	v_bcnt_u32_b32 v18, v18, v19
	v_lshlrev_b32_e32 v18, 1, v18
	s_waitcnt lgkmcnt(0)
	v_lshl_add_u32 v17, v17, 1, v18
	ds_write_b16 v17, v4
	s_branch .LBB65_11
.LBB65_20:                              ;   in Loop: Header=BB65_7 Depth=1
	s_mov_b64 s[20:21], -1
	s_mov_b64 s[2:3], 0
.LBB65_21:                              ;   in Loop: Header=BB65_7 Depth=1
	s_and_b64 vcc, exec, s[20:21]
	s_cbranch_vccz .LBB65_32
.LBB65_22:                              ;   in Loop: Header=BB65_7 Depth=1
	v_mov_b32_e32 v2, 0
	s_mov_b64 s[2:3], exec
	v_readlane_b32 s20, v56, 20
	v_readlane_b32 s21, v56, 21
	s_and_b64 s[20:21], s[2:3], s[20:21]
	s_mov_b64 exec, s[20:21]
	s_cbranch_execz .LBB65_24
; %bb.23:                               ;   in Loop: Header=BB65_7 Depth=1
	global_load_ushort v2, v[10:11], off
.LBB65_24:                              ;   in Loop: Header=BB65_7 Depth=1
	s_or_b64 exec, exec, s[2:3]
	s_mov_b64 s[2:3], exec
	v_readlane_b32 s20, v56, 22
	v_readlane_b32 s21, v56, 23
	s_and_b64 s[20:21], s[2:3], s[20:21]
	s_mov_b64 exec, s[20:21]
	s_cbranch_execz .LBB65_29
; %bb.25:                               ;   in Loop: Header=BB65_7 Depth=1
	v_readlane_b32 s20, v56, 24
	v_readlane_b32 s21, v56, 25
	v_mov_b32_e32 v4, v21
	v_mov_b32_e32 v17, v0
	s_nop 2
	global_load_ushort v3, v9, s[20:21]
	s_mov_b64 s[20:21], 0
	s_waitcnt vmcnt(0)
	v_add_u32_e32 v8, v0, v3
	v_lshlrev_b32_e32 v5, 1, v3
	v_mul_lo_u32 v16, s63, v3
	v_mul_lo_u32 v8, s63, v8
	s_branch .LBB65_27
.LBB65_26:                              ;   in Loop: Header=BB65_27 Depth=2
	s_or_b64 exec, exec, s[22:23]
	v_cmp_le_i32_e32 vcc, s60, v17
	ds_write_b16 v4, v2
	v_add_u32_e32 v4, v4, v5
	v_add_u32_e32 v8, v8, v16
	s_or_b64 s[20:21], vcc, s[20:21]
	s_waitcnt vmcnt(0)
	v_mov_b32_e32 v2, v18
	s_andn2_b64 exec, exec, s[20:21]
	s_cbranch_execz .LBB65_29
.LBB65_27:                              ;   Parent Loop BB65_7 Depth=1
                                        ; =>  This Inner Loop Header: Depth=2
	v_add_u32_e32 v17, v17, v3
	v_cmp_gt_u32_e32 vcc, s60, v17
	v_mov_b32_e32 v18, 0
	s_and_saveexec_b64 s[22:23], vcc
	s_cbranch_execz .LBB65_26
; %bb.28:                               ;   in Loop: Header=BB65_27 Depth=2
	v_lshl_add_u64 v[18:19], v[8:9], 1, s[72:73]
	global_load_ushort v18, v[18:19], off
	s_branch .LBB65_26
.LBB65_29:                              ;   in Loop: Header=BB65_7 Depth=1
	s_or_b64 exec, exec, s[2:3]
	s_waitcnt lgkmcnt(0)
	s_barrier
	s_and_saveexec_b64 s[2:3], s[0:1]
; %bb.30:                               ;   in Loop: Header=BB65_7 Depth=1
	ds_write_b32 v9, v42 offset:4096
; %bb.31:                               ;   in Loop: Header=BB65_7 Depth=1
	s_or_b64 exec, exec, s[2:3]
	s_mov_b64 s[2:3], -1
	s_waitcnt lgkmcnt(0)
	s_barrier
.LBB65_32:                              ;   in Loop: Header=BB65_7 Depth=1
	s_and_b64 vcc, exec, s[2:3]
	s_cbranch_vccz .LBB65_34
; %bb.33:                               ;   in Loop: Header=BB65_7 Depth=1
	s_waitcnt vmcnt(0)
	ds_read_b32 v2, v9 offset:4096
	s_waitcnt lgkmcnt(0)
	v_readfirstlane_b32 s17, v2
.LBB65_34:                              ;   in Loop: Header=BB65_7 Depth=1
	s_cmp_lt_i32 s17, 1
	s_mov_b64 s[2:3], -1
                                        ; implicit-def: $vgpr4_vgpr5
	s_cbranch_scc1 .LBB65_44
; %bb.35:                               ;   in Loop: Header=BB65_7 Depth=1
	s_and_b64 vcc, exec, s[2:3]
	s_cbranch_vccnz .LBB65_57
.LBB65_36:                              ;   in Loop: Header=BB65_7 Depth=1
	s_lshl_b32 s6, s16, 6
	s_and_saveexec_b64 s[2:3], s[18:19]
	s_cbranch_execz .LBB65_38
.LBB65_37:                              ;   in Loop: Header=BB65_7 Depth=1
	v_lshl_add_u32 v8, s6, 2, v23
	s_waitcnt vmcnt(0)
	ds_write_b128 v8, v[2:5]
.LBB65_38:                              ;   in Loop: Header=BB65_7 Depth=1
	s_or_b64 exec, exec, s[2:3]
	s_waitcnt lgkmcnt(0)
	s_barrier
	s_and_saveexec_b64 s[2:3], s[76:77]
	s_cbranch_execz .LBB65_77
; %bb.39:                               ;   in Loop: Header=BB65_7 Depth=1
	v_add_u32_e32 v4, s6, v20
	s_andn2_b64 vcc, exec, s[80:81]
	s_waitcnt vmcnt(0)
	v_mov_b32_e32 v2, 0
	s_cbranch_vccnz .LBB65_76
; %bb.40:                               ;   in Loop: Header=BB65_7 Depth=1
	v_readlane_b32 s20, v56, 26
	v_readlane_b32 s21, v56, 27
	s_andn2_b64 vcc, exec, s[20:21]
	s_cbranch_vccnz .LBB65_69
; %bb.41:                               ;   in Loop: Header=BB65_7 Depth=1
	v_readlane_b32 s20, v56, 28
	v_readlane_b32 s21, v56, 29
	s_andn2_b64 vcc, exec, s[20:21]
	v_lshl_add_u32 v5, v4, 2, v37
	s_cbranch_vccnz .LBB65_70
; %bb.42:                               ;   in Loop: Header=BB65_7 Depth=1
	s_mov_b32 s21, 1
	s_mov_b32 s20, 0
	v_mov_b32_e32 v2, 0
	v_mov_b32_e32 v3, 0
	v_readlane_b32 s17, v56, 30
.LBB65_43:                              ;   Parent Loop BB65_7 Depth=1
                                        ; =>  This Inner Loop Header: Depth=2
	v_lshl_add_u32 v8, s20, 4, v5
	v_lshl_add_u32 v43, s21, 4, v5
	ds_read2_b32 v[16:17], v8 offset1:8
	ds_read2_b32 v[18:19], v43 offset1:8
	ds_read2_b32 v[44:45], v8 offset0:16 offset1:24
	ds_read2_b32 v[46:47], v43 offset0:16 offset1:24
	;; [unrolled: 1-line block ×6, first 2 shown]
	s_waitcnt lgkmcnt(7)
	v_add3_u32 v2, v16, v2, v17
	s_waitcnt lgkmcnt(6)
	v_add3_u32 v3, v18, v3, v19
	;; [unrolled: 2-line block ×3, first 2 shown]
	v_add3_u32 v2, v44, v2, v45
	s_add_i32 s21, s21, 16
	s_add_i32 s20, s20, 16
	s_add_i32 s17, s17, -8
	s_waitcnt lgkmcnt(3)
	v_add3_u32 v2, v48, v2, v49
	s_waitcnt lgkmcnt(2)
	v_add3_u32 v3, v50, v3, v51
	s_cmp_lg_u32 s17, 0
	s_waitcnt lgkmcnt(0)
	v_add3_u32 v3, v54, v3, v55
	v_add3_u32 v2, v52, v2, v53
	s_cbranch_scc1 .LBB65_43
	s_branch .LBB65_71
.LBB65_44:                              ;   in Loop: Header=BB65_7 Depth=1
	v_mov_b32_e32 v8, v9
	v_mov_b64_e32 v[4:5], v[8:9]
	s_waitcnt vmcnt(0)
	v_mov_b64_e32 v[2:3], v[8:9]
	s_and_saveexec_b64 s[70:71], s[10:11]
	s_cbranch_execnz .LBB65_47
; %bb.45:                               ;   in Loop: Header=BB65_7 Depth=1
	s_or_b64 exec, exec, s[70:71]
	v_mov_b32_e32 v18, 0
	s_and_saveexec_b64 s[2:3], s[12:13]
	s_cbranch_execnz .LBB65_50
.LBB65_46:                              ;   in Loop: Header=BB65_7 Depth=1
	s_or_b64 exec, exec, s[2:3]
	s_and_saveexec_b64 s[20:21], s[14:15]
	s_cbranch_execnz .LBB65_51
	s_branch .LBB65_56
.LBB65_47:                              ;   in Loop: Header=BB65_7 Depth=1
	s_mov_b32 s6, 0
	s_mov_b64 s[86:87], 0
	v_mov_b32_e32 v8, v13
	s_mov_b32 s88, 0
	s_mov_b32 s89, s6
	s_mov_b32 s90, 0
	s_mov_b32 s91, s6
.LBB65_48:                              ;   Parent Loop BB65_7 Depth=1
                                        ; =>  This Inner Loop Header: Depth=2
	v_add_u32_e32 v2, s6, v28
	v_add_u32_e32 v4, s6, v25
	;; [unrolled: 1-line block ×4, first 2 shown]
	v_ashrrev_i32_e32 v3, 31, v2
	v_ashrrev_i32_e32 v5, 31, v4
	;; [unrolled: 1-line block ×4, first 2 shown]
	v_lshl_add_u64 v[2:3], v[2:3], 1, s[72:73]
	v_lshl_add_u64 v[4:5], v[4:5], 1, s[72:73]
	;; [unrolled: 1-line block ×4, first 2 shown]
	global_load_ushort v2, v[2:3], off
	s_nop 0
	global_load_ushort v3, v[4:5], off
	s_nop 0
	global_load_ushort v4, v[16:17], off
	global_load_ushort v5, v[18:19], off
	v_add_u32_e32 v8, s33, v8
	s_add_i32 s6, s6, s85
	v_cmp_le_i32_e32 vcc, s8, v8
	s_waitcnt vmcnt(3)
	v_cmp_lt_i16_e64 s[2:3], -1, v2
	s_nop 1
	v_cndmask_b32_e64 v43, v33, v35, s[2:3]
	s_waitcnt vmcnt(2)
	v_cmp_lt_i16_e64 s[2:3], -1, v3
	v_lshlrev_b32_e32 v16, 16, v2
	v_lshlrev_b32_e32 v17, 16, v3
	v_cndmask_b32_e64 v44, v33, v35, s[2:3]
	s_waitcnt vmcnt(1)
	v_cmp_lt_i16_e64 s[2:3], -1, v4
	v_xor_b32_sdwa v2, v43, v2 dst_sel:DWORD dst_unused:UNUSED_PAD src0_sel:DWORD src1_sel:WORD_0
	v_cmp_o_f32_e64 s[24:25], v16, v16
	v_cndmask_b32_e64 v45, v33, v35, s[2:3]
	s_waitcnt vmcnt(0)
	v_cmp_lt_i16_e64 s[2:3], -1, v5
	v_lshlrev_b32_e32 v18, 16, v4
	v_xor_b32_sdwa v3, v44, v3 dst_sel:DWORD dst_unused:UNUSED_PAD src0_sel:DWORD src1_sel:WORD_0
	v_cndmask_b32_e64 v46, v33, v35, s[2:3]
	v_cmp_o_f32_e64 s[2:3], v17, v17
	v_cndmask_b32_e64 v2, v33, v2, s[24:25]
	v_lshlrev_b32_e32 v19, 16, v5
	v_xor_b32_sdwa v4, v45, v4 dst_sel:DWORD dst_unused:UNUSED_PAD src0_sel:DWORD src1_sel:WORD_0
	v_cmp_o_f32_e64 s[20:21], v18, v18
	v_cndmask_b32_e64 v3, v33, v3, s[2:3]
	v_and_b32_e32 v16, v2, v39
	v_bfe_u32 v2, v2, v34, 2
	v_xor_b32_sdwa v5, v46, v5 dst_sel:DWORD dst_unused:UNUSED_PAD src0_sel:DWORD src1_sel:WORD_0
	v_cmp_o_f32_e64 s[22:23], v19, v19
	v_cndmask_b32_e64 v4, v33, v4, s[20:21]
	v_and_b32_e32 v17, v3, v39
	v_bfe_u32 v3, v3, v34, 2
	v_cmp_eq_u32_e64 s[2:3], v16, v29
	v_cmp_eq_u32_e64 s[26:27], 0, v2
	v_cndmask_b32_e64 v5, v33, v5, s[22:23]
	v_and_b32_e32 v18, v4, v39
	v_bfe_u32 v4, v4, v34, 2
	v_cmp_eq_u32_e64 s[20:21], v17, v29
	v_cmp_eq_u32_e64 s[28:29], 0, v3
	s_and_b64 s[26:27], s[2:3], s[26:27]
	v_and_b32_e32 v19, v5, v39
	v_bfe_u32 v5, v5, v34, 2
	v_cmp_eq_u32_e64 s[22:23], v18, v29
	v_cmp_eq_u32_e64 s[30:31], 0, v4
	;; [unrolled: 1-line block ×5, first 2 shown]
	v_cndmask_b32_e64 v2, 0, 1, s[26:27]
	s_and_b64 s[26:27], s[20:21], s[28:29]
	v_cmp_eq_u32_e64 s[24:25], v19, v29
	v_cmp_eq_u32_e64 s[34:35], 0, v5
	;; [unrolled: 1-line block ×5, first 2 shown]
	v_cndmask_b32_e64 v3, 0, 1, s[26:27]
	s_and_b64 s[26:27], s[22:23], s[30:31]
	v_cmp_eq_u32_e64 s[40:41], 1, v4
	v_cmp_eq_u32_e64 s[48:49], 2, v4
	;; [unrolled: 1-line block ×3, first 2 shown]
	v_cndmask_b32_e64 v4, 0, 1, s[26:27]
	s_and_b64 s[26:27], s[24:25], s[34:35]
	v_cmp_eq_u32_e64 s[42:43], 1, v5
	v_cmp_eq_u32_e64 s[50:51], 2, v5
	;; [unrolled: 1-line block ×3, first 2 shown]
	v_cndmask_b32_e64 v5, 0, 1, s[26:27]
	s_and_b64 s[26:27], s[2:3], s[36:37]
	v_cndmask_b32_e64 v16, 0, 1, s[26:27]
	s_and_b64 s[26:27], s[20:21], s[38:39]
	;; [unrolled: 2-line block ×5, first 2 shown]
	s_and_b64 s[2:3], s[2:3], s[52:53]
	v_cndmask_b32_e64 v43, 0, 1, s[26:27]
	s_and_b64 s[26:27], s[20:21], s[46:47]
	v_cndmask_b32_e64 v47, 0, 1, s[2:3]
	s_and_b64 s[2:3], s[20:21], s[54:55]
	v_cndmask_b32_e64 v44, 0, 1, s[26:27]
	s_and_b64 s[26:27], s[22:23], s[48:49]
	v_cndmask_b32_e64 v48, 0, 1, s[2:3]
	s_and_b64 s[2:3], s[22:23], s[56:57]
	v_cndmask_b32_e64 v45, 0, 1, s[26:27]
	s_and_b64 s[26:27], s[24:25], s[50:51]
	v_cndmask_b32_e64 v49, 0, 1, s[2:3]
	s_and_b64 s[2:3], s[24:25], s[58:59]
	v_cndmask_b32_e64 v46, 0, 1, s[26:27]
	v_cndmask_b32_e64 v50, 0, 1, s[2:3]
	v_cmp_ne_u32_e64 s[2:3], 0, v2
	v_cmp_ne_u32_e64 s[20:21], 0, v3
	;; [unrolled: 1-line block ×11, first 2 shown]
	s_bcnt1_i32_b64 s2, s[2:3]
	s_bcnt1_i32_b64 s3, s[20:21]
	;; [unrolled: 1-line block ×8, first 2 shown]
	v_cmp_ne_u32_e64 s[34:35], 0, v19
	v_cmp_ne_u32_e64 s[40:41], 0, v45
	;; [unrolled: 1-line block ×3, first 2 shown]
	s_bcnt1_i32_b64 s23, s[28:29]
	s_bcnt1_i32_b64 s27, s[38:39]
	;; [unrolled: 1-line block ×3, first 2 shown]
	s_add_i32 s2, s88, s2
	s_add_i32 s22, s89, s22
	;; [unrolled: 1-line block ×4, first 2 shown]
	v_cmp_ne_u32_e64 s[42:43], 0, v46
	v_cmp_ne_u32_e64 s[50:51], 0, v50
	s_bcnt1_i32_b64 s25, s[34:35]
	s_bcnt1_i32_b64 s28, s[40:41]
	;; [unrolled: 1-line block ×3, first 2 shown]
	s_add_i32 s22, s22, s23
	s_add_i32 s2, s2, s3
	;; [unrolled: 1-line block ×4, first 2 shown]
	s_bcnt1_i32_b64 s29, s[42:43]
	s_bcnt1_i32_b64 s35, s[50:51]
	s_add_i32 s2, s2, s20
	s_add_i32 s20, s22, s24
	;; [unrolled: 1-line block ×8, first 2 shown]
	s_or_b64 s[86:87], vcc, s[86:87]
	v_mov_b64_e32 v[2:3], s[88:89]
	v_mov_b64_e32 v[4:5], s[90:91]
	s_andn2_b64 exec, exec, s[86:87]
	s_cbranch_execnz .LBB65_48
; %bb.49:                               ;   in Loop: Header=BB65_7 Depth=1
	s_or_b64 exec, exec, s[86:87]
	s_or_b64 exec, exec, s[70:71]
	v_mov_b32_e32 v18, 0
	s_and_saveexec_b64 s[2:3], s[12:13]
	s_cbranch_execz .LBB65_46
.LBB65_50:                              ;   in Loop: Header=BB65_7 Depth=1
	global_load_ushort v18, v[14:15], off
	s_or_b64 exec, exec, s[2:3]
	s_and_saveexec_b64 s[20:21], s[14:15]
	s_cbranch_execz .LBB65_56
.LBB65_51:                              ;   in Loop: Header=BB65_7 Depth=1
	s_mov_b64 s[22:23], 0
	v_mov_b32_e32 v16, v30
	v_mov_b32_e32 v8, v24
	s_branch .LBB65_53
.LBB65_52:                              ;   in Loop: Header=BB65_53 Depth=2
	s_or_b64 exec, exec, s[2:3]
	s_waitcnt vmcnt(0)
	v_cmp_lt_i16_e32 vcc, -1, v18
	v_lshlrev_b32_e32 v43, 16, v18
	v_add_u32_e32 v16, s74, v16
	v_cndmask_b32_e32 v19, v33, v35, vcc
	v_xor_b32_sdwa v18, v19, v18 dst_sel:DWORD dst_unused:UNUSED_PAD src0_sel:DWORD src1_sel:WORD_0
	v_cmp_o_f32_e32 vcc, v43, v43
	s_nop 1
	v_cndmask_b32_e32 v18, v33, v18, vcc
	v_and_b32_e32 v19, v18, v39
	v_bfe_u32 v18, v18, v34, 2
	v_cmp_eq_u32_e32 vcc, v19, v29
	v_cmp_eq_u32_e64 s[2:3], 0, v18
	s_and_b64 s[2:3], vcc, s[2:3]
	s_nop 0
	v_cndmask_b32_e64 v19, 0, 1, s[2:3]
	v_cmp_ne_u32_e64 s[2:3], 0, v19
	s_bcnt1_i32_b64 s6, s[2:3]
	v_cmp_eq_u32_e64 s[2:3], 1, v18
	s_and_b64 s[2:3], vcc, s[2:3]
	v_add_u32_e32 v2, s6, v2
	v_cndmask_b32_e64 v19, 0, 1, s[2:3]
	v_cmp_ne_u32_e64 s[2:3], 0, v19
	s_bcnt1_i32_b64 s2, s[2:3]
	s_nop 0
	v_add_u32_e32 v3, s2, v3
	v_cmp_eq_u32_e64 s[2:3], 2, v18
	s_and_b64 s[2:3], vcc, s[2:3]
	s_nop 0
	v_cndmask_b32_e64 v19, 0, 1, s[2:3]
	v_cmp_ne_u32_e64 s[2:3], 0, v19
	s_bcnt1_i32_b64 s6, s[2:3]
	v_cmp_eq_u32_e64 s[2:3], 3, v18
	s_and_b64 s[2:3], vcc, s[2:3]
	v_add_u32_e32 v4, s6, v4
	v_cndmask_b32_e64 v18, 0, 1, s[2:3]
	v_cmp_ne_u32_e32 vcc, 0, v18
	s_bcnt1_i32_b64 s2, vcc
	v_cmp_le_i32_e32 vcc, s60, v8
	v_add_u32_e32 v5, s2, v5
	s_or_b64 s[22:23], vcc, s[22:23]
	v_mov_b32_e32 v18, v17
	s_andn2_b64 exec, exec, s[22:23]
	s_cbranch_execz .LBB65_55
.LBB65_53:                              ;   Parent Loop BB65_7 Depth=1
                                        ; =>  This Inner Loop Header: Depth=2
	v_add_u32_e32 v8, s62, v8
	v_cmp_gt_u32_e32 vcc, s60, v8
	v_mov_b32_e32 v17, 0
	s_and_saveexec_b64 s[2:3], vcc
	s_cbranch_execz .LBB65_52
; %bb.54:                               ;   in Loop: Header=BB65_53 Depth=2
	v_ashrrev_i32_e32 v17, 31, v16
	v_lshl_add_u64 v[44:45], v[16:17], 1, s[72:73]
	global_load_ushort v17, v[44:45], off
	s_branch .LBB65_52
.LBB65_55:                              ;   in Loop: Header=BB65_7 Depth=1
	s_or_b64 exec, exec, s[22:23]
.LBB65_56:                              ;   in Loop: Header=BB65_7 Depth=1
	s_or_b64 exec, exec, s[20:21]
	s_branch .LBB65_36
.LBB65_57:                              ;   in Loop: Header=BB65_7 Depth=1
	s_mul_hi_u32 s2, s17, s7
	s_mul_i32 s2, s2, s33
	s_sub_i32 s2, s17, s2
	s_sub_i32 s3, s2, s33
	s_cmp_ge_u32 s2, s33
	s_cselect_b32 s2, s3, s2
	s_sub_i32 s3, s2, s33
	s_cmp_ge_u32 s2, s33
	s_cselect_b32 s2, s3, s2
	s_sub_i32 s6, s17, s2
	v_mov_b32_e32 v8, v9
	v_cmp_gt_u32_e32 vcc, s6, v13
	v_mov_b64_e32 v[4:5], v[8:9]
	s_waitcnt vmcnt(0)
	v_mov_b64_e32 v[2:3], v[8:9]
	s_and_saveexec_b64 s[70:71], vcc
	s_cbranch_execz .LBB65_61
; %bb.58:                               ;   in Loop: Header=BB65_7 Depth=1
	s_mov_b32 s88, 0
	s_mov_b64 s[86:87], 0
	v_mov_b32_e32 v8, v31
	v_mov_b32_e32 v16, v13
	s_mov_b32 s89, s88
	s_mov_b32 s90, s88
	;; [unrolled: 1-line block ×3, first 2 shown]
.LBB65_59:                              ;   Parent Loop BB65_7 Depth=1
                                        ; =>  This Inner Loop Header: Depth=2
	ds_read_b64 v[2:3], v8
	v_add_u32_e32 v16, s33, v16
	v_cmp_le_i32_e32 vcc, s6, v16
	v_add_u32_e32 v8, s82, v8
	s_waitcnt lgkmcnt(0)
	v_cmp_lt_i16_e64 s[2:3], -1, v2
	v_lshlrev_b32_e32 v4, 16, v2
	s_nop 0
	v_cndmask_b32_e64 v19, v33, v35, s[2:3]
	v_cmp_gt_i16_sdwa s[2:3], v2, v36 src0_sel:WORD_1 src1_sel:DWORD
	v_and_b32_e32 v5, 0xffff0000, v2
	v_cmp_o_f32_e64 s[24:25], v4, v4
	v_cndmask_b32_e64 v43, v33, v35, s[2:3]
	v_cmp_lt_i16_e64 s[2:3], -1, v3
	v_xor_b32_sdwa v43, v43, v2 dst_sel:DWORD dst_unused:UNUSED_PAD src0_sel:DWORD src1_sel:WORD_1
	v_bitop3_b32 v2, v19, v2, s75 bitop3:0x78
	v_cndmask_b32_e64 v44, v33, v35, s[2:3]
	v_cmp_gt_i16_sdwa s[2:3], v3, v36 src0_sel:WORD_1 src1_sel:DWORD
	v_lshlrev_b32_e32 v17, 16, v3
	v_cndmask_b32_e64 v2, v33, v2, s[24:25]
	v_cndmask_b32_e64 v45, v33, v35, s[2:3]
	v_cmp_o_f32_e64 s[2:3], v5, v5
	v_and_b32_e32 v18, 0xffff0000, v3
	v_bitop3_b32 v5, v44, v3, s75 bitop3:0x78
	v_cmp_o_f32_e64 s[20:21], v17, v17
	v_cndmask_b32_e64 v4, v33, v43, s[2:3]
	v_and_b32_e32 v17, v2, v39
	v_bfe_u32 v2, v2, v34, 2
	v_xor_b32_sdwa v3, v45, v3 dst_sel:DWORD dst_unused:UNUSED_PAD src0_sel:DWORD src1_sel:WORD_1
	v_cmp_o_f32_e64 s[22:23], v18, v18
	v_cndmask_b32_e64 v5, v33, v5, s[20:21]
	v_and_b32_e32 v18, v4, v39
	v_bfe_u32 v4, v4, v34, 2
	v_cmp_eq_u32_e64 s[2:3], v17, v29
	v_cmp_eq_u32_e64 s[26:27], 0, v2
	v_cndmask_b32_e64 v3, v33, v3, s[22:23]
	v_and_b32_e32 v19, v5, v39
	v_bfe_u32 v5, v5, v34, 2
	v_cmp_eq_u32_e64 s[20:21], v18, v29
	v_cmp_eq_u32_e64 s[28:29], 0, v4
	s_and_b64 s[26:27], s[2:3], s[26:27]
	v_and_b32_e32 v43, v3, v39
	v_bfe_u32 v3, v3, v34, 2
	v_cmp_eq_u32_e64 s[22:23], v19, v29
	v_cmp_eq_u32_e64 s[30:31], 0, v5
	;; [unrolled: 1-line block ×5, first 2 shown]
	v_cndmask_b32_e64 v2, 0, 1, s[26:27]
	s_and_b64 s[26:27], s[20:21], s[28:29]
	v_cmp_eq_u32_e64 s[24:25], v43, v29
	v_cmp_eq_u32_e64 s[34:35], 0, v3
	;; [unrolled: 1-line block ×5, first 2 shown]
	v_cndmask_b32_e64 v3, 0, 1, s[26:27]
	s_and_b64 s[26:27], s[22:23], s[30:31]
	v_cmp_eq_u32_e64 s[38:39], 1, v4
	v_cmp_eq_u32_e64 s[46:47], 2, v4
	;; [unrolled: 1-line block ×3, first 2 shown]
	v_cndmask_b32_e64 v4, 0, 1, s[26:27]
	s_and_b64 s[26:27], s[24:25], s[34:35]
	v_cmp_eq_u32_e64 s[40:41], 1, v5
	v_cmp_eq_u32_e64 s[48:49], 2, v5
	;; [unrolled: 1-line block ×3, first 2 shown]
	v_cndmask_b32_e64 v5, 0, 1, s[26:27]
	s_and_b64 s[26:27], s[2:3], s[36:37]
	v_cndmask_b32_e64 v17, 0, 1, s[26:27]
	s_and_b64 s[26:27], s[20:21], s[38:39]
	;; [unrolled: 2-line block ×5, first 2 shown]
	s_and_b64 s[2:3], s[2:3], s[52:53]
	v_cndmask_b32_e64 v44, 0, 1, s[26:27]
	s_and_b64 s[26:27], s[20:21], s[46:47]
	v_cndmask_b32_e64 v48, 0, 1, s[2:3]
	;; [unrolled: 2-line block ×7, first 2 shown]
	v_cndmask_b32_e64 v51, 0, 1, s[2:3]
	v_cmp_ne_u32_e64 s[2:3], 0, v2
	v_cmp_ne_u32_e64 s[20:21], 0, v3
	;; [unrolled: 1-line block ×11, first 2 shown]
	s_bcnt1_i32_b64 s2, s[2:3]
	s_bcnt1_i32_b64 s3, s[20:21]
	;; [unrolled: 1-line block ×8, first 2 shown]
	v_cmp_ne_u32_e64 s[34:35], 0, v43
	v_cmp_ne_u32_e64 s[40:41], 0, v46
	;; [unrolled: 1-line block ×3, first 2 shown]
	s_bcnt1_i32_b64 s23, s[28:29]
	s_bcnt1_i32_b64 s27, s[38:39]
	;; [unrolled: 1-line block ×3, first 2 shown]
	s_add_i32 s2, s88, s2
	s_add_i32 s22, s89, s22
	;; [unrolled: 1-line block ×4, first 2 shown]
	v_cmp_ne_u32_e64 s[42:43], 0, v47
	v_cmp_ne_u32_e64 s[50:51], 0, v51
	s_bcnt1_i32_b64 s25, s[34:35]
	s_bcnt1_i32_b64 s28, s[40:41]
	;; [unrolled: 1-line block ×3, first 2 shown]
	s_add_i32 s22, s22, s23
	s_add_i32 s2, s2, s3
	;; [unrolled: 1-line block ×4, first 2 shown]
	s_bcnt1_i32_b64 s29, s[42:43]
	s_bcnt1_i32_b64 s35, s[50:51]
	s_add_i32 s2, s2, s20
	s_add_i32 s20, s22, s24
	;; [unrolled: 1-line block ×8, first 2 shown]
	s_or_b64 s[86:87], vcc, s[86:87]
	v_mov_b64_e32 v[2:3], s[88:89]
	v_mov_b64_e32 v[4:5], s[90:91]
	s_andn2_b64 exec, exec, s[86:87]
	s_cbranch_execnz .LBB65_59
; %bb.60:                               ;   in Loop: Header=BB65_7 Depth=1
	s_or_b64 exec, exec, s[86:87]
.LBB65_61:                              ;   in Loop: Header=BB65_7 Depth=1
	s_or_b64 exec, exec, s[70:71]
	v_add_u32_e32 v8, s6, v0
	v_cmp_gt_i32_e32 vcc, s17, v8
	s_and_saveexec_b64 s[28:29], vcc
	s_cbranch_execz .LBB65_65
; %bb.62:                               ;   in Loop: Header=BB65_7 Depth=1
	v_lshlrev_b32_e32 v16, 1, v8
	s_mov_b64 s[30:31], 0
.LBB65_63:                              ;   Parent Loop BB65_7 Depth=1
                                        ; =>  This Inner Loop Header: Depth=2
	ds_read_u16 v17, v16
	v_add_u32_e32 v8, s62, v8
	v_cmp_le_i32_e32 vcc, s17, v8
	v_add_u32_e32 v16, s83, v16
	s_waitcnt lgkmcnt(0)
	v_cmp_lt_i16_e64 s[2:3], -1, v17
	v_lshlrev_b32_e32 v18, 16, v17
	s_nop 0
	v_cndmask_b32_e64 v19, v33, v35, s[2:3]
	v_xor_b32_sdwa v17, v19, v17 dst_sel:DWORD dst_unused:UNUSED_PAD src0_sel:DWORD src1_sel:WORD_0
	v_cmp_o_f32_e64 s[2:3], v18, v18
	s_nop 1
	v_cndmask_b32_e64 v17, v33, v17, s[2:3]
	v_and_b32_e32 v18, v17, v39
	v_bfe_u32 v17, v17, v34, 2
	v_cmp_eq_u32_e64 s[2:3], v18, v29
	v_cmp_eq_u32_e64 s[20:21], 0, v17
	;; [unrolled: 1-line block ×3, first 2 shown]
	s_and_b64 s[20:21], s[2:3], s[20:21]
	v_cmp_eq_u32_e64 s[24:25], 2, v17
	v_cmp_eq_u32_e64 s[26:27], 3, v17
	v_cndmask_b32_e64 v17, 0, 1, s[20:21]
	s_and_b64 s[20:21], s[2:3], s[22:23]
	v_cndmask_b32_e64 v18, 0, 1, s[20:21]
	s_and_b64 s[20:21], s[2:3], s[24:25]
	s_and_b64 s[2:3], s[2:3], s[26:27]
	v_cndmask_b32_e64 v19, 0, 1, s[20:21]
	v_cndmask_b32_e64 v43, 0, 1, s[2:3]
	v_cmp_ne_u32_e64 s[2:3], 0, v17
	v_cmp_ne_u32_e64 s[20:21], 0, v18
	;; [unrolled: 1-line block ×4, first 2 shown]
	s_bcnt1_i32_b64 s2, s[2:3]
	s_bcnt1_i32_b64 s3, s[20:21]
	;; [unrolled: 1-line block ×4, first 2 shown]
	v_add_u32_e32 v3, s3, v3
	v_add_u32_e32 v2, s2, v2
	;; [unrolled: 1-line block ×3, first 2 shown]
	s_or_b64 s[30:31], vcc, s[30:31]
	v_add_u32_e32 v4, s6, v4
	s_andn2_b64 exec, exec, s[30:31]
	s_cbranch_execnz .LBB65_63
; %bb.64:                               ;   in Loop: Header=BB65_7 Depth=1
	s_or_b64 exec, exec, s[30:31]
.LBB65_65:                              ;   in Loop: Header=BB65_7 Depth=1
	s_or_b64 exec, exec, s[28:29]
	s_lshl_b32 s6, s16, 6
	s_and_saveexec_b64 s[2:3], s[18:19]
	s_cbranch_execnz .LBB65_37
	s_branch .LBB65_38
.LBB65_66:                              ;   in Loop: Header=BB65_7 Depth=1
	s_or_b64 exec, exec, s[22:23]
	s_waitcnt lgkmcnt(0)
	s_barrier
	s_and_saveexec_b64 s[2:3], s[0:1]
	s_cbranch_execz .LBB65_68
; %bb.67:                               ;   in Loop: Header=BB65_7 Depth=1
	ds_read_b32 v2, v9 offset:4104
	s_waitcnt lgkmcnt(0)
	ds_write_b32 v9, v2 offset:4096
.LBB65_68:                              ;   in Loop: Header=BB65_7 Depth=1
	s_or_b64 exec, exec, s[2:3]
	s_waitcnt lgkmcnt(0)
	s_barrier
	s_mov_b64 s[2:3], -1
	s_and_b64 vcc, exec, s[20:21]
	s_cbranch_vccnz .LBB65_22
	s_branch .LBB65_32
.LBB65_69:                              ;   in Loop: Header=BB65_7 Depth=1
	v_mov_b32_e32 v2, 0
	s_mov_b32 s17, 0
	s_cbranch_execnz .LBB65_74
	s_branch .LBB65_76
.LBB65_70:                              ;   in Loop: Header=BB65_7 Depth=1
	v_mov_b32_e32 v8, v9
	v_readlane_b32 s20, v56, 40
	v_mov_b64_e32 v[2:3], v[8:9]
	v_readlane_b32 s21, v56, 41
.LBB65_71:                              ;   in Loop: Header=BB65_7 Depth=1
	v_readlane_b32 s22, v56, 32
	v_readlane_b32 s23, v56, 33
	s_andn2_b64 vcc, exec, s[22:23]
	v_readlane_b32 s17, v56, 31
	s_cbranch_vccnz .LBB65_73
.LBB65_72:                              ;   Parent Loop BB65_7 Depth=1
                                        ; =>  This Inner Loop Header: Depth=2
	v_lshl_add_u32 v8, s20, 4, v5
	v_lshl_add_u32 v16, s21, 4, v5
	ds_read_b32 v16, v16
	ds_read_b32 v8, v8
	s_add_i32 s21, s21, 2
	s_add_i32 s20, s20, 2
	s_add_i32 s17, s17, -1
	s_cmp_lg_u32 s17, 0
	s_waitcnt lgkmcnt(1)
	v_add_u32_e32 v3, v16, v3
	s_waitcnt lgkmcnt(0)
	v_add_u32_e32 v2, v8, v2
	s_cbranch_scc1 .LBB65_72
.LBB65_73:                              ;   in Loop: Header=BB65_7 Depth=1
	v_readlane_b32 s20, v56, 36
	v_add_u32_e32 v2, v2, v3
	v_readlane_b32 s17, v56, 35
	v_readlane_b32 s21, v56, 37
	s_and_b64 vcc, exec, s[20:21]
	s_cbranch_vccz .LBB65_76
.LBB65_74:                              ;   in Loop: Header=BB65_7 Depth=1
	s_lshl_b32 s20, s16, 8
	s_lshl_b32 s21, s17, 4
	s_add_i32 s20, s20, s21
	v_add_u32_e32 v3, s20, v32
	v_readlane_b32 s20, v56, 34
	s_sub_i32 s17, s20, s17
.LBB65_75:                              ;   Parent Loop BB65_7 Depth=1
                                        ; =>  This Inner Loop Header: Depth=2
	ds_read_b32 v5, v3
	s_add_i32 s17, s17, -1
	v_add_u32_e32 v3, 16, v3
	s_cmp_eq_u32 s17, 0
	s_waitcnt lgkmcnt(0)
	v_add_u32_e32 v2, v5, v2
	s_cbranch_scc0 .LBB65_75
.LBB65_76:                              ;   in Loop: Header=BB65_7 Depth=1
	v_lshlrev_b32_e32 v3, 2, v4
	ds_write_b32 v3, v2 offset:3072
.LBB65_77:                              ;   in Loop: Header=BB65_7 Depth=1
	s_or_b64 exec, exec, s[2:3]
	s_lshl_b32 s2, s6, 2
	s_waitcnt vmcnt(0)
	v_mov_b32_e32 v2, s2
	s_waitcnt lgkmcnt(0)
	s_barrier
	ds_read_b128 v[2:5], v2 offset:3072
	v_cmp_eq_u32_e32 vcc, 1, v41
	s_mov_b64 s[20:21], -1
	s_mov_b64 s[28:29], -1
                                        ; implicit-def: $sgpr26_sgpr27
                                        ; implicit-def: $sgpr24_sgpr25
	s_waitcnt lgkmcnt(0)
	v_readfirstlane_b32 s42, v2
	s_cmp_eq_u32 s42, 1
	v_readfirstlane_b32 s54, v4
	v_lshlrev_b32_e64 v4, v34, 3
	s_cselect_b64 s[2:3], -1, 0
	v_readfirstlane_b32 s46, v3
	v_readfirstlane_b32 s17, v5
	v_not_b32_e32 v8, v4
	s_and_b64 s[22:23], s[2:3], vcc
	s_and_saveexec_b64 s[2:3], s[22:23]
	s_cbranch_execz .LBB65_103
; %bb.78:                               ;   in Loop: Header=BB65_7 Depth=1
	ds_read_b32 v2, v9 offset:4096
	s_waitcnt lgkmcnt(0)
	s_barrier
	v_readfirstlane_b32 s6, v2
	s_and_saveexec_b64 s[24:25], s[4:5]
; %bb.79:                               ;   in Loop: Header=BB65_7 Depth=1
	ds_write_b16 v22, v9
; %bb.80:                               ;   in Loop: Header=BB65_7 Depth=1
	s_or_b64 exec, exec, s[24:25]
	v_and_b32_e32 v29, v29, v8
	v_or_b32_e32 v39, v39, v4
	s_mov_b64 s[24:25], -1
	s_mov_b64 s[26:27], 0
	s_cmp_lt_i32 s6, 1
	s_mov_b64 s[28:29], 0
	s_mov_b64 s[30:31], -1
	s_waitcnt lgkmcnt(0)
	s_barrier
                                        ; implicit-def: $vgpr40
	s_cbranch_scc0 .LBB65_91
; %bb.81:                               ;   in Loop: Header=BB65_7 Depth=1
	s_mov_b64 s[30:31], 0
                                        ; implicit-def: $vgpr40
	s_mov_b64 s[34:35], exec
	v_readlane_b32 s36, v56, 38
	v_readlane_b32 s37, v56, 39
	s_and_b64 s[36:37], s[34:35], s[36:37]
	s_mov_b64 exec, s[36:37]
	s_cbranch_execz .LBB65_90
; %bb.82:                               ;   in Loop: Header=BB65_7 Depth=1
	v_mov_b32_e32 v2, v6
	v_mov_b32_e32 v5, v0
                                        ; implicit-def: $sgpr36_sgpr37
	s_branch .LBB65_85
.LBB65_83:                              ;   in Loop: Header=BB65_85 Depth=2
	s_or_b64 exec, exec, s[38:39]
	s_waitcnt lgkmcnt(0)
	s_barrier
	ds_read_b32 v3, v9 offset:3072
	s_mov_b64 s[38:39], -1
	s_mov_b64 s[40:41], -1
	s_waitcnt lgkmcnt(0)
	s_barrier
	v_and_b32_e32 v16, 0x7fff, v3
	v_cmp_ne_u32_e32 vcc, 0, v16
	s_cbranch_vccz .LBB65_88
.LBB65_84:                              ;   in Loop: Header=BB65_85 Depth=2
	s_and_b64 s[38:39], exec, s[38:39]
	s_or_b64 s[28:29], s[38:39], s[28:29]
	s_andn2_b64 s[36:37], s[36:37], exec
	s_and_b64 s[38:39], s[40:41], exec
	s_or_b64 s[36:37], s[36:37], s[38:39]
	s_andn2_b64 exec, exec, s[28:29]
	s_cbranch_execz .LBB65_89
.LBB65_85:                              ;   Parent Loop BB65_7 Depth=1
                                        ; =>  This Inner Loop Header: Depth=2
	v_cmp_gt_i32_e32 vcc, s60, v5
	s_and_saveexec_b64 s[38:39], vcc
	s_cbranch_execz .LBB65_83
; %bb.86:                               ;   in Loop: Header=BB65_85 Depth=2
	v_ashrrev_i32_e32 v3, 31, v2
	v_lshl_add_u64 v[16:17], v[2:3], 1, s[72:73]
	global_load_ushort v3, v[16:17], off
	s_waitcnt vmcnt(0)
	v_cmp_lt_i16_e32 vcc, -1, v3
	v_lshlrev_b32_e32 v16, 16, v3
	s_nop 0
	v_cndmask_b32_e32 v17, v33, v35, vcc
	v_xor_b32_sdwa v17, v17, v3 dst_sel:DWORD dst_unused:UNUSED_PAD src0_sel:DWORD src1_sel:WORD_0
	v_cmp_o_f32_e32 vcc, v16, v16
	s_nop 1
	v_cndmask_b32_e32 v16, v33, v17, vcc
	v_and_b32_e32 v16, v16, v39
	v_cmp_eq_u32_e32 vcc, v16, v29
	s_and_b64 exec, exec, vcc
	s_cbranch_execz .LBB65_83
; %bb.87:                               ;   in Loop: Header=BB65_85 Depth=2
	v_perm_b32 v3, v3, s61, v38
	ds_write_b32 v9, v3 offset:3072
	s_branch .LBB65_83
.LBB65_88:                              ;   in Loop: Header=BB65_85 Depth=2
	v_add_u32_e32 v5, s62, v5
	v_cmp_le_i32_e32 vcc, s84, v5
	v_add_u32_e32 v2, s74, v2
	s_mov_b64 s[40:41], 0
	s_orn2_b64 s[38:39], vcc, exec
	s_branch .LBB65_84
.LBB65_89:                              ;   in Loop: Header=BB65_7 Depth=1
	s_or_b64 exec, exec, s[28:29]
	v_lshrrev_b32_e32 v40, 16, v3
	s_and_b64 s[28:29], s[36:37], exec
.LBB65_90:                              ;   in Loop: Header=BB65_7 Depth=1
	s_or_b64 exec, exec, s[34:35]
.LBB65_91:                              ;   in Loop: Header=BB65_7 Depth=1
	s_and_b64 vcc, exec, s[30:31]
	s_cbranch_vccz .LBB65_102
; %bb.92:                               ;   in Loop: Header=BB65_7 Depth=1
	v_readlane_b32 s24, v56, 19
	s_add_i32 s38, s6, s24
	s_abs_i32 s25, s38
	s_mul_hi_u32 s26, s25, s9
	s_mul_i32 s26, s26, s62
	s_sub_i32 s25, s25, s26
	s_ashr_i32 s24, s38, 31
	s_sub_i32 s26, s25, s62
	s_cmp_ge_u32 s25, s62
	s_cselect_b32 s25, s26, s25
	s_sub_i32 s26, s25, s62
	s_cmp_ge_u32 s25, s62
	s_cselect_b32 s25, s26, s25
	s_xor_b32 s25, s25, s24
	s_sub_i32 s24, s24, s25
	s_add_i32 s38, s38, s24
	v_cmp_gt_i32_e32 vcc, s38, v0
                                        ; implicit-def: $vgpr40
	s_and_saveexec_b64 s[24:25], vcc
	s_cbranch_execz .LBB65_101
; %bb.93:                               ;   in Loop: Header=BB65_7 Depth=1
	s_mov_b64 s[26:27], 0
	v_mov_b32_e32 v2, v21
	v_mov_b32_e32 v3, v0
                                        ; implicit-def: $sgpr30_sgpr31
	s_branch .LBB65_96
.LBB65_94:                              ;   in Loop: Header=BB65_96 Depth=2
	s_or_b64 exec, exec, s[34:35]
	s_waitcnt lgkmcnt(0)
	s_barrier
	ds_read_b32 v5, v9 offset:3072
	s_mov_b64 s[34:35], -1
	s_mov_b64 s[36:37], -1
	s_waitcnt lgkmcnt(0)
	s_barrier
	v_and_b32_e32 v16, 0x7fff, v5
	v_cmp_ne_u32_e32 vcc, 0, v16
	s_cbranch_vccz .LBB65_99
.LBB65_95:                              ;   in Loop: Header=BB65_96 Depth=2
	s_and_b64 s[34:35], exec, s[34:35]
	s_or_b64 s[26:27], s[34:35], s[26:27]
	s_andn2_b64 s[30:31], s[30:31], exec
	s_and_b64 s[34:35], s[36:37], exec
	s_or_b64 s[30:31], s[30:31], s[34:35]
	s_andn2_b64 exec, exec, s[26:27]
	s_cbranch_execz .LBB65_100
.LBB65_96:                              ;   Parent Loop BB65_7 Depth=1
                                        ; =>  This Inner Loop Header: Depth=2
	v_cmp_gt_i32_e32 vcc, s6, v3
	s_and_saveexec_b64 s[34:35], vcc
	s_cbranch_execz .LBB65_94
; %bb.97:                               ;   in Loop: Header=BB65_96 Depth=2
	ds_read_u16 v5, v2
	s_waitcnt lgkmcnt(0)
	v_cmp_lt_i16_e32 vcc, -1, v5
	v_lshlrev_b32_e32 v16, 16, v5
	s_nop 0
	v_cndmask_b32_e32 v17, v33, v35, vcc
	v_xor_b32_sdwa v17, v17, v5 dst_sel:DWORD dst_unused:UNUSED_PAD src0_sel:DWORD src1_sel:WORD_0
	v_cmp_o_f32_e32 vcc, v16, v16
	s_nop 1
	v_cndmask_b32_e32 v16, v33, v17, vcc
	v_and_b32_e32 v16, v16, v39
	v_cmp_eq_u32_e32 vcc, v16, v29
	s_and_b64 exec, exec, vcc
	s_cbranch_execz .LBB65_94
; %bb.98:                               ;   in Loop: Header=BB65_96 Depth=2
	v_perm_b32 v5, v5, s61, v38
	ds_write_b32 v9, v5 offset:3072
	s_branch .LBB65_94
.LBB65_99:                              ;   in Loop: Header=BB65_96 Depth=2
	v_add_u32_e32 v3, s62, v3
	v_cmp_le_i32_e32 vcc, s38, v3
	v_add_u32_e32 v2, s83, v2
	s_mov_b64 s[36:37], 0
	s_orn2_b64 s[34:35], vcc, exec
	s_branch .LBB65_95
.LBB65_100:                             ;   in Loop: Header=BB65_7 Depth=1
	s_or_b64 exec, exec, s[26:27]
	s_andn2_b64 s[26:27], s[28:29], exec
	s_and_b64 s[28:29], s[30:31], exec
	v_lshrrev_b32_e32 v40, 16, v5
	s_or_b64 s[28:29], s[26:27], s[28:29]
.LBB65_101:                             ;   in Loop: Header=BB65_7 Depth=1
	s_or_b64 exec, exec, s[24:25]
	s_mov_b64 s[24:25], 0
	s_mov_b64 s[26:27], -1
.LBB65_102:                             ;   in Loop: Header=BB65_7 Depth=1
	s_orn2_b64 s[28:29], s[28:29], exec
.LBB65_103:                             ;   in Loop: Header=BB65_7 Depth=1
	s_or_b64 exec, exec, s[2:3]
	s_andn2_b64 s[2:3], s[68:69], exec
	s_and_b64 s[26:27], s[26:27], exec
	s_or_b64 s[68:69], s[2:3], s[26:27]
	s_andn2_b64 s[2:3], s[64:65], exec
	s_and_b64 s[24:25], s[24:25], exec
	v_readfirstlane_b32 s6, v0
	s_andn2_b64 s[66:67], s[66:67], exec
	s_or_b64 s[64:65], s[2:3], s[24:25]
                                        ; implicit-def: $vgpr16
	s_and_saveexec_b64 s[2:3], s[28:29]
	s_cbranch_execz .LBB65_6
; %bb.104:                              ;   in Loop: Header=BB65_7 Depth=1
	s_xor_b64 s[24:25], s[22:23], -1
	s_mov_b64 s[22:23], 0
	v_mov_b32_e32 v16, 1
	v_mov_b32_e32 v5, 1
	s_and_saveexec_b64 s[20:21], s[24:25]
	s_cbranch_execz .LBB65_113
; %bb.105:                              ;   in Loop: Header=BB65_7 Depth=1
	v_cmp_ge_i32_e32 vcc, s42, v41
	s_and_saveexec_b64 s[22:23], vcc
	s_xor_b64 s[22:23], exec, s[22:23]
	s_cbranch_execz .LBB65_110
; %bb.106:                              ;   in Loop: Header=BB65_7 Depth=1
	ds_read_b32 v2, v9 offset:4096
	v_and_b32_e32 v29, v29, v8
	v_or_b32_e32 v39, v39, v4
	s_waitcnt lgkmcnt(0)
	v_cmp_ne_u32_e32 vcc, 0, v2
	s_cbranch_vccnz .LBB65_110
; %bb.107:                              ;   in Loop: Header=BB65_7 Depth=1
	s_and_saveexec_b64 s[24:25], s[0:1]
; %bb.108:                              ;   in Loop: Header=BB65_7 Depth=1
	v_mov_b32_e32 v2, s42
	ds_write_b32 v9, v2 offset:4100
; %bb.109:                              ;   in Loop: Header=BB65_7 Depth=1
	s_or_b64 exec, exec, s[24:25]
	s_waitcnt lgkmcnt(0)
	s_barrier
.LBB65_110:                             ;   in Loop: Header=BB65_7 Depth=1
	s_or_saveexec_b64 s[22:23], s[22:23]
	s_mov_b64 s[24:25], 0
	v_mov_b32_e32 v5, 8
	s_xor_b64 exec, exec, s[22:23]
; %bb.111:                              ;   in Loop: Header=BB65_7 Depth=1
	s_mov_b64 s[24:25], exec
	v_subrev_u32_e32 v41, s42, v41
	v_mov_b32_e32 v5, 0
; %bb.112:                              ;   in Loop: Header=BB65_7 Depth=1
	s_or_b64 exec, exec, s[22:23]
	s_and_b64 s[22:23], s[24:25], exec
	v_mov_b32_e32 v16, v41
.LBB65_113:                             ;   in Loop: Header=BB65_7 Depth=1
	s_or_b64 exec, exec, s[20:21]
	s_mov_b64 s[20:21], -1
	s_mov_b64 s[28:29], -1
                                        ; implicit-def: $sgpr24_sgpr25
                                        ; implicit-def: $sgpr26_sgpr27
	s_and_saveexec_b64 s[30:31], s[22:23]
	s_xor_b64 s[22:23], exec, s[30:31]
	s_cbranch_execz .LBB65_230
; %bb.114:                              ;   in Loop: Header=BB65_7 Depth=1
	s_cmp_eq_u32 s46, 1
	s_cselect_b64 s[24:25], -1, 0
	v_cmp_eq_u32_e32 vcc, 1, v16
	s_and_b64 s[30:31], s[24:25], vcc
	s_mov_b64 s[34:35], -1
                                        ; implicit-def: $sgpr26_sgpr27
                                        ; implicit-def: $sgpr24_sgpr25
	s_and_saveexec_b64 s[28:29], s[30:31]
	s_cbranch_execz .LBB65_140
; %bb.115:                              ;   in Loop: Header=BB65_7 Depth=1
	ds_read_b32 v2, v9 offset:4096
	s_waitcnt lgkmcnt(0)
	s_barrier
	v_readfirstlane_b32 s6, v2
	s_and_saveexec_b64 s[24:25], s[4:5]
; %bb.116:                              ;   in Loop: Header=BB65_7 Depth=1
	ds_write_b16 v22, v9
; %bb.117:                              ;   in Loop: Header=BB65_7 Depth=1
	s_or_b64 exec, exec, s[24:25]
	v_and_b32_e32 v2, v29, v8
	v_lshl_or_b32 v29, 1, v34, v2
	v_or_b32_e32 v39, v39, v4
	s_mov_b64 s[24:25], -1
	s_mov_b64 s[26:27], 0
	s_cmp_gt_i32 s6, 0
	s_mov_b64 s[34:35], 0
	s_mov_b64 s[36:37], -1
	s_waitcnt lgkmcnt(0)
	s_barrier
                                        ; implicit-def: $vgpr40
	s_cbranch_scc1 .LBB65_128
; %bb.118:                              ;   in Loop: Header=BB65_7 Depth=1
	s_mov_b64 s[36:37], 0
                                        ; implicit-def: $vgpr40
	s_mov_b64 s[38:39], exec
	v_readlane_b32 s40, v56, 38
	v_readlane_b32 s41, v56, 39
	s_and_b64 s[40:41], s[38:39], s[40:41]
	s_mov_b64 exec, s[40:41]
	s_cbranch_execz .LBB65_127
; %bb.119:                              ;   in Loop: Header=BB65_7 Depth=1
	v_mov_b32_e32 v2, v6
	v_mov_b32_e32 v17, v0
                                        ; implicit-def: $sgpr40_sgpr41
	s_branch .LBB65_122
.LBB65_120:                             ;   in Loop: Header=BB65_122 Depth=2
	s_or_b64 exec, exec, s[42:43]
	s_waitcnt lgkmcnt(0)
	s_barrier
	ds_read_b32 v3, v9 offset:3072
	s_mov_b64 s[42:43], -1
	s_mov_b64 s[44:45], -1
	s_waitcnt lgkmcnt(0)
	s_barrier
	v_and_b32_e32 v18, 0x7fff, v3
	v_cmp_ne_u32_e32 vcc, 0, v18
	s_cbranch_vccz .LBB65_125
.LBB65_121:                             ;   in Loop: Header=BB65_122 Depth=2
	s_and_b64 s[42:43], exec, s[42:43]
	s_or_b64 s[34:35], s[42:43], s[34:35]
	s_andn2_b64 s[40:41], s[40:41], exec
	s_and_b64 s[42:43], s[44:45], exec
	s_or_b64 s[40:41], s[40:41], s[42:43]
	s_andn2_b64 exec, exec, s[34:35]
	s_cbranch_execz .LBB65_126
.LBB65_122:                             ;   Parent Loop BB65_7 Depth=1
                                        ; =>  This Inner Loop Header: Depth=2
	v_cmp_gt_i32_e32 vcc, s60, v17
	s_and_saveexec_b64 s[42:43], vcc
	s_cbranch_execz .LBB65_120
; %bb.123:                              ;   in Loop: Header=BB65_122 Depth=2
	v_ashrrev_i32_e32 v3, 31, v2
	v_lshl_add_u64 v[18:19], v[2:3], 1, s[72:73]
	global_load_ushort v3, v[18:19], off
	s_waitcnt vmcnt(0)
	v_cmp_lt_i16_e32 vcc, -1, v3
	v_lshlrev_b32_e32 v18, 16, v3
	s_nop 0
	v_cndmask_b32_e32 v19, v33, v35, vcc
	v_xor_b32_sdwa v19, v19, v3 dst_sel:DWORD dst_unused:UNUSED_PAD src0_sel:DWORD src1_sel:WORD_0
	v_cmp_o_f32_e32 vcc, v18, v18
	s_nop 1
	v_cndmask_b32_e32 v18, v33, v19, vcc
	v_and_b32_e32 v18, v18, v39
	v_cmp_eq_u32_e32 vcc, v18, v29
	s_and_b64 exec, exec, vcc
	s_cbranch_execz .LBB65_120
; %bb.124:                              ;   in Loop: Header=BB65_122 Depth=2
	v_perm_b32 v3, v3, s61, v38
	ds_write_b32 v9, v3 offset:3072
	s_branch .LBB65_120
.LBB65_125:                             ;   in Loop: Header=BB65_122 Depth=2
	v_add_u32_e32 v17, s62, v17
	v_cmp_le_i32_e32 vcc, s84, v17
	v_add_u32_e32 v2, s74, v2
	s_mov_b64 s[44:45], 0
	s_orn2_b64 s[42:43], vcc, exec
	s_branch .LBB65_121
.LBB65_126:                             ;   in Loop: Header=BB65_7 Depth=1
	s_or_b64 exec, exec, s[34:35]
	v_lshrrev_b32_e32 v40, 16, v3
	s_and_b64 s[34:35], s[40:41], exec
.LBB65_127:                             ;   in Loop: Header=BB65_7 Depth=1
	s_or_b64 exec, exec, s[38:39]
.LBB65_128:                             ;   in Loop: Header=BB65_7 Depth=1
	s_and_b64 vcc, exec, s[36:37]
	s_cbranch_vccz .LBB65_139
; %bb.129:                              ;   in Loop: Header=BB65_7 Depth=1
	v_readlane_b32 s24, v56, 19
	s_add_i32 s42, s6, s24
	s_abs_i32 s25, s42
	s_mul_hi_u32 s26, s25, s9
	s_mul_i32 s26, s26, s62
	s_sub_i32 s25, s25, s26
	s_ashr_i32 s24, s42, 31
	s_sub_i32 s26, s25, s62
	s_cmp_ge_u32 s25, s62
	s_cselect_b32 s25, s26, s25
	s_sub_i32 s26, s25, s62
	s_cmp_ge_u32 s25, s62
	s_cselect_b32 s25, s26, s25
	s_xor_b32 s25, s25, s24
	s_sub_i32 s24, s24, s25
	s_add_i32 s42, s42, s24
	v_cmp_gt_i32_e32 vcc, s42, v0
                                        ; implicit-def: $vgpr40
	s_and_saveexec_b64 s[24:25], vcc
	s_cbranch_execz .LBB65_138
; %bb.130:                              ;   in Loop: Header=BB65_7 Depth=1
	s_mov_b64 s[26:27], 0
	v_mov_b32_e32 v2, v21
	v_mov_b32_e32 v3, v0
                                        ; implicit-def: $sgpr36_sgpr37
	s_branch .LBB65_133
.LBB65_131:                             ;   in Loop: Header=BB65_133 Depth=2
	s_or_b64 exec, exec, s[38:39]
	s_waitcnt lgkmcnt(0)
	s_barrier
	ds_read_b32 v17, v9 offset:3072
	s_mov_b64 s[38:39], -1
	s_mov_b64 s[40:41], -1
	s_waitcnt lgkmcnt(0)
	s_barrier
	v_and_b32_e32 v18, 0x7fff, v17
	v_cmp_eq_u32_e32 vcc, 0, v18
	s_cbranch_vccnz .LBB65_136
.LBB65_132:                             ;   in Loop: Header=BB65_133 Depth=2
	s_and_b64 s[38:39], exec, s[38:39]
	s_or_b64 s[26:27], s[38:39], s[26:27]
	s_andn2_b64 s[36:37], s[36:37], exec
	s_and_b64 s[38:39], s[40:41], exec
	s_or_b64 s[36:37], s[36:37], s[38:39]
	s_andn2_b64 exec, exec, s[26:27]
	s_cbranch_execz .LBB65_137
.LBB65_133:                             ;   Parent Loop BB65_7 Depth=1
                                        ; =>  This Inner Loop Header: Depth=2
	v_cmp_gt_i32_e32 vcc, s6, v3
	s_and_saveexec_b64 s[38:39], vcc
	s_cbranch_execz .LBB65_131
; %bb.134:                              ;   in Loop: Header=BB65_133 Depth=2
	ds_read_u16 v17, v2
	s_waitcnt lgkmcnt(0)
	v_cmp_lt_i16_e32 vcc, -1, v17
	v_lshlrev_b32_e32 v18, 16, v17
	s_nop 0
	v_cndmask_b32_e32 v19, v33, v35, vcc
	v_xor_b32_sdwa v19, v19, v17 dst_sel:DWORD dst_unused:UNUSED_PAD src0_sel:DWORD src1_sel:WORD_0
	v_cmp_o_f32_e32 vcc, v18, v18
	s_nop 1
	v_cndmask_b32_e32 v18, v33, v19, vcc
	v_and_b32_e32 v18, v18, v39
	v_cmp_eq_u32_e32 vcc, v18, v29
	s_and_b64 exec, exec, vcc
	s_cbranch_execz .LBB65_131
; %bb.135:                              ;   in Loop: Header=BB65_133 Depth=2
	v_perm_b32 v17, v17, s61, v38
	ds_write_b32 v9, v17 offset:3072
	s_branch .LBB65_131
.LBB65_136:                             ;   in Loop: Header=BB65_133 Depth=2
	v_add_u32_e32 v3, s62, v3
	v_cmp_le_i32_e32 vcc, s42, v3
	v_add_u32_e32 v2, s83, v2
	s_mov_b64 s[40:41], 0
	s_orn2_b64 s[38:39], vcc, exec
	s_branch .LBB65_132
.LBB65_137:                             ;   in Loop: Header=BB65_7 Depth=1
	s_or_b64 exec, exec, s[26:27]
	s_andn2_b64 s[26:27], s[34:35], exec
	s_and_b64 s[34:35], s[36:37], exec
	v_lshrrev_b32_e32 v40, 16, v17
	s_or_b64 s[34:35], s[26:27], s[34:35]
.LBB65_138:                             ;   in Loop: Header=BB65_7 Depth=1
	s_or_b64 exec, exec, s[24:25]
	s_mov_b64 s[24:25], 0
	s_mov_b64 s[26:27], -1
.LBB65_139:                             ;   in Loop: Header=BB65_7 Depth=1
	s_orn2_b64 s[34:35], s[34:35], exec
.LBB65_140:                             ;   in Loop: Header=BB65_7 Depth=1
	s_or_b64 exec, exec, s[28:29]
	s_mov_b64 s[36:37], 0
	s_and_saveexec_b64 s[28:29], s[34:35]
	s_cbranch_execz .LBB65_229
; %bb.141:                              ;   in Loop: Header=BB65_7 Depth=1
	s_xor_b64 s[34:35], s[30:31], -1
	s_mov_b64 s[40:41], 0
	v_mov_b32_e32 v17, 1
	v_mov_b32_e32 v5, 1
	s_and_saveexec_b64 s[30:31], s[34:35]
	s_cbranch_execz .LBB65_150
; %bb.142:                              ;   in Loop: Header=BB65_7 Depth=1
	v_cmp_ge_i32_e32 vcc, s46, v16
	s_and_saveexec_b64 s[34:35], vcc
	s_xor_b64 s[34:35], exec, s[34:35]
	s_cbranch_execz .LBB65_147
; %bb.143:                              ;   in Loop: Header=BB65_7 Depth=1
	ds_read_b32 v2, v9 offset:4096
	v_and_b32_e32 v3, v29, v8
	v_lshl_or_b32 v29, 1, v34, v3
	v_or_b32_e32 v39, v39, v4
	s_waitcnt lgkmcnt(0)
	v_cmp_ne_u32_e32 vcc, 0, v2
	s_cbranch_vccnz .LBB65_147
; %bb.144:                              ;   in Loop: Header=BB65_7 Depth=1
	s_and_saveexec_b64 s[36:37], s[0:1]
; %bb.145:                              ;   in Loop: Header=BB65_7 Depth=1
	v_mov_b32_e32 v2, s46
	ds_write_b32 v9, v2 offset:4100
; %bb.146:                              ;   in Loop: Header=BB65_7 Depth=1
	s_or_b64 exec, exec, s[36:37]
	s_waitcnt lgkmcnt(0)
	s_barrier
.LBB65_147:                             ;   in Loop: Header=BB65_7 Depth=1
	s_or_saveexec_b64 s[34:35], s[34:35]
	s_mov_b64 s[36:37], 0
	v_mov_b32_e32 v5, 8
	s_xor_b64 exec, exec, s[34:35]
; %bb.148:                              ;   in Loop: Header=BB65_7 Depth=1
	s_mov_b64 s[36:37], exec
	v_subrev_u32_e32 v16, s46, v16
	v_mov_b32_e32 v5, 0
; %bb.149:                              ;   in Loop: Header=BB65_7 Depth=1
	s_or_b64 exec, exec, s[34:35]
	s_and_b64 s[40:41], s[36:37], exec
	v_mov_b32_e32 v17, v16
.LBB65_150:                             ;   in Loop: Header=BB65_7 Depth=1
	s_or_b64 exec, exec, s[30:31]
	s_mov_b64 s[38:39], -1
                                        ; implicit-def: $sgpr34_sgpr35
                                        ; implicit-def: $sgpr36_sgpr37
	s_and_saveexec_b64 s[30:31], s[40:41]
	s_cbranch_execz .LBB65_228
; %bb.151:                              ;   in Loop: Header=BB65_7 Depth=1
	s_cmp_eq_u32 s54, 1
	s_cselect_b64 s[34:35], -1, 0
	v_cmp_eq_u32_e32 vcc, 1, v17
	s_and_b64 s[40:41], s[34:35], vcc
	s_mov_b64 s[42:43], -1
                                        ; implicit-def: $sgpr36_sgpr37
                                        ; implicit-def: $sgpr34_sgpr35
	s_and_saveexec_b64 s[38:39], s[40:41]
	s_cbranch_execz .LBB65_177
; %bb.152:                              ;   in Loop: Header=BB65_7 Depth=1
	ds_read_b32 v2, v9 offset:4096
	s_waitcnt lgkmcnt(0)
	s_barrier
	v_readfirstlane_b32 s6, v2
	s_and_saveexec_b64 s[34:35], s[4:5]
; %bb.153:                              ;   in Loop: Header=BB65_7 Depth=1
	ds_write_b16 v22, v9
; %bb.154:                              ;   in Loop: Header=BB65_7 Depth=1
	s_or_b64 exec, exec, s[34:35]
	v_and_b32_e32 v2, v29, v8
	v_lshl_or_b32 v29, 2, v34, v2
	v_or_b32_e32 v39, v39, v4
	s_mov_b64 s[34:35], -1
	s_mov_b64 s[36:37], 0
	s_cmp_gt_i32 s6, 0
	s_mov_b64 s[42:43], 0
	s_mov_b64 s[44:45], -1
	s_waitcnt lgkmcnt(0)
	s_barrier
                                        ; implicit-def: $vgpr40
	s_cbranch_scc1 .LBB65_165
; %bb.155:                              ;   in Loop: Header=BB65_7 Depth=1
	s_mov_b64 s[44:45], 0
                                        ; implicit-def: $vgpr40
	s_mov_b64 s[46:47], exec
	v_readlane_b32 s48, v56, 38
	v_readlane_b32 s49, v56, 39
	s_and_b64 s[48:49], s[46:47], s[48:49]
	s_mov_b64 exec, s[48:49]
	s_cbranch_execz .LBB65_164
; %bb.156:                              ;   in Loop: Header=BB65_7 Depth=1
	v_mov_b32_e32 v2, v6
	v_mov_b32_e32 v16, v0
                                        ; implicit-def: $sgpr48_sgpr49
	s_branch .LBB65_159
.LBB65_157:                             ;   in Loop: Header=BB65_159 Depth=2
	s_or_b64 exec, exec, s[50:51]
	s_waitcnt lgkmcnt(0)
	s_barrier
	ds_read_b32 v3, v9 offset:3072
	s_mov_b64 s[50:51], -1
	s_mov_b64 s[52:53], -1
	s_waitcnt lgkmcnt(0)
	s_barrier
	v_and_b32_e32 v18, 0x7fff, v3
	v_cmp_ne_u32_e32 vcc, 0, v18
	s_cbranch_vccz .LBB65_162
.LBB65_158:                             ;   in Loop: Header=BB65_159 Depth=2
	s_and_b64 s[50:51], exec, s[50:51]
	s_or_b64 s[42:43], s[50:51], s[42:43]
	s_andn2_b64 s[48:49], s[48:49], exec
	s_and_b64 s[50:51], s[52:53], exec
	s_or_b64 s[48:49], s[48:49], s[50:51]
	s_andn2_b64 exec, exec, s[42:43]
	s_cbranch_execz .LBB65_163
.LBB65_159:                             ;   Parent Loop BB65_7 Depth=1
                                        ; =>  This Inner Loop Header: Depth=2
	v_cmp_gt_i32_e32 vcc, s60, v16
	s_and_saveexec_b64 s[50:51], vcc
	s_cbranch_execz .LBB65_157
; %bb.160:                              ;   in Loop: Header=BB65_159 Depth=2
	v_ashrrev_i32_e32 v3, 31, v2
	v_lshl_add_u64 v[18:19], v[2:3], 1, s[72:73]
	global_load_ushort v3, v[18:19], off
	s_waitcnt vmcnt(0)
	v_cmp_lt_i16_e32 vcc, -1, v3
	v_lshlrev_b32_e32 v18, 16, v3
	s_nop 0
	v_cndmask_b32_e32 v19, v33, v35, vcc
	v_xor_b32_sdwa v19, v19, v3 dst_sel:DWORD dst_unused:UNUSED_PAD src0_sel:DWORD src1_sel:WORD_0
	v_cmp_o_f32_e32 vcc, v18, v18
	s_nop 1
	v_cndmask_b32_e32 v18, v33, v19, vcc
	v_and_b32_e32 v18, v18, v39
	v_cmp_eq_u32_e32 vcc, v18, v29
	s_and_b64 exec, exec, vcc
	s_cbranch_execz .LBB65_157
; %bb.161:                              ;   in Loop: Header=BB65_159 Depth=2
	v_perm_b32 v3, v3, s61, v38
	ds_write_b32 v9, v3 offset:3072
	s_branch .LBB65_157
.LBB65_162:                             ;   in Loop: Header=BB65_159 Depth=2
	v_add_u32_e32 v16, s62, v16
	v_cmp_le_i32_e32 vcc, s84, v16
	v_add_u32_e32 v2, s74, v2
	s_mov_b64 s[52:53], 0
	s_orn2_b64 s[50:51], vcc, exec
	s_branch .LBB65_158
.LBB65_163:                             ;   in Loop: Header=BB65_7 Depth=1
	s_or_b64 exec, exec, s[42:43]
	v_lshrrev_b32_e32 v40, 16, v3
	s_and_b64 s[42:43], s[48:49], exec
.LBB65_164:                             ;   in Loop: Header=BB65_7 Depth=1
	s_or_b64 exec, exec, s[46:47]
.LBB65_165:                             ;   in Loop: Header=BB65_7 Depth=1
	s_and_b64 vcc, exec, s[44:45]
	s_cbranch_vccz .LBB65_176
; %bb.166:                              ;   in Loop: Header=BB65_7 Depth=1
	v_readlane_b32 s34, v56, 19
	s_add_i32 s50, s6, s34
	s_abs_i32 s35, s50
	s_mul_hi_u32 s36, s35, s9
	s_mul_i32 s36, s36, s62
	s_sub_i32 s35, s35, s36
	s_ashr_i32 s34, s50, 31
	s_sub_i32 s36, s35, s62
	s_cmp_ge_u32 s35, s62
	s_cselect_b32 s35, s36, s35
	s_sub_i32 s36, s35, s62
	s_cmp_ge_u32 s35, s62
	s_cselect_b32 s35, s36, s35
	s_xor_b32 s35, s35, s34
	s_sub_i32 s34, s34, s35
	s_add_i32 s50, s50, s34
	v_cmp_gt_i32_e32 vcc, s50, v0
                                        ; implicit-def: $vgpr40
	s_and_saveexec_b64 s[34:35], vcc
	s_cbranch_execz .LBB65_175
; %bb.167:                              ;   in Loop: Header=BB65_7 Depth=1
	s_mov_b64 s[36:37], 0
	v_mov_b32_e32 v2, v21
	v_mov_b32_e32 v3, v0
                                        ; implicit-def: $sgpr44_sgpr45
	s_branch .LBB65_170
.LBB65_168:                             ;   in Loop: Header=BB65_170 Depth=2
	s_or_b64 exec, exec, s[46:47]
	s_waitcnt lgkmcnt(0)
	s_barrier
	ds_read_b32 v16, v9 offset:3072
	s_mov_b64 s[46:47], -1
	s_mov_b64 s[48:49], -1
	s_waitcnt lgkmcnt(0)
	s_barrier
	v_and_b32_e32 v18, 0x7fff, v16
	v_cmp_eq_u32_e32 vcc, 0, v18
	s_cbranch_vccnz .LBB65_173
.LBB65_169:                             ;   in Loop: Header=BB65_170 Depth=2
	s_and_b64 s[46:47], exec, s[46:47]
	s_or_b64 s[36:37], s[46:47], s[36:37]
	s_andn2_b64 s[44:45], s[44:45], exec
	s_and_b64 s[46:47], s[48:49], exec
	s_or_b64 s[44:45], s[44:45], s[46:47]
	s_andn2_b64 exec, exec, s[36:37]
	s_cbranch_execz .LBB65_174
.LBB65_170:                             ;   Parent Loop BB65_7 Depth=1
                                        ; =>  This Inner Loop Header: Depth=2
	v_cmp_gt_i32_e32 vcc, s6, v3
	s_and_saveexec_b64 s[46:47], vcc
	s_cbranch_execz .LBB65_168
; %bb.171:                              ;   in Loop: Header=BB65_170 Depth=2
	ds_read_u16 v16, v2
	s_waitcnt lgkmcnt(0)
	v_cmp_lt_i16_e32 vcc, -1, v16
	v_lshlrev_b32_e32 v18, 16, v16
	s_nop 0
	v_cndmask_b32_e32 v19, v33, v35, vcc
	v_xor_b32_sdwa v19, v19, v16 dst_sel:DWORD dst_unused:UNUSED_PAD src0_sel:DWORD src1_sel:WORD_0
	v_cmp_o_f32_e32 vcc, v18, v18
	s_nop 1
	v_cndmask_b32_e32 v18, v33, v19, vcc
	v_and_b32_e32 v18, v18, v39
	v_cmp_eq_u32_e32 vcc, v18, v29
	s_and_b64 exec, exec, vcc
	s_cbranch_execz .LBB65_168
; %bb.172:                              ;   in Loop: Header=BB65_170 Depth=2
	v_perm_b32 v16, v16, s61, v38
	ds_write_b32 v9, v16 offset:3072
	s_branch .LBB65_168
.LBB65_173:                             ;   in Loop: Header=BB65_170 Depth=2
	v_add_u32_e32 v3, s62, v3
	v_cmp_le_i32_e32 vcc, s50, v3
	v_add_u32_e32 v2, s83, v2
	s_mov_b64 s[48:49], 0
	s_orn2_b64 s[46:47], vcc, exec
	s_branch .LBB65_169
.LBB65_174:                             ;   in Loop: Header=BB65_7 Depth=1
	s_or_b64 exec, exec, s[36:37]
	s_andn2_b64 s[36:37], s[42:43], exec
	s_and_b64 s[42:43], s[44:45], exec
	v_lshrrev_b32_e32 v40, 16, v16
	s_or_b64 s[42:43], s[36:37], s[42:43]
.LBB65_175:                             ;   in Loop: Header=BB65_7 Depth=1
	s_or_b64 exec, exec, s[34:35]
	s_mov_b64 s[34:35], 0
	s_mov_b64 s[36:37], -1
.LBB65_176:                             ;   in Loop: Header=BB65_7 Depth=1
	s_orn2_b64 s[42:43], s[42:43], exec
.LBB65_177:                             ;   in Loop: Header=BB65_7 Depth=1
	s_or_b64 exec, exec, s[38:39]
	s_mov_b64 s[44:45], 0
	s_and_saveexec_b64 s[38:39], s[42:43]
	s_cbranch_execz .LBB65_227
; %bb.178:                              ;   in Loop: Header=BB65_7 Depth=1
	s_xor_b64 s[42:43], s[40:41], -1
	s_mov_b64 s[48:49], 0
	v_mov_b32_e32 v16, 1
	v_mov_b32_e32 v5, 1
	s_and_saveexec_b64 s[40:41], s[42:43]
	s_cbranch_execz .LBB65_187
; %bb.179:                              ;   in Loop: Header=BB65_7 Depth=1
	v_cmp_ge_i32_e32 vcc, s54, v17
	s_and_saveexec_b64 s[42:43], vcc
	s_xor_b64 s[42:43], exec, s[42:43]
	s_cbranch_execz .LBB65_184
; %bb.180:                              ;   in Loop: Header=BB65_7 Depth=1
	ds_read_b32 v2, v9 offset:4096
	v_and_b32_e32 v3, v29, v8
	v_lshl_or_b32 v29, 2, v34, v3
	v_or_b32_e32 v39, v39, v4
	s_waitcnt lgkmcnt(0)
	v_cmp_ne_u32_e32 vcc, 0, v2
	s_cbranch_vccnz .LBB65_184
; %bb.181:                              ;   in Loop: Header=BB65_7 Depth=1
	s_and_saveexec_b64 s[44:45], s[0:1]
; %bb.182:                              ;   in Loop: Header=BB65_7 Depth=1
	v_mov_b32_e32 v2, s54
	ds_write_b32 v9, v2 offset:4100
; %bb.183:                              ;   in Loop: Header=BB65_7 Depth=1
	s_or_b64 exec, exec, s[44:45]
	s_waitcnt lgkmcnt(0)
	s_barrier
.LBB65_184:                             ;   in Loop: Header=BB65_7 Depth=1
	s_or_saveexec_b64 s[42:43], s[42:43]
	s_mov_b64 s[44:45], 0
	v_mov_b32_e32 v5, 8
	s_xor_b64 exec, exec, s[42:43]
; %bb.185:                              ;   in Loop: Header=BB65_7 Depth=1
	s_mov_b64 s[44:45], exec
	v_subrev_u32_e32 v17, s54, v17
	v_mov_b32_e32 v5, 0
; %bb.186:                              ;   in Loop: Header=BB65_7 Depth=1
	s_or_b64 exec, exec, s[42:43]
	s_and_b64 s[48:49], s[44:45], exec
	v_mov_b32_e32 v16, v17
.LBB65_187:                             ;   in Loop: Header=BB65_7 Depth=1
	s_or_b64 exec, exec, s[40:41]
	s_mov_b64 s[42:43], -1
                                        ; implicit-def: $sgpr46_sgpr47
                                        ; implicit-def: $sgpr44_sgpr45
	s_and_saveexec_b64 s[40:41], s[48:49]
	s_cbranch_execz .LBB65_226
; %bb.188:                              ;   in Loop: Header=BB65_7 Depth=1
	s_cmp_eq_u32 s17, 1
	s_cselect_b64 s[42:43], -1, 0
	v_cmp_eq_u32_e32 vcc, 1, v16
	s_and_b64 s[42:43], s[42:43], vcc
	s_mov_b64 s[50:51], -1
                                        ; implicit-def: $sgpr46_sgpr47
                                        ; implicit-def: $sgpr44_sgpr45
	s_and_saveexec_b64 s[48:49], s[42:43]
	s_cbranch_execz .LBB65_214
; %bb.189:                              ;   in Loop: Header=BB65_7 Depth=1
	ds_read_b32 v2, v9 offset:4096
	s_waitcnt lgkmcnt(0)
	s_barrier
	v_readfirstlane_b32 s6, v2
	s_and_saveexec_b64 s[44:45], s[4:5]
; %bb.190:                              ;   in Loop: Header=BB65_7 Depth=1
	ds_write_b16 v22, v9
; %bb.191:                              ;   in Loop: Header=BB65_7 Depth=1
	s_or_b64 exec, exec, s[44:45]
	v_or_b32_e32 v29, v29, v4
	v_or_b32_e32 v39, v39, v4
	s_mov_b64 s[44:45], -1
	s_mov_b64 s[46:47], 0
	s_cmp_gt_i32 s6, 0
	s_mov_b64 s[50:51], 0
	s_mov_b64 s[52:53], -1
	s_waitcnt lgkmcnt(0)
	s_barrier
                                        ; implicit-def: $vgpr40
	s_cbranch_scc1 .LBB65_202
; %bb.192:                              ;   in Loop: Header=BB65_7 Depth=1
	s_mov_b64 s[52:53], 0
                                        ; implicit-def: $vgpr40
	s_mov_b64 s[54:55], exec
	v_readlane_b32 s56, v56, 38
	v_readlane_b32 s57, v56, 39
	s_and_b64 s[56:57], s[54:55], s[56:57]
	s_mov_b64 exec, s[56:57]
	s_cbranch_execz .LBB65_201
; %bb.193:                              ;   in Loop: Header=BB65_7 Depth=1
	v_mov_b32_e32 v2, v6
	v_mov_b32_e32 v8, v0
                                        ; implicit-def: $sgpr56_sgpr57
	s_branch .LBB65_196
.LBB65_194:                             ;   in Loop: Header=BB65_196 Depth=2
	s_or_b64 exec, exec, s[58:59]
	s_waitcnt lgkmcnt(0)
	s_barrier
	ds_read_b32 v3, v9 offset:3072
	s_mov_b64 s[58:59], -1
	s_mov_b64 s[70:71], -1
	s_waitcnt lgkmcnt(0)
	s_barrier
	v_and_b32_e32 v17, 0x7fff, v3
	v_cmp_ne_u32_e32 vcc, 0, v17
	s_cbranch_vccz .LBB65_199
.LBB65_195:                             ;   in Loop: Header=BB65_196 Depth=2
	s_and_b64 s[58:59], exec, s[58:59]
	s_or_b64 s[50:51], s[58:59], s[50:51]
	s_andn2_b64 s[56:57], s[56:57], exec
	s_and_b64 s[58:59], s[70:71], exec
	s_or_b64 s[56:57], s[56:57], s[58:59]
	s_andn2_b64 exec, exec, s[50:51]
	s_cbranch_execz .LBB65_200
.LBB65_196:                             ;   Parent Loop BB65_7 Depth=1
                                        ; =>  This Inner Loop Header: Depth=2
	v_cmp_gt_i32_e32 vcc, s60, v8
	s_and_saveexec_b64 s[58:59], vcc
	s_cbranch_execz .LBB65_194
; %bb.197:                              ;   in Loop: Header=BB65_196 Depth=2
	v_ashrrev_i32_e32 v3, 31, v2
	v_lshl_add_u64 v[18:19], v[2:3], 1, s[72:73]
	global_load_ushort v3, v[18:19], off
	s_waitcnt vmcnt(0)
	v_cmp_lt_i16_e32 vcc, -1, v3
	v_lshlrev_b32_e32 v17, 16, v3
	s_nop 0
	v_cndmask_b32_e32 v18, v33, v35, vcc
	v_xor_b32_sdwa v18, v18, v3 dst_sel:DWORD dst_unused:UNUSED_PAD src0_sel:DWORD src1_sel:WORD_0
	v_cmp_o_f32_e32 vcc, v17, v17
	s_nop 1
	v_cndmask_b32_e32 v17, v33, v18, vcc
	v_and_b32_e32 v17, v17, v39
	v_cmp_eq_u32_e32 vcc, v17, v29
	s_and_b64 exec, exec, vcc
	s_cbranch_execz .LBB65_194
; %bb.198:                              ;   in Loop: Header=BB65_196 Depth=2
	v_perm_b32 v3, v3, s61, v38
	ds_write_b32 v9, v3 offset:3072
	s_branch .LBB65_194
.LBB65_199:                             ;   in Loop: Header=BB65_196 Depth=2
	v_add_u32_e32 v8, s62, v8
	v_cmp_le_i32_e32 vcc, s84, v8
	v_add_u32_e32 v2, s74, v2
	s_mov_b64 s[70:71], 0
	s_orn2_b64 s[58:59], vcc, exec
	s_branch .LBB65_195
.LBB65_200:                             ;   in Loop: Header=BB65_7 Depth=1
	s_or_b64 exec, exec, s[50:51]
	v_lshrrev_b32_e32 v40, 16, v3
	s_and_b64 s[50:51], s[56:57], exec
.LBB65_201:                             ;   in Loop: Header=BB65_7 Depth=1
	s_or_b64 exec, exec, s[54:55]
.LBB65_202:                             ;   in Loop: Header=BB65_7 Depth=1
	s_and_b64 vcc, exec, s[52:53]
	s_cbranch_vccz .LBB65_213
; %bb.203:                              ;   in Loop: Header=BB65_7 Depth=1
	v_readlane_b32 s44, v56, 19
	s_add_i32 s58, s6, s44
	s_abs_i32 s45, s58
	s_mul_hi_u32 s46, s45, s9
	s_mul_i32 s46, s46, s62
	s_sub_i32 s45, s45, s46
	s_ashr_i32 s44, s58, 31
	s_sub_i32 s46, s45, s62
	s_cmp_ge_u32 s45, s62
	s_cselect_b32 s45, s46, s45
	s_sub_i32 s46, s45, s62
	s_cmp_ge_u32 s45, s62
	s_cselect_b32 s45, s46, s45
	s_xor_b32 s45, s45, s44
	s_sub_i32 s44, s44, s45
	s_add_i32 s58, s58, s44
	v_cmp_gt_i32_e32 vcc, s58, v0
                                        ; implicit-def: $vgpr40
	s_and_saveexec_b64 s[44:45], vcc
	s_cbranch_execz .LBB65_212
; %bb.204:                              ;   in Loop: Header=BB65_7 Depth=1
	s_mov_b64 s[46:47], 0
	v_mov_b32_e32 v2, v21
	v_mov_b32_e32 v3, v0
                                        ; implicit-def: $sgpr52_sgpr53
	s_branch .LBB65_207
.LBB65_205:                             ;   in Loop: Header=BB65_207 Depth=2
	s_or_b64 exec, exec, s[54:55]
	s_waitcnt lgkmcnt(0)
	s_barrier
	ds_read_b32 v8, v9 offset:3072
	s_mov_b64 s[54:55], -1
	s_mov_b64 s[56:57], -1
	s_waitcnt lgkmcnt(0)
	s_barrier
	v_and_b32_e32 v17, 0x7fff, v8
	v_cmp_eq_u32_e32 vcc, 0, v17
	s_cbranch_vccnz .LBB65_210
.LBB65_206:                             ;   in Loop: Header=BB65_207 Depth=2
	s_and_b64 s[54:55], exec, s[54:55]
	s_or_b64 s[46:47], s[54:55], s[46:47]
	s_andn2_b64 s[52:53], s[52:53], exec
	s_and_b64 s[54:55], s[56:57], exec
	s_or_b64 s[52:53], s[52:53], s[54:55]
	s_andn2_b64 exec, exec, s[46:47]
	s_cbranch_execz .LBB65_211
.LBB65_207:                             ;   Parent Loop BB65_7 Depth=1
                                        ; =>  This Inner Loop Header: Depth=2
	v_cmp_gt_i32_e32 vcc, s6, v3
	s_and_saveexec_b64 s[54:55], vcc
	s_cbranch_execz .LBB65_205
; %bb.208:                              ;   in Loop: Header=BB65_207 Depth=2
	ds_read_u16 v8, v2
	s_waitcnt lgkmcnt(0)
	v_cmp_lt_i16_e32 vcc, -1, v8
	v_lshlrev_b32_e32 v17, 16, v8
	s_nop 0
	v_cndmask_b32_e32 v18, v33, v35, vcc
	v_xor_b32_sdwa v18, v18, v8 dst_sel:DWORD dst_unused:UNUSED_PAD src0_sel:DWORD src1_sel:WORD_0
	v_cmp_o_f32_e32 vcc, v17, v17
	s_nop 1
	v_cndmask_b32_e32 v17, v33, v18, vcc
	v_and_b32_e32 v17, v17, v39
	v_cmp_eq_u32_e32 vcc, v17, v29
	s_and_b64 exec, exec, vcc
	s_cbranch_execz .LBB65_205
; %bb.209:                              ;   in Loop: Header=BB65_207 Depth=2
	v_perm_b32 v8, v8, s61, v38
	ds_write_b32 v9, v8 offset:3072
	s_branch .LBB65_205
.LBB65_210:                             ;   in Loop: Header=BB65_207 Depth=2
	v_add_u32_e32 v3, s62, v3
	v_cmp_le_i32_e32 vcc, s58, v3
	v_add_u32_e32 v2, s83, v2
	s_mov_b64 s[56:57], 0
	s_orn2_b64 s[54:55], vcc, exec
	s_branch .LBB65_206
.LBB65_211:                             ;   in Loop: Header=BB65_7 Depth=1
	s_or_b64 exec, exec, s[46:47]
	s_andn2_b64 s[46:47], s[50:51], exec
	s_and_b64 s[50:51], s[52:53], exec
	v_lshrrev_b32_e32 v40, 16, v8
	s_or_b64 s[50:51], s[46:47], s[50:51]
.LBB65_212:                             ;   in Loop: Header=BB65_7 Depth=1
	s_or_b64 exec, exec, s[44:45]
	s_mov_b64 s[44:45], 0
	s_mov_b64 s[46:47], -1
.LBB65_213:                             ;   in Loop: Header=BB65_7 Depth=1
	s_orn2_b64 s[50:51], s[50:51], exec
.LBB65_214:                             ;   in Loop: Header=BB65_7 Depth=1
	s_or_b64 exec, exec, s[48:49]
	s_mov_b64 s[52:53], 0
	s_and_saveexec_b64 s[48:49], s[50:51]
	s_cbranch_execz .LBB65_225
; %bb.215:                              ;   in Loop: Header=BB65_7 Depth=1
	s_xor_b64 s[50:51], s[42:43], -1
	v_mov_b32_e32 v5, 1
	v_mov_b32_e32 v2, 1
	s_and_saveexec_b64 s[42:43], s[50:51]
	s_cbranch_execz .LBB65_224
; %bb.216:                              ;   in Loop: Header=BB65_7 Depth=1
	v_cmp_ge_i32_e32 vcc, s17, v16
	s_and_saveexec_b64 s[50:51], vcc
	s_xor_b64 s[50:51], exec, s[50:51]
	s_cbranch_execz .LBB65_221
; %bb.217:                              ;   in Loop: Header=BB65_7 Depth=1
	ds_read_b32 v2, v9 offset:4096
	v_or_b32_e32 v29, v29, v4
	v_or_b32_e32 v39, v39, v4
	s_waitcnt lgkmcnt(0)
	v_cmp_ne_u32_e32 vcc, 0, v2
	s_cbranch_vccnz .LBB65_221
; %bb.218:                              ;   in Loop: Header=BB65_7 Depth=1
	s_and_saveexec_b64 s[52:53], s[0:1]
; %bb.219:                              ;   in Loop: Header=BB65_7 Depth=1
	v_mov_b32_e32 v2, s17
	ds_write_b32 v9, v2 offset:4100
; %bb.220:                              ;   in Loop: Header=BB65_7 Depth=1
	s_or_b64 exec, exec, s[52:53]
	s_waitcnt lgkmcnt(0)
	s_barrier
.LBB65_221:                             ;   in Loop: Header=BB65_7 Depth=1
	s_andn2_saveexec_b64 s[50:51], s[50:51]
; %bb.222:                              ;   in Loop: Header=BB65_7 Depth=1
	v_subrev_u32_e32 v16, s17, v16
; %bb.223:                              ;   in Loop: Header=BB65_7 Depth=1
	s_or_b64 exec, exec, s[50:51]
	v_mov_b32_e32 v5, 8
	v_mov_b32_e32 v2, v16
.LBB65_224:                             ;   in Loop: Header=BB65_7 Depth=1
	s_or_b64 exec, exec, s[42:43]
	s_mov_b64 s[52:53], exec
	v_mov_b32_e32 v16, v2
.LBB65_225:                             ;   in Loop: Header=BB65_7 Depth=1
	s_or_b64 exec, exec, s[48:49]
	s_orn2_b64 s[42:43], s[52:53], exec
.LBB65_226:                             ;   in Loop: Header=BB65_7 Depth=1
	s_or_b64 exec, exec, s[40:41]
	s_andn2_b64 s[36:37], s[36:37], exec
	s_and_b64 s[40:41], s[46:47], exec
	s_or_b64 s[36:37], s[36:37], s[40:41]
	s_andn2_b64 s[34:35], s[34:35], exec
	s_and_b64 s[40:41], s[44:45], exec
	s_or_b64 s[34:35], s[34:35], s[40:41]
	s_and_b64 s[44:45], s[42:43], exec
	v_mov_b32_e32 v17, v16
.LBB65_227:                             ;   in Loop: Header=BB65_7 Depth=1
	s_or_b64 exec, exec, s[38:39]
	s_orn2_b64 s[38:39], s[44:45], exec
.LBB65_228:                             ;   in Loop: Header=BB65_7 Depth=1
	s_or_b64 exec, exec, s[30:31]
	s_andn2_b64 s[26:27], s[26:27], exec
	s_and_b64 s[30:31], s[36:37], exec
	s_or_b64 s[26:27], s[26:27], s[30:31]
	s_andn2_b64 s[24:25], s[24:25], exec
	s_and_b64 s[30:31], s[34:35], exec
	s_or_b64 s[24:25], s[24:25], s[30:31]
	s_and_b64 s[36:37], s[38:39], exec
	v_mov_b32_e32 v16, v17
.LBB65_229:                             ;   in Loop: Header=BB65_7 Depth=1
	s_or_b64 exec, exec, s[28:29]
	s_orn2_b64 s[28:29], s[36:37], exec
.LBB65_230:                             ;   in Loop: Header=BB65_7 Depth=1
	s_or_b64 exec, exec, s[22:23]
	s_mov_b64 s[30:31], 0
                                        ; implicit-def: $sgpr6
	s_and_saveexec_b64 s[22:23], s[28:29]
	s_xor_b64 s[22:23], exec, s[22:23]
	s_cbranch_execz .LBB65_5
; %bb.231:                              ;   in Loop: Header=BB65_7 Depth=1
	v_and_b32_e32 v2, 7, v5
	v_cmp_eq_u32_e32 vcc, 0, v2
	s_mov_b64 s[20:21], -1
	s_mov_b64 s[28:29], -1
                                        ; implicit-def: $sgpr6
	s_and_saveexec_b64 s[30:31], vcc
	s_cbranch_execz .LBB65_4
; %bb.232:                              ;   in Loop: Header=BB65_7 Depth=1
	v_add_u32_e32 v2, -2, v34
	v_cmp_eq_u32_e32 vcc, 0, v34
	s_xor_b32 s6, s16, 1
	s_xor_b64 s[28:29], exec, -1
	s_orn2_b64 s[20:21], vcc, exec
	v_mov_b32_e32 v34, v2
	s_branch .LBB65_4
.LBB65_233:
	s_or_b64 exec, exec, s[92:93]
	s_xor_b64 s[6:7], s[98:99], -1
	s_xor_b64 s[4:5], s[94:95], -1
	s_xor_b64 s[8:9], s[96:97], -1
	s_mov_b64 s[2:3], 0
	s_and_saveexec_b64 s[10:11], s[4:5]
	s_xor_b64 s[4:5], exec, s[10:11]
	s_cbranch_execnz .LBB65_238
; %bb.234:
	s_andn2_saveexec_b64 s[0:1], s[4:5]
	s_cbranch_execnz .LBB65_258
.LBB65_235:
	s_or_b64 exec, exec, s[0:1]
	s_and_saveexec_b64 s[0:1], s[2:3]
.LBB65_236:
	; divergent unreachable
.LBB65_237:
	s_endpgm
.LBB65_238:
	s_and_saveexec_b64 s[2:3], s[6:7]
	s_xor_b64 s[6:7], exec, s[2:3]
	s_cbranch_execz .LBB65_256
; %bb.239:
	s_and_saveexec_b64 s[2:3], s[8:9]
	s_xor_b64 s[2:3], exec, s[2:3]
; %bb.240:
	v_and_b32_e32 v1, 0x8000, v29
	v_mov_b32_e32 v2, 0x8000
	v_mov_b32_e32 v3, 0xffff
	v_cmp_eq_u32_e32 vcc, 0, v1
	s_nop 1
	v_cndmask_b32_e32 v1, v2, v3, vcc
	v_xor_b32_e32 v40, v1, v29
; %bb.241:
	s_or_b64 exec, exec, s[2:3]
	s_and_saveexec_b64 s[2:3], s[0:1]
	v_readlane_b32 s22, v56, 18
	v_readlane_b32 s23, v56, 14
	;; [unrolled: 1-line block ×5, first 2 shown]
; %bb.242:
	v_mov_b32_e32 v1, 0
	v_mov_b32_e32 v2, s60
	ds_write_b32 v1, v2 offset:4108
; %bb.243:
	s_or_b64 exec, exec, s[2:3]
	v_mov_b32_e32 v1, 0
	s_waitcnt lgkmcnt(0)
	s_barrier
	ds_read_b32 v1, v1 offset:4108
	s_waitcnt lgkmcnt(0)
	v_min_i32_e32 v1, s60, v1
	v_cmp_lt_i32_e32 vcc, v0, v1
	s_and_saveexec_b64 s[8:9], vcc
	s_cbranch_execz .LBB65_253
; %bb.244:
	v_lshlrev_b32_e32 v3, 16, v40
	v_cmp_u_f32_e32 vcc, v3, v3
	s_mov_b64 s[10:11], 0
	s_xor_b64 s[14:15], vcc, -1
                                        ; implicit-def: $sgpr12_sgpr13
                                        ; implicit-def: $sgpr18_sgpr19
                                        ; implicit-def: $sgpr16_sgpr17
	s_branch .LBB65_246
.LBB65_245:                             ;   in Loop: Header=BB65_246 Depth=1
	s_or_b64 exec, exec, s[2:3]
	s_and_b64 s[2:3], exec, s[18:19]
	s_or_b64 s[10:11], s[2:3], s[10:11]
	s_andn2_b64 s[2:3], s[12:13], exec
	s_and_b64 s[12:13], s[16:17], exec
	s_or_b64 s[12:13], s[2:3], s[12:13]
	s_andn2_b64 exec, exec, s[10:11]
	s_cbranch_execz .LBB65_248
.LBB65_246:                             ; =>This Inner Loop Header: Depth=1
	v_ashrrev_i32_e32 v7, 31, v6
	v_lshl_add_u64 v[4:5], v[6:7], 1, s[72:73]
	global_load_ushort v4, v[4:5], off
	v_mov_b32_e32 v2, v0
	s_or_b64 s[16:17], s[16:17], exec
	s_or_b64 s[18:19], s[18:19], exec
	s_waitcnt vmcnt(0)
	v_lshlrev_b32_e32 v0, 16, v4
	v_cmp_o_f32_e64 s[2:3], v0, v0
	v_cmp_neq_f32_e32 vcc, v0, v3
	s_or_b64 s[2:3], s[14:15], s[2:3]
	s_and_b64 s[20:21], vcc, s[2:3]
                                        ; implicit-def: $vgpr0
	s_and_saveexec_b64 s[2:3], s[20:21]
	s_cbranch_execz .LBB65_245
; %bb.247:                              ;   in Loop: Header=BB65_246 Depth=1
	v_add_u32_e32 v0, s62, v2
	v_cmp_ge_i32_e32 vcc, v0, v1
	s_andn2_b64 s[18:19], s[18:19], exec
	s_and_b64 s[20:21], vcc, exec
	v_add_u32_e32 v6, s74, v6
	s_andn2_b64 s[16:17], s[16:17], exec
	s_or_b64 s[18:19], s[18:19], s[20:21]
	s_branch .LBB65_245
.LBB65_248:
	s_or_b64 exec, exec, s[10:11]
	s_and_saveexec_b64 s[2:3], s[12:13]
	s_xor_b64 s[2:3], exec, s[2:3]
	s_cbranch_execz .LBB65_253
; %bb.249:
	s_mov_b64 s[2:3], exec
	s_brev_b32 s10, -2
.LBB65_250:                             ; =>This Inner Loop Header: Depth=1
	s_ff1_i32_b64 s11, s[2:3]
	v_readlane_b32 s14, v2, s11
	s_lshl_b64 s[12:13], 1, s11
	s_min_i32 s10, s10, s14
	s_andn2_b64 s[2:3], s[2:3], s[12:13]
	s_cmp_lg_u64 s[2:3], 0
	s_cbranch_scc1 .LBB65_250
; %bb.251:
	v_mbcnt_lo_u32_b32 v0, exec_lo, 0
	v_mbcnt_hi_u32_b32 v0, exec_hi, v0
	v_cmp_eq_u32_e32 vcc, 0, v0
	s_and_saveexec_b64 s[2:3], vcc
	s_xor_b64 s[2:3], exec, s[2:3]
; %bb.252:
	v_mov_b32_e32 v0, 0
	v_mov_b32_e32 v1, s10
	ds_min_i32 v0, v1 offset:4108
.LBB65_253:
	s_or_b64 exec, exec, s[8:9]
	s_waitcnt lgkmcnt(0)
	s_barrier
	s_and_saveexec_b64 s[2:3], s[0:1]
	s_cbranch_execz .LBB65_255
; %bb.254:
	v_readlane_b32 s10, v56, 8
	v_readlane_b32 s11, v56, 9
	s_mul_i32 s1, s11, s10
	v_readlane_b32 s0, v56, 13
	s_sub_i32 s1, s25, s1
	s_xor_b32 s0, s24, s0
	s_add_i32 s8, s11, 1
	s_sub_i32 s9, s1, s10
	s_cmp_ge_u32 s1, s10
	s_cselect_b32 s8, s8, s11
	s_cselect_b32 s1, s9, s1
	s_add_i32 s9, s8, 1
	s_cmp_ge_u32 s1, s10
	s_cselect_b32 s1, s9, s8
	s_xor_b32 s1, s1, s0
	s_sub_i32 s0, s1, s0
	s_mul_i32 s1, s0, s26
	v_readlane_b32 s8, v56, 6
	s_sub_i32 s1, s22, s1
	v_readlane_b32 s9, v56, 7
	v_readlane_b32 s11, v56, 10
	;; [unrolled: 1-line block ×3, first 2 shown]
	s_mul_i32 s1, s1, s9
	s_mul_i32 s0, s0, s8
	;; [unrolled: 1-line block ×3, first 2 shown]
	s_add_i32 s0, s0, s1
	v_readlane_b32 s1, v56, 15
	s_sub_i32 s8, s25, s8
	s_xor_b32 s1, s24, s1
	s_add_i32 s9, s12, 1
	s_sub_i32 s10, s8, s11
	s_cmp_ge_u32 s8, s11
	s_cselect_b32 s9, s9, s12
	s_cselect_b32 s8, s10, s8
	s_add_i32 s10, s9, 1
	s_cmp_ge_u32 s8, s11
	s_cselect_b32 s8, s10, s9
	s_xor_b32 s8, s8, s1
	s_sub_i32 s1, s8, s1
	s_mul_i32 s8, s1, s23
	v_readlane_b32 s10, v56, 2
	s_sub_i32 s8, s22, s8
	v_readlane_b32 s11, v56, 3
	s_mul_i32 s8, s8, s11
	s_mul_i32 s1, s1, s10
	s_add_i32 s8, s1, s8
	s_ashr_i32 s1, s0, 31
	v_mov_b32_e32 v2, 0
	s_lshl_b64 s[0:1], s[0:1], 1
	v_readlane_b32 s10, v56, 0
	ds_read_b32 v0, v2 offset:4108
	v_readlane_b32 s11, v56, 1
	s_add_u32 s0, s10, s0
	s_addc_u32 s1, s11, s1
	s_ashr_i32 s9, s8, 31
	s_lshl_b64 s[8:9], s[8:9], 3
	v_readlane_b32 s10, v56, 4
	v_readlane_b32 s11, v56, 5
	s_add_u32 s8, s10, s8
	s_addc_u32 s9, s11, s9
	s_waitcnt lgkmcnt(0)
	v_ashrrev_i32_e32 v1, 31, v0
	global_store_dwordx2 v2, v[0:1], s[8:9]
	global_store_short v2, v40, s[0:1]
.LBB65_255:
	s_or_b64 exec, exec, s[2:3]
.LBB65_256:
	s_or_saveexec_b64 s[0:1], s[6:7]
	s_mov_b64 s[2:3], 0
	s_xor_b64 exec, exec, s[0:1]
	s_cbranch_execnz .LBB65_259
.LBB65_257:
	s_or_b64 exec, exec, s[0:1]
	s_and_b64 s[2:3], s[2:3], exec
	s_andn2_saveexec_b64 s[0:1], s[4:5]
	s_cbranch_execz .LBB65_235
.LBB65_258:
	s_or_b64 s[2:3], s[2:3], exec
	s_trap 2
	s_or_b64 exec, exec, s[0:1]
	s_and_saveexec_b64 s[0:1], s[2:3]
	s_cbranch_execnz .LBB65_236
	s_branch .LBB65_237
.LBB65_259:
	s_mov_b64 s[2:3], exec
	s_trap 2
	s_branch .LBB65_257
	.section	.rodata,"a",@progbits
	.p2align	6, 0x0
	.amdhsa_kernel _ZN2at6native12_GLOBAL__N_114gatherKthValueIN3c108BFloat16EiLi2EEEvNS_4cuda6detail10TensorInfoIKT_T0_EESA_SA_SA_SA_NS7_IS8_SA_EENS7_IlSA_EE
		.amdhsa_group_segment_fixed_size 4112
		.amdhsa_private_segment_fixed_size 0
		.amdhsa_kernarg_size 920
		.amdhsa_user_sgpr_count 2
		.amdhsa_user_sgpr_dispatch_ptr 0
		.amdhsa_user_sgpr_queue_ptr 0
		.amdhsa_user_sgpr_kernarg_segment_ptr 1
		.amdhsa_user_sgpr_dispatch_id 0
		.amdhsa_user_sgpr_kernarg_preload_length 0
		.amdhsa_user_sgpr_kernarg_preload_offset 0
		.amdhsa_user_sgpr_private_segment_size 0
		.amdhsa_uses_dynamic_stack 0
		.amdhsa_enable_private_segment 0
		.amdhsa_system_sgpr_workgroup_id_x 1
		.amdhsa_system_sgpr_workgroup_id_y 1
		.amdhsa_system_sgpr_workgroup_id_z 1
		.amdhsa_system_sgpr_workgroup_info 0
		.amdhsa_system_vgpr_workitem_id 0
		.amdhsa_next_free_vgpr 57
		.amdhsa_next_free_sgpr 100
		.amdhsa_accum_offset 60
		.amdhsa_reserve_vcc 1
		.amdhsa_float_round_mode_32 0
		.amdhsa_float_round_mode_16_64 0
		.amdhsa_float_denorm_mode_32 3
		.amdhsa_float_denorm_mode_16_64 3
		.amdhsa_dx10_clamp 1
		.amdhsa_ieee_mode 1
		.amdhsa_fp16_overflow 0
		.amdhsa_tg_split 0
		.amdhsa_exception_fp_ieee_invalid_op 0
		.amdhsa_exception_fp_denorm_src 0
		.amdhsa_exception_fp_ieee_div_zero 0
		.amdhsa_exception_fp_ieee_overflow 0
		.amdhsa_exception_fp_ieee_underflow 0
		.amdhsa_exception_fp_ieee_inexact 0
		.amdhsa_exception_int_div_zero 0
	.end_amdhsa_kernel
	.section	.text._ZN2at6native12_GLOBAL__N_114gatherKthValueIN3c108BFloat16EiLi2EEEvNS_4cuda6detail10TensorInfoIKT_T0_EESA_SA_SA_SA_NS7_IS8_SA_EENS7_IlSA_EE,"axG",@progbits,_ZN2at6native12_GLOBAL__N_114gatherKthValueIN3c108BFloat16EiLi2EEEvNS_4cuda6detail10TensorInfoIKT_T0_EESA_SA_SA_SA_NS7_IS8_SA_EENS7_IlSA_EE,comdat
.Lfunc_end65:
	.size	_ZN2at6native12_GLOBAL__N_114gatherKthValueIN3c108BFloat16EiLi2EEEvNS_4cuda6detail10TensorInfoIKT_T0_EESA_SA_SA_SA_NS7_IS8_SA_EENS7_IlSA_EE, .Lfunc_end65-_ZN2at6native12_GLOBAL__N_114gatherKthValueIN3c108BFloat16EiLi2EEEvNS_4cuda6detail10TensorInfoIKT_T0_EESA_SA_SA_SA_NS7_IS8_SA_EENS7_IlSA_EE
                                        ; -- End function
	.set _ZN2at6native12_GLOBAL__N_114gatherKthValueIN3c108BFloat16EiLi2EEEvNS_4cuda6detail10TensorInfoIKT_T0_EESA_SA_SA_SA_NS7_IS8_SA_EENS7_IlSA_EE.num_vgpr, 57
	.set _ZN2at6native12_GLOBAL__N_114gatherKthValueIN3c108BFloat16EiLi2EEEvNS_4cuda6detail10TensorInfoIKT_T0_EESA_SA_SA_SA_NS7_IS8_SA_EENS7_IlSA_EE.num_agpr, 0
	.set _ZN2at6native12_GLOBAL__N_114gatherKthValueIN3c108BFloat16EiLi2EEEvNS_4cuda6detail10TensorInfoIKT_T0_EESA_SA_SA_SA_NS7_IS8_SA_EENS7_IlSA_EE.numbered_sgpr, 100
	.set _ZN2at6native12_GLOBAL__N_114gatherKthValueIN3c108BFloat16EiLi2EEEvNS_4cuda6detail10TensorInfoIKT_T0_EESA_SA_SA_SA_NS7_IS8_SA_EENS7_IlSA_EE.num_named_barrier, 0
	.set _ZN2at6native12_GLOBAL__N_114gatherKthValueIN3c108BFloat16EiLi2EEEvNS_4cuda6detail10TensorInfoIKT_T0_EESA_SA_SA_SA_NS7_IS8_SA_EENS7_IlSA_EE.private_seg_size, 0
	.set _ZN2at6native12_GLOBAL__N_114gatherKthValueIN3c108BFloat16EiLi2EEEvNS_4cuda6detail10TensorInfoIKT_T0_EESA_SA_SA_SA_NS7_IS8_SA_EENS7_IlSA_EE.uses_vcc, 1
	.set _ZN2at6native12_GLOBAL__N_114gatherKthValueIN3c108BFloat16EiLi2EEEvNS_4cuda6detail10TensorInfoIKT_T0_EESA_SA_SA_SA_NS7_IS8_SA_EENS7_IlSA_EE.uses_flat_scratch, 0
	.set _ZN2at6native12_GLOBAL__N_114gatherKthValueIN3c108BFloat16EiLi2EEEvNS_4cuda6detail10TensorInfoIKT_T0_EESA_SA_SA_SA_NS7_IS8_SA_EENS7_IlSA_EE.has_dyn_sized_stack, 0
	.set _ZN2at6native12_GLOBAL__N_114gatherKthValueIN3c108BFloat16EiLi2EEEvNS_4cuda6detail10TensorInfoIKT_T0_EESA_SA_SA_SA_NS7_IS8_SA_EENS7_IlSA_EE.has_recursion, 0
	.set _ZN2at6native12_GLOBAL__N_114gatherKthValueIN3c108BFloat16EiLi2EEEvNS_4cuda6detail10TensorInfoIKT_T0_EESA_SA_SA_SA_NS7_IS8_SA_EENS7_IlSA_EE.has_indirect_call, 0
	.section	.AMDGPU.csdata,"",@progbits
; Kernel info:
; codeLenInByte = 10456
; TotalNumSgprs: 106
; NumVgprs: 57
; NumAgprs: 0
; TotalNumVgprs: 57
; ScratchSize: 0
; MemoryBound: 0
; FloatMode: 240
; IeeeMode: 1
; LDSByteSize: 4112 bytes/workgroup (compile time only)
; SGPRBlocks: 13
; VGPRBlocks: 7
; NumSGPRsForWavesPerEU: 106
; NumVGPRsForWavesPerEU: 57
; AccumOffset: 60
; Occupancy: 7
; WaveLimiterHint : 1
; COMPUTE_PGM_RSRC2:SCRATCH_EN: 0
; COMPUTE_PGM_RSRC2:USER_SGPR: 2
; COMPUTE_PGM_RSRC2:TRAP_HANDLER: 0
; COMPUTE_PGM_RSRC2:TGID_X_EN: 1
; COMPUTE_PGM_RSRC2:TGID_Y_EN: 1
; COMPUTE_PGM_RSRC2:TGID_Z_EN: 1
; COMPUTE_PGM_RSRC2:TIDIG_COMP_CNT: 0
; COMPUTE_PGM_RSRC3_GFX90A:ACCUM_OFFSET: 14
; COMPUTE_PGM_RSRC3_GFX90A:TG_SPLIT: 0
	.section	.text._ZN2at6native12_GLOBAL__N_114gatherKthValueIN3c108BFloat16EiLi3EEEvNS_4cuda6detail10TensorInfoIKT_T0_EESA_SA_SA_SA_NS7_IS8_SA_EENS7_IlSA_EE,"axG",@progbits,_ZN2at6native12_GLOBAL__N_114gatherKthValueIN3c108BFloat16EiLi3EEEvNS_4cuda6detail10TensorInfoIKT_T0_EESA_SA_SA_SA_NS7_IS8_SA_EENS7_IlSA_EE,comdat
	.globl	_ZN2at6native12_GLOBAL__N_114gatherKthValueIN3c108BFloat16EiLi3EEEvNS_4cuda6detail10TensorInfoIKT_T0_EESA_SA_SA_SA_NS7_IS8_SA_EENS7_IlSA_EE ; -- Begin function _ZN2at6native12_GLOBAL__N_114gatherKthValueIN3c108BFloat16EiLi3EEEvNS_4cuda6detail10TensorInfoIKT_T0_EESA_SA_SA_SA_NS7_IS8_SA_EENS7_IlSA_EE
	.p2align	8
	.type	_ZN2at6native12_GLOBAL__N_114gatherKthValueIN3c108BFloat16EiLi3EEEvNS_4cuda6detail10TensorInfoIKT_T0_EESA_SA_SA_SA_NS7_IS8_SA_EENS7_IlSA_EE,@function
_ZN2at6native12_GLOBAL__N_114gatherKthValueIN3c108BFloat16EiLi3EEEvNS_4cuda6detail10TensorInfoIKT_T0_EESA_SA_SA_SA_NS7_IS8_SA_EENS7_IlSA_EE: ; @_ZN2at6native12_GLOBAL__N_114gatherKthValueIN3c108BFloat16EiLi3EEEvNS_4cuda6detail10TensorInfoIKT_T0_EESA_SA_SA_SA_NS7_IS8_SA_EENS7_IlSA_EE
; %bb.0:
	s_load_dwordx2 s[12:13], s[0:1], 0x298
	s_load_dwordx4 s[68:71], s[0:1], 0xd8
	s_add_u32 s10, s0, 0x298
	s_addc_u32 s11, s1, 0
	s_waitcnt lgkmcnt(0)
	s_mul_i32 s4, s13, s4
	s_add_i32 s3, s4, s3
	s_mul_i32 s3, s3, s12
	s_add_i32 s24, s3, s2
	s_cmp_ge_i32 s24, s70
	s_cbranch_scc1 .LBB66_237
; %bb.1:
	s_load_dwordx2 s[8:9], s[0:1], 0xc
	s_load_dwordx2 s[26:27], s[0:1], 0xf4
	s_abs_i32 s5, s24
	s_ashr_i32 s4, s24, 31
	s_load_dwordx4 s[28:31], s[0:1], 0x154
	s_waitcnt lgkmcnt(0)
	s_abs_i32 s3, s9
	v_cvt_f32_u32_e32 v1, s3
	s_sub_i32 s7, 0, s3
	s_ashr_i32 s6, s9, 31
	s_xor_b32 s6, s4, s6
	v_rcp_iflag_f32_e32 v1, v1
                                        ; implicit-def: $vgpr56 : SGPR spill to VGPR lane
                                        ; kill: killed $sgpr0 killed $sgpr1
	v_writelane_b32 v56, s28, 0
	v_mul_f32_e32 v1, 0x4f7ffffe, v1
	v_cvt_u32_f32_e32 v1, v1
	v_writelane_b32 v56, s29, 1
	v_writelane_b32 v56, s30, 2
	;; [unrolled: 1-line block ×3, first 2 shown]
	v_readfirstlane_b32 s13, v1
	s_mul_i32 s7, s7, s13
	s_mul_hi_u32 s7, s13, s7
	s_add_i32 s13, s13, s7
	s_mul_hi_u32 s7, s5, s13
	s_mul_i32 s13, s7, s3
	s_sub_i32 s13, s5, s13
	s_add_i32 s14, s7, 1
	s_sub_i32 s15, s13, s3
	s_cmp_ge_u32 s13, s3
	s_cselect_b32 s7, s14, s7
	s_cselect_b32 s13, s15, s13
	s_add_i32 s14, s7, 1
	s_cmp_ge_u32 s13, s3
	s_cselect_b32 s7, s14, s7
	s_abs_i32 s3, s8
	v_cvt_f32_u32_e32 v1, s3
	s_abs_i32 s15, s27
	v_cvt_f32_u32_e32 v2, s15
	s_xor_b32 s7, s7, s6
	v_rcp_iflag_f32_e32 v1, v1
	s_sub_i32 s16, 0, s3
	v_rcp_iflag_f32_e32 v2, v2
	s_sub_i32 s18, s7, s6
	v_mul_f32_e32 v1, 0x4f7ffffe, v1
	v_cvt_u32_f32_e32 v1, v1
	v_mul_f32_e32 v2, 0x4f7ffffe, v2
	v_cvt_u32_f32_e32 v2, v2
	s_ashr_i32 s14, s27, 31
	v_readfirstlane_b32 s6, v1
	s_mul_i32 s16, s16, s6
	s_mul_hi_u32 s7, s6, s16
	s_add_i32 s16, s6, s7
	s_sub_i32 s6, 0, s15
	v_readfirstlane_b32 s7, v2
	s_mul_i32 s6, s6, s7
	s_mul_hi_u32 s6, s7, s6
	s_add_i32 s7, s7, s6
	s_mul_hi_u32 s6, s5, s7
	s_mul_i32 s7, s6, s15
	s_sub_i32 s7, s5, s7
	s_ashr_i32 s13, s8, 31
	s_xor_b32 s17, s4, s14
	s_ashr_i32 s19, s18, 31
	s_abs_i32 s20, s18
	s_add_i32 s14, s6, 1
	s_sub_i32 s21, s7, s15
	s_cmp_ge_u32 s7, s15
	s_cselect_b32 s6, s14, s6
	s_cselect_b32 s7, s21, s7
	s_add_i32 s14, s6, 1
	s_cmp_ge_u32 s7, s15
	s_cselect_b32 s6, s14, s6
	s_load_dwordx2 s[14:15], s[0:1], 0x0
	s_load_dwordx4 s[28:31], s[0:1], 0x22c
	s_abs_i32 s7, s26
	v_cvt_f32_u32_e32 v1, s7
	s_xor_b32 s6, s6, s17
	s_sub_i32 s25, s6, s17
	s_waitcnt lgkmcnt(0)
	v_writelane_b32 v56, s28, 4
	v_rcp_iflag_f32_e32 v1, v1
	s_nop 0
	v_writelane_b32 v56, s29, 5
	v_writelane_b32 v56, s30, 6
	;; [unrolled: 1-line block ×3, first 2 shown]
	s_load_dwordx2 s[28:29], s[0:1], 0x1cc
	s_load_dwordx2 s[22:23], s[0:1], 0x1c0
	v_mul_f32_e32 v1, 0x4f7ffffe, v1
	v_cvt_u32_f32_e32 v1, v1
	s_waitcnt lgkmcnt(0)
	s_abs_i32 s6, s29
	v_cvt_f32_u32_e32 v2, s6
	v_readfirstlane_b32 s17, v1
	v_writelane_b32 v56, s22, 8
	v_rcp_iflag_f32_e32 v1, v2
	s_nop 0
	v_writelane_b32 v56, s23, 9
	v_writelane_b32 v56, s7, 10
	s_sub_i32 s7, 0, s7
	v_mul_f32_e32 v1, 0x4f7ffffe, v1
	v_cvt_u32_f32_e32 v1, v1
	s_mul_i32 s7, s7, s17
	s_mul_hi_u32 s7, s17, s7
	s_add_i32 s17, s17, s7
	s_ashr_i32 s7, s29, 31
	s_xor_b32 s21, s4, s7
	s_sub_i32 s4, 0, s6
	v_readfirstlane_b32 s7, v1
	s_mul_i32 s4, s4, s7
	s_mul_hi_u32 s4, s7, s4
	s_add_i32 s7, s7, s4
	s_mul_hi_u32 s4, s5, s7
	s_mul_i32 s7, s4, s6
	s_sub_i32 s5, s5, s7
	s_abs_i32 s23, s25
	s_add_i32 s7, s4, 1
	s_sub_i32 s22, s5, s6
	s_cmp_ge_u32 s5, s6
	s_cselect_b32 s4, s7, s4
	s_cselect_b32 s5, s22, s5
	s_add_i32 s7, s4, 1
	s_cmp_ge_u32 s5, s6
	s_cselect_b32 s22, s7, s4
	s_abs_i32 s30, s28
	v_cvt_f32_u32_e32 v1, s30
	s_load_dwordx2 s[4:5], s[0:1], 0xe8
	v_rcp_iflag_f32_e32 v1, v1
	s_waitcnt lgkmcnt(0)
	v_writelane_b32 v56, s4, 11
	v_mul_f32_e32 v1, 0x4f7ffffe, v1
	v_cvt_u32_f32_e32 v1, v1
	v_writelane_b32 v56, s5, 12
	s_load_dwordx4 s[4:7], s[0:1], 0x6c
	v_writelane_b32 v56, s23, 13
	s_mul_hi_u32 s0, s23, s17
	v_writelane_b32 v56, s0, 14
	s_xor_b32 s0, s22, s21
	s_sub_i32 s21, s0, s21
	s_sub_i32 s0, 0, s30
	v_readfirstlane_b32 s1, v1
	s_mul_i32 s0, s0, s1
	s_mul_hi_u32 s0, s1, s0
	s_waitcnt lgkmcnt(0)
	s_mul_hi_u32 s7, s20, s16
	s_abs_i32 s16, s21
	v_writelane_b32 v56, s30, 15
	s_add_i32 s1, s1, s0
	v_writelane_b32 v56, s16, 16
	s_mul_hi_u32 s0, s16, s1
	v_writelane_b32 v56, s0, 17
	v_cmp_eq_u32_e64 s[0:1], 0, v0
	s_and_saveexec_b64 s[16:17], s[0:1]
; %bb.2:
	v_mov_b32_e32 v2, 0
	v_mov_b32_e32 v3, s68
	;; [unrolled: 1-line block ×3, first 2 shown]
	ds_write_b96 v2, v[2:4] offset:4096
; %bb.3:
	s_or_b64 exec, exec, s[16:17]
	v_writelane_b32 v56, s25, 18
	s_ashr_i32 s16, s25, 31
	v_writelane_b32 v56, s16, 19
	v_writelane_b32 v56, s26, 20
	s_ashr_i32 s16, s26, 31
	s_mul_i32 s9, s18, s9
	v_writelane_b32 v56, s27, 21
	v_writelane_b32 v56, s16, 22
	;; [unrolled: 1-line block ×3, first 2 shown]
	s_ashr_i32 s16, s21, 31
	v_writelane_b32 v56, s16, 24
	s_sub_i32 s9, s24, s9
	v_writelane_b32 v56, s28, 25
	s_mul_i32 s9, s9, s6
	s_xor_b32 s6, s19, s13
	s_mul_i32 s13, s7, s3
	v_writelane_b32 v56, s29, 26
	s_ashr_i32 s16, s28, 31
	s_sub_i32 s13, s20, s13
	v_writelane_b32 v56, s16, 27
	s_add_i32 s16, s7, 1
	s_sub_i32 s17, s13, s3
	s_cmp_ge_u32 s13, s3
	s_cselect_b32 s7, s16, s7
	s_cselect_b32 s13, s17, s13
	s_add_i32 s16, s7, 1
	s_cmp_ge_u32 s13, s3
	s_cselect_b32 s3, s16, s7
	s_xor_b32 s3, s3, s6
	s_sub_i32 s3, s3, s6
	s_mul_i32 s6, s3, s8
	s_sub_i32 s6, s18, s6
	s_mul_i32 s5, s6, s5
	s_add_i32 s5, s5, s9
	s_mul_i32 s3, s3, s4
	s_add_i32 s4, s5, s3
	s_waitcnt lgkmcnt(0)
	s_barrier
	s_load_dword s3, s[10:11], 0xc
	s_ashr_i32 s5, s4, 31
	s_lshl_b64 s[4:5], s[4:5], 1
	s_add_u32 s80, s14, s4
	v_mbcnt_lo_u32_b32 v1, -1, 0
	s_addc_u32 s81, s15, s5
	s_waitcnt lgkmcnt(0)
	s_and_b32 s70, s3, 0xffff
	v_mbcnt_hi_u32_b32 v20, -1, v1
	v_cmp_gt_u32_e32 vcc, 64, v0
	v_cmp_gt_i32_e64 s[4:5], 4, v20
	s_add_i32 s6, s70, -1
	v_writelane_b32 v56, s24, 28
	s_lshl_b32 s33, s70, 2
	s_and_b64 s[84:85], vcc, s[4:5]
	s_add_i32 s92, s6, s68
	v_writelane_b32 v56, s6, 29
	s_cmpk_gt_i32 s68, 0x600
	v_cmp_gt_u32_e64 s[6:7], s68, v0
	s_cselect_b64 s[86:87], -1, 0
	s_cmp_gt_u32 s70, 63
	v_writelane_b32 v56, s6, 30
	s_cselect_b64 s[88:89], -1, 0
	s_cmp_lt_u32 s2, s12
	v_writelane_b32 v56, s7, 31
	v_cmp_gt_i32_e64 s[6:7], s68, v0
	s_cselect_b32 s2, 12, 18
	v_lshlrev_b64 v[2:3], v20, -1
	v_writelane_b32 v56, s6, 32
	v_not_b32_e32 v12, v2
	v_lshrrev_b32_e32 v2, 2, v0
	v_writelane_b32 v56, s7, 33
	s_add_u32 s6, s10, s2
	s_addc_u32 s7, s11, 0
	v_writelane_b32 v56, s6, 34
	v_and_b32_e32 v2, 0xf0, v2
	v_or_b32_e32 v23, 0xc00, v2
	v_writelane_b32 v56, s7, 35
	s_bfe_u32 s6, s3, 0xa0006
	s_add_i32 s2, s6, -2
	s_lshr_b32 s3, s2, 1
	s_add_i32 s3, s3, 1
	s_cmpk_gt_u32 s70, 0x7f
	s_cselect_b64 s[8:9], -1, 0
	v_writelane_b32 v56, s8, 36
	v_cvt_f32_u32_e32 v2, s33
	s_and_b32 s7, s6, 0x3fe
	v_writelane_b32 v56, s9, 37
	s_and_b32 s8, s3, 7
	s_cmp_gt_u32 s2, 13
	s_cselect_b64 s[10:11], -1, 0
	v_writelane_b32 v56, s10, 38
	v_rcp_iflag_f32_e32 v2, v2
	s_and_b32 s2, s3, -8
	v_writelane_b32 v56, s11, 39
	v_writelane_b32 v56, s2, 40
	s_cmp_lg_u32 s8, 0
	v_writelane_b32 v56, s8, 41
	s_cselect_b64 s[2:3], -1, 0
	v_writelane_b32 v56, s2, 42
	v_mul_f32_e32 v2, 0x4f7ffffe, v2
	v_cvt_u32_f32_e32 v2, v2
	v_writelane_b32 v56, s3, 43
	v_writelane_b32 v56, s6, 44
	s_cmp_lg_u32 s7, s6
	v_writelane_b32 v56, s7, 45
	s_cselect_b64 s[2:3], -1, 0
	v_writelane_b32 v56, s2, 46
	v_not_b32_e32 v1, v3
	v_cvt_f32_u32_e32 v3, s70
	v_writelane_b32 v56, s3, 47
	s_sub_i32 s2, 0, s33
	v_readfirstlane_b32 s3, v2
	s_mul_i32 s2, s2, s3
	s_mul_hi_u32 s2, s3, s2
	s_add_i32 s7, s3, s2
	s_mul_hi_u32 s2, s68, s7
	s_mul_i32 s2, s2, s33
	s_sub_i32 s2, s68, s2
	s_sub_i32 s3, s2, s33
	s_cmp_ge_u32 s2, s33
	s_cselect_b32 s2, s3, s2
	s_sub_i32 s3, s2, s33
	s_cmp_ge_u32 s2, s33
	s_cselect_b32 s2, s3, s2
	s_sub_i32 s8, s68, s2
	v_rcp_iflag_f32_e32 v5, v3
	v_add_u32_e32 v24, s8, v0
	v_mul_lo_u32 v2, v24, s71
	v_ashrrev_i32_e32 v3, 31, v2
	v_lshl_add_u64 v[14:15], v[2:3], 1, s[80:81]
	v_mul_f32_e32 v2, 0x4f7ffffe, v5
	v_cvt_u32_f32_e32 v2, v2
	s_sub_i32 s9, 0, s70
	s_abs_i32 s6, s92
	s_ashr_i32 s3, s92, 31
	v_readfirstlane_b32 s16, v2
	s_mul_i32 s9, s9, s16
	s_mul_hi_u32 s9, s16, s9
	s_add_i32 s9, s16, s9
	s_mul_hi_u32 s16, s6, s9
	s_mul_i32 s16, s16, s70
	s_sub_i32 s6, s6, s16
	s_sub_i32 s16, s6, s70
	s_cmp_ge_u32 s6, s70
	s_cselect_b32 s6, s16, s6
	s_sub_i32 s16, s6, s70
	s_cmp_ge_u32 s6, s70
	v_lshlrev_b32_e32 v13, 2, v0
	s_cselect_b32 s6, s16, s6
	s_xor_b32 s6, s6, s3
	v_mul_lo_u32 v2, s71, v13
	s_sub_i32 s3, s3, s6
	v_add_u32_e32 v25, s71, v2
	v_or_b32_e32 v2, 2, v13
	s_add_i32 s92, s92, s3
	v_mul_lo_u32 v26, s71, v2
	v_or_b32_e32 v2, 3, v13
	s_add_i32 s3, s70, s68
	v_mov_b32_e32 v9, 0
	v_cmp_gt_i32_e64 s[16:17], s92, v0
	v_mul_lo_u32 v27, s71, v2
	v_add_u32_e32 v2, s3, v0
	v_lshlrev_b32_e32 v21, 1, v0
	v_mul_lo_u32 v6, s71, v0
	v_mov_b32_e32 v7, v9
	v_lshlrev_b32_e32 v4, 2, v20
	v_writelane_b32 v56, s16, 48
	s_mul_i32 s98, s71, s70
	v_subrev_u32_e32 v2, s2, v2
	s_mov_b32 s2, 0
	s_mov_b32 s99, 0xffff
	v_cmp_eq_u32_e64 s[18:19], 0, v20
	v_cmp_gt_u32_e64 s[4:5], 2, v0
	v_add_u32_e32 v22, 0xc00, v21
	v_lshl_add_u64 v[10:11], v[6:7], 1, s[80:81]
	v_and_b32_e32 v7, 0x100, v4
	v_cmp_gt_i32_e64 s[10:11], s8, v13
	v_cmp_gt_u32_e64 s[12:13], s68, v24
	v_cmp_gt_i32_e64 s[14:15], s68, v24
	v_writelane_b32 v56, s17, 49
	s_lshl_b32 s93, s98, 2
	v_lshlrev_b32_e32 v28, 2, v6
	v_mul_lo_u32 v30, s71, v2
	v_lshlrev_b32_e32 v31, 3, v0
	s_lshl_b32 s90, s70, 3
	s_lshl_b32 s91, s70, 1
	v_or_b32_e32 v32, 0xc00, v4
	s_mov_b64 s[74:75], 0
	v_mov_b32_e32 v34, 14
	v_mov_b32_e32 v41, s69
	;; [unrolled: 1-line block ×3, first 2 shown]
	s_movk_i32 s69, 0x3f80
	v_mov_b32_e32 v33, 0xffff
	v_mov_b32_e32 v35, 0x8000
	v_mov_b32_e32 v36, -1
	v_mov_b32_e32 v37, 0xc00
	v_mov_b32_e32 v38, 0x5040100
	;; [unrolled: 1-line block ×3, first 2 shown]
	s_mov_b32 s3, 1
	s_mov_b32 s16, s2
	v_mov_b32_e32 v29, 0
	v_mov_b32_e32 v39, 0
                                        ; implicit-def: $sgpr78_sgpr79
                                        ; implicit-def: $sgpr60_sgpr61
                                        ; implicit-def: $sgpr62_sgpr63
                                        ; implicit-def: $sgpr66_sgpr67
                                        ; implicit-def: $sgpr82_sgpr83
                                        ; implicit-def: $sgpr64_sgpr65
	s_branch .LBB66_7
.LBB66_4:                               ;   in Loop: Header=BB66_7 Depth=1
	s_or_b64 exec, exec, s[30:31]
	s_and_b64 s[30:31], s[28:29], exec
	s_andn2_b64 s[26:27], s[26:27], exec
	s_andn2_b64 s[24:25], s[24:25], exec
	s_orn2_b64 s[20:21], s[20:21], exec
.LBB66_5:                               ;   in Loop: Header=BB66_7 Depth=1
	s_or_b64 exec, exec, s[22:23]
	s_andn2_b64 s[16:17], s[64:65], exec
	s_and_b64 s[22:23], s[30:31], exec
	s_or_b64 s[64:65], s[16:17], s[22:23]
	s_andn2_b64 s[16:17], s[82:83], exec
	s_and_b64 s[22:23], s[26:27], exec
	s_or_b64 s[82:83], s[16:17], s[22:23]
	;; [unrolled: 3-line block ×3, first 2 shown]
	s_orn2_b64 s[20:21], s[20:21], exec
.LBB66_6:                               ;   in Loop: Header=BB66_7 Depth=1
	s_or_b64 exec, exec, s[2:3]
	s_and_b64 s[2:3], exec, s[20:21]
	s_or_b64 s[74:75], s[2:3], s[74:75]
	s_andn2_b64 s[2:3], s[62:63], exec
	s_and_b64 s[16:17], s[64:65], exec
	s_or_b64 s[62:63], s[2:3], s[16:17]
	s_andn2_b64 s[2:3], s[60:61], exec
	s_and_b64 s[16:17], s[82:83], exec
	;; [unrolled: 3-line block ×3, first 2 shown]
	s_or_b64 s[78:79], s[2:3], s[16:17]
	s_mov_b32 s16, s6
	v_mov_b32_e32 v41, v16
	s_andn2_b64 exec, exec, s[74:75]
	s_cbranch_execz .LBB66_233
.LBB66_7:                               ; =>This Loop Header: Depth=1
                                        ;     Child Loop BB66_12 Depth 2
                                        ;     Child Loop BB66_27 Depth 2
	;; [unrolled: 1-line block ×17, first 2 shown]
	ds_read_b64 v[2:3], v9 offset:4096
	s_waitcnt lgkmcnt(0)
	v_readfirstlane_b32 s17, v2
	s_cmp_gt_i32 s17, 0
	s_cbranch_scc1 .LBB66_34
; %bb.8:                                ;   in Loop: Header=BB66_7 Depth=1
	s_and_b64 vcc, exec, s[86:87]
	s_cbranch_vccz .LBB66_20
; %bb.9:                                ;   in Loop: Header=BB66_7 Depth=1
	s_movk_i32 s2, 0x601
	v_cmp_gt_i32_e32 vcc, s2, v3
	s_mov_b64 s[20:21], 0
	s_mov_b64 s[2:3], 0
	s_cbranch_vccz .LBB66_21
; %bb.10:                               ;   in Loop: Header=BB66_7 Depth=1
	v_readlane_b32 s2, v56, 34
	v_readlane_b32 s3, v56, 35
	s_nop 4
	global_load_ushort v2, v9, s[2:3]
	global_load_ushort v4, v[10:11], off
	s_mov_b64 s[22:23], 0
	s_waitcnt vmcnt(1)
	v_add_u32_e32 v5, v0, v2
	v_mul_lo_u32 v3, s71, v2
	v_mul_lo_u32 v8, s71, v5
	v_mov_b32_e32 v5, v0
	s_branch .LBB66_12
.LBB66_11:                              ;   in Loop: Header=BB66_12 Depth=2
	s_or_b64 exec, exec, s[2:3]
	v_cmp_le_i32_e32 vcc, s68, v5
	v_add_u32_e32 v8, v8, v3
	s_or_b64 s[22:23], vcc, s[22:23]
	v_mov_b32_e32 v4, v16
	s_andn2_b64 exec, exec, s[22:23]
	s_cbranch_execz .LBB66_66
.LBB66_12:                              ;   Parent Loop BB66_7 Depth=1
                                        ; =>  This Inner Loop Header: Depth=2
	v_add_u32_e32 v5, v5, v2
	v_cmp_gt_u32_e32 vcc, s68, v5
	s_waitcnt lgkmcnt(0)
	v_mov_b32_e32 v17, 0
	v_mov_b32_e32 v16, 0
	s_and_saveexec_b64 s[2:3], vcc
	s_cbranch_execz .LBB66_14
; %bb.13:                               ;   in Loop: Header=BB66_12 Depth=2
	v_lshl_add_u64 v[18:19], v[8:9], 1, s[80:81]
	global_load_ushort v16, v[18:19], off
.LBB66_14:                              ;   in Loop: Header=BB66_12 Depth=2
	s_or_b64 exec, exec, s[2:3]
	s_waitcnt vmcnt(0)
	v_cmp_lt_i16_e32 vcc, -1, v4
	v_lshlrev_b32_e32 v19, 16, v4
	s_nop 0
	v_cndmask_b32_e32 v18, v33, v35, vcc
	v_xor_b32_sdwa v18, v18, v4 dst_sel:DWORD dst_unused:UNUSED_PAD src0_sel:DWORD src1_sel:WORD_0
	v_cmp_o_f32_e32 vcc, v19, v19
	s_nop 1
	v_cndmask_b32_e32 v18, v33, v18, vcc
	v_and_b32_e32 v18, v18, v39
	v_cmp_eq_u32_e32 vcc, v18, v29
	s_cmp_lg_u64 vcc, 0
	s_cselect_b64 s[2:3], -1, 0
	s_and_b64 s[2:3], s[18:19], s[2:3]
	s_and_saveexec_b64 s[24:25], s[2:3]
	s_cbranch_execz .LBB66_18
; %bb.15:                               ;   in Loop: Header=BB66_12 Depth=2
	s_mov_b64 s[28:29], exec
	v_mbcnt_lo_u32_b32 v17, s28, 0
	v_mbcnt_hi_u32_b32 v17, s29, v17
	s_bcnt1_i32_b64 s6, vcc
	v_cmp_eq_u32_e64 s[2:3], 0, v17
                                        ; implicit-def: $vgpr18
	s_and_saveexec_b64 s[26:27], s[2:3]
; %bb.16:                               ;   in Loop: Header=BB66_12 Depth=2
	s_bcnt1_i32_b64 s2, s[28:29]
	s_mul_i32 s2, s6, s2
	v_mov_b32_e32 v18, s2
	ds_add_rtn_u32 v18, v9, v18 offset:4104
; %bb.17:                               ;   in Loop: Header=BB66_12 Depth=2
	s_or_b64 exec, exec, s[26:27]
	s_waitcnt lgkmcnt(0)
	v_readfirstlane_b32 s2, v18
	s_nop 1
	v_mov_b32_e32 v18, s2
	v_mad_u32_u24 v17, s6, v17, v18
.LBB66_18:                              ;   in Loop: Header=BB66_12 Depth=2
	s_or_b64 exec, exec, s[24:25]
	ds_bpermute_b32 v17, v7, v17
	s_and_saveexec_b64 s[2:3], vcc
	s_cbranch_execz .LBB66_11
; %bb.19:                               ;   in Loop: Header=BB66_12 Depth=2
	v_and_b32_e32 v19, vcc_lo, v12
	v_and_b32_e32 v18, vcc_hi, v1
	v_bcnt_u32_b32 v19, v19, 0
	v_bcnt_u32_b32 v18, v18, v19
	v_lshlrev_b32_e32 v18, 1, v18
	s_waitcnt lgkmcnt(0)
	v_lshl_add_u32 v17, v17, 1, v18
	ds_write_b16 v17, v4
	s_branch .LBB66_11
.LBB66_20:                              ;   in Loop: Header=BB66_7 Depth=1
	s_mov_b64 s[20:21], -1
	s_mov_b64 s[2:3], 0
.LBB66_21:                              ;   in Loop: Header=BB66_7 Depth=1
	s_and_b64 vcc, exec, s[20:21]
	s_cbranch_vccz .LBB66_32
.LBB66_22:                              ;   in Loop: Header=BB66_7 Depth=1
	v_mov_b32_e32 v2, 0
	s_mov_b64 s[2:3], exec
	v_readlane_b32 s20, v56, 30
	v_readlane_b32 s21, v56, 31
	s_and_b64 s[20:21], s[2:3], s[20:21]
	s_mov_b64 exec, s[20:21]
	s_cbranch_execz .LBB66_24
; %bb.23:                               ;   in Loop: Header=BB66_7 Depth=1
	global_load_ushort v2, v[10:11], off
.LBB66_24:                              ;   in Loop: Header=BB66_7 Depth=1
	s_or_b64 exec, exec, s[2:3]
	s_mov_b64 s[2:3], exec
	v_readlane_b32 s20, v56, 32
	v_readlane_b32 s21, v56, 33
	s_and_b64 s[20:21], s[2:3], s[20:21]
	s_mov_b64 exec, s[20:21]
	s_cbranch_execz .LBB66_29
; %bb.25:                               ;   in Loop: Header=BB66_7 Depth=1
	v_readlane_b32 s20, v56, 34
	v_readlane_b32 s21, v56, 35
	v_mov_b32_e32 v4, v21
	v_mov_b32_e32 v17, v0
	s_nop 2
	global_load_ushort v3, v9, s[20:21]
	s_mov_b64 s[20:21], 0
	s_waitcnt vmcnt(0)
	v_add_u32_e32 v8, v0, v3
	v_lshlrev_b32_e32 v5, 1, v3
	v_mul_lo_u32 v16, s71, v3
	v_mul_lo_u32 v8, s71, v8
	s_branch .LBB66_27
.LBB66_26:                              ;   in Loop: Header=BB66_27 Depth=2
	s_or_b64 exec, exec, s[22:23]
	v_cmp_le_i32_e32 vcc, s68, v17
	ds_write_b16 v4, v2
	v_add_u32_e32 v4, v4, v5
	v_add_u32_e32 v8, v8, v16
	s_or_b64 s[20:21], vcc, s[20:21]
	s_waitcnt vmcnt(0)
	v_mov_b32_e32 v2, v18
	s_andn2_b64 exec, exec, s[20:21]
	s_cbranch_execz .LBB66_29
.LBB66_27:                              ;   Parent Loop BB66_7 Depth=1
                                        ; =>  This Inner Loop Header: Depth=2
	v_add_u32_e32 v17, v17, v3
	v_cmp_gt_u32_e32 vcc, s68, v17
	v_mov_b32_e32 v18, 0
	s_and_saveexec_b64 s[22:23], vcc
	s_cbranch_execz .LBB66_26
; %bb.28:                               ;   in Loop: Header=BB66_27 Depth=2
	v_lshl_add_u64 v[18:19], v[8:9], 1, s[80:81]
	global_load_ushort v18, v[18:19], off
	s_branch .LBB66_26
.LBB66_29:                              ;   in Loop: Header=BB66_7 Depth=1
	s_or_b64 exec, exec, s[2:3]
	s_waitcnt lgkmcnt(0)
	s_barrier
	s_and_saveexec_b64 s[2:3], s[0:1]
; %bb.30:                               ;   in Loop: Header=BB66_7 Depth=1
	ds_write_b32 v9, v42 offset:4096
; %bb.31:                               ;   in Loop: Header=BB66_7 Depth=1
	s_or_b64 exec, exec, s[2:3]
	s_mov_b64 s[2:3], -1
	s_waitcnt lgkmcnt(0)
	s_barrier
.LBB66_32:                              ;   in Loop: Header=BB66_7 Depth=1
	s_and_b64 vcc, exec, s[2:3]
	s_cbranch_vccz .LBB66_34
; %bb.33:                               ;   in Loop: Header=BB66_7 Depth=1
	s_waitcnt vmcnt(0)
	ds_read_b32 v2, v9 offset:4096
	s_waitcnt lgkmcnt(0)
	v_readfirstlane_b32 s17, v2
.LBB66_34:                              ;   in Loop: Header=BB66_7 Depth=1
	s_cmp_lt_i32 s17, 1
	s_mov_b64 s[2:3], -1
                                        ; implicit-def: $vgpr4_vgpr5
	s_cbranch_scc1 .LBB66_44
; %bb.35:                               ;   in Loop: Header=BB66_7 Depth=1
	s_and_b64 vcc, exec, s[2:3]
	s_cbranch_vccnz .LBB66_57
.LBB66_36:                              ;   in Loop: Header=BB66_7 Depth=1
	s_lshl_b32 s6, s16, 6
	s_and_saveexec_b64 s[2:3], s[18:19]
	s_cbranch_execz .LBB66_38
.LBB66_37:                              ;   in Loop: Header=BB66_7 Depth=1
	v_lshl_add_u32 v8, s6, 2, v23
	s_waitcnt vmcnt(0)
	ds_write_b128 v8, v[2:5]
.LBB66_38:                              ;   in Loop: Header=BB66_7 Depth=1
	s_or_b64 exec, exec, s[2:3]
	s_waitcnt lgkmcnt(0)
	s_barrier
	s_and_saveexec_b64 s[2:3], s[84:85]
	s_cbranch_execz .LBB66_77
; %bb.39:                               ;   in Loop: Header=BB66_7 Depth=1
	v_add_u32_e32 v4, s6, v20
	s_andn2_b64 vcc, exec, s[88:89]
	s_waitcnt vmcnt(0)
	v_mov_b32_e32 v2, 0
	s_cbranch_vccnz .LBB66_76
; %bb.40:                               ;   in Loop: Header=BB66_7 Depth=1
	v_readlane_b32 s20, v56, 36
	v_readlane_b32 s21, v56, 37
	s_andn2_b64 vcc, exec, s[20:21]
	s_cbranch_vccnz .LBB66_69
; %bb.41:                               ;   in Loop: Header=BB66_7 Depth=1
	v_readlane_b32 s20, v56, 38
	v_readlane_b32 s21, v56, 39
	s_andn2_b64 vcc, exec, s[20:21]
	v_lshl_add_u32 v5, v4, 2, v37
	s_cbranch_vccnz .LBB66_70
; %bb.42:                               ;   in Loop: Header=BB66_7 Depth=1
	s_mov_b32 s21, 1
	s_mov_b32 s20, 0
	v_mov_b32_e32 v2, 0
	v_mov_b32_e32 v3, 0
	v_readlane_b32 s17, v56, 40
.LBB66_43:                              ;   Parent Loop BB66_7 Depth=1
                                        ; =>  This Inner Loop Header: Depth=2
	v_lshl_add_u32 v8, s20, 4, v5
	v_lshl_add_u32 v43, s21, 4, v5
	ds_read2_b32 v[16:17], v8 offset1:8
	ds_read2_b32 v[18:19], v43 offset1:8
	ds_read2_b32 v[44:45], v8 offset0:16 offset1:24
	ds_read2_b32 v[46:47], v43 offset0:16 offset1:24
	;; [unrolled: 1-line block ×6, first 2 shown]
	s_waitcnt lgkmcnt(7)
	v_add3_u32 v2, v16, v2, v17
	s_waitcnt lgkmcnt(6)
	v_add3_u32 v3, v18, v3, v19
	;; [unrolled: 2-line block ×3, first 2 shown]
	v_add3_u32 v2, v44, v2, v45
	s_add_i32 s21, s21, 16
	s_add_i32 s20, s20, 16
	s_add_i32 s17, s17, -8
	s_waitcnt lgkmcnt(3)
	v_add3_u32 v2, v48, v2, v49
	s_waitcnt lgkmcnt(2)
	v_add3_u32 v3, v50, v3, v51
	s_cmp_lg_u32 s17, 0
	s_waitcnt lgkmcnt(0)
	v_add3_u32 v3, v54, v3, v55
	v_add3_u32 v2, v52, v2, v53
	s_cbranch_scc1 .LBB66_43
	s_branch .LBB66_71
.LBB66_44:                              ;   in Loop: Header=BB66_7 Depth=1
	v_mov_b32_e32 v8, v9
	v_mov_b64_e32 v[4:5], v[8:9]
	s_waitcnt vmcnt(0)
	v_mov_b64_e32 v[2:3], v[8:9]
	s_and_saveexec_b64 s[72:73], s[10:11]
	s_cbranch_execnz .LBB66_47
; %bb.45:                               ;   in Loop: Header=BB66_7 Depth=1
	s_or_b64 exec, exec, s[72:73]
	v_mov_b32_e32 v18, 0
	s_and_saveexec_b64 s[2:3], s[12:13]
	s_cbranch_execnz .LBB66_50
.LBB66_46:                              ;   in Loop: Header=BB66_7 Depth=1
	s_or_b64 exec, exec, s[2:3]
	s_and_saveexec_b64 s[20:21], s[14:15]
	s_cbranch_execnz .LBB66_51
	s_branch .LBB66_56
.LBB66_47:                              ;   in Loop: Header=BB66_7 Depth=1
	s_mov_b32 s6, 0
	s_mov_b64 s[76:77], 0
	v_mov_b32_e32 v8, v13
	s_mov_b32 s94, 0
	s_mov_b32 s95, s6
	;; [unrolled: 1-line block ×4, first 2 shown]
.LBB66_48:                              ;   Parent Loop BB66_7 Depth=1
                                        ; =>  This Inner Loop Header: Depth=2
	v_add_u32_e32 v2, s6, v28
	v_add_u32_e32 v4, s6, v25
	;; [unrolled: 1-line block ×4, first 2 shown]
	v_ashrrev_i32_e32 v3, 31, v2
	v_ashrrev_i32_e32 v5, 31, v4
	;; [unrolled: 1-line block ×4, first 2 shown]
	v_lshl_add_u64 v[2:3], v[2:3], 1, s[80:81]
	v_lshl_add_u64 v[4:5], v[4:5], 1, s[80:81]
	;; [unrolled: 1-line block ×4, first 2 shown]
	global_load_ushort v2, v[2:3], off
	s_nop 0
	global_load_ushort v3, v[4:5], off
	s_nop 0
	global_load_ushort v4, v[16:17], off
	global_load_ushort v5, v[18:19], off
	v_add_u32_e32 v8, s33, v8
	s_add_i32 s6, s6, s93
	v_cmp_le_i32_e32 vcc, s8, v8
	s_waitcnt vmcnt(3)
	v_cmp_lt_i16_e64 s[2:3], -1, v2
	s_nop 1
	v_cndmask_b32_e64 v43, v33, v35, s[2:3]
	s_waitcnt vmcnt(2)
	v_cmp_lt_i16_e64 s[2:3], -1, v3
	v_lshlrev_b32_e32 v16, 16, v2
	v_lshlrev_b32_e32 v17, 16, v3
	v_cndmask_b32_e64 v44, v33, v35, s[2:3]
	s_waitcnt vmcnt(1)
	v_cmp_lt_i16_e64 s[2:3], -1, v4
	v_xor_b32_sdwa v2, v43, v2 dst_sel:DWORD dst_unused:UNUSED_PAD src0_sel:DWORD src1_sel:WORD_0
	v_cmp_o_f32_e64 s[24:25], v16, v16
	v_cndmask_b32_e64 v45, v33, v35, s[2:3]
	s_waitcnt vmcnt(0)
	v_cmp_lt_i16_e64 s[2:3], -1, v5
	v_lshlrev_b32_e32 v18, 16, v4
	v_xor_b32_sdwa v3, v44, v3 dst_sel:DWORD dst_unused:UNUSED_PAD src0_sel:DWORD src1_sel:WORD_0
	v_cndmask_b32_e64 v46, v33, v35, s[2:3]
	v_cmp_o_f32_e64 s[2:3], v17, v17
	v_cndmask_b32_e64 v2, v33, v2, s[24:25]
	v_lshlrev_b32_e32 v19, 16, v5
	v_xor_b32_sdwa v4, v45, v4 dst_sel:DWORD dst_unused:UNUSED_PAD src0_sel:DWORD src1_sel:WORD_0
	v_cmp_o_f32_e64 s[20:21], v18, v18
	v_cndmask_b32_e64 v3, v33, v3, s[2:3]
	v_and_b32_e32 v16, v2, v39
	v_bfe_u32 v2, v2, v34, 2
	v_xor_b32_sdwa v5, v46, v5 dst_sel:DWORD dst_unused:UNUSED_PAD src0_sel:DWORD src1_sel:WORD_0
	v_cmp_o_f32_e64 s[22:23], v19, v19
	v_cndmask_b32_e64 v4, v33, v4, s[20:21]
	v_and_b32_e32 v17, v3, v39
	v_bfe_u32 v3, v3, v34, 2
	v_cmp_eq_u32_e64 s[2:3], v16, v29
	v_cmp_eq_u32_e64 s[26:27], 0, v2
	v_cndmask_b32_e64 v5, v33, v5, s[22:23]
	v_and_b32_e32 v18, v4, v39
	v_bfe_u32 v4, v4, v34, 2
	v_cmp_eq_u32_e64 s[20:21], v17, v29
	v_cmp_eq_u32_e64 s[28:29], 0, v3
	s_and_b64 s[26:27], s[2:3], s[26:27]
	v_and_b32_e32 v19, v5, v39
	v_bfe_u32 v5, v5, v34, 2
	v_cmp_eq_u32_e64 s[22:23], v18, v29
	v_cmp_eq_u32_e64 s[30:31], 0, v4
	;; [unrolled: 1-line block ×5, first 2 shown]
	v_cndmask_b32_e64 v2, 0, 1, s[26:27]
	s_and_b64 s[26:27], s[20:21], s[28:29]
	v_cmp_eq_u32_e64 s[24:25], v19, v29
	v_cmp_eq_u32_e64 s[34:35], 0, v5
	;; [unrolled: 1-line block ×5, first 2 shown]
	v_cndmask_b32_e64 v3, 0, 1, s[26:27]
	s_and_b64 s[26:27], s[22:23], s[30:31]
	v_cmp_eq_u32_e64 s[40:41], 1, v4
	v_cmp_eq_u32_e64 s[48:49], 2, v4
	;; [unrolled: 1-line block ×3, first 2 shown]
	v_cndmask_b32_e64 v4, 0, 1, s[26:27]
	s_and_b64 s[26:27], s[24:25], s[34:35]
	v_cmp_eq_u32_e64 s[42:43], 1, v5
	v_cmp_eq_u32_e64 s[50:51], 2, v5
	;; [unrolled: 1-line block ×3, first 2 shown]
	v_cndmask_b32_e64 v5, 0, 1, s[26:27]
	s_and_b64 s[26:27], s[2:3], s[36:37]
	v_cndmask_b32_e64 v16, 0, 1, s[26:27]
	s_and_b64 s[26:27], s[20:21], s[38:39]
	;; [unrolled: 2-line block ×5, first 2 shown]
	s_and_b64 s[2:3], s[2:3], s[52:53]
	v_cndmask_b32_e64 v43, 0, 1, s[26:27]
	s_and_b64 s[26:27], s[20:21], s[46:47]
	v_cndmask_b32_e64 v47, 0, 1, s[2:3]
	;; [unrolled: 2-line block ×7, first 2 shown]
	v_cndmask_b32_e64 v50, 0, 1, s[2:3]
	v_cmp_ne_u32_e64 s[2:3], 0, v2
	v_cmp_ne_u32_e64 s[20:21], 0, v3
	;; [unrolled: 1-line block ×11, first 2 shown]
	s_bcnt1_i32_b64 s2, s[2:3]
	s_bcnt1_i32_b64 s3, s[20:21]
	;; [unrolled: 1-line block ×8, first 2 shown]
	v_cmp_ne_u32_e64 s[34:35], 0, v19
	v_cmp_ne_u32_e64 s[40:41], 0, v45
	v_cmp_ne_u32_e64 s[48:49], 0, v49
	s_bcnt1_i32_b64 s23, s[28:29]
	s_bcnt1_i32_b64 s27, s[38:39]
	;; [unrolled: 1-line block ×3, first 2 shown]
	s_add_i32 s2, s94, s2
	s_add_i32 s22, s95, s22
	;; [unrolled: 1-line block ×4, first 2 shown]
	v_cmp_ne_u32_e64 s[42:43], 0, v46
	v_cmp_ne_u32_e64 s[50:51], 0, v50
	s_bcnt1_i32_b64 s25, s[34:35]
	s_bcnt1_i32_b64 s28, s[40:41]
	;; [unrolled: 1-line block ×3, first 2 shown]
	s_add_i32 s22, s22, s23
	s_add_i32 s2, s2, s3
	;; [unrolled: 1-line block ×4, first 2 shown]
	s_bcnt1_i32_b64 s29, s[42:43]
	s_bcnt1_i32_b64 s35, s[50:51]
	s_add_i32 s2, s2, s20
	s_add_i32 s20, s22, s24
	;; [unrolled: 1-line block ×8, first 2 shown]
	s_or_b64 s[76:77], vcc, s[76:77]
	v_mov_b64_e32 v[2:3], s[94:95]
	v_mov_b64_e32 v[4:5], s[96:97]
	s_andn2_b64 exec, exec, s[76:77]
	s_cbranch_execnz .LBB66_48
; %bb.49:                               ;   in Loop: Header=BB66_7 Depth=1
	s_or_b64 exec, exec, s[76:77]
	s_or_b64 exec, exec, s[72:73]
	v_mov_b32_e32 v18, 0
	s_and_saveexec_b64 s[2:3], s[12:13]
	s_cbranch_execz .LBB66_46
.LBB66_50:                              ;   in Loop: Header=BB66_7 Depth=1
	global_load_ushort v18, v[14:15], off
	s_or_b64 exec, exec, s[2:3]
	s_and_saveexec_b64 s[20:21], s[14:15]
	s_cbranch_execz .LBB66_56
.LBB66_51:                              ;   in Loop: Header=BB66_7 Depth=1
	s_mov_b64 s[22:23], 0
	v_mov_b32_e32 v16, v30
	v_mov_b32_e32 v8, v24
	s_branch .LBB66_53
.LBB66_52:                              ;   in Loop: Header=BB66_53 Depth=2
	s_or_b64 exec, exec, s[2:3]
	s_waitcnt vmcnt(0)
	v_cmp_lt_i16_e32 vcc, -1, v18
	v_lshlrev_b32_e32 v43, 16, v18
	v_add_u32_e32 v16, s98, v16
	v_cndmask_b32_e32 v19, v33, v35, vcc
	v_xor_b32_sdwa v18, v19, v18 dst_sel:DWORD dst_unused:UNUSED_PAD src0_sel:DWORD src1_sel:WORD_0
	v_cmp_o_f32_e32 vcc, v43, v43
	s_nop 1
	v_cndmask_b32_e32 v18, v33, v18, vcc
	v_and_b32_e32 v19, v18, v39
	v_bfe_u32 v18, v18, v34, 2
	v_cmp_eq_u32_e32 vcc, v19, v29
	v_cmp_eq_u32_e64 s[2:3], 0, v18
	s_and_b64 s[2:3], vcc, s[2:3]
	s_nop 0
	v_cndmask_b32_e64 v19, 0, 1, s[2:3]
	v_cmp_ne_u32_e64 s[2:3], 0, v19
	s_bcnt1_i32_b64 s6, s[2:3]
	v_cmp_eq_u32_e64 s[2:3], 1, v18
	s_and_b64 s[2:3], vcc, s[2:3]
	v_add_u32_e32 v2, s6, v2
	v_cndmask_b32_e64 v19, 0, 1, s[2:3]
	v_cmp_ne_u32_e64 s[2:3], 0, v19
	s_bcnt1_i32_b64 s2, s[2:3]
	s_nop 0
	v_add_u32_e32 v3, s2, v3
	v_cmp_eq_u32_e64 s[2:3], 2, v18
	s_and_b64 s[2:3], vcc, s[2:3]
	s_nop 0
	v_cndmask_b32_e64 v19, 0, 1, s[2:3]
	v_cmp_ne_u32_e64 s[2:3], 0, v19
	s_bcnt1_i32_b64 s6, s[2:3]
	v_cmp_eq_u32_e64 s[2:3], 3, v18
	s_and_b64 s[2:3], vcc, s[2:3]
	v_add_u32_e32 v4, s6, v4
	v_cndmask_b32_e64 v18, 0, 1, s[2:3]
	v_cmp_ne_u32_e32 vcc, 0, v18
	s_bcnt1_i32_b64 s2, vcc
	v_cmp_le_i32_e32 vcc, s68, v8
	v_add_u32_e32 v5, s2, v5
	s_or_b64 s[22:23], vcc, s[22:23]
	v_mov_b32_e32 v18, v17
	s_andn2_b64 exec, exec, s[22:23]
	s_cbranch_execz .LBB66_55
.LBB66_53:                              ;   Parent Loop BB66_7 Depth=1
                                        ; =>  This Inner Loop Header: Depth=2
	v_add_u32_e32 v8, s70, v8
	v_cmp_gt_u32_e32 vcc, s68, v8
	v_mov_b32_e32 v17, 0
	s_and_saveexec_b64 s[2:3], vcc
	s_cbranch_execz .LBB66_52
; %bb.54:                               ;   in Loop: Header=BB66_53 Depth=2
	v_ashrrev_i32_e32 v17, 31, v16
	v_lshl_add_u64 v[44:45], v[16:17], 1, s[80:81]
	global_load_ushort v17, v[44:45], off
	s_branch .LBB66_52
.LBB66_55:                              ;   in Loop: Header=BB66_7 Depth=1
	s_or_b64 exec, exec, s[22:23]
.LBB66_56:                              ;   in Loop: Header=BB66_7 Depth=1
	s_or_b64 exec, exec, s[20:21]
	s_branch .LBB66_36
.LBB66_57:                              ;   in Loop: Header=BB66_7 Depth=1
	s_mul_hi_u32 s2, s17, s7
	s_mul_i32 s2, s2, s33
	s_sub_i32 s2, s17, s2
	s_sub_i32 s3, s2, s33
	s_cmp_ge_u32 s2, s33
	s_cselect_b32 s2, s3, s2
	s_sub_i32 s3, s2, s33
	s_cmp_ge_u32 s2, s33
	s_cselect_b32 s2, s3, s2
	s_sub_i32 s6, s17, s2
	v_mov_b32_e32 v8, v9
	v_cmp_gt_u32_e32 vcc, s6, v13
	v_mov_b64_e32 v[4:5], v[8:9]
	s_waitcnt vmcnt(0)
	v_mov_b64_e32 v[2:3], v[8:9]
	s_and_saveexec_b64 s[72:73], vcc
	s_cbranch_execz .LBB66_61
; %bb.58:                               ;   in Loop: Header=BB66_7 Depth=1
	s_mov_b32 s94, 0
	s_mov_b64 s[76:77], 0
	v_mov_b32_e32 v8, v31
	v_mov_b32_e32 v16, v13
	s_mov_b32 s95, s94
	s_mov_b32 s96, s94
	;; [unrolled: 1-line block ×3, first 2 shown]
.LBB66_59:                              ;   Parent Loop BB66_7 Depth=1
                                        ; =>  This Inner Loop Header: Depth=2
	ds_read_b64 v[2:3], v8
	v_add_u32_e32 v16, s33, v16
	v_cmp_le_i32_e32 vcc, s6, v16
	v_add_u32_e32 v8, s90, v8
	s_waitcnt lgkmcnt(0)
	v_cmp_lt_i16_e64 s[2:3], -1, v2
	v_lshlrev_b32_e32 v4, 16, v2
	s_nop 0
	v_cndmask_b32_e64 v19, v33, v35, s[2:3]
	v_cmp_gt_i16_sdwa s[2:3], v2, v36 src0_sel:WORD_1 src1_sel:DWORD
	v_and_b32_e32 v5, 0xffff0000, v2
	v_cmp_o_f32_e64 s[24:25], v4, v4
	v_cndmask_b32_e64 v43, v33, v35, s[2:3]
	v_cmp_lt_i16_e64 s[2:3], -1, v3
	v_xor_b32_sdwa v43, v43, v2 dst_sel:DWORD dst_unused:UNUSED_PAD src0_sel:DWORD src1_sel:WORD_1
	v_bitop3_b32 v2, v19, v2, s99 bitop3:0x78
	v_cndmask_b32_e64 v44, v33, v35, s[2:3]
	v_cmp_gt_i16_sdwa s[2:3], v3, v36 src0_sel:WORD_1 src1_sel:DWORD
	v_lshlrev_b32_e32 v17, 16, v3
	v_cndmask_b32_e64 v2, v33, v2, s[24:25]
	v_cndmask_b32_e64 v45, v33, v35, s[2:3]
	v_cmp_o_f32_e64 s[2:3], v5, v5
	v_and_b32_e32 v18, 0xffff0000, v3
	v_bitop3_b32 v5, v44, v3, s99 bitop3:0x78
	v_cmp_o_f32_e64 s[20:21], v17, v17
	v_cndmask_b32_e64 v4, v33, v43, s[2:3]
	v_and_b32_e32 v17, v2, v39
	v_bfe_u32 v2, v2, v34, 2
	v_xor_b32_sdwa v3, v45, v3 dst_sel:DWORD dst_unused:UNUSED_PAD src0_sel:DWORD src1_sel:WORD_1
	v_cmp_o_f32_e64 s[22:23], v18, v18
	v_cndmask_b32_e64 v5, v33, v5, s[20:21]
	v_and_b32_e32 v18, v4, v39
	v_bfe_u32 v4, v4, v34, 2
	v_cmp_eq_u32_e64 s[2:3], v17, v29
	v_cmp_eq_u32_e64 s[26:27], 0, v2
	v_cndmask_b32_e64 v3, v33, v3, s[22:23]
	v_and_b32_e32 v19, v5, v39
	v_bfe_u32 v5, v5, v34, 2
	v_cmp_eq_u32_e64 s[20:21], v18, v29
	v_cmp_eq_u32_e64 s[28:29], 0, v4
	s_and_b64 s[26:27], s[2:3], s[26:27]
	v_and_b32_e32 v43, v3, v39
	v_bfe_u32 v3, v3, v34, 2
	v_cmp_eq_u32_e64 s[22:23], v19, v29
	v_cmp_eq_u32_e64 s[30:31], 0, v5
	;; [unrolled: 1-line block ×5, first 2 shown]
	v_cndmask_b32_e64 v2, 0, 1, s[26:27]
	s_and_b64 s[26:27], s[20:21], s[28:29]
	v_cmp_eq_u32_e64 s[24:25], v43, v29
	v_cmp_eq_u32_e64 s[34:35], 0, v3
	v_cmp_eq_u32_e64 s[42:43], 1, v3
	v_cmp_eq_u32_e64 s[50:51], 2, v3
	v_cmp_eq_u32_e64 s[58:59], 3, v3
	v_cndmask_b32_e64 v3, 0, 1, s[26:27]
	s_and_b64 s[26:27], s[22:23], s[30:31]
	v_cmp_eq_u32_e64 s[38:39], 1, v4
	v_cmp_eq_u32_e64 s[46:47], 2, v4
	v_cmp_eq_u32_e64 s[54:55], 3, v4
	v_cndmask_b32_e64 v4, 0, 1, s[26:27]
	s_and_b64 s[26:27], s[24:25], s[34:35]
	v_cmp_eq_u32_e64 s[40:41], 1, v5
	v_cmp_eq_u32_e64 s[48:49], 2, v5
	;; [unrolled: 1-line block ×3, first 2 shown]
	v_cndmask_b32_e64 v5, 0, 1, s[26:27]
	s_and_b64 s[26:27], s[2:3], s[36:37]
	v_cndmask_b32_e64 v17, 0, 1, s[26:27]
	s_and_b64 s[26:27], s[20:21], s[38:39]
	;; [unrolled: 2-line block ×5, first 2 shown]
	s_and_b64 s[2:3], s[2:3], s[52:53]
	v_cndmask_b32_e64 v44, 0, 1, s[26:27]
	s_and_b64 s[26:27], s[20:21], s[46:47]
	v_cndmask_b32_e64 v48, 0, 1, s[2:3]
	s_and_b64 s[2:3], s[20:21], s[54:55]
	v_cndmask_b32_e64 v45, 0, 1, s[26:27]
	s_and_b64 s[26:27], s[22:23], s[48:49]
	v_cndmask_b32_e64 v49, 0, 1, s[2:3]
	s_and_b64 s[2:3], s[22:23], s[56:57]
	v_cndmask_b32_e64 v46, 0, 1, s[26:27]
	s_and_b64 s[26:27], s[24:25], s[50:51]
	v_cndmask_b32_e64 v50, 0, 1, s[2:3]
	s_and_b64 s[2:3], s[24:25], s[58:59]
	v_cndmask_b32_e64 v47, 0, 1, s[26:27]
	v_cndmask_b32_e64 v51, 0, 1, s[2:3]
	v_cmp_ne_u32_e64 s[2:3], 0, v2
	v_cmp_ne_u32_e64 s[20:21], 0, v3
	;; [unrolled: 1-line block ×11, first 2 shown]
	s_bcnt1_i32_b64 s2, s[2:3]
	s_bcnt1_i32_b64 s3, s[20:21]
	;; [unrolled: 1-line block ×8, first 2 shown]
	v_cmp_ne_u32_e64 s[34:35], 0, v43
	v_cmp_ne_u32_e64 s[40:41], 0, v46
	;; [unrolled: 1-line block ×3, first 2 shown]
	s_bcnt1_i32_b64 s23, s[28:29]
	s_bcnt1_i32_b64 s27, s[38:39]
	;; [unrolled: 1-line block ×3, first 2 shown]
	s_add_i32 s2, s94, s2
	s_add_i32 s22, s95, s22
	;; [unrolled: 1-line block ×4, first 2 shown]
	v_cmp_ne_u32_e64 s[42:43], 0, v47
	v_cmp_ne_u32_e64 s[50:51], 0, v51
	s_bcnt1_i32_b64 s25, s[34:35]
	s_bcnt1_i32_b64 s28, s[40:41]
	;; [unrolled: 1-line block ×3, first 2 shown]
	s_add_i32 s22, s22, s23
	s_add_i32 s2, s2, s3
	;; [unrolled: 1-line block ×4, first 2 shown]
	s_bcnt1_i32_b64 s29, s[42:43]
	s_bcnt1_i32_b64 s35, s[50:51]
	s_add_i32 s2, s2, s20
	s_add_i32 s20, s22, s24
	;; [unrolled: 1-line block ×8, first 2 shown]
	s_or_b64 s[76:77], vcc, s[76:77]
	v_mov_b64_e32 v[2:3], s[94:95]
	v_mov_b64_e32 v[4:5], s[96:97]
	s_andn2_b64 exec, exec, s[76:77]
	s_cbranch_execnz .LBB66_59
; %bb.60:                               ;   in Loop: Header=BB66_7 Depth=1
	s_or_b64 exec, exec, s[76:77]
.LBB66_61:                              ;   in Loop: Header=BB66_7 Depth=1
	s_or_b64 exec, exec, s[72:73]
	v_add_u32_e32 v8, s6, v0
	v_cmp_gt_i32_e32 vcc, s17, v8
	s_and_saveexec_b64 s[28:29], vcc
	s_cbranch_execz .LBB66_65
; %bb.62:                               ;   in Loop: Header=BB66_7 Depth=1
	v_lshlrev_b32_e32 v16, 1, v8
	s_mov_b64 s[30:31], 0
.LBB66_63:                              ;   Parent Loop BB66_7 Depth=1
                                        ; =>  This Inner Loop Header: Depth=2
	ds_read_u16 v17, v16
	v_add_u32_e32 v8, s70, v8
	v_cmp_le_i32_e32 vcc, s17, v8
	v_add_u32_e32 v16, s91, v16
	s_waitcnt lgkmcnt(0)
	v_cmp_lt_i16_e64 s[2:3], -1, v17
	v_lshlrev_b32_e32 v18, 16, v17
	s_nop 0
	v_cndmask_b32_e64 v19, v33, v35, s[2:3]
	v_xor_b32_sdwa v17, v19, v17 dst_sel:DWORD dst_unused:UNUSED_PAD src0_sel:DWORD src1_sel:WORD_0
	v_cmp_o_f32_e64 s[2:3], v18, v18
	s_nop 1
	v_cndmask_b32_e64 v17, v33, v17, s[2:3]
	v_and_b32_e32 v18, v17, v39
	v_bfe_u32 v17, v17, v34, 2
	v_cmp_eq_u32_e64 s[2:3], v18, v29
	v_cmp_eq_u32_e64 s[20:21], 0, v17
	;; [unrolled: 1-line block ×3, first 2 shown]
	s_and_b64 s[20:21], s[2:3], s[20:21]
	v_cmp_eq_u32_e64 s[24:25], 2, v17
	v_cmp_eq_u32_e64 s[26:27], 3, v17
	v_cndmask_b32_e64 v17, 0, 1, s[20:21]
	s_and_b64 s[20:21], s[2:3], s[22:23]
	v_cndmask_b32_e64 v18, 0, 1, s[20:21]
	s_and_b64 s[20:21], s[2:3], s[24:25]
	s_and_b64 s[2:3], s[2:3], s[26:27]
	v_cndmask_b32_e64 v19, 0, 1, s[20:21]
	v_cndmask_b32_e64 v43, 0, 1, s[2:3]
	v_cmp_ne_u32_e64 s[2:3], 0, v17
	v_cmp_ne_u32_e64 s[20:21], 0, v18
	;; [unrolled: 1-line block ×4, first 2 shown]
	s_bcnt1_i32_b64 s2, s[2:3]
	s_bcnt1_i32_b64 s3, s[20:21]
	;; [unrolled: 1-line block ×4, first 2 shown]
	v_add_u32_e32 v3, s3, v3
	v_add_u32_e32 v2, s2, v2
	;; [unrolled: 1-line block ×3, first 2 shown]
	s_or_b64 s[30:31], vcc, s[30:31]
	v_add_u32_e32 v4, s6, v4
	s_andn2_b64 exec, exec, s[30:31]
	s_cbranch_execnz .LBB66_63
; %bb.64:                               ;   in Loop: Header=BB66_7 Depth=1
	s_or_b64 exec, exec, s[30:31]
.LBB66_65:                              ;   in Loop: Header=BB66_7 Depth=1
	s_or_b64 exec, exec, s[28:29]
	s_lshl_b32 s6, s16, 6
	s_and_saveexec_b64 s[2:3], s[18:19]
	s_cbranch_execnz .LBB66_37
	s_branch .LBB66_38
.LBB66_66:                              ;   in Loop: Header=BB66_7 Depth=1
	s_or_b64 exec, exec, s[22:23]
	s_waitcnt lgkmcnt(0)
	s_barrier
	s_and_saveexec_b64 s[2:3], s[0:1]
	s_cbranch_execz .LBB66_68
; %bb.67:                               ;   in Loop: Header=BB66_7 Depth=1
	ds_read_b32 v2, v9 offset:4104
	s_waitcnt lgkmcnt(0)
	ds_write_b32 v9, v2 offset:4096
.LBB66_68:                              ;   in Loop: Header=BB66_7 Depth=1
	s_or_b64 exec, exec, s[2:3]
	s_waitcnt lgkmcnt(0)
	s_barrier
	s_mov_b64 s[2:3], -1
	s_and_b64 vcc, exec, s[20:21]
	s_cbranch_vccnz .LBB66_22
	s_branch .LBB66_32
.LBB66_69:                              ;   in Loop: Header=BB66_7 Depth=1
	v_mov_b32_e32 v2, 0
	s_mov_b32 s17, 0
	s_cbranch_execnz .LBB66_74
	s_branch .LBB66_76
.LBB66_70:                              ;   in Loop: Header=BB66_7 Depth=1
	v_mov_b32_e32 v8, v9
	s_mov_b32 s20, 0
	v_mov_b64_e32 v[2:3], v[8:9]
	s_mov_b32 s21, 1
.LBB66_71:                              ;   in Loop: Header=BB66_7 Depth=1
	v_readlane_b32 s22, v56, 42
	v_readlane_b32 s23, v56, 43
	s_andn2_b64 vcc, exec, s[22:23]
	v_readlane_b32 s17, v56, 41
	s_cbranch_vccnz .LBB66_73
.LBB66_72:                              ;   Parent Loop BB66_7 Depth=1
                                        ; =>  This Inner Loop Header: Depth=2
	v_lshl_add_u32 v8, s20, 4, v5
	v_lshl_add_u32 v16, s21, 4, v5
	ds_read_b32 v16, v16
	ds_read_b32 v8, v8
	s_add_i32 s21, s21, 2
	s_add_i32 s20, s20, 2
	s_add_i32 s17, s17, -1
	s_cmp_lg_u32 s17, 0
	s_waitcnt lgkmcnt(1)
	v_add_u32_e32 v3, v16, v3
	s_waitcnt lgkmcnt(0)
	v_add_u32_e32 v2, v8, v2
	s_cbranch_scc1 .LBB66_72
.LBB66_73:                              ;   in Loop: Header=BB66_7 Depth=1
	v_readlane_b32 s20, v56, 46
	v_add_u32_e32 v2, v2, v3
	v_readlane_b32 s17, v56, 45
	v_readlane_b32 s21, v56, 47
	s_and_b64 vcc, exec, s[20:21]
	s_cbranch_vccz .LBB66_76
.LBB66_74:                              ;   in Loop: Header=BB66_7 Depth=1
	s_lshl_b32 s20, s16, 8
	s_lshl_b32 s21, s17, 4
	s_add_i32 s20, s20, s21
	v_add_u32_e32 v3, s20, v32
	v_readlane_b32 s20, v56, 44
	s_sub_i32 s17, s20, s17
.LBB66_75:                              ;   Parent Loop BB66_7 Depth=1
                                        ; =>  This Inner Loop Header: Depth=2
	ds_read_b32 v5, v3
	s_add_i32 s17, s17, -1
	v_add_u32_e32 v3, 16, v3
	s_cmp_eq_u32 s17, 0
	s_waitcnt lgkmcnt(0)
	v_add_u32_e32 v2, v5, v2
	s_cbranch_scc0 .LBB66_75
.LBB66_76:                              ;   in Loop: Header=BB66_7 Depth=1
	v_lshlrev_b32_e32 v3, 2, v4
	ds_write_b32 v3, v2 offset:3072
.LBB66_77:                              ;   in Loop: Header=BB66_7 Depth=1
	s_or_b64 exec, exec, s[2:3]
	s_lshl_b32 s2, s6, 2
	s_waitcnt vmcnt(0)
	v_mov_b32_e32 v2, s2
	s_waitcnt lgkmcnt(0)
	s_barrier
	ds_read_b128 v[2:5], v2 offset:3072
	v_cmp_eq_u32_e32 vcc, 1, v41
	s_mov_b64 s[20:21], -1
	s_mov_b64 s[28:29], -1
                                        ; implicit-def: $sgpr26_sgpr27
                                        ; implicit-def: $sgpr24_sgpr25
	s_waitcnt lgkmcnt(0)
	v_readfirstlane_b32 s42, v2
	s_cmp_eq_u32 s42, 1
	v_readfirstlane_b32 s54, v4
	v_lshlrev_b32_e64 v4, v34, 3
	s_cselect_b64 s[2:3], -1, 0
	v_readfirstlane_b32 s46, v3
	v_readfirstlane_b32 s17, v5
	v_not_b32_e32 v8, v4
	s_and_b64 s[22:23], s[2:3], vcc
	s_and_saveexec_b64 s[2:3], s[22:23]
	s_cbranch_execz .LBB66_103
; %bb.78:                               ;   in Loop: Header=BB66_7 Depth=1
	ds_read_b32 v2, v9 offset:4096
	s_waitcnt lgkmcnt(0)
	s_barrier
	v_readfirstlane_b32 s6, v2
	s_and_saveexec_b64 s[24:25], s[4:5]
; %bb.79:                               ;   in Loop: Header=BB66_7 Depth=1
	ds_write_b16 v22, v9
; %bb.80:                               ;   in Loop: Header=BB66_7 Depth=1
	s_or_b64 exec, exec, s[24:25]
	v_and_b32_e32 v29, v29, v8
	v_or_b32_e32 v39, v39, v4
	s_mov_b64 s[24:25], -1
	s_mov_b64 s[26:27], 0
	s_cmp_lt_i32 s6, 1
	s_mov_b64 s[28:29], 0
	s_mov_b64 s[30:31], -1
	s_waitcnt lgkmcnt(0)
	s_barrier
                                        ; implicit-def: $vgpr40
	s_cbranch_scc0 .LBB66_91
; %bb.81:                               ;   in Loop: Header=BB66_7 Depth=1
	s_mov_b64 s[30:31], 0
                                        ; implicit-def: $vgpr40
	s_mov_b64 s[34:35], exec
	v_readlane_b32 s36, v56, 48
	v_readlane_b32 s37, v56, 49
	s_and_b64 s[36:37], s[34:35], s[36:37]
	s_mov_b64 exec, s[36:37]
	s_cbranch_execz .LBB66_90
; %bb.82:                               ;   in Loop: Header=BB66_7 Depth=1
	v_mov_b32_e32 v2, v6
	v_mov_b32_e32 v5, v0
                                        ; implicit-def: $sgpr36_sgpr37
	s_branch .LBB66_85
.LBB66_83:                              ;   in Loop: Header=BB66_85 Depth=2
	s_or_b64 exec, exec, s[38:39]
	s_waitcnt lgkmcnt(0)
	s_barrier
	ds_read_b32 v3, v9 offset:3072
	s_mov_b64 s[38:39], -1
	s_mov_b64 s[40:41], -1
	s_waitcnt lgkmcnt(0)
	s_barrier
	v_and_b32_e32 v16, 0x7fff, v3
	v_cmp_ne_u32_e32 vcc, 0, v16
	s_cbranch_vccz .LBB66_88
.LBB66_84:                              ;   in Loop: Header=BB66_85 Depth=2
	s_and_b64 s[38:39], exec, s[38:39]
	s_or_b64 s[28:29], s[38:39], s[28:29]
	s_andn2_b64 s[36:37], s[36:37], exec
	s_and_b64 s[38:39], s[40:41], exec
	s_or_b64 s[36:37], s[36:37], s[38:39]
	s_andn2_b64 exec, exec, s[28:29]
	s_cbranch_execz .LBB66_89
.LBB66_85:                              ;   Parent Loop BB66_7 Depth=1
                                        ; =>  This Inner Loop Header: Depth=2
	v_cmp_gt_i32_e32 vcc, s68, v5
	s_and_saveexec_b64 s[38:39], vcc
	s_cbranch_execz .LBB66_83
; %bb.86:                               ;   in Loop: Header=BB66_85 Depth=2
	v_ashrrev_i32_e32 v3, 31, v2
	v_lshl_add_u64 v[16:17], v[2:3], 1, s[80:81]
	global_load_ushort v3, v[16:17], off
	s_waitcnt vmcnt(0)
	v_cmp_lt_i16_e32 vcc, -1, v3
	v_lshlrev_b32_e32 v16, 16, v3
	s_nop 0
	v_cndmask_b32_e32 v17, v33, v35, vcc
	v_xor_b32_sdwa v17, v17, v3 dst_sel:DWORD dst_unused:UNUSED_PAD src0_sel:DWORD src1_sel:WORD_0
	v_cmp_o_f32_e32 vcc, v16, v16
	s_nop 1
	v_cndmask_b32_e32 v16, v33, v17, vcc
	v_and_b32_e32 v16, v16, v39
	v_cmp_eq_u32_e32 vcc, v16, v29
	s_and_b64 exec, exec, vcc
	s_cbranch_execz .LBB66_83
; %bb.87:                               ;   in Loop: Header=BB66_85 Depth=2
	v_perm_b32 v3, v3, s69, v38
	ds_write_b32 v9, v3 offset:3072
	s_branch .LBB66_83
.LBB66_88:                              ;   in Loop: Header=BB66_85 Depth=2
	v_add_u32_e32 v5, s70, v5
	v_cmp_le_i32_e32 vcc, s92, v5
	v_add_u32_e32 v2, s98, v2
	s_mov_b64 s[40:41], 0
	s_orn2_b64 s[38:39], vcc, exec
	s_branch .LBB66_84
.LBB66_89:                              ;   in Loop: Header=BB66_7 Depth=1
	s_or_b64 exec, exec, s[28:29]
	v_lshrrev_b32_e32 v40, 16, v3
	s_and_b64 s[28:29], s[36:37], exec
.LBB66_90:                              ;   in Loop: Header=BB66_7 Depth=1
	s_or_b64 exec, exec, s[34:35]
.LBB66_91:                              ;   in Loop: Header=BB66_7 Depth=1
	s_and_b64 vcc, exec, s[30:31]
	s_cbranch_vccz .LBB66_102
; %bb.92:                               ;   in Loop: Header=BB66_7 Depth=1
	v_readlane_b32 s24, v56, 29
	s_add_i32 s38, s6, s24
	s_abs_i32 s25, s38
	s_mul_hi_u32 s26, s25, s9
	s_mul_i32 s26, s26, s70
	s_sub_i32 s25, s25, s26
	s_ashr_i32 s24, s38, 31
	s_sub_i32 s26, s25, s70
	s_cmp_ge_u32 s25, s70
	s_cselect_b32 s25, s26, s25
	s_sub_i32 s26, s25, s70
	s_cmp_ge_u32 s25, s70
	s_cselect_b32 s25, s26, s25
	s_xor_b32 s25, s25, s24
	s_sub_i32 s24, s24, s25
	s_add_i32 s38, s38, s24
	v_cmp_gt_i32_e32 vcc, s38, v0
                                        ; implicit-def: $vgpr40
	s_and_saveexec_b64 s[24:25], vcc
	s_cbranch_execz .LBB66_101
; %bb.93:                               ;   in Loop: Header=BB66_7 Depth=1
	s_mov_b64 s[26:27], 0
	v_mov_b32_e32 v2, v21
	v_mov_b32_e32 v3, v0
                                        ; implicit-def: $sgpr30_sgpr31
	s_branch .LBB66_96
.LBB66_94:                              ;   in Loop: Header=BB66_96 Depth=2
	s_or_b64 exec, exec, s[34:35]
	s_waitcnt lgkmcnt(0)
	s_barrier
	ds_read_b32 v5, v9 offset:3072
	s_mov_b64 s[34:35], -1
	s_mov_b64 s[36:37], -1
	s_waitcnt lgkmcnt(0)
	s_barrier
	v_and_b32_e32 v16, 0x7fff, v5
	v_cmp_ne_u32_e32 vcc, 0, v16
	s_cbranch_vccz .LBB66_99
.LBB66_95:                              ;   in Loop: Header=BB66_96 Depth=2
	s_and_b64 s[34:35], exec, s[34:35]
	s_or_b64 s[26:27], s[34:35], s[26:27]
	s_andn2_b64 s[30:31], s[30:31], exec
	s_and_b64 s[34:35], s[36:37], exec
	s_or_b64 s[30:31], s[30:31], s[34:35]
	s_andn2_b64 exec, exec, s[26:27]
	s_cbranch_execz .LBB66_100
.LBB66_96:                              ;   Parent Loop BB66_7 Depth=1
                                        ; =>  This Inner Loop Header: Depth=2
	v_cmp_gt_i32_e32 vcc, s6, v3
	s_and_saveexec_b64 s[34:35], vcc
	s_cbranch_execz .LBB66_94
; %bb.97:                               ;   in Loop: Header=BB66_96 Depth=2
	ds_read_u16 v5, v2
	s_waitcnt lgkmcnt(0)
	v_cmp_lt_i16_e32 vcc, -1, v5
	v_lshlrev_b32_e32 v16, 16, v5
	s_nop 0
	v_cndmask_b32_e32 v17, v33, v35, vcc
	v_xor_b32_sdwa v17, v17, v5 dst_sel:DWORD dst_unused:UNUSED_PAD src0_sel:DWORD src1_sel:WORD_0
	v_cmp_o_f32_e32 vcc, v16, v16
	s_nop 1
	v_cndmask_b32_e32 v16, v33, v17, vcc
	v_and_b32_e32 v16, v16, v39
	v_cmp_eq_u32_e32 vcc, v16, v29
	s_and_b64 exec, exec, vcc
	s_cbranch_execz .LBB66_94
; %bb.98:                               ;   in Loop: Header=BB66_96 Depth=2
	v_perm_b32 v5, v5, s69, v38
	ds_write_b32 v9, v5 offset:3072
	s_branch .LBB66_94
.LBB66_99:                              ;   in Loop: Header=BB66_96 Depth=2
	v_add_u32_e32 v3, s70, v3
	v_cmp_le_i32_e32 vcc, s38, v3
	v_add_u32_e32 v2, s91, v2
	s_mov_b64 s[36:37], 0
	s_orn2_b64 s[34:35], vcc, exec
	s_branch .LBB66_95
.LBB66_100:                             ;   in Loop: Header=BB66_7 Depth=1
	s_or_b64 exec, exec, s[26:27]
	s_andn2_b64 s[26:27], s[28:29], exec
	s_and_b64 s[28:29], s[30:31], exec
	v_lshrrev_b32_e32 v40, 16, v5
	s_or_b64 s[28:29], s[26:27], s[28:29]
.LBB66_101:                             ;   in Loop: Header=BB66_7 Depth=1
	s_or_b64 exec, exec, s[24:25]
	s_mov_b64 s[24:25], 0
	s_mov_b64 s[26:27], -1
.LBB66_102:                             ;   in Loop: Header=BB66_7 Depth=1
	s_orn2_b64 s[28:29], s[28:29], exec
.LBB66_103:                             ;   in Loop: Header=BB66_7 Depth=1
	s_or_b64 exec, exec, s[2:3]
	s_andn2_b64 s[2:3], s[82:83], exec
	s_and_b64 s[26:27], s[26:27], exec
	s_or_b64 s[82:83], s[2:3], s[26:27]
	s_andn2_b64 s[2:3], s[66:67], exec
	s_and_b64 s[24:25], s[24:25], exec
	v_readfirstlane_b32 s6, v0
	s_andn2_b64 s[64:65], s[64:65], exec
	s_or_b64 s[66:67], s[2:3], s[24:25]
                                        ; implicit-def: $vgpr16
	s_and_saveexec_b64 s[2:3], s[28:29]
	s_cbranch_execz .LBB66_6
; %bb.104:                              ;   in Loop: Header=BB66_7 Depth=1
	s_xor_b64 s[24:25], s[22:23], -1
	s_mov_b64 s[22:23], 0
	v_mov_b32_e32 v16, 1
	v_mov_b32_e32 v5, 1
	s_and_saveexec_b64 s[20:21], s[24:25]
	s_cbranch_execz .LBB66_113
; %bb.105:                              ;   in Loop: Header=BB66_7 Depth=1
	v_cmp_ge_i32_e32 vcc, s42, v41
	s_and_saveexec_b64 s[22:23], vcc
	s_xor_b64 s[22:23], exec, s[22:23]
	s_cbranch_execz .LBB66_110
; %bb.106:                              ;   in Loop: Header=BB66_7 Depth=1
	ds_read_b32 v2, v9 offset:4096
	v_and_b32_e32 v29, v29, v8
	v_or_b32_e32 v39, v39, v4
	s_waitcnt lgkmcnt(0)
	v_cmp_ne_u32_e32 vcc, 0, v2
	s_cbranch_vccnz .LBB66_110
; %bb.107:                              ;   in Loop: Header=BB66_7 Depth=1
	s_and_saveexec_b64 s[24:25], s[0:1]
; %bb.108:                              ;   in Loop: Header=BB66_7 Depth=1
	v_mov_b32_e32 v2, s42
	ds_write_b32 v9, v2 offset:4100
; %bb.109:                              ;   in Loop: Header=BB66_7 Depth=1
	s_or_b64 exec, exec, s[24:25]
	s_waitcnt lgkmcnt(0)
	s_barrier
.LBB66_110:                             ;   in Loop: Header=BB66_7 Depth=1
	s_or_saveexec_b64 s[22:23], s[22:23]
	s_mov_b64 s[24:25], 0
	v_mov_b32_e32 v5, 8
	s_xor_b64 exec, exec, s[22:23]
; %bb.111:                              ;   in Loop: Header=BB66_7 Depth=1
	s_mov_b64 s[24:25], exec
	v_subrev_u32_e32 v41, s42, v41
	v_mov_b32_e32 v5, 0
; %bb.112:                              ;   in Loop: Header=BB66_7 Depth=1
	s_or_b64 exec, exec, s[22:23]
	s_and_b64 s[22:23], s[24:25], exec
	v_mov_b32_e32 v16, v41
.LBB66_113:                             ;   in Loop: Header=BB66_7 Depth=1
	s_or_b64 exec, exec, s[20:21]
	s_mov_b64 s[20:21], -1
	s_mov_b64 s[28:29], -1
                                        ; implicit-def: $sgpr24_sgpr25
                                        ; implicit-def: $sgpr26_sgpr27
	s_and_saveexec_b64 s[30:31], s[22:23]
	s_xor_b64 s[22:23], exec, s[30:31]
	s_cbranch_execz .LBB66_230
; %bb.114:                              ;   in Loop: Header=BB66_7 Depth=1
	s_cmp_eq_u32 s46, 1
	s_cselect_b64 s[24:25], -1, 0
	v_cmp_eq_u32_e32 vcc, 1, v16
	s_and_b64 s[30:31], s[24:25], vcc
	s_mov_b64 s[34:35], -1
                                        ; implicit-def: $sgpr26_sgpr27
                                        ; implicit-def: $sgpr24_sgpr25
	s_and_saveexec_b64 s[28:29], s[30:31]
	s_cbranch_execz .LBB66_140
; %bb.115:                              ;   in Loop: Header=BB66_7 Depth=1
	ds_read_b32 v2, v9 offset:4096
	s_waitcnt lgkmcnt(0)
	s_barrier
	v_readfirstlane_b32 s6, v2
	s_and_saveexec_b64 s[24:25], s[4:5]
; %bb.116:                              ;   in Loop: Header=BB66_7 Depth=1
	ds_write_b16 v22, v9
; %bb.117:                              ;   in Loop: Header=BB66_7 Depth=1
	s_or_b64 exec, exec, s[24:25]
	v_and_b32_e32 v2, v29, v8
	v_lshl_or_b32 v29, 1, v34, v2
	v_or_b32_e32 v39, v39, v4
	s_mov_b64 s[24:25], -1
	s_mov_b64 s[26:27], 0
	s_cmp_gt_i32 s6, 0
	s_mov_b64 s[34:35], 0
	s_mov_b64 s[36:37], -1
	s_waitcnt lgkmcnt(0)
	s_barrier
                                        ; implicit-def: $vgpr40
	s_cbranch_scc1 .LBB66_128
; %bb.118:                              ;   in Loop: Header=BB66_7 Depth=1
	s_mov_b64 s[36:37], 0
                                        ; implicit-def: $vgpr40
	s_mov_b64 s[38:39], exec
	v_readlane_b32 s40, v56, 48
	v_readlane_b32 s41, v56, 49
	s_and_b64 s[40:41], s[38:39], s[40:41]
	s_mov_b64 exec, s[40:41]
	s_cbranch_execz .LBB66_127
; %bb.119:                              ;   in Loop: Header=BB66_7 Depth=1
	v_mov_b32_e32 v2, v6
	v_mov_b32_e32 v17, v0
                                        ; implicit-def: $sgpr40_sgpr41
	s_branch .LBB66_122
.LBB66_120:                             ;   in Loop: Header=BB66_122 Depth=2
	s_or_b64 exec, exec, s[42:43]
	s_waitcnt lgkmcnt(0)
	s_barrier
	ds_read_b32 v3, v9 offset:3072
	s_mov_b64 s[42:43], -1
	s_mov_b64 s[44:45], -1
	s_waitcnt lgkmcnt(0)
	s_barrier
	v_and_b32_e32 v18, 0x7fff, v3
	v_cmp_ne_u32_e32 vcc, 0, v18
	s_cbranch_vccz .LBB66_125
.LBB66_121:                             ;   in Loop: Header=BB66_122 Depth=2
	s_and_b64 s[42:43], exec, s[42:43]
	s_or_b64 s[34:35], s[42:43], s[34:35]
	s_andn2_b64 s[40:41], s[40:41], exec
	s_and_b64 s[42:43], s[44:45], exec
	s_or_b64 s[40:41], s[40:41], s[42:43]
	s_andn2_b64 exec, exec, s[34:35]
	s_cbranch_execz .LBB66_126
.LBB66_122:                             ;   Parent Loop BB66_7 Depth=1
                                        ; =>  This Inner Loop Header: Depth=2
	v_cmp_gt_i32_e32 vcc, s68, v17
	s_and_saveexec_b64 s[42:43], vcc
	s_cbranch_execz .LBB66_120
; %bb.123:                              ;   in Loop: Header=BB66_122 Depth=2
	v_ashrrev_i32_e32 v3, 31, v2
	v_lshl_add_u64 v[18:19], v[2:3], 1, s[80:81]
	global_load_ushort v3, v[18:19], off
	s_waitcnt vmcnt(0)
	v_cmp_lt_i16_e32 vcc, -1, v3
	v_lshlrev_b32_e32 v18, 16, v3
	s_nop 0
	v_cndmask_b32_e32 v19, v33, v35, vcc
	v_xor_b32_sdwa v19, v19, v3 dst_sel:DWORD dst_unused:UNUSED_PAD src0_sel:DWORD src1_sel:WORD_0
	v_cmp_o_f32_e32 vcc, v18, v18
	s_nop 1
	v_cndmask_b32_e32 v18, v33, v19, vcc
	v_and_b32_e32 v18, v18, v39
	v_cmp_eq_u32_e32 vcc, v18, v29
	s_and_b64 exec, exec, vcc
	s_cbranch_execz .LBB66_120
; %bb.124:                              ;   in Loop: Header=BB66_122 Depth=2
	v_perm_b32 v3, v3, s69, v38
	ds_write_b32 v9, v3 offset:3072
	s_branch .LBB66_120
.LBB66_125:                             ;   in Loop: Header=BB66_122 Depth=2
	v_add_u32_e32 v17, s70, v17
	v_cmp_le_i32_e32 vcc, s92, v17
	v_add_u32_e32 v2, s98, v2
	s_mov_b64 s[44:45], 0
	s_orn2_b64 s[42:43], vcc, exec
	s_branch .LBB66_121
.LBB66_126:                             ;   in Loop: Header=BB66_7 Depth=1
	s_or_b64 exec, exec, s[34:35]
	v_lshrrev_b32_e32 v40, 16, v3
	s_and_b64 s[34:35], s[40:41], exec
.LBB66_127:                             ;   in Loop: Header=BB66_7 Depth=1
	s_or_b64 exec, exec, s[38:39]
.LBB66_128:                             ;   in Loop: Header=BB66_7 Depth=1
	s_and_b64 vcc, exec, s[36:37]
	s_cbranch_vccz .LBB66_139
; %bb.129:                              ;   in Loop: Header=BB66_7 Depth=1
	v_readlane_b32 s24, v56, 29
	s_add_i32 s42, s6, s24
	s_abs_i32 s25, s42
	s_mul_hi_u32 s26, s25, s9
	s_mul_i32 s26, s26, s70
	s_sub_i32 s25, s25, s26
	s_ashr_i32 s24, s42, 31
	s_sub_i32 s26, s25, s70
	s_cmp_ge_u32 s25, s70
	s_cselect_b32 s25, s26, s25
	s_sub_i32 s26, s25, s70
	s_cmp_ge_u32 s25, s70
	s_cselect_b32 s25, s26, s25
	s_xor_b32 s25, s25, s24
	s_sub_i32 s24, s24, s25
	s_add_i32 s42, s42, s24
	v_cmp_gt_i32_e32 vcc, s42, v0
                                        ; implicit-def: $vgpr40
	s_and_saveexec_b64 s[24:25], vcc
	s_cbranch_execz .LBB66_138
; %bb.130:                              ;   in Loop: Header=BB66_7 Depth=1
	s_mov_b64 s[26:27], 0
	v_mov_b32_e32 v2, v21
	v_mov_b32_e32 v3, v0
                                        ; implicit-def: $sgpr36_sgpr37
	s_branch .LBB66_133
.LBB66_131:                             ;   in Loop: Header=BB66_133 Depth=2
	s_or_b64 exec, exec, s[38:39]
	s_waitcnt lgkmcnt(0)
	s_barrier
	ds_read_b32 v17, v9 offset:3072
	s_mov_b64 s[38:39], -1
	s_mov_b64 s[40:41], -1
	s_waitcnt lgkmcnt(0)
	s_barrier
	v_and_b32_e32 v18, 0x7fff, v17
	v_cmp_eq_u32_e32 vcc, 0, v18
	s_cbranch_vccnz .LBB66_136
.LBB66_132:                             ;   in Loop: Header=BB66_133 Depth=2
	s_and_b64 s[38:39], exec, s[38:39]
	s_or_b64 s[26:27], s[38:39], s[26:27]
	s_andn2_b64 s[36:37], s[36:37], exec
	s_and_b64 s[38:39], s[40:41], exec
	s_or_b64 s[36:37], s[36:37], s[38:39]
	s_andn2_b64 exec, exec, s[26:27]
	s_cbranch_execz .LBB66_137
.LBB66_133:                             ;   Parent Loop BB66_7 Depth=1
                                        ; =>  This Inner Loop Header: Depth=2
	v_cmp_gt_i32_e32 vcc, s6, v3
	s_and_saveexec_b64 s[38:39], vcc
	s_cbranch_execz .LBB66_131
; %bb.134:                              ;   in Loop: Header=BB66_133 Depth=2
	ds_read_u16 v17, v2
	s_waitcnt lgkmcnt(0)
	v_cmp_lt_i16_e32 vcc, -1, v17
	v_lshlrev_b32_e32 v18, 16, v17
	s_nop 0
	v_cndmask_b32_e32 v19, v33, v35, vcc
	v_xor_b32_sdwa v19, v19, v17 dst_sel:DWORD dst_unused:UNUSED_PAD src0_sel:DWORD src1_sel:WORD_0
	v_cmp_o_f32_e32 vcc, v18, v18
	s_nop 1
	v_cndmask_b32_e32 v18, v33, v19, vcc
	v_and_b32_e32 v18, v18, v39
	v_cmp_eq_u32_e32 vcc, v18, v29
	s_and_b64 exec, exec, vcc
	s_cbranch_execz .LBB66_131
; %bb.135:                              ;   in Loop: Header=BB66_133 Depth=2
	v_perm_b32 v17, v17, s69, v38
	ds_write_b32 v9, v17 offset:3072
	s_branch .LBB66_131
.LBB66_136:                             ;   in Loop: Header=BB66_133 Depth=2
	v_add_u32_e32 v3, s70, v3
	v_cmp_le_i32_e32 vcc, s42, v3
	v_add_u32_e32 v2, s91, v2
	s_mov_b64 s[40:41], 0
	s_orn2_b64 s[38:39], vcc, exec
	s_branch .LBB66_132
.LBB66_137:                             ;   in Loop: Header=BB66_7 Depth=1
	s_or_b64 exec, exec, s[26:27]
	s_andn2_b64 s[26:27], s[34:35], exec
	s_and_b64 s[34:35], s[36:37], exec
	v_lshrrev_b32_e32 v40, 16, v17
	s_or_b64 s[34:35], s[26:27], s[34:35]
.LBB66_138:                             ;   in Loop: Header=BB66_7 Depth=1
	s_or_b64 exec, exec, s[24:25]
	s_mov_b64 s[24:25], 0
	s_mov_b64 s[26:27], -1
.LBB66_139:                             ;   in Loop: Header=BB66_7 Depth=1
	s_orn2_b64 s[34:35], s[34:35], exec
.LBB66_140:                             ;   in Loop: Header=BB66_7 Depth=1
	s_or_b64 exec, exec, s[28:29]
	s_mov_b64 s[36:37], 0
	s_and_saveexec_b64 s[28:29], s[34:35]
	s_cbranch_execz .LBB66_229
; %bb.141:                              ;   in Loop: Header=BB66_7 Depth=1
	s_xor_b64 s[34:35], s[30:31], -1
	s_mov_b64 s[40:41], 0
	v_mov_b32_e32 v17, 1
	v_mov_b32_e32 v5, 1
	s_and_saveexec_b64 s[30:31], s[34:35]
	s_cbranch_execz .LBB66_150
; %bb.142:                              ;   in Loop: Header=BB66_7 Depth=1
	v_cmp_ge_i32_e32 vcc, s46, v16
	s_and_saveexec_b64 s[34:35], vcc
	s_xor_b64 s[34:35], exec, s[34:35]
	s_cbranch_execz .LBB66_147
; %bb.143:                              ;   in Loop: Header=BB66_7 Depth=1
	ds_read_b32 v2, v9 offset:4096
	v_and_b32_e32 v3, v29, v8
	v_lshl_or_b32 v29, 1, v34, v3
	v_or_b32_e32 v39, v39, v4
	s_waitcnt lgkmcnt(0)
	v_cmp_ne_u32_e32 vcc, 0, v2
	s_cbranch_vccnz .LBB66_147
; %bb.144:                              ;   in Loop: Header=BB66_7 Depth=1
	s_and_saveexec_b64 s[36:37], s[0:1]
; %bb.145:                              ;   in Loop: Header=BB66_7 Depth=1
	v_mov_b32_e32 v2, s46
	ds_write_b32 v9, v2 offset:4100
; %bb.146:                              ;   in Loop: Header=BB66_7 Depth=1
	s_or_b64 exec, exec, s[36:37]
	s_waitcnt lgkmcnt(0)
	s_barrier
.LBB66_147:                             ;   in Loop: Header=BB66_7 Depth=1
	s_or_saveexec_b64 s[34:35], s[34:35]
	s_mov_b64 s[36:37], 0
	v_mov_b32_e32 v5, 8
	s_xor_b64 exec, exec, s[34:35]
; %bb.148:                              ;   in Loop: Header=BB66_7 Depth=1
	s_mov_b64 s[36:37], exec
	v_subrev_u32_e32 v16, s46, v16
	v_mov_b32_e32 v5, 0
; %bb.149:                              ;   in Loop: Header=BB66_7 Depth=1
	s_or_b64 exec, exec, s[34:35]
	s_and_b64 s[40:41], s[36:37], exec
	v_mov_b32_e32 v17, v16
.LBB66_150:                             ;   in Loop: Header=BB66_7 Depth=1
	s_or_b64 exec, exec, s[30:31]
	s_mov_b64 s[38:39], -1
                                        ; implicit-def: $sgpr34_sgpr35
                                        ; implicit-def: $sgpr36_sgpr37
	s_and_saveexec_b64 s[30:31], s[40:41]
	s_cbranch_execz .LBB66_228
; %bb.151:                              ;   in Loop: Header=BB66_7 Depth=1
	s_cmp_eq_u32 s54, 1
	s_cselect_b64 s[34:35], -1, 0
	v_cmp_eq_u32_e32 vcc, 1, v17
	s_and_b64 s[40:41], s[34:35], vcc
	s_mov_b64 s[42:43], -1
                                        ; implicit-def: $sgpr36_sgpr37
                                        ; implicit-def: $sgpr34_sgpr35
	s_and_saveexec_b64 s[38:39], s[40:41]
	s_cbranch_execz .LBB66_177
; %bb.152:                              ;   in Loop: Header=BB66_7 Depth=1
	ds_read_b32 v2, v9 offset:4096
	s_waitcnt lgkmcnt(0)
	s_barrier
	v_readfirstlane_b32 s6, v2
	s_and_saveexec_b64 s[34:35], s[4:5]
; %bb.153:                              ;   in Loop: Header=BB66_7 Depth=1
	ds_write_b16 v22, v9
; %bb.154:                              ;   in Loop: Header=BB66_7 Depth=1
	s_or_b64 exec, exec, s[34:35]
	v_and_b32_e32 v2, v29, v8
	v_lshl_or_b32 v29, 2, v34, v2
	v_or_b32_e32 v39, v39, v4
	s_mov_b64 s[34:35], -1
	s_mov_b64 s[36:37], 0
	s_cmp_gt_i32 s6, 0
	s_mov_b64 s[42:43], 0
	s_mov_b64 s[44:45], -1
	s_waitcnt lgkmcnt(0)
	s_barrier
                                        ; implicit-def: $vgpr40
	s_cbranch_scc1 .LBB66_165
; %bb.155:                              ;   in Loop: Header=BB66_7 Depth=1
	s_mov_b64 s[44:45], 0
                                        ; implicit-def: $vgpr40
	s_mov_b64 s[46:47], exec
	v_readlane_b32 s48, v56, 48
	v_readlane_b32 s49, v56, 49
	s_and_b64 s[48:49], s[46:47], s[48:49]
	s_mov_b64 exec, s[48:49]
	s_cbranch_execz .LBB66_164
; %bb.156:                              ;   in Loop: Header=BB66_7 Depth=1
	v_mov_b32_e32 v2, v6
	v_mov_b32_e32 v16, v0
                                        ; implicit-def: $sgpr48_sgpr49
	s_branch .LBB66_159
.LBB66_157:                             ;   in Loop: Header=BB66_159 Depth=2
	s_or_b64 exec, exec, s[50:51]
	s_waitcnt lgkmcnt(0)
	s_barrier
	ds_read_b32 v3, v9 offset:3072
	s_mov_b64 s[50:51], -1
	s_mov_b64 s[52:53], -1
	s_waitcnt lgkmcnt(0)
	s_barrier
	v_and_b32_e32 v18, 0x7fff, v3
	v_cmp_ne_u32_e32 vcc, 0, v18
	s_cbranch_vccz .LBB66_162
.LBB66_158:                             ;   in Loop: Header=BB66_159 Depth=2
	s_and_b64 s[50:51], exec, s[50:51]
	s_or_b64 s[42:43], s[50:51], s[42:43]
	s_andn2_b64 s[48:49], s[48:49], exec
	s_and_b64 s[50:51], s[52:53], exec
	s_or_b64 s[48:49], s[48:49], s[50:51]
	s_andn2_b64 exec, exec, s[42:43]
	s_cbranch_execz .LBB66_163
.LBB66_159:                             ;   Parent Loop BB66_7 Depth=1
                                        ; =>  This Inner Loop Header: Depth=2
	v_cmp_gt_i32_e32 vcc, s68, v16
	s_and_saveexec_b64 s[50:51], vcc
	s_cbranch_execz .LBB66_157
; %bb.160:                              ;   in Loop: Header=BB66_159 Depth=2
	v_ashrrev_i32_e32 v3, 31, v2
	v_lshl_add_u64 v[18:19], v[2:3], 1, s[80:81]
	global_load_ushort v3, v[18:19], off
	s_waitcnt vmcnt(0)
	v_cmp_lt_i16_e32 vcc, -1, v3
	v_lshlrev_b32_e32 v18, 16, v3
	s_nop 0
	v_cndmask_b32_e32 v19, v33, v35, vcc
	v_xor_b32_sdwa v19, v19, v3 dst_sel:DWORD dst_unused:UNUSED_PAD src0_sel:DWORD src1_sel:WORD_0
	v_cmp_o_f32_e32 vcc, v18, v18
	s_nop 1
	v_cndmask_b32_e32 v18, v33, v19, vcc
	v_and_b32_e32 v18, v18, v39
	v_cmp_eq_u32_e32 vcc, v18, v29
	s_and_b64 exec, exec, vcc
	s_cbranch_execz .LBB66_157
; %bb.161:                              ;   in Loop: Header=BB66_159 Depth=2
	v_perm_b32 v3, v3, s69, v38
	ds_write_b32 v9, v3 offset:3072
	s_branch .LBB66_157
.LBB66_162:                             ;   in Loop: Header=BB66_159 Depth=2
	v_add_u32_e32 v16, s70, v16
	v_cmp_le_i32_e32 vcc, s92, v16
	v_add_u32_e32 v2, s98, v2
	s_mov_b64 s[52:53], 0
	s_orn2_b64 s[50:51], vcc, exec
	s_branch .LBB66_158
.LBB66_163:                             ;   in Loop: Header=BB66_7 Depth=1
	s_or_b64 exec, exec, s[42:43]
	v_lshrrev_b32_e32 v40, 16, v3
	s_and_b64 s[42:43], s[48:49], exec
.LBB66_164:                             ;   in Loop: Header=BB66_7 Depth=1
	s_or_b64 exec, exec, s[46:47]
.LBB66_165:                             ;   in Loop: Header=BB66_7 Depth=1
	s_and_b64 vcc, exec, s[44:45]
	s_cbranch_vccz .LBB66_176
; %bb.166:                              ;   in Loop: Header=BB66_7 Depth=1
	v_readlane_b32 s34, v56, 29
	s_add_i32 s50, s6, s34
	s_abs_i32 s35, s50
	s_mul_hi_u32 s36, s35, s9
	s_mul_i32 s36, s36, s70
	s_sub_i32 s35, s35, s36
	s_ashr_i32 s34, s50, 31
	s_sub_i32 s36, s35, s70
	s_cmp_ge_u32 s35, s70
	s_cselect_b32 s35, s36, s35
	s_sub_i32 s36, s35, s70
	s_cmp_ge_u32 s35, s70
	s_cselect_b32 s35, s36, s35
	s_xor_b32 s35, s35, s34
	s_sub_i32 s34, s34, s35
	s_add_i32 s50, s50, s34
	v_cmp_gt_i32_e32 vcc, s50, v0
                                        ; implicit-def: $vgpr40
	s_and_saveexec_b64 s[34:35], vcc
	s_cbranch_execz .LBB66_175
; %bb.167:                              ;   in Loop: Header=BB66_7 Depth=1
	s_mov_b64 s[36:37], 0
	v_mov_b32_e32 v2, v21
	v_mov_b32_e32 v3, v0
                                        ; implicit-def: $sgpr44_sgpr45
	s_branch .LBB66_170
.LBB66_168:                             ;   in Loop: Header=BB66_170 Depth=2
	s_or_b64 exec, exec, s[46:47]
	s_waitcnt lgkmcnt(0)
	s_barrier
	ds_read_b32 v16, v9 offset:3072
	s_mov_b64 s[46:47], -1
	s_mov_b64 s[48:49], -1
	s_waitcnt lgkmcnt(0)
	s_barrier
	v_and_b32_e32 v18, 0x7fff, v16
	v_cmp_eq_u32_e32 vcc, 0, v18
	s_cbranch_vccnz .LBB66_173
.LBB66_169:                             ;   in Loop: Header=BB66_170 Depth=2
	s_and_b64 s[46:47], exec, s[46:47]
	s_or_b64 s[36:37], s[46:47], s[36:37]
	s_andn2_b64 s[44:45], s[44:45], exec
	s_and_b64 s[46:47], s[48:49], exec
	s_or_b64 s[44:45], s[44:45], s[46:47]
	s_andn2_b64 exec, exec, s[36:37]
	s_cbranch_execz .LBB66_174
.LBB66_170:                             ;   Parent Loop BB66_7 Depth=1
                                        ; =>  This Inner Loop Header: Depth=2
	v_cmp_gt_i32_e32 vcc, s6, v3
	s_and_saveexec_b64 s[46:47], vcc
	s_cbranch_execz .LBB66_168
; %bb.171:                              ;   in Loop: Header=BB66_170 Depth=2
	ds_read_u16 v16, v2
	s_waitcnt lgkmcnt(0)
	v_cmp_lt_i16_e32 vcc, -1, v16
	v_lshlrev_b32_e32 v18, 16, v16
	s_nop 0
	v_cndmask_b32_e32 v19, v33, v35, vcc
	v_xor_b32_sdwa v19, v19, v16 dst_sel:DWORD dst_unused:UNUSED_PAD src0_sel:DWORD src1_sel:WORD_0
	v_cmp_o_f32_e32 vcc, v18, v18
	s_nop 1
	v_cndmask_b32_e32 v18, v33, v19, vcc
	v_and_b32_e32 v18, v18, v39
	v_cmp_eq_u32_e32 vcc, v18, v29
	s_and_b64 exec, exec, vcc
	s_cbranch_execz .LBB66_168
; %bb.172:                              ;   in Loop: Header=BB66_170 Depth=2
	v_perm_b32 v16, v16, s69, v38
	ds_write_b32 v9, v16 offset:3072
	s_branch .LBB66_168
.LBB66_173:                             ;   in Loop: Header=BB66_170 Depth=2
	v_add_u32_e32 v3, s70, v3
	v_cmp_le_i32_e32 vcc, s50, v3
	v_add_u32_e32 v2, s91, v2
	s_mov_b64 s[48:49], 0
	s_orn2_b64 s[46:47], vcc, exec
	s_branch .LBB66_169
.LBB66_174:                             ;   in Loop: Header=BB66_7 Depth=1
	s_or_b64 exec, exec, s[36:37]
	s_andn2_b64 s[36:37], s[42:43], exec
	s_and_b64 s[42:43], s[44:45], exec
	v_lshrrev_b32_e32 v40, 16, v16
	s_or_b64 s[42:43], s[36:37], s[42:43]
.LBB66_175:                             ;   in Loop: Header=BB66_7 Depth=1
	s_or_b64 exec, exec, s[34:35]
	s_mov_b64 s[34:35], 0
	s_mov_b64 s[36:37], -1
.LBB66_176:                             ;   in Loop: Header=BB66_7 Depth=1
	s_orn2_b64 s[42:43], s[42:43], exec
.LBB66_177:                             ;   in Loop: Header=BB66_7 Depth=1
	s_or_b64 exec, exec, s[38:39]
	s_mov_b64 s[44:45], 0
	s_and_saveexec_b64 s[38:39], s[42:43]
	s_cbranch_execz .LBB66_227
; %bb.178:                              ;   in Loop: Header=BB66_7 Depth=1
	s_xor_b64 s[42:43], s[40:41], -1
	s_mov_b64 s[48:49], 0
	v_mov_b32_e32 v16, 1
	v_mov_b32_e32 v5, 1
	s_and_saveexec_b64 s[40:41], s[42:43]
	s_cbranch_execz .LBB66_187
; %bb.179:                              ;   in Loop: Header=BB66_7 Depth=1
	v_cmp_ge_i32_e32 vcc, s54, v17
	s_and_saveexec_b64 s[42:43], vcc
	s_xor_b64 s[42:43], exec, s[42:43]
	s_cbranch_execz .LBB66_184
; %bb.180:                              ;   in Loop: Header=BB66_7 Depth=1
	ds_read_b32 v2, v9 offset:4096
	v_and_b32_e32 v3, v29, v8
	v_lshl_or_b32 v29, 2, v34, v3
	v_or_b32_e32 v39, v39, v4
	s_waitcnt lgkmcnt(0)
	v_cmp_ne_u32_e32 vcc, 0, v2
	s_cbranch_vccnz .LBB66_184
; %bb.181:                              ;   in Loop: Header=BB66_7 Depth=1
	s_and_saveexec_b64 s[44:45], s[0:1]
; %bb.182:                              ;   in Loop: Header=BB66_7 Depth=1
	v_mov_b32_e32 v2, s54
	ds_write_b32 v9, v2 offset:4100
; %bb.183:                              ;   in Loop: Header=BB66_7 Depth=1
	s_or_b64 exec, exec, s[44:45]
	s_waitcnt lgkmcnt(0)
	s_barrier
.LBB66_184:                             ;   in Loop: Header=BB66_7 Depth=1
	s_or_saveexec_b64 s[42:43], s[42:43]
	s_mov_b64 s[44:45], 0
	v_mov_b32_e32 v5, 8
	s_xor_b64 exec, exec, s[42:43]
; %bb.185:                              ;   in Loop: Header=BB66_7 Depth=1
	s_mov_b64 s[44:45], exec
	v_subrev_u32_e32 v17, s54, v17
	v_mov_b32_e32 v5, 0
; %bb.186:                              ;   in Loop: Header=BB66_7 Depth=1
	s_or_b64 exec, exec, s[42:43]
	s_and_b64 s[48:49], s[44:45], exec
	v_mov_b32_e32 v16, v17
.LBB66_187:                             ;   in Loop: Header=BB66_7 Depth=1
	s_or_b64 exec, exec, s[40:41]
	s_mov_b64 s[42:43], -1
                                        ; implicit-def: $sgpr46_sgpr47
                                        ; implicit-def: $sgpr44_sgpr45
	s_and_saveexec_b64 s[40:41], s[48:49]
	s_cbranch_execz .LBB66_226
; %bb.188:                              ;   in Loop: Header=BB66_7 Depth=1
	s_cmp_eq_u32 s17, 1
	s_cselect_b64 s[42:43], -1, 0
	v_cmp_eq_u32_e32 vcc, 1, v16
	s_and_b64 s[42:43], s[42:43], vcc
	s_mov_b64 s[50:51], -1
                                        ; implicit-def: $sgpr46_sgpr47
                                        ; implicit-def: $sgpr44_sgpr45
	s_and_saveexec_b64 s[48:49], s[42:43]
	s_cbranch_execz .LBB66_214
; %bb.189:                              ;   in Loop: Header=BB66_7 Depth=1
	ds_read_b32 v2, v9 offset:4096
	s_waitcnt lgkmcnt(0)
	s_barrier
	v_readfirstlane_b32 s6, v2
	s_and_saveexec_b64 s[44:45], s[4:5]
; %bb.190:                              ;   in Loop: Header=BB66_7 Depth=1
	ds_write_b16 v22, v9
; %bb.191:                              ;   in Loop: Header=BB66_7 Depth=1
	s_or_b64 exec, exec, s[44:45]
	v_or_b32_e32 v29, v29, v4
	v_or_b32_e32 v39, v39, v4
	s_mov_b64 s[44:45], -1
	s_mov_b64 s[46:47], 0
	s_cmp_gt_i32 s6, 0
	s_mov_b64 s[50:51], 0
	s_mov_b64 s[52:53], -1
	s_waitcnt lgkmcnt(0)
	s_barrier
                                        ; implicit-def: $vgpr40
	s_cbranch_scc1 .LBB66_202
; %bb.192:                              ;   in Loop: Header=BB66_7 Depth=1
	s_mov_b64 s[52:53], 0
                                        ; implicit-def: $vgpr40
	s_mov_b64 s[54:55], exec
	v_readlane_b32 s56, v56, 48
	v_readlane_b32 s57, v56, 49
	s_and_b64 s[56:57], s[54:55], s[56:57]
	s_mov_b64 exec, s[56:57]
	s_cbranch_execz .LBB66_201
; %bb.193:                              ;   in Loop: Header=BB66_7 Depth=1
	v_mov_b32_e32 v2, v6
	v_mov_b32_e32 v8, v0
                                        ; implicit-def: $sgpr56_sgpr57
	s_branch .LBB66_196
.LBB66_194:                             ;   in Loop: Header=BB66_196 Depth=2
	s_or_b64 exec, exec, s[58:59]
	s_waitcnt lgkmcnt(0)
	s_barrier
	ds_read_b32 v3, v9 offset:3072
	s_mov_b64 s[58:59], -1
	s_mov_b64 s[72:73], -1
	s_waitcnt lgkmcnt(0)
	s_barrier
	v_and_b32_e32 v17, 0x7fff, v3
	v_cmp_ne_u32_e32 vcc, 0, v17
	s_cbranch_vccz .LBB66_199
.LBB66_195:                             ;   in Loop: Header=BB66_196 Depth=2
	s_and_b64 s[58:59], exec, s[58:59]
	s_or_b64 s[50:51], s[58:59], s[50:51]
	s_andn2_b64 s[56:57], s[56:57], exec
	s_and_b64 s[58:59], s[72:73], exec
	s_or_b64 s[56:57], s[56:57], s[58:59]
	s_andn2_b64 exec, exec, s[50:51]
	s_cbranch_execz .LBB66_200
.LBB66_196:                             ;   Parent Loop BB66_7 Depth=1
                                        ; =>  This Inner Loop Header: Depth=2
	v_cmp_gt_i32_e32 vcc, s68, v8
	s_and_saveexec_b64 s[58:59], vcc
	s_cbranch_execz .LBB66_194
; %bb.197:                              ;   in Loop: Header=BB66_196 Depth=2
	v_ashrrev_i32_e32 v3, 31, v2
	v_lshl_add_u64 v[18:19], v[2:3], 1, s[80:81]
	global_load_ushort v3, v[18:19], off
	s_waitcnt vmcnt(0)
	v_cmp_lt_i16_e32 vcc, -1, v3
	v_lshlrev_b32_e32 v17, 16, v3
	s_nop 0
	v_cndmask_b32_e32 v18, v33, v35, vcc
	v_xor_b32_sdwa v18, v18, v3 dst_sel:DWORD dst_unused:UNUSED_PAD src0_sel:DWORD src1_sel:WORD_0
	v_cmp_o_f32_e32 vcc, v17, v17
	s_nop 1
	v_cndmask_b32_e32 v17, v33, v18, vcc
	v_and_b32_e32 v17, v17, v39
	v_cmp_eq_u32_e32 vcc, v17, v29
	s_and_b64 exec, exec, vcc
	s_cbranch_execz .LBB66_194
; %bb.198:                              ;   in Loop: Header=BB66_196 Depth=2
	v_perm_b32 v3, v3, s69, v38
	ds_write_b32 v9, v3 offset:3072
	s_branch .LBB66_194
.LBB66_199:                             ;   in Loop: Header=BB66_196 Depth=2
	v_add_u32_e32 v8, s70, v8
	v_cmp_le_i32_e32 vcc, s92, v8
	v_add_u32_e32 v2, s98, v2
	s_mov_b64 s[72:73], 0
	s_orn2_b64 s[58:59], vcc, exec
	s_branch .LBB66_195
.LBB66_200:                             ;   in Loop: Header=BB66_7 Depth=1
	s_or_b64 exec, exec, s[50:51]
	v_lshrrev_b32_e32 v40, 16, v3
	s_and_b64 s[50:51], s[56:57], exec
.LBB66_201:                             ;   in Loop: Header=BB66_7 Depth=1
	s_or_b64 exec, exec, s[54:55]
.LBB66_202:                             ;   in Loop: Header=BB66_7 Depth=1
	s_and_b64 vcc, exec, s[52:53]
	s_cbranch_vccz .LBB66_213
; %bb.203:                              ;   in Loop: Header=BB66_7 Depth=1
	v_readlane_b32 s44, v56, 29
	s_add_i32 s58, s6, s44
	s_abs_i32 s45, s58
	s_mul_hi_u32 s46, s45, s9
	s_mul_i32 s46, s46, s70
	s_sub_i32 s45, s45, s46
	s_ashr_i32 s44, s58, 31
	s_sub_i32 s46, s45, s70
	s_cmp_ge_u32 s45, s70
	s_cselect_b32 s45, s46, s45
	s_sub_i32 s46, s45, s70
	s_cmp_ge_u32 s45, s70
	s_cselect_b32 s45, s46, s45
	s_xor_b32 s45, s45, s44
	s_sub_i32 s44, s44, s45
	s_add_i32 s58, s58, s44
	v_cmp_gt_i32_e32 vcc, s58, v0
                                        ; implicit-def: $vgpr40
	s_and_saveexec_b64 s[44:45], vcc
	s_cbranch_execz .LBB66_212
; %bb.204:                              ;   in Loop: Header=BB66_7 Depth=1
	s_mov_b64 s[46:47], 0
	v_mov_b32_e32 v2, v21
	v_mov_b32_e32 v3, v0
                                        ; implicit-def: $sgpr52_sgpr53
	s_branch .LBB66_207
.LBB66_205:                             ;   in Loop: Header=BB66_207 Depth=2
	s_or_b64 exec, exec, s[54:55]
	s_waitcnt lgkmcnt(0)
	s_barrier
	ds_read_b32 v8, v9 offset:3072
	s_mov_b64 s[54:55], -1
	s_mov_b64 s[56:57], -1
	s_waitcnt lgkmcnt(0)
	s_barrier
	v_and_b32_e32 v17, 0x7fff, v8
	v_cmp_eq_u32_e32 vcc, 0, v17
	s_cbranch_vccnz .LBB66_210
.LBB66_206:                             ;   in Loop: Header=BB66_207 Depth=2
	s_and_b64 s[54:55], exec, s[54:55]
	s_or_b64 s[46:47], s[54:55], s[46:47]
	s_andn2_b64 s[52:53], s[52:53], exec
	s_and_b64 s[54:55], s[56:57], exec
	s_or_b64 s[52:53], s[52:53], s[54:55]
	s_andn2_b64 exec, exec, s[46:47]
	s_cbranch_execz .LBB66_211
.LBB66_207:                             ;   Parent Loop BB66_7 Depth=1
                                        ; =>  This Inner Loop Header: Depth=2
	v_cmp_gt_i32_e32 vcc, s6, v3
	s_and_saveexec_b64 s[54:55], vcc
	s_cbranch_execz .LBB66_205
; %bb.208:                              ;   in Loop: Header=BB66_207 Depth=2
	ds_read_u16 v8, v2
	s_waitcnt lgkmcnt(0)
	v_cmp_lt_i16_e32 vcc, -1, v8
	v_lshlrev_b32_e32 v17, 16, v8
	s_nop 0
	v_cndmask_b32_e32 v18, v33, v35, vcc
	v_xor_b32_sdwa v18, v18, v8 dst_sel:DWORD dst_unused:UNUSED_PAD src0_sel:DWORD src1_sel:WORD_0
	v_cmp_o_f32_e32 vcc, v17, v17
	s_nop 1
	v_cndmask_b32_e32 v17, v33, v18, vcc
	v_and_b32_e32 v17, v17, v39
	v_cmp_eq_u32_e32 vcc, v17, v29
	s_and_b64 exec, exec, vcc
	s_cbranch_execz .LBB66_205
; %bb.209:                              ;   in Loop: Header=BB66_207 Depth=2
	v_perm_b32 v8, v8, s69, v38
	ds_write_b32 v9, v8 offset:3072
	s_branch .LBB66_205
.LBB66_210:                             ;   in Loop: Header=BB66_207 Depth=2
	v_add_u32_e32 v3, s70, v3
	v_cmp_le_i32_e32 vcc, s58, v3
	v_add_u32_e32 v2, s91, v2
	s_mov_b64 s[56:57], 0
	s_orn2_b64 s[54:55], vcc, exec
	s_branch .LBB66_206
.LBB66_211:                             ;   in Loop: Header=BB66_7 Depth=1
	s_or_b64 exec, exec, s[46:47]
	s_andn2_b64 s[46:47], s[50:51], exec
	s_and_b64 s[50:51], s[52:53], exec
	v_lshrrev_b32_e32 v40, 16, v8
	s_or_b64 s[50:51], s[46:47], s[50:51]
.LBB66_212:                             ;   in Loop: Header=BB66_7 Depth=1
	s_or_b64 exec, exec, s[44:45]
	s_mov_b64 s[44:45], 0
	s_mov_b64 s[46:47], -1
.LBB66_213:                             ;   in Loop: Header=BB66_7 Depth=1
	s_orn2_b64 s[50:51], s[50:51], exec
.LBB66_214:                             ;   in Loop: Header=BB66_7 Depth=1
	s_or_b64 exec, exec, s[48:49]
	s_mov_b64 s[52:53], 0
	s_and_saveexec_b64 s[48:49], s[50:51]
	s_cbranch_execz .LBB66_225
; %bb.215:                              ;   in Loop: Header=BB66_7 Depth=1
	s_xor_b64 s[50:51], s[42:43], -1
	v_mov_b32_e32 v5, 1
	v_mov_b32_e32 v2, 1
	s_and_saveexec_b64 s[42:43], s[50:51]
	s_cbranch_execz .LBB66_224
; %bb.216:                              ;   in Loop: Header=BB66_7 Depth=1
	v_cmp_ge_i32_e32 vcc, s17, v16
	s_and_saveexec_b64 s[50:51], vcc
	s_xor_b64 s[50:51], exec, s[50:51]
	s_cbranch_execz .LBB66_221
; %bb.217:                              ;   in Loop: Header=BB66_7 Depth=1
	ds_read_b32 v2, v9 offset:4096
	v_or_b32_e32 v29, v29, v4
	v_or_b32_e32 v39, v39, v4
	s_waitcnt lgkmcnt(0)
	v_cmp_ne_u32_e32 vcc, 0, v2
	s_cbranch_vccnz .LBB66_221
; %bb.218:                              ;   in Loop: Header=BB66_7 Depth=1
	s_and_saveexec_b64 s[52:53], s[0:1]
; %bb.219:                              ;   in Loop: Header=BB66_7 Depth=1
	v_mov_b32_e32 v2, s17
	ds_write_b32 v9, v2 offset:4100
; %bb.220:                              ;   in Loop: Header=BB66_7 Depth=1
	s_or_b64 exec, exec, s[52:53]
	s_waitcnt lgkmcnt(0)
	s_barrier
.LBB66_221:                             ;   in Loop: Header=BB66_7 Depth=1
	s_andn2_saveexec_b64 s[50:51], s[50:51]
; %bb.222:                              ;   in Loop: Header=BB66_7 Depth=1
	v_subrev_u32_e32 v16, s17, v16
; %bb.223:                              ;   in Loop: Header=BB66_7 Depth=1
	s_or_b64 exec, exec, s[50:51]
	v_mov_b32_e32 v5, 8
	v_mov_b32_e32 v2, v16
.LBB66_224:                             ;   in Loop: Header=BB66_7 Depth=1
	s_or_b64 exec, exec, s[42:43]
	s_mov_b64 s[52:53], exec
	v_mov_b32_e32 v16, v2
.LBB66_225:                             ;   in Loop: Header=BB66_7 Depth=1
	s_or_b64 exec, exec, s[48:49]
	s_orn2_b64 s[42:43], s[52:53], exec
.LBB66_226:                             ;   in Loop: Header=BB66_7 Depth=1
	s_or_b64 exec, exec, s[40:41]
	s_andn2_b64 s[36:37], s[36:37], exec
	s_and_b64 s[40:41], s[46:47], exec
	s_or_b64 s[36:37], s[36:37], s[40:41]
	s_andn2_b64 s[34:35], s[34:35], exec
	s_and_b64 s[40:41], s[44:45], exec
	s_or_b64 s[34:35], s[34:35], s[40:41]
	s_and_b64 s[44:45], s[42:43], exec
	v_mov_b32_e32 v17, v16
.LBB66_227:                             ;   in Loop: Header=BB66_7 Depth=1
	s_or_b64 exec, exec, s[38:39]
	s_orn2_b64 s[38:39], s[44:45], exec
.LBB66_228:                             ;   in Loop: Header=BB66_7 Depth=1
	s_or_b64 exec, exec, s[30:31]
	s_andn2_b64 s[26:27], s[26:27], exec
	s_and_b64 s[30:31], s[36:37], exec
	s_or_b64 s[26:27], s[26:27], s[30:31]
	s_andn2_b64 s[24:25], s[24:25], exec
	s_and_b64 s[30:31], s[34:35], exec
	s_or_b64 s[24:25], s[24:25], s[30:31]
	s_and_b64 s[36:37], s[38:39], exec
	v_mov_b32_e32 v16, v17
.LBB66_229:                             ;   in Loop: Header=BB66_7 Depth=1
	s_or_b64 exec, exec, s[28:29]
	s_orn2_b64 s[28:29], s[36:37], exec
.LBB66_230:                             ;   in Loop: Header=BB66_7 Depth=1
	s_or_b64 exec, exec, s[22:23]
	s_mov_b64 s[30:31], 0
                                        ; implicit-def: $sgpr6
	s_and_saveexec_b64 s[22:23], s[28:29]
	s_xor_b64 s[22:23], exec, s[22:23]
	s_cbranch_execz .LBB66_5
; %bb.231:                              ;   in Loop: Header=BB66_7 Depth=1
	v_and_b32_e32 v2, 7, v5
	v_cmp_eq_u32_e32 vcc, 0, v2
	s_mov_b64 s[20:21], -1
	s_mov_b64 s[28:29], -1
                                        ; implicit-def: $sgpr6
	s_and_saveexec_b64 s[30:31], vcc
	s_cbranch_execz .LBB66_4
; %bb.232:                              ;   in Loop: Header=BB66_7 Depth=1
	v_add_u32_e32 v2, -2, v34
	v_cmp_eq_u32_e32 vcc, 0, v34
	s_xor_b32 s6, s16, 1
	s_xor_b64 s[28:29], exec, -1
	s_orn2_b64 s[20:21], vcc, exec
	v_mov_b32_e32 v34, v2
	s_branch .LBB66_4
.LBB66_233:
	s_or_b64 exec, exec, s[74:75]
	s_xor_b64 s[6:7], s[60:61], -1
	s_xor_b64 s[4:5], s[78:79], -1
	;; [unrolled: 1-line block ×3, first 2 shown]
	s_mov_b64 s[2:3], 0
	s_and_saveexec_b64 s[10:11], s[4:5]
	s_xor_b64 s[4:5], exec, s[10:11]
	s_cbranch_execnz .LBB66_238
; %bb.234:
	s_andn2_saveexec_b64 s[0:1], s[4:5]
	s_cbranch_execnz .LBB66_258
.LBB66_235:
	s_or_b64 exec, exec, s[0:1]
	s_and_saveexec_b64 s[0:1], s[2:3]
.LBB66_236:
	; divergent unreachable
.LBB66_237:
	s_endpgm
.LBB66_238:
	s_and_saveexec_b64 s[2:3], s[6:7]
	s_xor_b64 s[6:7], exec, s[2:3]
	s_cbranch_execz .LBB66_256
; %bb.239:
	s_and_saveexec_b64 s[2:3], s[8:9]
	s_xor_b64 s[2:3], exec, s[2:3]
; %bb.240:
	v_and_b32_e32 v1, 0x8000, v29
	v_mov_b32_e32 v2, 0x8000
	v_mov_b32_e32 v3, 0xffff
	v_cmp_eq_u32_e32 vcc, 0, v1
	s_nop 1
	v_cndmask_b32_e32 v1, v2, v3, vcc
	v_xor_b32_e32 v40, v1, v29
; %bb.241:
	s_or_b64 exec, exec, s[2:3]
	s_and_saveexec_b64 s[2:3], s[0:1]
	v_readlane_b32 s24, v56, 20
	v_readlane_b32 s26, v56, 25
	;; [unrolled: 1-line block ×7, first 2 shown]
; %bb.242:
	v_mov_b32_e32 v1, 0
	v_mov_b32_e32 v2, s68
	ds_write_b32 v1, v2 offset:4108
; %bb.243:
	s_or_b64 exec, exec, s[2:3]
	v_mov_b32_e32 v1, 0
	s_waitcnt lgkmcnt(0)
	s_barrier
	ds_read_b32 v1, v1 offset:4108
	s_waitcnt lgkmcnt(0)
	v_min_i32_e32 v1, s68, v1
	v_cmp_lt_i32_e32 vcc, v0, v1
	s_and_saveexec_b64 s[8:9], vcc
	s_cbranch_execz .LBB66_253
; %bb.244:
	v_lshlrev_b32_e32 v3, 16, v40
	v_cmp_u_f32_e32 vcc, v3, v3
	s_mov_b64 s[10:11], 0
	s_xor_b64 s[14:15], vcc, -1
                                        ; implicit-def: $sgpr12_sgpr13
                                        ; implicit-def: $sgpr18_sgpr19
                                        ; implicit-def: $sgpr16_sgpr17
	s_branch .LBB66_246
.LBB66_245:                             ;   in Loop: Header=BB66_246 Depth=1
	s_or_b64 exec, exec, s[2:3]
	s_and_b64 s[2:3], exec, s[18:19]
	s_or_b64 s[10:11], s[2:3], s[10:11]
	s_andn2_b64 s[2:3], s[12:13], exec
	s_and_b64 s[12:13], s[16:17], exec
	s_or_b64 s[12:13], s[2:3], s[12:13]
	s_andn2_b64 exec, exec, s[10:11]
	s_cbranch_execz .LBB66_248
.LBB66_246:                             ; =>This Inner Loop Header: Depth=1
	v_ashrrev_i32_e32 v7, 31, v6
	v_lshl_add_u64 v[4:5], v[6:7], 1, s[80:81]
	global_load_ushort v4, v[4:5], off
	v_mov_b32_e32 v2, v0
	s_or_b64 s[16:17], s[16:17], exec
	s_or_b64 s[18:19], s[18:19], exec
	s_waitcnt vmcnt(0)
	v_lshlrev_b32_e32 v0, 16, v4
	v_cmp_o_f32_e64 s[2:3], v0, v0
	v_cmp_neq_f32_e32 vcc, v0, v3
	s_or_b64 s[2:3], s[14:15], s[2:3]
	s_and_b64 s[20:21], vcc, s[2:3]
                                        ; implicit-def: $vgpr0
	s_and_saveexec_b64 s[2:3], s[20:21]
	s_cbranch_execz .LBB66_245
; %bb.247:                              ;   in Loop: Header=BB66_246 Depth=1
	v_add_u32_e32 v0, s70, v2
	v_cmp_ge_i32_e32 vcc, v0, v1
	s_andn2_b64 s[18:19], s[18:19], exec
	s_and_b64 s[20:21], vcc, exec
	v_add_u32_e32 v6, s98, v6
	s_andn2_b64 s[16:17], s[16:17], exec
	s_or_b64 s[18:19], s[18:19], s[20:21]
	s_branch .LBB66_245
.LBB66_248:
	s_or_b64 exec, exec, s[10:11]
	s_and_saveexec_b64 s[2:3], s[12:13]
	s_xor_b64 s[2:3], exec, s[2:3]
	s_cbranch_execz .LBB66_253
; %bb.249:
	s_mov_b64 s[2:3], exec
	s_brev_b32 s10, -2
.LBB66_250:                             ; =>This Inner Loop Header: Depth=1
	s_ff1_i32_b64 s11, s[2:3]
	v_readlane_b32 s14, v2, s11
	s_lshl_b64 s[12:13], 1, s11
	s_min_i32 s10, s10, s14
	s_andn2_b64 s[2:3], s[2:3], s[12:13]
	s_cmp_lg_u64 s[2:3], 0
	s_cbranch_scc1 .LBB66_250
; %bb.251:
	v_mbcnt_lo_u32_b32 v0, exec_lo, 0
	v_mbcnt_hi_u32_b32 v0, exec_hi, v0
	v_cmp_eq_u32_e32 vcc, 0, v0
	s_and_saveexec_b64 s[2:3], vcc
	s_xor_b64 s[2:3], exec, s[2:3]
; %bb.252:
	v_mov_b32_e32 v0, 0
	v_mov_b32_e32 v1, s10
	ds_min_i32 v0, v1 offset:4108
.LBB66_253:
	s_or_b64 exec, exec, s[8:9]
	s_waitcnt lgkmcnt(0)
	s_barrier
	s_and_saveexec_b64 s[2:3], s[0:1]
	s_cbranch_execz .LBB66_255
; %bb.254:
	v_readlane_b32 s8, v56, 0
	s_mul_i32 s0, s23, s25
	v_readlane_b32 s10, v56, 2
	s_sub_i32 s0, s22, s0
	v_readlane_b32 s9, v56, 1
	v_readlane_b32 s11, v56, 3
	s_mov_b32 s14, s10
	s_mov_b64 s[12:13], s[8:9]
	s_mul_i32 s0, s0, s14
	v_readlane_b32 s1, v56, 19
	v_readlane_b32 s8, v56, 22
	;; [unrolled: 1-line block ×4, first 2 shown]
	s_xor_b32 s1, s1, s8
	s_mul_i32 s8, s14, s11
	v_readlane_b32 s9, v56, 13
	s_sub_i32 s8, s9, s8
	s_add_i32 s9, s14, 1
	s_sub_i32 s10, s8, s11
	s_cmp_ge_u32 s8, s11
	s_cselect_b32 s9, s9, s14
	s_cselect_b32 s8, s10, s8
	s_add_i32 s10, s9, 1
	s_cmp_ge_u32 s8, s11
	s_cselect_b32 s8, s10, s9
	s_xor_b32 s8, s8, s1
	s_sub_i32 s1, s8, s1
	s_mul_i32 s8, s1, s24
	s_sub_i32 s8, s23, s8
	s_mul_i32 s8, s8, s13
	s_add_i32 s0, s8, s0
	s_mul_i32 s1, s1, s12
	v_readlane_b32 s8, v56, 4
	s_add_i32 s0, s0, s1
	s_mul_i32 s1, s28, s27
	v_readlane_b32 s10, v56, 6
	s_sub_i32 s1, s22, s1
	v_readlane_b32 s9, v56, 5
	s_mov_b32 s14, s10
	s_mov_b64 s[12:13], s[8:9]
	s_mul_i32 s1, s1, s14
	v_readlane_b32 s8, v56, 24
	v_readlane_b32 s9, v56, 27
	;; [unrolled: 1-line block ×4, first 2 shown]
	s_xor_b32 s8, s8, s9
	s_mul_i32 s9, s15, s14
	v_readlane_b32 s10, v56, 16
	v_readlane_b32 s11, v56, 7
	s_sub_i32 s9, s10, s9
	s_add_i32 s10, s15, 1
	s_sub_i32 s11, s9, s14
	s_cmp_ge_u32 s9, s14
	s_cselect_b32 s10, s10, s15
	s_cselect_b32 s9, s11, s9
	s_add_i32 s11, s10, 1
	s_cmp_ge_u32 s9, s14
	s_cselect_b32 s9, s11, s10
	s_xor_b32 s9, s9, s8
	s_sub_i32 s8, s9, s8
	s_mul_i32 s9, s8, s26
	s_sub_i32 s9, s28, s9
	s_mul_i32 s9, s9, s13
	s_add_i32 s1, s9, s1
	s_mul_i32 s8, s8, s12
	s_add_i32 s8, s1, s8
	s_ashr_i32 s1, s0, 31
	v_mov_b32_e32 v2, 0
	s_lshl_b64 s[0:1], s[0:1], 1
	v_readlane_b32 s10, v56, 11
	ds_read_b32 v0, v2 offset:4108
	v_readlane_b32 s11, v56, 12
	s_add_u32 s0, s10, s0
	s_addc_u32 s1, s11, s1
	s_ashr_i32 s9, s8, 31
	s_lshl_b64 s[8:9], s[8:9], 3
	v_readlane_b32 s10, v56, 8
	v_readlane_b32 s11, v56, 9
	s_add_u32 s8, s10, s8
	s_addc_u32 s9, s11, s9
	s_waitcnt lgkmcnt(0)
	v_ashrrev_i32_e32 v1, 31, v0
	global_store_dwordx2 v2, v[0:1], s[8:9]
	global_store_short v2, v40, s[0:1]
.LBB66_255:
	s_or_b64 exec, exec, s[2:3]
.LBB66_256:
	s_or_saveexec_b64 s[0:1], s[6:7]
	s_mov_b64 s[2:3], 0
	s_xor_b64 exec, exec, s[0:1]
	s_cbranch_execnz .LBB66_259
.LBB66_257:
	s_or_b64 exec, exec, s[0:1]
	s_and_b64 s[2:3], s[2:3], exec
	s_andn2_saveexec_b64 s[0:1], s[4:5]
	s_cbranch_execz .LBB66_235
.LBB66_258:
	s_or_b64 s[2:3], s[2:3], exec
	s_trap 2
	s_or_b64 exec, exec, s[0:1]
	s_and_saveexec_b64 s[0:1], s[2:3]
	s_cbranch_execnz .LBB66_236
	s_branch .LBB66_237
.LBB66_259:
	s_mov_b64 s[2:3], exec
	s_trap 2
	s_branch .LBB66_257
	.section	.rodata,"a",@progbits
	.p2align	6, 0x0
	.amdhsa_kernel _ZN2at6native12_GLOBAL__N_114gatherKthValueIN3c108BFloat16EiLi3EEEvNS_4cuda6detail10TensorInfoIKT_T0_EESA_SA_SA_SA_NS7_IS8_SA_EENS7_IlSA_EE
		.amdhsa_group_segment_fixed_size 4112
		.amdhsa_private_segment_fixed_size 0
		.amdhsa_kernarg_size 920
		.amdhsa_user_sgpr_count 2
		.amdhsa_user_sgpr_dispatch_ptr 0
		.amdhsa_user_sgpr_queue_ptr 0
		.amdhsa_user_sgpr_kernarg_segment_ptr 1
		.amdhsa_user_sgpr_dispatch_id 0
		.amdhsa_user_sgpr_kernarg_preload_length 0
		.amdhsa_user_sgpr_kernarg_preload_offset 0
		.amdhsa_user_sgpr_private_segment_size 0
		.amdhsa_uses_dynamic_stack 0
		.amdhsa_enable_private_segment 0
		.amdhsa_system_sgpr_workgroup_id_x 1
		.amdhsa_system_sgpr_workgroup_id_y 1
		.amdhsa_system_sgpr_workgroup_id_z 1
		.amdhsa_system_sgpr_workgroup_info 0
		.amdhsa_system_vgpr_workitem_id 0
		.amdhsa_next_free_vgpr 57
		.amdhsa_next_free_sgpr 100
		.amdhsa_accum_offset 60
		.amdhsa_reserve_vcc 1
		.amdhsa_float_round_mode_32 0
		.amdhsa_float_round_mode_16_64 0
		.amdhsa_float_denorm_mode_32 3
		.amdhsa_float_denorm_mode_16_64 3
		.amdhsa_dx10_clamp 1
		.amdhsa_ieee_mode 1
		.amdhsa_fp16_overflow 0
		.amdhsa_tg_split 0
		.amdhsa_exception_fp_ieee_invalid_op 0
		.amdhsa_exception_fp_denorm_src 0
		.amdhsa_exception_fp_ieee_div_zero 0
		.amdhsa_exception_fp_ieee_overflow 0
		.amdhsa_exception_fp_ieee_underflow 0
		.amdhsa_exception_fp_ieee_inexact 0
		.amdhsa_exception_int_div_zero 0
	.end_amdhsa_kernel
	.section	.text._ZN2at6native12_GLOBAL__N_114gatherKthValueIN3c108BFloat16EiLi3EEEvNS_4cuda6detail10TensorInfoIKT_T0_EESA_SA_SA_SA_NS7_IS8_SA_EENS7_IlSA_EE,"axG",@progbits,_ZN2at6native12_GLOBAL__N_114gatherKthValueIN3c108BFloat16EiLi3EEEvNS_4cuda6detail10TensorInfoIKT_T0_EESA_SA_SA_SA_NS7_IS8_SA_EENS7_IlSA_EE,comdat
.Lfunc_end66:
	.size	_ZN2at6native12_GLOBAL__N_114gatherKthValueIN3c108BFloat16EiLi3EEEvNS_4cuda6detail10TensorInfoIKT_T0_EESA_SA_SA_SA_NS7_IS8_SA_EENS7_IlSA_EE, .Lfunc_end66-_ZN2at6native12_GLOBAL__N_114gatherKthValueIN3c108BFloat16EiLi3EEEvNS_4cuda6detail10TensorInfoIKT_T0_EESA_SA_SA_SA_NS7_IS8_SA_EENS7_IlSA_EE
                                        ; -- End function
	.set _ZN2at6native12_GLOBAL__N_114gatherKthValueIN3c108BFloat16EiLi3EEEvNS_4cuda6detail10TensorInfoIKT_T0_EESA_SA_SA_SA_NS7_IS8_SA_EENS7_IlSA_EE.num_vgpr, 57
	.set _ZN2at6native12_GLOBAL__N_114gatherKthValueIN3c108BFloat16EiLi3EEEvNS_4cuda6detail10TensorInfoIKT_T0_EESA_SA_SA_SA_NS7_IS8_SA_EENS7_IlSA_EE.num_agpr, 0
	.set _ZN2at6native12_GLOBAL__N_114gatherKthValueIN3c108BFloat16EiLi3EEEvNS_4cuda6detail10TensorInfoIKT_T0_EESA_SA_SA_SA_NS7_IS8_SA_EENS7_IlSA_EE.numbered_sgpr, 100
	.set _ZN2at6native12_GLOBAL__N_114gatherKthValueIN3c108BFloat16EiLi3EEEvNS_4cuda6detail10TensorInfoIKT_T0_EESA_SA_SA_SA_NS7_IS8_SA_EENS7_IlSA_EE.num_named_barrier, 0
	.set _ZN2at6native12_GLOBAL__N_114gatherKthValueIN3c108BFloat16EiLi3EEEvNS_4cuda6detail10TensorInfoIKT_T0_EESA_SA_SA_SA_NS7_IS8_SA_EENS7_IlSA_EE.private_seg_size, 0
	.set _ZN2at6native12_GLOBAL__N_114gatherKthValueIN3c108BFloat16EiLi3EEEvNS_4cuda6detail10TensorInfoIKT_T0_EESA_SA_SA_SA_NS7_IS8_SA_EENS7_IlSA_EE.uses_vcc, 1
	.set _ZN2at6native12_GLOBAL__N_114gatherKthValueIN3c108BFloat16EiLi3EEEvNS_4cuda6detail10TensorInfoIKT_T0_EESA_SA_SA_SA_NS7_IS8_SA_EENS7_IlSA_EE.uses_flat_scratch, 0
	.set _ZN2at6native12_GLOBAL__N_114gatherKthValueIN3c108BFloat16EiLi3EEEvNS_4cuda6detail10TensorInfoIKT_T0_EESA_SA_SA_SA_NS7_IS8_SA_EENS7_IlSA_EE.has_dyn_sized_stack, 0
	.set _ZN2at6native12_GLOBAL__N_114gatherKthValueIN3c108BFloat16EiLi3EEEvNS_4cuda6detail10TensorInfoIKT_T0_EESA_SA_SA_SA_NS7_IS8_SA_EENS7_IlSA_EE.has_recursion, 0
	.set _ZN2at6native12_GLOBAL__N_114gatherKthValueIN3c108BFloat16EiLi3EEEvNS_4cuda6detail10TensorInfoIKT_T0_EESA_SA_SA_SA_NS7_IS8_SA_EENS7_IlSA_EE.has_indirect_call, 0
	.section	.AMDGPU.csdata,"",@progbits
; Kernel info:
; codeLenInByte = 10996
; TotalNumSgprs: 106
; NumVgprs: 57
; NumAgprs: 0
; TotalNumVgprs: 57
; ScratchSize: 0
; MemoryBound: 0
; FloatMode: 240
; IeeeMode: 1
; LDSByteSize: 4112 bytes/workgroup (compile time only)
; SGPRBlocks: 13
; VGPRBlocks: 7
; NumSGPRsForWavesPerEU: 106
; NumVGPRsForWavesPerEU: 57
; AccumOffset: 60
; Occupancy: 7
; WaveLimiterHint : 1
; COMPUTE_PGM_RSRC2:SCRATCH_EN: 0
; COMPUTE_PGM_RSRC2:USER_SGPR: 2
; COMPUTE_PGM_RSRC2:TRAP_HANDLER: 0
; COMPUTE_PGM_RSRC2:TGID_X_EN: 1
; COMPUTE_PGM_RSRC2:TGID_Y_EN: 1
; COMPUTE_PGM_RSRC2:TGID_Z_EN: 1
; COMPUTE_PGM_RSRC2:TIDIG_COMP_CNT: 0
; COMPUTE_PGM_RSRC3_GFX90A:ACCUM_OFFSET: 14
; COMPUTE_PGM_RSRC3_GFX90A:TG_SPLIT: 0
	.section	.text._ZN2at6native12_GLOBAL__N_114gatherKthValueIN3c108BFloat16EiLin1EEEvNS_4cuda6detail10TensorInfoIKT_T0_EESA_SA_SA_SA_NS7_IS8_SA_EENS7_IlSA_EE,"axG",@progbits,_ZN2at6native12_GLOBAL__N_114gatherKthValueIN3c108BFloat16EiLin1EEEvNS_4cuda6detail10TensorInfoIKT_T0_EESA_SA_SA_SA_NS7_IS8_SA_EENS7_IlSA_EE,comdat
	.globl	_ZN2at6native12_GLOBAL__N_114gatherKthValueIN3c108BFloat16EiLin1EEEvNS_4cuda6detail10TensorInfoIKT_T0_EESA_SA_SA_SA_NS7_IS8_SA_EENS7_IlSA_EE ; -- Begin function _ZN2at6native12_GLOBAL__N_114gatherKthValueIN3c108BFloat16EiLin1EEEvNS_4cuda6detail10TensorInfoIKT_T0_EESA_SA_SA_SA_NS7_IS8_SA_EENS7_IlSA_EE
	.p2align	8
	.type	_ZN2at6native12_GLOBAL__N_114gatherKthValueIN3c108BFloat16EiLin1EEEvNS_4cuda6detail10TensorInfoIKT_T0_EESA_SA_SA_SA_NS7_IS8_SA_EENS7_IlSA_EE,@function
_ZN2at6native12_GLOBAL__N_114gatherKthValueIN3c108BFloat16EiLin1EEEvNS_4cuda6detail10TensorInfoIKT_T0_EESA_SA_SA_SA_NS7_IS8_SA_EENS7_IlSA_EE: ; @_ZN2at6native12_GLOBAL__N_114gatherKthValueIN3c108BFloat16EiLin1EEEvNS_4cuda6detail10TensorInfoIKT_T0_EESA_SA_SA_SA_NS7_IS8_SA_EENS7_IlSA_EE
; %bb.0:
	s_load_dwordx2 s[12:13], s[0:1], 0x298
	s_load_dwordx4 s[60:63], s[0:1], 0xd8
	s_add_u32 s10, s0, 0x298
	s_addc_u32 s11, s1, 0
	s_waitcnt lgkmcnt(0)
	s_mul_i32 s4, s13, s4
	s_add_i32 s3, s4, s3
	s_mul_i32 s3, s3, s12
	s_add_i32 s33, s3, s2
	s_cmp_ge_i32 s33, s62
	s_cbranch_scc1 .LBB67_246
; %bb.1:
	s_load_dword s4, s[0:1], 0xd0
	s_mov_b32 s5, 0
	s_mov_b32 s3, s33
	s_waitcnt lgkmcnt(0)
	s_cmp_lt_i32 s4, 2
	s_cbranch_scc1 .LBB67_4
; %bb.2:
	s_add_i32 s8, s4, 1
	s_add_i32 s4, s4, -1
	s_lshl_b64 s[6:7], s[4:5], 2
	s_add_u32 s3, s0, s6
	s_addc_u32 s4, s1, s7
	s_add_u32 s6, s3, 8
	s_addc_u32 s7, s4, 0
	s_mov_b32 s3, s33
.LBB67_3:                               ; =>This Inner Loop Header: Depth=1
	s_load_dword s4, s[6:7], 0x0
	s_load_dword s13, s[6:7], 0x64
	s_mov_b32 s9, s3
	s_abs_i32 s3, s3
	s_waitcnt lgkmcnt(0)
	s_abs_i32 s15, s4
	v_cvt_f32_u32_e32 v1, s15
	s_sub_i32 s16, 0, s15
	s_xor_b32 s14, s9, s4
	s_ashr_i32 s14, s14, 31
	v_rcp_iflag_f32_e32 v1, v1
	s_nop 0
	v_mul_f32_e32 v1, 0x4f7ffffe, v1
	v_cvt_u32_f32_e32 v1, v1
	s_nop 0
	v_readfirstlane_b32 s17, v1
	s_mul_i32 s16, s16, s17
	s_mul_hi_u32 s16, s17, s16
	s_add_i32 s17, s17, s16
	s_mul_hi_u32 s16, s3, s17
	s_mul_i32 s17, s16, s15
	s_sub_i32 s3, s3, s17
	s_add_i32 s18, s16, 1
	s_sub_i32 s17, s3, s15
	s_cmp_ge_u32 s3, s15
	s_cselect_b32 s16, s18, s16
	s_cselect_b32 s3, s17, s3
	s_add_i32 s17, s16, 1
	s_cmp_ge_u32 s3, s15
	s_cselect_b32 s3, s17, s16
	s_xor_b32 s3, s3, s14
	s_sub_i32 s3, s3, s14
	s_mul_i32 s4, s3, s4
	s_sub_i32 s4, s9, s4
	s_mul_i32 s4, s13, s4
	s_add_i32 s8, s8, -1
	s_add_i32 s5, s4, s5
	s_add_u32 s6, s6, -4
	s_addc_u32 s7, s7, -1
	s_cmp_gt_u32 s8, 2
	s_cbranch_scc1 .LBB67_3
.LBB67_4:
	s_load_dword s8, s[0:1], 0x1b8
	s_add_u32 s6, s0, 0xe8
	s_addc_u32 s7, s1, 0
	s_mov_b32 s65, 0
	s_mov_b32 s62, s33
	s_waitcnt lgkmcnt(0)
	s_cmp_lt_i32 s8, 2
	s_cbranch_scc1 .LBB67_7
; %bb.5:
	s_add_i32 s64, s8, -1
	s_add_i32 s4, s8, 1
	s_lshl_b64 s[8:9], s[64:65], 2
	s_add_u32 s8, s6, s8
	s_addc_u32 s9, s7, s9
	s_add_u32 s8, s8, 8
	s_addc_u32 s9, s9, 0
	s_mov_b32 s62, s33
.LBB67_6:                               ; =>This Inner Loop Header: Depth=1
	s_load_dword s13, s[8:9], 0x0
	s_load_dword s15, s[8:9], 0x64
	s_abs_i32 s16, s62
	s_mov_b32 s14, s62
	s_waitcnt lgkmcnt(0)
	s_abs_i32 s18, s13
	v_cvt_f32_u32_e32 v1, s18
	s_sub_i32 s19, 0, s18
	s_xor_b32 s17, s62, s13
	s_ashr_i32 s17, s17, 31
	v_rcp_iflag_f32_e32 v1, v1
	s_nop 0
	v_mul_f32_e32 v1, 0x4f7ffffe, v1
	v_cvt_u32_f32_e32 v1, v1
	s_nop 0
	v_readfirstlane_b32 s20, v1
	s_mul_i32 s19, s19, s20
	s_mul_hi_u32 s19, s20, s19
	s_add_i32 s20, s20, s19
	s_mul_hi_u32 s19, s16, s20
	s_mul_i32 s20, s19, s18
	s_sub_i32 s16, s16, s20
	s_add_i32 s21, s19, 1
	s_sub_i32 s20, s16, s18
	s_cmp_ge_u32 s16, s18
	s_cselect_b32 s19, s21, s19
	s_cselect_b32 s16, s20, s16
	s_add_i32 s20, s19, 1
	s_cmp_ge_u32 s16, s18
	s_cselect_b32 s16, s20, s19
	s_xor_b32 s16, s16, s17
	s_sub_i32 s62, s16, s17
	s_mul_i32 s13, s62, s13
	s_sub_i32 s13, s14, s13
	s_mul_i32 s13, s15, s13
	s_add_i32 s4, s4, -1
	s_add_i32 s65, s13, s65
	s_add_u32 s8, s8, -4
	s_addc_u32 s9, s9, -1
	s_cmp_gt_u32 s4, 2
	s_cbranch_scc1 .LBB67_6
.LBB67_7:
	s_load_dword s4, s[0:1], 0x6c
	s_load_dword s14, s[0:1], 0x290
	s_add_u32 s8, s0, 0x1c0
	s_addc_u32 s9, s1, 0
	s_mov_b32 s67, 0
	s_waitcnt lgkmcnt(0)
	s_cmp_lt_i32 s14, 2
	s_cbranch_scc1 .LBB67_10
; %bb.8:
	s_add_i32 s66, s14, -1
	s_add_i32 s13, s14, 1
	s_lshl_b64 s[14:15], s[66:67], 2
	s_add_u32 s8, s8, s14
	s_addc_u32 s9, s9, s15
	s_add_u32 s8, s8, 8
	s_addc_u32 s9, s9, 0
.LBB67_9:                               ; =>This Inner Loop Header: Depth=1
	s_load_dword s14, s[8:9], 0x0
	s_load_dword s16, s[8:9], 0x64
	s_abs_i32 s17, s33
	s_mov_b32 s15, s33
	s_waitcnt lgkmcnt(0)
	s_abs_i32 s19, s14
	v_cvt_f32_u32_e32 v1, s19
	s_sub_i32 s20, 0, s19
	s_xor_b32 s18, s33, s14
	s_ashr_i32 s18, s18, 31
	v_rcp_iflag_f32_e32 v1, v1
	s_nop 0
	v_mul_f32_e32 v1, 0x4f7ffffe, v1
	v_cvt_u32_f32_e32 v1, v1
	s_nop 0
	v_readfirstlane_b32 s21, v1
	s_mul_i32 s20, s20, s21
	s_mul_hi_u32 s20, s21, s20
	s_add_i32 s21, s21, s20
	s_mul_hi_u32 s20, s17, s21
	s_mul_i32 s21, s20, s19
	s_sub_i32 s17, s17, s21
	s_add_i32 s22, s20, 1
	s_sub_i32 s21, s17, s19
	s_cmp_ge_u32 s17, s19
	s_cselect_b32 s20, s22, s20
	s_cselect_b32 s17, s21, s17
	s_add_i32 s21, s20, 1
	s_cmp_ge_u32 s17, s19
	s_cselect_b32 s17, s21, s20
	s_xor_b32 s17, s17, s18
	s_sub_i32 s33, s17, s18
	s_mul_i32 s14, s33, s14
	s_sub_i32 s14, s15, s14
	s_mul_i32 s14, s16, s14
	s_add_i32 s13, s13, -1
	s_add_i32 s67, s14, s67
	s_add_u32 s8, s8, -4
	s_addc_u32 s9, s9, -1
	s_cmp_gt_u32 s13, 2
	s_cbranch_scc1 .LBB67_9
.LBB67_10:
	s_load_dword s6, s[6:7], 0x6c
                                        ; implicit-def: $vgpr56 : SGPR spill to VGPR lane
	v_cmp_eq_u32_e64 s[14:15], 0, v0
	s_waitcnt lgkmcnt(0)
	v_writelane_b32 v56, s6, 0
	s_load_dwordx2 s[6:7], s[0:1], 0x0
	s_load_dwordx2 s[8:9], s[0:1], 0xe8
	s_waitcnt lgkmcnt(0)
	v_writelane_b32 v56, s8, 1
	s_nop 1
	v_writelane_b32 v56, s9, 2
	s_load_dwordx2 s[8:9], s[0:1], 0x1c0
	s_waitcnt lgkmcnt(0)
	v_writelane_b32 v56, s8, 3
	s_nop 1
	v_writelane_b32 v56, s9, 4
	s_mov_b64 s[8:9], exec
	v_writelane_b32 v56, s14, 5
	s_nop 1
	v_writelane_b32 v56, s15, 6
	s_and_b64 s[14:15], s[8:9], s[14:15]
	s_mov_b64 exec, s[14:15]
; %bb.11:
	v_mov_b32_e32 v2, 0
	v_mov_b32_e32 v3, s60
	;; [unrolled: 1-line block ×3, first 2 shown]
	ds_write_b96 v2, v[2:4] offset:4096
; %bb.12:
	s_or_b64 exec, exec, s[8:9]
	s_load_dword s0, s[0:1], 0x22c
	s_waitcnt lgkmcnt(0)
	s_barrier
	v_mbcnt_lo_u32_b32 v1, -1, 0
	v_writelane_b32 v56, s0, 7
	s_mul_i32 s0, s4, s3
	s_load_dword s3, s[10:11], 0xc
	s_add_i32 s0, s0, s5
	s_ashr_i32 s1, s0, 31
	s_lshl_b64 s[0:1], s[0:1], 1
	s_add_u32 s72, s6, s0
	s_addc_u32 s73, s7, s1
	s_waitcnt lgkmcnt(0)
	s_and_b32 s64, s3, 0xffff
	v_mbcnt_hi_u32_b32 v20, -1, v1
	v_cmp_gt_u32_e32 vcc, 64, v0
	v_cmp_gt_i32_e64 s[4:5], 4, v20
	s_add_i32 s6, s64, -1
	s_lshl_b32 s9, s64, 2
	s_and_b64 s[76:77], vcc, s[4:5]
	s_add_i32 s16, s6, s60
	s_cmpk_gt_i32 s60, 0x600
	v_writelane_b32 v56, s6, 8
	s_cselect_b64 s[6:7], -1, 0
	v_writelane_b32 v56, s6, 9
	s_cmp_gt_u32 s64, 63
	s_cselect_b64 s[80:81], -1, 0
	v_writelane_b32 v56, s7, 10
	v_cmp_gt_u32_e64 s[6:7], s60, v0
	s_cmp_lt_u32 s2, s12
	s_cselect_b32 s2, 12, 18
	v_writelane_b32 v56, s6, 11
	v_lshlrev_b64 v[2:3], v20, -1
	v_not_b32_e32 v12, v2
	v_writelane_b32 v56, s7, 12
	v_cmp_gt_i32_e64 s[6:7], s60, v0
	v_lshrrev_b32_e32 v2, 2, v0
	v_and_b32_e32 v2, 0xf0, v2
	v_writelane_b32 v56, s6, 13
	v_or_b32_e32 v23, 0xc00, v2
	v_cvt_f32_u32_e32 v2, s9
	v_writelane_b32 v56, s7, 14
	s_add_u32 s6, s10, s2
	s_addc_u32 s7, s11, 0
	v_writelane_b32 v56, s6, 15
	v_rcp_iflag_f32_e32 v2, v2
	v_not_b32_e32 v1, v3
	v_writelane_b32 v56, s7, 16
	s_bfe_u32 s6, s3, 0xa0006
	s_add_i32 s2, s6, -2
	s_lshr_b32 s3, s2, 1
	s_add_i32 s3, s3, 1
	s_cmpk_gt_u32 s64, 0x7f
	s_cselect_b64 s[10:11], -1, 0
	v_writelane_b32 v56, s10, 17
	s_and_b32 s7, s6, 0x3fe
	v_mul_f32_e32 v2, 0x4f7ffffe, v2
	v_writelane_b32 v56, s11, 18
	s_and_b32 s10, s3, 7
	s_cmp_gt_u32 s2, 13
	s_cselect_b64 s[12:13], -1, 0
	v_writelane_b32 v56, s12, 19
	s_and_b32 s2, s3, -8
	s_cmp_lg_u32 s10, 0
	v_writelane_b32 v56, s13, 20
	v_writelane_b32 v56, s2, 21
	;; [unrolled: 1-line block ×3, first 2 shown]
	s_cselect_b64 s[2:3], -1, 0
	v_writelane_b32 v56, s2, 23
	v_cvt_u32_f32_e32 v2, v2
	s_cmp_lg_u32 s7, s6
	v_writelane_b32 v56, s3, 24
	v_writelane_b32 v56, s6, 25
	;; [unrolled: 1-line block ×3, first 2 shown]
	s_cselect_b64 s[2:3], -1, 0
	v_writelane_b32 v56, s2, 27
	v_cvt_f32_u32_e32 v3, s64
	v_lshlrev_b32_e32 v13, 2, v0
	v_writelane_b32 v56, s3, 28
	s_sub_i32 s2, 0, s9
	v_readfirstlane_b32 s3, v2
	s_mul_i32 s2, s2, s3
	s_mul_hi_u32 s2, s3, s2
	s_add_i32 s85, s3, s2
	s_mul_hi_u32 s2, s60, s85
	s_mul_i32 s2, s2, s9
	s_sub_i32 s2, s60, s2
	s_sub_i32 s3, s2, s9
	s_cmp_ge_u32 s2, s9
	s_cselect_b32 s2, s3, s2
	s_sub_i32 s3, s2, s9
	s_cmp_ge_u32 s2, s9
	s_cselect_b32 s2, s3, s2
	s_sub_i32 s82, s60, s2
	v_rcp_iflag_f32_e32 v5, v3
	v_add_u32_e32 v24, s82, v0
	v_mul_lo_u32 v2, v24, s63
	v_ashrrev_i32_e32 v3, 31, v2
	v_lshl_add_u64 v[14:15], v[2:3], 1, s[72:73]
	v_mul_f32_e32 v2, 0x4f7ffffe, v5
	v_cvt_u32_f32_e32 v2, v2
	s_sub_i32 s7, 0, s64
	s_abs_i32 s6, s16
	s_ashr_i32 s3, s16, 31
	v_readfirstlane_b32 s17, v2
	s_mul_i32 s7, s7, s17
	s_mul_hi_u32 s7, s17, s7
	s_add_i32 s7, s17, s7
	s_mov_b32 s79, s7
	s_mul_hi_u32 s7, s6, s7
	s_mul_i32 s7, s7, s64
	s_sub_i32 s6, s6, s7
	s_sub_i32 s7, s6, s64
	s_cmp_ge_u32 s6, s64
	s_cselect_b32 s6, s7, s6
	s_sub_i32 s7, s6, s64
	s_cmp_ge_u32 s6, s64
	s_cselect_b32 s6, s7, s6
	s_xor_b32 s6, s6, s3
	s_sub_i32 s3, s3, s6
	v_mul_lo_u32 v2, s63, v13
	s_add_i32 s16, s16, s3
	v_add_u32_e32 v25, s63, v2
	v_or_b32_e32 v2, 2, v13
	v_cmp_gt_i32_e64 s[6:7], s16, v0
	v_mul_lo_u32 v26, s63, v2
	v_or_b32_e32 v2, 3, v13
	s_add_i32 s3, s64, s60
	v_mov_b32_e32 v9, 0
	v_writelane_b32 v56, s6, 29
	v_mul_lo_u32 v27, s63, v2
	v_add_u32_e32 v2, s3, v0
	s_mov_b32 s18, 0
	s_mov_b32 s19, 1
	v_lshlrev_b32_e32 v21, 1, v0
	v_mul_lo_u32 v6, s63, v0
	v_mov_b32_e32 v7, v9
	v_lshlrev_b32_e32 v4, 2, v20
	v_writelane_b32 v56, s7, 30
	s_mul_i32 s66, s63, s64
	v_subrev_u32_e32 v2, s2, v2
	s_mov_b32 s8, 0xffff
	v_cmp_eq_u32_e64 s[0:1], 0, v20
	v_cmp_gt_u32_e64 s[4:5], 2, v0
	v_add_u32_e32 v22, 0xc00, v21
	v_lshl_add_u64 v[10:11], v[6:7], 1, s[72:73]
	v_and_b32_e32 v7, 0x100, v4
	v_cmp_gt_i32_e64 s[10:11], s82, v13
	v_cmp_gt_u32_e64 s[12:13], s60, v24
	v_cmp_gt_i32_e64 s[14:15], s60, v24
	s_lshl_b32 s17, s66, 2
	v_lshlrev_b32_e32 v28, 2, v6
	v_mul_lo_u32 v30, s63, v2
	v_lshlrev_b32_e32 v31, 3, v0
	s_lshl_b32 s84, s64, 3
	s_lshl_b32 s83, s64, 1
	v_or_b32_e32 v32, 0xc00, v4
	s_mov_b64 s[92:93], 0
	v_mov_b32_e32 v34, 14
	v_mov_b32_e32 v41, s61
	;; [unrolled: 1-line block ×3, first 2 shown]
	s_movk_i32 s61, 0x3f80
	v_mov_b32_e32 v33, 0xffff
	v_mov_b32_e32 v35, 0x8000
	v_mov_b32_e32 v36, -1
	v_mov_b32_e32 v37, 0xc00
	v_mov_b32_e32 v38, 0x5040100
	;; [unrolled: 1-line block ×3, first 2 shown]
	v_writelane_b32 v56, s18, 31
	v_mov_b32_e32 v29, 0
	v_mov_b32_e32 v39, 0
                                        ; implicit-def: $sgpr94_sgpr95
                                        ; implicit-def: $sgpr98_sgpr99
                                        ; implicit-def: $sgpr96_sgpr97
                                        ; implicit-def: $sgpr70_sgpr71
                                        ; implicit-def: $sgpr86_sgpr87
                                        ; implicit-def: $sgpr68_sgpr69
	v_writelane_b32 v56, s19, 32
	s_branch .LBB67_16
.LBB67_13:                              ;   in Loop: Header=BB67_16 Depth=1
	s_or_b64 exec, exec, s[28:29]
	s_and_b64 s[22:23], s[22:23], exec
	s_andn2_b64 s[26:27], s[26:27], exec
	s_andn2_b64 s[24:25], s[24:25], exec
	s_orn2_b64 s[20:21], s[20:21], exec
.LBB67_14:                              ;   in Loop: Header=BB67_16 Depth=1
	s_or_b64 exec, exec, s[6:7]
	s_andn2_b64 s[6:7], s[68:69], exec
	s_and_b64 s[18:19], s[22:23], exec
	s_or_b64 s[68:69], s[6:7], s[18:19]
	s_andn2_b64 s[6:7], s[86:87], exec
	s_and_b64 s[18:19], s[26:27], exec
	s_or_b64 s[86:87], s[6:7], s[18:19]
	;; [unrolled: 3-line block ×3, first 2 shown]
	s_orn2_b64 s[20:21], s[20:21], exec
.LBB67_15:                              ;   in Loop: Header=BB67_16 Depth=1
	s_or_b64 exec, exec, s[2:3]
	s_and_b64 s[2:3], exec, s[20:21]
	s_or_b64 s[92:93], s[2:3], s[92:93]
	s_andn2_b64 s[2:3], s[96:97], exec
	s_and_b64 s[6:7], s[68:69], exec
	s_or_b64 s[96:97], s[2:3], s[6:7]
	s_andn2_b64 s[2:3], s[98:99], exec
	s_and_b64 s[6:7], s[86:87], exec
	s_or_b64 s[98:99], s[2:3], s[6:7]
	s_andn2_b64 s[2:3], s[94:95], exec
	s_and_b64 s[6:7], s[70:71], exec
	s_or_b64 s[94:95], s[2:3], s[6:7]
	s_mov_b32 s18, s30
	v_mov_b32_e32 v41, v16
	s_andn2_b64 exec, exec, s[92:93]
	s_cbranch_execz .LBB67_242
.LBB67_16:                              ; =>This Loop Header: Depth=1
                                        ;     Child Loop BB67_21 Depth 2
                                        ;     Child Loop BB67_36 Depth 2
	;; [unrolled: 1-line block ×17, first 2 shown]
	ds_read_b64 v[2:3], v9 offset:4096
	s_waitcnt lgkmcnt(0)
	v_readfirstlane_b32 s19, v2
	s_cmp_gt_i32 s19, 0
	s_cbranch_scc1 .LBB67_43
; %bb.17:                               ;   in Loop: Header=BB67_16 Depth=1
	v_readlane_b32 s2, v56, 9
	v_readlane_b32 s3, v56, 10
	s_and_b64 vcc, exec, s[2:3]
	s_cbranch_vccz .LBB67_29
; %bb.18:                               ;   in Loop: Header=BB67_16 Depth=1
	s_movk_i32 s2, 0x601
	v_cmp_gt_i32_e32 vcc, s2, v3
	s_mov_b64 s[6:7], 0
	s_mov_b64 s[2:3], 0
	s_cbranch_vccz .LBB67_30
; %bb.19:                               ;   in Loop: Header=BB67_16 Depth=1
	v_readlane_b32 s2, v56, 15
	v_readlane_b32 s3, v56, 16
	s_nop 4
	global_load_ushort v2, v9, s[2:3]
	global_load_ushort v4, v[10:11], off
	s_mov_b64 s[20:21], 0
	s_waitcnt vmcnt(1)
	v_add_u32_e32 v5, v0, v2
	v_mul_lo_u32 v3, s63, v2
	v_mul_lo_u32 v8, s63, v5
	v_mov_b32_e32 v5, v0
	s_branch .LBB67_21
.LBB67_20:                              ;   in Loop: Header=BB67_21 Depth=2
	s_or_b64 exec, exec, s[2:3]
	v_cmp_le_i32_e32 vcc, s60, v5
	v_add_u32_e32 v8, v8, v3
	s_or_b64 s[20:21], vcc, s[20:21]
	v_mov_b32_e32 v4, v16
	s_andn2_b64 exec, exec, s[20:21]
	s_cbranch_execz .LBB67_75
.LBB67_21:                              ;   Parent Loop BB67_16 Depth=1
                                        ; =>  This Inner Loop Header: Depth=2
	v_add_u32_e32 v5, v5, v2
	v_cmp_gt_u32_e32 vcc, s60, v5
	s_waitcnt lgkmcnt(0)
	v_mov_b32_e32 v17, 0
	v_mov_b32_e32 v16, 0
	s_and_saveexec_b64 s[2:3], vcc
	s_cbranch_execz .LBB67_23
; %bb.22:                               ;   in Loop: Header=BB67_21 Depth=2
	v_lshl_add_u64 v[18:19], v[8:9], 1, s[72:73]
	global_load_ushort v16, v[18:19], off
.LBB67_23:                              ;   in Loop: Header=BB67_21 Depth=2
	s_or_b64 exec, exec, s[2:3]
	s_waitcnt vmcnt(0)
	v_cmp_lt_i16_e32 vcc, -1, v4
	v_lshlrev_b32_e32 v19, 16, v4
	s_nop 0
	v_cndmask_b32_e32 v18, v33, v35, vcc
	v_xor_b32_sdwa v18, v18, v4 dst_sel:DWORD dst_unused:UNUSED_PAD src0_sel:DWORD src1_sel:WORD_0
	v_cmp_o_f32_e32 vcc, v19, v19
	s_nop 1
	v_cndmask_b32_e32 v18, v33, v18, vcc
	v_and_b32_e32 v18, v18, v39
	v_cmp_eq_u32_e32 vcc, v18, v29
	s_cmp_lg_u64 vcc, 0
	s_cselect_b64 s[2:3], -1, 0
	s_and_b64 s[2:3], s[0:1], s[2:3]
	s_and_saveexec_b64 s[22:23], s[2:3]
	s_cbranch_execz .LBB67_27
; %bb.24:                               ;   in Loop: Header=BB67_21 Depth=2
	s_mov_b64 s[26:27], exec
	v_mbcnt_lo_u32_b32 v17, s26, 0
	v_mbcnt_hi_u32_b32 v17, s27, v17
	s_bcnt1_i32_b64 s28, vcc
	v_cmp_eq_u32_e64 s[2:3], 0, v17
                                        ; implicit-def: $vgpr18
	s_and_saveexec_b64 s[24:25], s[2:3]
; %bb.25:                               ;   in Loop: Header=BB67_21 Depth=2
	s_bcnt1_i32_b64 s2, s[26:27]
	s_mul_i32 s2, s28, s2
	v_mov_b32_e32 v18, s2
	ds_add_rtn_u32 v18, v9, v18 offset:4104
; %bb.26:                               ;   in Loop: Header=BB67_21 Depth=2
	s_or_b64 exec, exec, s[24:25]
	s_waitcnt lgkmcnt(0)
	v_readfirstlane_b32 s2, v18
	s_nop 1
	v_mov_b32_e32 v18, s2
	v_mad_u32_u24 v17, s28, v17, v18
.LBB67_27:                              ;   in Loop: Header=BB67_21 Depth=2
	s_or_b64 exec, exec, s[22:23]
	ds_bpermute_b32 v17, v7, v17
	s_and_saveexec_b64 s[2:3], vcc
	s_cbranch_execz .LBB67_20
; %bb.28:                               ;   in Loop: Header=BB67_21 Depth=2
	v_and_b32_e32 v19, vcc_lo, v12
	v_and_b32_e32 v18, vcc_hi, v1
	v_bcnt_u32_b32 v19, v19, 0
	v_bcnt_u32_b32 v18, v18, v19
	v_lshlrev_b32_e32 v18, 1, v18
	s_waitcnt lgkmcnt(0)
	v_lshl_add_u32 v17, v17, 1, v18
	ds_write_b16 v17, v4
	s_branch .LBB67_20
.LBB67_29:                              ;   in Loop: Header=BB67_16 Depth=1
	s_mov_b64 s[6:7], -1
	s_mov_b64 s[2:3], 0
.LBB67_30:                              ;   in Loop: Header=BB67_16 Depth=1
	s_and_b64 vcc, exec, s[6:7]
	s_cbranch_vccz .LBB67_41
.LBB67_31:                              ;   in Loop: Header=BB67_16 Depth=1
	v_mov_b32_e32 v2, 0
	s_mov_b64 s[2:3], exec
	v_readlane_b32 s6, v56, 11
	v_readlane_b32 s7, v56, 12
	s_and_b64 s[6:7], s[2:3], s[6:7]
	s_mov_b64 exec, s[6:7]
	s_cbranch_execz .LBB67_33
; %bb.32:                               ;   in Loop: Header=BB67_16 Depth=1
	global_load_ushort v2, v[10:11], off
.LBB67_33:                              ;   in Loop: Header=BB67_16 Depth=1
	s_or_b64 exec, exec, s[2:3]
	s_mov_b64 s[2:3], exec
	v_readlane_b32 s6, v56, 13
	v_readlane_b32 s7, v56, 14
	s_and_b64 s[6:7], s[2:3], s[6:7]
	s_mov_b64 exec, s[6:7]
	s_cbranch_execz .LBB67_38
; %bb.34:                               ;   in Loop: Header=BB67_16 Depth=1
	v_readlane_b32 s6, v56, 15
	v_readlane_b32 s7, v56, 16
	v_mov_b32_e32 v4, v21
	v_mov_b32_e32 v17, v0
	s_nop 2
	global_load_ushort v3, v9, s[6:7]
	s_mov_b64 s[6:7], 0
	s_waitcnt vmcnt(0)
	v_add_u32_e32 v8, v0, v3
	v_lshlrev_b32_e32 v5, 1, v3
	v_mul_lo_u32 v16, s63, v3
	v_mul_lo_u32 v8, s63, v8
	s_branch .LBB67_36
.LBB67_35:                              ;   in Loop: Header=BB67_36 Depth=2
	s_or_b64 exec, exec, s[20:21]
	v_cmp_le_i32_e32 vcc, s60, v17
	ds_write_b16 v4, v2
	v_add_u32_e32 v4, v4, v5
	v_add_u32_e32 v8, v8, v16
	s_or_b64 s[6:7], vcc, s[6:7]
	s_waitcnt vmcnt(0)
	v_mov_b32_e32 v2, v18
	s_andn2_b64 exec, exec, s[6:7]
	s_cbranch_execz .LBB67_38
.LBB67_36:                              ;   Parent Loop BB67_16 Depth=1
                                        ; =>  This Inner Loop Header: Depth=2
	v_add_u32_e32 v17, v17, v3
	v_cmp_gt_u32_e32 vcc, s60, v17
	v_mov_b32_e32 v18, 0
	s_and_saveexec_b64 s[20:21], vcc
	s_cbranch_execz .LBB67_35
; %bb.37:                               ;   in Loop: Header=BB67_36 Depth=2
	v_lshl_add_u64 v[18:19], v[8:9], 1, s[72:73]
	global_load_ushort v18, v[18:19], off
	s_branch .LBB67_35
.LBB67_38:                              ;   in Loop: Header=BB67_16 Depth=1
	s_or_b64 exec, exec, s[2:3]
	s_waitcnt lgkmcnt(0)
	s_barrier
	s_mov_b64 s[2:3], exec
	v_readlane_b32 s6, v56, 5
	v_readlane_b32 s7, v56, 6
	s_and_b64 s[6:7], s[2:3], s[6:7]
	s_mov_b64 exec, s[6:7]
; %bb.39:                               ;   in Loop: Header=BB67_16 Depth=1
	ds_write_b32 v9, v42 offset:4096
; %bb.40:                               ;   in Loop: Header=BB67_16 Depth=1
	s_or_b64 exec, exec, s[2:3]
	s_mov_b64 s[2:3], -1
	s_waitcnt lgkmcnt(0)
	s_barrier
.LBB67_41:                              ;   in Loop: Header=BB67_16 Depth=1
	s_and_b64 vcc, exec, s[2:3]
	s_cbranch_vccz .LBB67_43
; %bb.42:                               ;   in Loop: Header=BB67_16 Depth=1
	s_waitcnt vmcnt(0)
	ds_read_b32 v2, v9 offset:4096
	s_waitcnt lgkmcnt(0)
	v_readfirstlane_b32 s19, v2
.LBB67_43:                              ;   in Loop: Header=BB67_16 Depth=1
	s_cmp_lt_i32 s19, 1
	s_mov_b64 s[2:3], -1
                                        ; implicit-def: $vgpr4_vgpr5
	s_cbranch_scc1 .LBB67_53
; %bb.44:                               ;   in Loop: Header=BB67_16 Depth=1
	s_and_b64 vcc, exec, s[2:3]
	s_cbranch_vccnz .LBB67_66
.LBB67_45:                              ;   in Loop: Header=BB67_16 Depth=1
	s_lshl_b32 s19, s18, 6
	s_and_saveexec_b64 s[2:3], s[0:1]
	s_cbranch_execz .LBB67_47
.LBB67_46:                              ;   in Loop: Header=BB67_16 Depth=1
	v_lshl_add_u32 v8, s19, 2, v23
	s_waitcnt vmcnt(0)
	ds_write_b128 v8, v[2:5]
.LBB67_47:                              ;   in Loop: Header=BB67_16 Depth=1
	s_or_b64 exec, exec, s[2:3]
	s_waitcnt lgkmcnt(0)
	s_barrier
	s_and_saveexec_b64 s[2:3], s[76:77]
	s_cbranch_execz .LBB67_86
; %bb.48:                               ;   in Loop: Header=BB67_16 Depth=1
	v_add_u32_e32 v4, s19, v20
	s_andn2_b64 vcc, exec, s[80:81]
	s_waitcnt vmcnt(0)
	v_mov_b32_e32 v2, 0
	s_cbranch_vccnz .LBB67_85
; %bb.49:                               ;   in Loop: Header=BB67_16 Depth=1
	v_readlane_b32 s6, v56, 17
	v_readlane_b32 s7, v56, 18
	s_andn2_b64 vcc, exec, s[6:7]
	s_cbranch_vccnz .LBB67_78
; %bb.50:                               ;   in Loop: Header=BB67_16 Depth=1
	v_readlane_b32 s6, v56, 19
	v_readlane_b32 s7, v56, 20
	s_andn2_b64 vcc, exec, s[6:7]
	v_lshl_add_u32 v5, v4, 2, v37
	s_cbranch_vccnz .LBB67_79
; %bb.51:                               ;   in Loop: Header=BB67_16 Depth=1
	s_mov_b32 s7, 1
	s_mov_b32 s6, 0
	v_mov_b32_e32 v2, 0
	v_mov_b32_e32 v3, 0
	v_readlane_b32 s20, v56, 21
.LBB67_52:                              ;   Parent Loop BB67_16 Depth=1
                                        ; =>  This Inner Loop Header: Depth=2
	v_lshl_add_u32 v8, s6, 4, v5
	v_lshl_add_u32 v43, s7, 4, v5
	ds_read2_b32 v[16:17], v8 offset1:8
	ds_read2_b32 v[18:19], v43 offset1:8
	ds_read2_b32 v[44:45], v8 offset0:16 offset1:24
	ds_read2_b32 v[46:47], v43 offset0:16 offset1:24
	;; [unrolled: 1-line block ×6, first 2 shown]
	s_waitcnt lgkmcnt(7)
	v_add3_u32 v2, v16, v2, v17
	s_waitcnt lgkmcnt(6)
	v_add3_u32 v3, v18, v3, v19
	;; [unrolled: 2-line block ×3, first 2 shown]
	v_add3_u32 v2, v44, v2, v45
	s_add_i32 s7, s7, 16
	s_add_i32 s6, s6, 16
	s_add_i32 s20, s20, -8
	s_waitcnt lgkmcnt(3)
	v_add3_u32 v2, v48, v2, v49
	s_waitcnt lgkmcnt(2)
	v_add3_u32 v3, v50, v3, v51
	s_cmp_lg_u32 s20, 0
	s_waitcnt lgkmcnt(0)
	v_add3_u32 v3, v54, v3, v55
	v_add3_u32 v2, v52, v2, v53
	s_cbranch_scc1 .LBB67_52
	s_branch .LBB67_80
.LBB67_53:                              ;   in Loop: Header=BB67_16 Depth=1
	v_mov_b32_e32 v8, v9
	v_mov_b64_e32 v[4:5], v[8:9]
	s_waitcnt vmcnt(0)
	v_mov_b64_e32 v[2:3], v[8:9]
	s_and_saveexec_b64 s[88:89], s[10:11]
	s_cbranch_execnz .LBB67_56
; %bb.54:                               ;   in Loop: Header=BB67_16 Depth=1
	s_or_b64 exec, exec, s[88:89]
	v_mov_b32_e32 v18, 0
	s_and_saveexec_b64 s[2:3], s[12:13]
	s_cbranch_execnz .LBB67_59
.LBB67_55:                              ;   in Loop: Header=BB67_16 Depth=1
	s_or_b64 exec, exec, s[2:3]
	s_and_saveexec_b64 s[6:7], s[14:15]
	s_cbranch_execnz .LBB67_60
	s_branch .LBB67_65
.LBB67_56:                              ;   in Loop: Header=BB67_16 Depth=1
	s_mov_b32 s78, 0
	s_mov_b64 s[90:91], 0
	v_mov_b32_e32 v8, v13
	s_mov_b32 s74, 0
	s_mov_b32 s75, s78
	;; [unrolled: 1-line block ×4, first 2 shown]
.LBB67_57:                              ;   Parent Loop BB67_16 Depth=1
                                        ; =>  This Inner Loop Header: Depth=2
	v_add_u32_e32 v2, s78, v28
	v_add_u32_e32 v4, s78, v25
	;; [unrolled: 1-line block ×4, first 2 shown]
	v_ashrrev_i32_e32 v3, 31, v2
	v_ashrrev_i32_e32 v5, 31, v4
	;; [unrolled: 1-line block ×4, first 2 shown]
	v_lshl_add_u64 v[2:3], v[2:3], 1, s[72:73]
	v_lshl_add_u64 v[4:5], v[4:5], 1, s[72:73]
	v_lshl_add_u64 v[16:17], v[16:17], 1, s[72:73]
	v_lshl_add_u64 v[18:19], v[18:19], 1, s[72:73]
	global_load_ushort v2, v[2:3], off
	s_nop 0
	global_load_ushort v3, v[4:5], off
	s_nop 0
	global_load_ushort v4, v[16:17], off
	global_load_ushort v5, v[18:19], off
	v_add_u32_e32 v8, s9, v8
	s_add_i32 s78, s78, s17
	v_cmp_le_i32_e32 vcc, s82, v8
	s_waitcnt vmcnt(3)
	v_cmp_lt_i16_e64 s[2:3], -1, v2
	s_nop 1
	v_cndmask_b32_e64 v43, v33, v35, s[2:3]
	s_waitcnt vmcnt(2)
	v_cmp_lt_i16_e64 s[2:3], -1, v3
	v_lshlrev_b32_e32 v16, 16, v2
	v_lshlrev_b32_e32 v17, 16, v3
	v_cndmask_b32_e64 v44, v33, v35, s[2:3]
	s_waitcnt vmcnt(1)
	v_cmp_lt_i16_e64 s[2:3], -1, v4
	v_xor_b32_sdwa v2, v43, v2 dst_sel:DWORD dst_unused:UNUSED_PAD src0_sel:DWORD src1_sel:WORD_0
	v_cmp_o_f32_e64 s[24:25], v16, v16
	v_cndmask_b32_e64 v45, v33, v35, s[2:3]
	s_waitcnt vmcnt(0)
	v_cmp_lt_i16_e64 s[2:3], -1, v5
	v_lshlrev_b32_e32 v18, 16, v4
	v_xor_b32_sdwa v3, v44, v3 dst_sel:DWORD dst_unused:UNUSED_PAD src0_sel:DWORD src1_sel:WORD_0
	v_cndmask_b32_e64 v46, v33, v35, s[2:3]
	v_cmp_o_f32_e64 s[2:3], v17, v17
	v_cndmask_b32_e64 v2, v33, v2, s[24:25]
	v_lshlrev_b32_e32 v19, 16, v5
	v_xor_b32_sdwa v4, v45, v4 dst_sel:DWORD dst_unused:UNUSED_PAD src0_sel:DWORD src1_sel:WORD_0
	v_cmp_o_f32_e64 s[20:21], v18, v18
	v_cndmask_b32_e64 v3, v33, v3, s[2:3]
	v_and_b32_e32 v16, v2, v39
	v_bfe_u32 v2, v2, v34, 2
	v_xor_b32_sdwa v5, v46, v5 dst_sel:DWORD dst_unused:UNUSED_PAD src0_sel:DWORD src1_sel:WORD_0
	v_cmp_o_f32_e64 s[22:23], v19, v19
	v_cndmask_b32_e64 v4, v33, v4, s[20:21]
	v_and_b32_e32 v17, v3, v39
	v_bfe_u32 v3, v3, v34, 2
	v_cmp_eq_u32_e64 s[2:3], v16, v29
	v_cmp_eq_u32_e64 s[26:27], 0, v2
	v_cndmask_b32_e64 v5, v33, v5, s[22:23]
	v_and_b32_e32 v18, v4, v39
	v_bfe_u32 v4, v4, v34, 2
	v_cmp_eq_u32_e64 s[20:21], v17, v29
	v_cmp_eq_u32_e64 s[28:29], 0, v3
	s_and_b64 s[26:27], s[2:3], s[26:27]
	v_and_b32_e32 v19, v5, v39
	v_bfe_u32 v5, v5, v34, 2
	v_cmp_eq_u32_e64 s[22:23], v18, v29
	v_cmp_eq_u32_e64 s[30:31], 0, v4
	;; [unrolled: 1-line block ×5, first 2 shown]
	v_cndmask_b32_e64 v2, 0, 1, s[26:27]
	s_and_b64 s[26:27], s[20:21], s[28:29]
	v_cmp_eq_u32_e64 s[24:25], v19, v29
	v_cmp_eq_u32_e64 s[34:35], 0, v5
	;; [unrolled: 1-line block ×5, first 2 shown]
	v_cndmask_b32_e64 v3, 0, 1, s[26:27]
	s_and_b64 s[26:27], s[22:23], s[30:31]
	v_cmp_eq_u32_e64 s[40:41], 1, v4
	v_cmp_eq_u32_e64 s[48:49], 2, v4
	;; [unrolled: 1-line block ×3, first 2 shown]
	v_cndmask_b32_e64 v4, 0, 1, s[26:27]
	s_and_b64 s[26:27], s[24:25], s[34:35]
	v_cmp_eq_u32_e64 s[42:43], 1, v5
	v_cmp_eq_u32_e64 s[50:51], 2, v5
	;; [unrolled: 1-line block ×3, first 2 shown]
	v_cndmask_b32_e64 v5, 0, 1, s[26:27]
	s_and_b64 s[26:27], s[2:3], s[36:37]
	v_cndmask_b32_e64 v16, 0, 1, s[26:27]
	s_and_b64 s[26:27], s[20:21], s[38:39]
	;; [unrolled: 2-line block ×5, first 2 shown]
	s_and_b64 s[2:3], s[2:3], s[52:53]
	v_cndmask_b32_e64 v43, 0, 1, s[26:27]
	s_and_b64 s[26:27], s[20:21], s[46:47]
	v_cndmask_b32_e64 v47, 0, 1, s[2:3]
	;; [unrolled: 2-line block ×7, first 2 shown]
	v_cndmask_b32_e64 v50, 0, 1, s[2:3]
	v_cmp_ne_u32_e64 s[2:3], 0, v2
	v_cmp_ne_u32_e64 s[20:21], 0, v3
	;; [unrolled: 1-line block ×11, first 2 shown]
	s_bcnt1_i32_b64 s2, s[2:3]
	s_bcnt1_i32_b64 s3, s[20:21]
	;; [unrolled: 1-line block ×8, first 2 shown]
	v_cmp_ne_u32_e64 s[34:35], 0, v19
	v_cmp_ne_u32_e64 s[40:41], 0, v45
	;; [unrolled: 1-line block ×3, first 2 shown]
	s_bcnt1_i32_b64 s23, s[28:29]
	s_bcnt1_i32_b64 s27, s[38:39]
	;; [unrolled: 1-line block ×3, first 2 shown]
	s_add_i32 s2, s74, s2
	s_add_i32 s22, s75, s22
	;; [unrolled: 1-line block ×4, first 2 shown]
	v_cmp_ne_u32_e64 s[42:43], 0, v46
	v_cmp_ne_u32_e64 s[50:51], 0, v50
	s_bcnt1_i32_b64 s25, s[34:35]
	s_bcnt1_i32_b64 s28, s[40:41]
	;; [unrolled: 1-line block ×3, first 2 shown]
	s_add_i32 s22, s22, s23
	s_add_i32 s2, s2, s3
	;; [unrolled: 1-line block ×4, first 2 shown]
	s_bcnt1_i32_b64 s29, s[42:43]
	s_bcnt1_i32_b64 s35, s[50:51]
	s_add_i32 s2, s2, s20
	s_add_i32 s7, s22, s24
	;; [unrolled: 1-line block ×8, first 2 shown]
	s_or_b64 s[90:91], vcc, s[90:91]
	v_mov_b64_e32 v[2:3], s[74:75]
	v_mov_b64_e32 v[4:5], s[6:7]
	s_andn2_b64 exec, exec, s[90:91]
	s_cbranch_execnz .LBB67_57
; %bb.58:                               ;   in Loop: Header=BB67_16 Depth=1
	s_or_b64 exec, exec, s[90:91]
	s_or_b64 exec, exec, s[88:89]
	v_mov_b32_e32 v18, 0
	s_and_saveexec_b64 s[2:3], s[12:13]
	s_cbranch_execz .LBB67_55
.LBB67_59:                              ;   in Loop: Header=BB67_16 Depth=1
	global_load_ushort v18, v[14:15], off
	s_or_b64 exec, exec, s[2:3]
	s_and_saveexec_b64 s[6:7], s[14:15]
	s_cbranch_execz .LBB67_65
.LBB67_60:                              ;   in Loop: Header=BB67_16 Depth=1
	s_mov_b64 s[20:21], 0
	v_mov_b32_e32 v16, v30
	v_mov_b32_e32 v8, v24
	s_branch .LBB67_62
.LBB67_61:                              ;   in Loop: Header=BB67_62 Depth=2
	s_or_b64 exec, exec, s[2:3]
	s_waitcnt vmcnt(0)
	v_cmp_lt_i16_e32 vcc, -1, v18
	v_lshlrev_b32_e32 v43, 16, v18
	v_add_u32_e32 v16, s66, v16
	v_cndmask_b32_e32 v19, v33, v35, vcc
	v_xor_b32_sdwa v18, v19, v18 dst_sel:DWORD dst_unused:UNUSED_PAD src0_sel:DWORD src1_sel:WORD_0
	v_cmp_o_f32_e32 vcc, v43, v43
	s_nop 1
	v_cndmask_b32_e32 v18, v33, v18, vcc
	v_and_b32_e32 v19, v18, v39
	v_bfe_u32 v18, v18, v34, 2
	v_cmp_eq_u32_e32 vcc, v19, v29
	v_cmp_eq_u32_e64 s[2:3], 0, v18
	s_and_b64 s[2:3], vcc, s[2:3]
	s_nop 0
	v_cndmask_b32_e64 v19, 0, 1, s[2:3]
	v_cmp_ne_u32_e64 s[2:3], 0, v19
	s_bcnt1_i32_b64 s22, s[2:3]
	v_cmp_eq_u32_e64 s[2:3], 1, v18
	s_and_b64 s[2:3], vcc, s[2:3]
	v_add_u32_e32 v2, s22, v2
	v_cndmask_b32_e64 v19, 0, 1, s[2:3]
	v_cmp_ne_u32_e64 s[2:3], 0, v19
	s_bcnt1_i32_b64 s2, s[2:3]
	s_nop 0
	v_add_u32_e32 v3, s2, v3
	v_cmp_eq_u32_e64 s[2:3], 2, v18
	s_and_b64 s[2:3], vcc, s[2:3]
	s_nop 0
	v_cndmask_b32_e64 v19, 0, 1, s[2:3]
	v_cmp_ne_u32_e64 s[2:3], 0, v19
	s_bcnt1_i32_b64 s22, s[2:3]
	v_cmp_eq_u32_e64 s[2:3], 3, v18
	s_and_b64 s[2:3], vcc, s[2:3]
	v_add_u32_e32 v4, s22, v4
	v_cndmask_b32_e64 v18, 0, 1, s[2:3]
	v_cmp_ne_u32_e32 vcc, 0, v18
	s_bcnt1_i32_b64 s2, vcc
	v_cmp_le_i32_e32 vcc, s60, v8
	v_add_u32_e32 v5, s2, v5
	s_or_b64 s[20:21], vcc, s[20:21]
	v_mov_b32_e32 v18, v17
	s_andn2_b64 exec, exec, s[20:21]
	s_cbranch_execz .LBB67_64
.LBB67_62:                              ;   Parent Loop BB67_16 Depth=1
                                        ; =>  This Inner Loop Header: Depth=2
	v_add_u32_e32 v8, s64, v8
	v_cmp_gt_u32_e32 vcc, s60, v8
	v_mov_b32_e32 v17, 0
	s_and_saveexec_b64 s[2:3], vcc
	s_cbranch_execz .LBB67_61
; %bb.63:                               ;   in Loop: Header=BB67_62 Depth=2
	v_ashrrev_i32_e32 v17, 31, v16
	v_lshl_add_u64 v[44:45], v[16:17], 1, s[72:73]
	global_load_ushort v17, v[44:45], off
	s_branch .LBB67_61
.LBB67_64:                              ;   in Loop: Header=BB67_16 Depth=1
	s_or_b64 exec, exec, s[20:21]
.LBB67_65:                              ;   in Loop: Header=BB67_16 Depth=1
	s_or_b64 exec, exec, s[6:7]
	s_branch .LBB67_45
.LBB67_66:                              ;   in Loop: Header=BB67_16 Depth=1
	s_mul_hi_u32 s2, s19, s85
	s_mul_i32 s2, s2, s9
	s_sub_i32 s2, s19, s2
	s_sub_i32 s3, s2, s9
	s_cmp_ge_u32 s2, s9
	s_cselect_b32 s2, s3, s2
	s_sub_i32 s3, s2, s9
	s_cmp_ge_u32 s2, s9
	s_cselect_b32 s2, s3, s2
	s_sub_i32 s78, s19, s2
	v_mov_b32_e32 v8, v9
	v_cmp_gt_u32_e32 vcc, s78, v13
	v_mov_b64_e32 v[4:5], v[8:9]
	s_waitcnt vmcnt(0)
	v_mov_b64_e32 v[2:3], v[8:9]
	s_and_saveexec_b64 s[6:7], vcc
	s_cbranch_execz .LBB67_70
; %bb.67:                               ;   in Loop: Header=BB67_16 Depth=1
	s_mov_b32 s88, 0
	s_mov_b64 s[74:75], 0
	v_mov_b32_e32 v8, v31
	v_mov_b32_e32 v16, v13
	s_mov_b32 s89, s88
	s_mov_b32 s90, s88
	s_mov_b32 s91, s88
.LBB67_68:                              ;   Parent Loop BB67_16 Depth=1
                                        ; =>  This Inner Loop Header: Depth=2
	ds_read_b64 v[2:3], v8
	v_add_u32_e32 v16, s9, v16
	v_cmp_le_i32_e32 vcc, s78, v16
	v_add_u32_e32 v8, s84, v8
	s_waitcnt lgkmcnt(0)
	v_cmp_lt_i16_e64 s[2:3], -1, v2
	v_lshlrev_b32_e32 v4, 16, v2
	s_nop 0
	v_cndmask_b32_e64 v19, v33, v35, s[2:3]
	v_cmp_gt_i16_sdwa s[2:3], v2, v36 src0_sel:WORD_1 src1_sel:DWORD
	v_and_b32_e32 v5, 0xffff0000, v2
	v_cmp_o_f32_e64 s[24:25], v4, v4
	v_cndmask_b32_e64 v43, v33, v35, s[2:3]
	v_cmp_lt_i16_e64 s[2:3], -1, v3
	v_xor_b32_sdwa v43, v43, v2 dst_sel:DWORD dst_unused:UNUSED_PAD src0_sel:DWORD src1_sel:WORD_1
	v_bitop3_b32 v2, v19, v2, s8 bitop3:0x78
	v_cndmask_b32_e64 v44, v33, v35, s[2:3]
	v_cmp_gt_i16_sdwa s[2:3], v3, v36 src0_sel:WORD_1 src1_sel:DWORD
	v_lshlrev_b32_e32 v17, 16, v3
	v_cndmask_b32_e64 v2, v33, v2, s[24:25]
	v_cndmask_b32_e64 v45, v33, v35, s[2:3]
	v_cmp_o_f32_e64 s[2:3], v5, v5
	v_and_b32_e32 v18, 0xffff0000, v3
	v_bitop3_b32 v5, v44, v3, s8 bitop3:0x78
	v_cmp_o_f32_e64 s[20:21], v17, v17
	v_cndmask_b32_e64 v4, v33, v43, s[2:3]
	v_and_b32_e32 v17, v2, v39
	v_bfe_u32 v2, v2, v34, 2
	v_xor_b32_sdwa v3, v45, v3 dst_sel:DWORD dst_unused:UNUSED_PAD src0_sel:DWORD src1_sel:WORD_1
	v_cmp_o_f32_e64 s[22:23], v18, v18
	v_cndmask_b32_e64 v5, v33, v5, s[20:21]
	v_and_b32_e32 v18, v4, v39
	v_bfe_u32 v4, v4, v34, 2
	v_cmp_eq_u32_e64 s[2:3], v17, v29
	v_cmp_eq_u32_e64 s[26:27], 0, v2
	v_cndmask_b32_e64 v3, v33, v3, s[22:23]
	v_and_b32_e32 v19, v5, v39
	v_bfe_u32 v5, v5, v34, 2
	v_cmp_eq_u32_e64 s[20:21], v18, v29
	v_cmp_eq_u32_e64 s[28:29], 0, v4
	s_and_b64 s[26:27], s[2:3], s[26:27]
	v_and_b32_e32 v43, v3, v39
	v_bfe_u32 v3, v3, v34, 2
	v_cmp_eq_u32_e64 s[22:23], v19, v29
	v_cmp_eq_u32_e64 s[30:31], 0, v5
	;; [unrolled: 1-line block ×5, first 2 shown]
	v_cndmask_b32_e64 v2, 0, 1, s[26:27]
	s_and_b64 s[26:27], s[20:21], s[28:29]
	v_cmp_eq_u32_e64 s[24:25], v43, v29
	v_cmp_eq_u32_e64 s[34:35], 0, v3
	v_cmp_eq_u32_e64 s[42:43], 1, v3
	v_cmp_eq_u32_e64 s[50:51], 2, v3
	v_cmp_eq_u32_e64 s[58:59], 3, v3
	v_cndmask_b32_e64 v3, 0, 1, s[26:27]
	s_and_b64 s[26:27], s[22:23], s[30:31]
	v_cmp_eq_u32_e64 s[38:39], 1, v4
	v_cmp_eq_u32_e64 s[46:47], 2, v4
	;; [unrolled: 1-line block ×3, first 2 shown]
	v_cndmask_b32_e64 v4, 0, 1, s[26:27]
	s_and_b64 s[26:27], s[24:25], s[34:35]
	v_cmp_eq_u32_e64 s[40:41], 1, v5
	v_cmp_eq_u32_e64 s[48:49], 2, v5
	;; [unrolled: 1-line block ×3, first 2 shown]
	v_cndmask_b32_e64 v5, 0, 1, s[26:27]
	s_and_b64 s[26:27], s[2:3], s[36:37]
	v_cndmask_b32_e64 v17, 0, 1, s[26:27]
	s_and_b64 s[26:27], s[20:21], s[38:39]
	v_cndmask_b32_e64 v18, 0, 1, s[26:27]
	s_and_b64 s[26:27], s[22:23], s[40:41]
	v_cndmask_b32_e64 v19, 0, 1, s[26:27]
	s_and_b64 s[26:27], s[24:25], s[42:43]
	v_cndmask_b32_e64 v43, 0, 1, s[26:27]
	s_and_b64 s[26:27], s[2:3], s[44:45]
	s_and_b64 s[2:3], s[2:3], s[52:53]
	v_cndmask_b32_e64 v44, 0, 1, s[26:27]
	s_and_b64 s[26:27], s[20:21], s[46:47]
	v_cndmask_b32_e64 v48, 0, 1, s[2:3]
	s_and_b64 s[2:3], s[20:21], s[54:55]
	v_cndmask_b32_e64 v45, 0, 1, s[26:27]
	s_and_b64 s[26:27], s[22:23], s[48:49]
	v_cndmask_b32_e64 v49, 0, 1, s[2:3]
	s_and_b64 s[2:3], s[22:23], s[56:57]
	v_cndmask_b32_e64 v46, 0, 1, s[26:27]
	s_and_b64 s[26:27], s[24:25], s[50:51]
	v_cndmask_b32_e64 v50, 0, 1, s[2:3]
	s_and_b64 s[2:3], s[24:25], s[58:59]
	v_cndmask_b32_e64 v47, 0, 1, s[26:27]
	v_cndmask_b32_e64 v51, 0, 1, s[2:3]
	v_cmp_ne_u32_e64 s[2:3], 0, v2
	v_cmp_ne_u32_e64 s[20:21], 0, v3
	;; [unrolled: 1-line block ×11, first 2 shown]
	s_bcnt1_i32_b64 s2, s[2:3]
	s_bcnt1_i32_b64 s3, s[20:21]
	;; [unrolled: 1-line block ×8, first 2 shown]
	v_cmp_ne_u32_e64 s[34:35], 0, v43
	v_cmp_ne_u32_e64 s[40:41], 0, v46
	;; [unrolled: 1-line block ×3, first 2 shown]
	s_bcnt1_i32_b64 s23, s[28:29]
	s_bcnt1_i32_b64 s27, s[38:39]
	;; [unrolled: 1-line block ×3, first 2 shown]
	s_add_i32 s2, s88, s2
	s_add_i32 s22, s89, s22
	;; [unrolled: 1-line block ×4, first 2 shown]
	v_cmp_ne_u32_e64 s[42:43], 0, v47
	v_cmp_ne_u32_e64 s[50:51], 0, v51
	s_bcnt1_i32_b64 s25, s[34:35]
	s_bcnt1_i32_b64 s28, s[40:41]
	;; [unrolled: 1-line block ×3, first 2 shown]
	s_add_i32 s22, s22, s23
	s_add_i32 s2, s2, s3
	;; [unrolled: 1-line block ×4, first 2 shown]
	s_bcnt1_i32_b64 s29, s[42:43]
	s_bcnt1_i32_b64 s35, s[50:51]
	s_add_i32 s2, s2, s20
	s_add_i32 s20, s22, s24
	;; [unrolled: 1-line block ×8, first 2 shown]
	s_or_b64 s[74:75], vcc, s[74:75]
	v_mov_b64_e32 v[2:3], s[88:89]
	v_mov_b64_e32 v[4:5], s[90:91]
	s_andn2_b64 exec, exec, s[74:75]
	s_cbranch_execnz .LBB67_68
; %bb.69:                               ;   in Loop: Header=BB67_16 Depth=1
	s_or_b64 exec, exec, s[74:75]
.LBB67_70:                              ;   in Loop: Header=BB67_16 Depth=1
	s_or_b64 exec, exec, s[6:7]
	v_add_u32_e32 v8, s78, v0
	v_cmp_gt_i32_e32 vcc, s19, v8
	s_and_saveexec_b64 s[6:7], vcc
	s_cbranch_execz .LBB67_74
; %bb.71:                               ;   in Loop: Header=BB67_16 Depth=1
	v_lshlrev_b32_e32 v16, 1, v8
	s_mov_b64 s[28:29], 0
.LBB67_72:                              ;   Parent Loop BB67_16 Depth=1
                                        ; =>  This Inner Loop Header: Depth=2
	ds_read_u16 v17, v16
	v_add_u32_e32 v8, s64, v8
	v_cmp_le_i32_e32 vcc, s19, v8
	v_add_u32_e32 v16, s83, v16
	s_waitcnt lgkmcnt(0)
	v_cmp_lt_i16_e64 s[2:3], -1, v17
	v_lshlrev_b32_e32 v19, 16, v17
	s_nop 0
	v_cndmask_b32_e64 v18, v33, v35, s[2:3]
	v_xor_b32_sdwa v17, v18, v17 dst_sel:DWORD dst_unused:UNUSED_PAD src0_sel:DWORD src1_sel:WORD_0
	v_cmp_o_f32_e64 s[2:3], v19, v19
	s_nop 1
	v_cndmask_b32_e64 v17, v33, v17, s[2:3]
	v_and_b32_e32 v18, v17, v39
	v_bfe_u32 v17, v17, v34, 2
	v_cmp_eq_u32_e64 s[2:3], v18, v29
	v_cmp_eq_u32_e64 s[20:21], 0, v17
	;; [unrolled: 1-line block ×3, first 2 shown]
	s_and_b64 s[20:21], s[2:3], s[20:21]
	v_cmp_eq_u32_e64 s[24:25], 2, v17
	v_cmp_eq_u32_e64 s[26:27], 3, v17
	v_cndmask_b32_e64 v17, 0, 1, s[20:21]
	s_and_b64 s[20:21], s[2:3], s[22:23]
	v_cndmask_b32_e64 v18, 0, 1, s[20:21]
	s_and_b64 s[20:21], s[2:3], s[24:25]
	s_and_b64 s[2:3], s[2:3], s[26:27]
	v_cndmask_b32_e64 v19, 0, 1, s[20:21]
	v_cndmask_b32_e64 v43, 0, 1, s[2:3]
	v_cmp_ne_u32_e64 s[2:3], 0, v17
	v_cmp_ne_u32_e64 s[20:21], 0, v18
	v_cmp_ne_u32_e64 s[22:23], 0, v19
	v_cmp_ne_u32_e64 s[24:25], 0, v43
	s_bcnt1_i32_b64 s2, s[2:3]
	s_bcnt1_i32_b64 s3, s[20:21]
	;; [unrolled: 1-line block ×4, first 2 shown]
	v_add_u32_e32 v3, s3, v3
	v_add_u32_e32 v2, s2, v2
	;; [unrolled: 1-line block ×3, first 2 shown]
	s_or_b64 s[28:29], vcc, s[28:29]
	v_add_u32_e32 v4, s20, v4
	s_andn2_b64 exec, exec, s[28:29]
	s_cbranch_execnz .LBB67_72
; %bb.73:                               ;   in Loop: Header=BB67_16 Depth=1
	s_or_b64 exec, exec, s[28:29]
.LBB67_74:                              ;   in Loop: Header=BB67_16 Depth=1
	s_or_b64 exec, exec, s[6:7]
	s_lshl_b32 s19, s18, 6
	s_and_saveexec_b64 s[2:3], s[0:1]
	s_cbranch_execnz .LBB67_46
	s_branch .LBB67_47
.LBB67_75:                              ;   in Loop: Header=BB67_16 Depth=1
	s_or_b64 exec, exec, s[20:21]
	s_waitcnt lgkmcnt(0)
	s_barrier
	s_mov_b64 s[2:3], exec
	v_readlane_b32 s20, v56, 5
	v_readlane_b32 s21, v56, 6
	s_and_b64 s[20:21], s[2:3], s[20:21]
	s_mov_b64 exec, s[20:21]
	s_cbranch_execz .LBB67_77
; %bb.76:                               ;   in Loop: Header=BB67_16 Depth=1
	ds_read_b32 v2, v9 offset:4104
	s_waitcnt lgkmcnt(0)
	ds_write_b32 v9, v2 offset:4096
.LBB67_77:                              ;   in Loop: Header=BB67_16 Depth=1
	s_or_b64 exec, exec, s[2:3]
	s_waitcnt lgkmcnt(0)
	s_barrier
	s_mov_b64 s[2:3], -1
	s_and_b64 vcc, exec, s[6:7]
	s_cbranch_vccnz .LBB67_31
	s_branch .LBB67_41
.LBB67_78:                              ;   in Loop: Header=BB67_16 Depth=1
	v_mov_b32_e32 v2, 0
	s_mov_b32 s20, 0
	s_cbranch_execnz .LBB67_83
	s_branch .LBB67_85
.LBB67_79:                              ;   in Loop: Header=BB67_16 Depth=1
	v_mov_b32_e32 v8, v9
	v_readlane_b32 s6, v56, 31
	v_mov_b64_e32 v[2:3], v[8:9]
	v_readlane_b32 s7, v56, 32
.LBB67_80:                              ;   in Loop: Header=BB67_16 Depth=1
	v_readlane_b32 s20, v56, 23
	v_readlane_b32 s21, v56, 24
	s_andn2_b64 vcc, exec, s[20:21]
	v_readlane_b32 s20, v56, 22
	s_cbranch_vccnz .LBB67_82
.LBB67_81:                              ;   Parent Loop BB67_16 Depth=1
                                        ; =>  This Inner Loop Header: Depth=2
	v_lshl_add_u32 v8, s6, 4, v5
	v_lshl_add_u32 v16, s7, 4, v5
	ds_read_b32 v16, v16
	ds_read_b32 v8, v8
	s_add_i32 s7, s7, 2
	s_add_i32 s6, s6, 2
	s_add_i32 s20, s20, -1
	s_cmp_lg_u32 s20, 0
	s_waitcnt lgkmcnt(1)
	v_add_u32_e32 v3, v16, v3
	s_waitcnt lgkmcnt(0)
	v_add_u32_e32 v2, v8, v2
	s_cbranch_scc1 .LBB67_81
.LBB67_82:                              ;   in Loop: Header=BB67_16 Depth=1
	v_readlane_b32 s6, v56, 27
	v_add_u32_e32 v2, v2, v3
	v_readlane_b32 s20, v56, 26
	v_readlane_b32 s7, v56, 28
	s_and_b64 vcc, exec, s[6:7]
	s_cbranch_vccz .LBB67_85
.LBB67_83:                              ;   in Loop: Header=BB67_16 Depth=1
	s_lshl_b32 s6, s18, 8
	s_lshl_b32 s7, s20, 4
	s_add_i32 s6, s6, s7
	v_add_u32_e32 v3, s6, v32
	v_readlane_b32 s6, v56, 25
	s_sub_i32 s6, s6, s20
.LBB67_84:                              ;   Parent Loop BB67_16 Depth=1
                                        ; =>  This Inner Loop Header: Depth=2
	ds_read_b32 v5, v3
	s_add_i32 s6, s6, -1
	v_add_u32_e32 v3, 16, v3
	s_cmp_eq_u32 s6, 0
	s_waitcnt lgkmcnt(0)
	v_add_u32_e32 v2, v5, v2
	s_cbranch_scc0 .LBB67_84
.LBB67_85:                              ;   in Loop: Header=BB67_16 Depth=1
	v_lshlrev_b32_e32 v3, 2, v4
	ds_write_b32 v3, v2 offset:3072
.LBB67_86:                              ;   in Loop: Header=BB67_16 Depth=1
	s_or_b64 exec, exec, s[2:3]
	s_lshl_b32 s2, s19, 2
	s_waitcnt vmcnt(0)
	v_mov_b32_e32 v2, s2
	s_waitcnt lgkmcnt(0)
	s_barrier
	ds_read_b128 v[2:5], v2 offset:3072
	v_cmp_eq_u32_e32 vcc, 1, v41
	s_mov_b64 s[20:21], -1
	s_mov_b64 s[26:27], -1
                                        ; implicit-def: $sgpr24_sgpr25
                                        ; implicit-def: $sgpr22_sgpr23
	s_waitcnt lgkmcnt(0)
	v_readfirstlane_b32 s40, v2
	s_cmp_eq_u32 s40, 1
	v_readfirstlane_b32 s52, v4
	v_lshlrev_b32_e64 v4, v34, 3
	s_cselect_b64 s[2:3], -1, 0
	v_readfirstlane_b32 s44, v3
	v_readfirstlane_b32 s19, v5
	v_not_b32_e32 v8, v4
	s_and_b64 s[6:7], s[2:3], vcc
	s_and_saveexec_b64 s[2:3], s[6:7]
	s_cbranch_execz .LBB67_112
; %bb.87:                               ;   in Loop: Header=BB67_16 Depth=1
	ds_read_b32 v2, v9 offset:4096
	s_waitcnt lgkmcnt(0)
	s_barrier
	v_readfirstlane_b32 s41, v2
	s_and_saveexec_b64 s[22:23], s[4:5]
; %bb.88:                               ;   in Loop: Header=BB67_16 Depth=1
	ds_write_b16 v22, v9
; %bb.89:                               ;   in Loop: Header=BB67_16 Depth=1
	s_or_b64 exec, exec, s[22:23]
	v_and_b32_e32 v29, v29, v8
	v_or_b32_e32 v39, v39, v4
	s_mov_b64 s[22:23], -1
	s_mov_b64 s[24:25], 0
	s_cmp_lt_i32 s41, 1
	s_mov_b64 s[26:27], 0
	s_mov_b64 s[28:29], -1
	s_waitcnt lgkmcnt(0)
	s_barrier
                                        ; implicit-def: $vgpr40
	s_cbranch_scc0 .LBB67_100
; %bb.90:                               ;   in Loop: Header=BB67_16 Depth=1
	s_mov_b64 s[28:29], 0
                                        ; implicit-def: $vgpr40
	s_mov_b64 s[30:31], exec
	v_readlane_b32 s34, v56, 29
	v_readlane_b32 s35, v56, 30
	s_and_b64 s[34:35], s[30:31], s[34:35]
	s_mov_b64 exec, s[34:35]
	s_cbranch_execz .LBB67_99
; %bb.91:                               ;   in Loop: Header=BB67_16 Depth=1
	v_mov_b32_e32 v2, v6
	v_mov_b32_e32 v5, v0
                                        ; implicit-def: $sgpr34_sgpr35
	s_branch .LBB67_94
.LBB67_92:                              ;   in Loop: Header=BB67_94 Depth=2
	s_or_b64 exec, exec, s[36:37]
	s_waitcnt lgkmcnt(0)
	s_barrier
	ds_read_b32 v3, v9 offset:3072
	s_mov_b64 s[36:37], -1
	s_mov_b64 s[38:39], -1
	s_waitcnt lgkmcnt(0)
	s_barrier
	v_and_b32_e32 v16, 0x7fff, v3
	v_cmp_ne_u32_e32 vcc, 0, v16
	s_cbranch_vccz .LBB67_97
.LBB67_93:                              ;   in Loop: Header=BB67_94 Depth=2
	s_and_b64 s[36:37], exec, s[36:37]
	s_or_b64 s[26:27], s[36:37], s[26:27]
	s_andn2_b64 s[34:35], s[34:35], exec
	s_and_b64 s[36:37], s[38:39], exec
	s_or_b64 s[34:35], s[34:35], s[36:37]
	s_andn2_b64 exec, exec, s[26:27]
	s_cbranch_execz .LBB67_98
.LBB67_94:                              ;   Parent Loop BB67_16 Depth=1
                                        ; =>  This Inner Loop Header: Depth=2
	v_cmp_gt_i32_e32 vcc, s60, v5
	s_and_saveexec_b64 s[36:37], vcc
	s_cbranch_execz .LBB67_92
; %bb.95:                               ;   in Loop: Header=BB67_94 Depth=2
	v_ashrrev_i32_e32 v3, 31, v2
	v_lshl_add_u64 v[16:17], v[2:3], 1, s[72:73]
	global_load_ushort v3, v[16:17], off
	s_waitcnt vmcnt(0)
	v_cmp_lt_i16_e32 vcc, -1, v3
	v_lshlrev_b32_e32 v16, 16, v3
	s_nop 0
	v_cndmask_b32_e32 v17, v33, v35, vcc
	v_xor_b32_sdwa v17, v17, v3 dst_sel:DWORD dst_unused:UNUSED_PAD src0_sel:DWORD src1_sel:WORD_0
	v_cmp_o_f32_e32 vcc, v16, v16
	s_nop 1
	v_cndmask_b32_e32 v16, v33, v17, vcc
	v_and_b32_e32 v16, v16, v39
	v_cmp_eq_u32_e32 vcc, v16, v29
	s_and_b64 exec, exec, vcc
	s_cbranch_execz .LBB67_92
; %bb.96:                               ;   in Loop: Header=BB67_94 Depth=2
	v_perm_b32 v3, v3, s61, v38
	ds_write_b32 v9, v3 offset:3072
	s_branch .LBB67_92
.LBB67_97:                              ;   in Loop: Header=BB67_94 Depth=2
	v_add_u32_e32 v5, s64, v5
	v_cmp_le_i32_e32 vcc, s16, v5
	v_add_u32_e32 v2, s66, v2
	s_mov_b64 s[38:39], 0
	s_orn2_b64 s[36:37], vcc, exec
	s_branch .LBB67_93
.LBB67_98:                              ;   in Loop: Header=BB67_16 Depth=1
	s_or_b64 exec, exec, s[26:27]
	v_lshrrev_b32_e32 v40, 16, v3
	s_and_b64 s[26:27], s[34:35], exec
.LBB67_99:                              ;   in Loop: Header=BB67_16 Depth=1
	s_or_b64 exec, exec, s[30:31]
.LBB67_100:                             ;   in Loop: Header=BB67_16 Depth=1
	s_and_b64 vcc, exec, s[28:29]
	s_cbranch_vccz .LBB67_111
; %bb.101:                              ;   in Loop: Header=BB67_16 Depth=1
	v_readlane_b32 s22, v56, 8
	s_add_i32 s36, s41, s22
	s_abs_i32 s23, s36
	s_mul_hi_u32 s24, s23, s79
	s_mul_i32 s24, s24, s64
	s_sub_i32 s23, s23, s24
	s_ashr_i32 s22, s36, 31
	s_sub_i32 s24, s23, s64
	s_cmp_ge_u32 s23, s64
	s_cselect_b32 s23, s24, s23
	s_sub_i32 s24, s23, s64
	s_cmp_ge_u32 s23, s64
	s_cselect_b32 s23, s24, s23
	s_xor_b32 s23, s23, s22
	s_sub_i32 s22, s22, s23
	s_add_i32 s36, s36, s22
	v_cmp_gt_i32_e32 vcc, s36, v0
                                        ; implicit-def: $vgpr40
	s_and_saveexec_b64 s[22:23], vcc
	s_cbranch_execz .LBB67_110
; %bb.102:                              ;   in Loop: Header=BB67_16 Depth=1
	s_mov_b64 s[24:25], 0
	v_mov_b32_e32 v2, v21
	v_mov_b32_e32 v3, v0
                                        ; implicit-def: $sgpr28_sgpr29
	s_branch .LBB67_105
.LBB67_103:                             ;   in Loop: Header=BB67_105 Depth=2
	s_or_b64 exec, exec, s[30:31]
	s_waitcnt lgkmcnt(0)
	s_barrier
	ds_read_b32 v5, v9 offset:3072
	s_mov_b64 s[30:31], -1
	s_mov_b64 s[34:35], -1
	s_waitcnt lgkmcnt(0)
	s_barrier
	v_and_b32_e32 v16, 0x7fff, v5
	v_cmp_ne_u32_e32 vcc, 0, v16
	s_cbranch_vccz .LBB67_108
.LBB67_104:                             ;   in Loop: Header=BB67_105 Depth=2
	s_and_b64 s[30:31], exec, s[30:31]
	s_or_b64 s[24:25], s[30:31], s[24:25]
	s_andn2_b64 s[28:29], s[28:29], exec
	s_and_b64 s[30:31], s[34:35], exec
	s_or_b64 s[28:29], s[28:29], s[30:31]
	s_andn2_b64 exec, exec, s[24:25]
	s_cbranch_execz .LBB67_109
.LBB67_105:                             ;   Parent Loop BB67_16 Depth=1
                                        ; =>  This Inner Loop Header: Depth=2
	v_cmp_gt_i32_e32 vcc, s41, v3
	s_and_saveexec_b64 s[30:31], vcc
	s_cbranch_execz .LBB67_103
; %bb.106:                              ;   in Loop: Header=BB67_105 Depth=2
	ds_read_u16 v5, v2
	s_waitcnt lgkmcnt(0)
	v_cmp_lt_i16_e32 vcc, -1, v5
	v_lshlrev_b32_e32 v16, 16, v5
	s_nop 0
	v_cndmask_b32_e32 v17, v33, v35, vcc
	v_xor_b32_sdwa v17, v17, v5 dst_sel:DWORD dst_unused:UNUSED_PAD src0_sel:DWORD src1_sel:WORD_0
	v_cmp_o_f32_e32 vcc, v16, v16
	s_nop 1
	v_cndmask_b32_e32 v16, v33, v17, vcc
	v_and_b32_e32 v16, v16, v39
	v_cmp_eq_u32_e32 vcc, v16, v29
	s_and_b64 exec, exec, vcc
	s_cbranch_execz .LBB67_103
; %bb.107:                              ;   in Loop: Header=BB67_105 Depth=2
	v_perm_b32 v5, v5, s61, v38
	ds_write_b32 v9, v5 offset:3072
	s_branch .LBB67_103
.LBB67_108:                             ;   in Loop: Header=BB67_105 Depth=2
	v_add_u32_e32 v3, s64, v3
	v_cmp_le_i32_e32 vcc, s36, v3
	v_add_u32_e32 v2, s83, v2
	s_mov_b64 s[34:35], 0
	s_orn2_b64 s[30:31], vcc, exec
	s_branch .LBB67_104
.LBB67_109:                             ;   in Loop: Header=BB67_16 Depth=1
	s_or_b64 exec, exec, s[24:25]
	s_andn2_b64 s[24:25], s[26:27], exec
	s_and_b64 s[26:27], s[28:29], exec
	v_lshrrev_b32_e32 v40, 16, v5
	s_or_b64 s[26:27], s[24:25], s[26:27]
.LBB67_110:                             ;   in Loop: Header=BB67_16 Depth=1
	s_or_b64 exec, exec, s[22:23]
	s_mov_b64 s[22:23], 0
	s_mov_b64 s[24:25], -1
.LBB67_111:                             ;   in Loop: Header=BB67_16 Depth=1
	s_orn2_b64 s[26:27], s[26:27], exec
.LBB67_112:                             ;   in Loop: Header=BB67_16 Depth=1
	s_or_b64 exec, exec, s[2:3]
	s_andn2_b64 s[2:3], s[86:87], exec
	s_and_b64 s[24:25], s[24:25], exec
	s_or_b64 s[86:87], s[2:3], s[24:25]
	s_andn2_b64 s[2:3], s[70:71], exec
	s_and_b64 s[22:23], s[22:23], exec
	v_readfirstlane_b32 s30, v0
	s_andn2_b64 s[68:69], s[68:69], exec
	s_or_b64 s[70:71], s[2:3], s[22:23]
                                        ; implicit-def: $vgpr16
	s_and_saveexec_b64 s[2:3], s[26:27]
	s_cbranch_execz .LBB67_15
; %bb.113:                              ;   in Loop: Header=BB67_16 Depth=1
	s_xor_b64 s[20:21], s[6:7], -1
	s_mov_b64 s[22:23], 0
	v_mov_b32_e32 v16, 1
	v_mov_b32_e32 v5, 1
	s_and_saveexec_b64 s[6:7], s[20:21]
	s_cbranch_execz .LBB67_122
; %bb.114:                              ;   in Loop: Header=BB67_16 Depth=1
	v_cmp_ge_i32_e32 vcc, s40, v41
	s_and_saveexec_b64 s[20:21], vcc
	s_xor_b64 s[20:21], exec, s[20:21]
	s_cbranch_execz .LBB67_119
; %bb.115:                              ;   in Loop: Header=BB67_16 Depth=1
	ds_read_b32 v2, v9 offset:4096
	v_and_b32_e32 v29, v29, v8
	v_or_b32_e32 v39, v39, v4
	s_waitcnt lgkmcnt(0)
	v_cmp_ne_u32_e32 vcc, 0, v2
	s_cbranch_vccnz .LBB67_119
; %bb.116:                              ;   in Loop: Header=BB67_16 Depth=1
	s_mov_b64 s[22:23], exec
	v_readlane_b32 s24, v56, 5
	v_readlane_b32 s25, v56, 6
	s_and_b64 s[24:25], s[22:23], s[24:25]
	s_mov_b64 exec, s[24:25]
; %bb.117:                              ;   in Loop: Header=BB67_16 Depth=1
	v_mov_b32_e32 v2, s40
	ds_write_b32 v9, v2 offset:4100
; %bb.118:                              ;   in Loop: Header=BB67_16 Depth=1
	s_or_b64 exec, exec, s[22:23]
	s_waitcnt lgkmcnt(0)
	s_barrier
.LBB67_119:                             ;   in Loop: Header=BB67_16 Depth=1
	s_or_saveexec_b64 s[20:21], s[20:21]
	s_mov_b64 s[22:23], 0
	v_mov_b32_e32 v5, 8
	s_xor_b64 exec, exec, s[20:21]
; %bb.120:                              ;   in Loop: Header=BB67_16 Depth=1
	s_mov_b64 s[22:23], exec
	v_subrev_u32_e32 v41, s40, v41
	v_mov_b32_e32 v5, 0
; %bb.121:                              ;   in Loop: Header=BB67_16 Depth=1
	s_or_b64 exec, exec, s[20:21]
	s_and_b64 s[22:23], s[22:23], exec
	v_mov_b32_e32 v16, v41
.LBB67_122:                             ;   in Loop: Header=BB67_16 Depth=1
	s_or_b64 exec, exec, s[6:7]
	s_mov_b64 s[20:21], -1
	s_mov_b64 s[6:7], -1
                                        ; implicit-def: $sgpr24_sgpr25
                                        ; implicit-def: $sgpr26_sgpr27
	s_and_saveexec_b64 s[28:29], s[22:23]
	s_xor_b64 s[22:23], exec, s[28:29]
	s_cbranch_execz .LBB67_239
; %bb.123:                              ;   in Loop: Header=BB67_16 Depth=1
	s_cmp_eq_u32 s44, 1
	s_cselect_b64 s[6:7], -1, 0
	v_cmp_eq_u32_e32 vcc, 1, v16
	s_and_b64 s[6:7], s[6:7], vcc
	s_mov_b64 s[30:31], -1
                                        ; implicit-def: $sgpr26_sgpr27
                                        ; implicit-def: $sgpr24_sgpr25
	s_and_saveexec_b64 s[28:29], s[6:7]
	s_cbranch_execz .LBB67_149
; %bb.124:                              ;   in Loop: Header=BB67_16 Depth=1
	ds_read_b32 v2, v9 offset:4096
	s_waitcnt lgkmcnt(0)
	s_barrier
	v_readfirstlane_b32 s45, v2
	s_and_saveexec_b64 s[24:25], s[4:5]
; %bb.125:                              ;   in Loop: Header=BB67_16 Depth=1
	ds_write_b16 v22, v9
; %bb.126:                              ;   in Loop: Header=BB67_16 Depth=1
	s_or_b64 exec, exec, s[24:25]
	v_and_b32_e32 v2, v29, v8
	v_lshl_or_b32 v29, 1, v34, v2
	v_or_b32_e32 v39, v39, v4
	s_mov_b64 s[24:25], -1
	s_mov_b64 s[26:27], 0
	s_cmp_gt_i32 s45, 0
	s_mov_b64 s[30:31], 0
	s_mov_b64 s[34:35], -1
	s_waitcnt lgkmcnt(0)
	s_barrier
                                        ; implicit-def: $vgpr40
	s_cbranch_scc1 .LBB67_137
; %bb.127:                              ;   in Loop: Header=BB67_16 Depth=1
	s_mov_b64 s[34:35], 0
                                        ; implicit-def: $vgpr40
	s_mov_b64 s[36:37], exec
	v_readlane_b32 s38, v56, 29
	v_readlane_b32 s39, v56, 30
	s_and_b64 s[38:39], s[36:37], s[38:39]
	s_mov_b64 exec, s[38:39]
	s_cbranch_execz .LBB67_136
; %bb.128:                              ;   in Loop: Header=BB67_16 Depth=1
	v_mov_b32_e32 v2, v6
	v_mov_b32_e32 v17, v0
                                        ; implicit-def: $sgpr38_sgpr39
	s_branch .LBB67_131
.LBB67_129:                             ;   in Loop: Header=BB67_131 Depth=2
	s_or_b64 exec, exec, s[40:41]
	s_waitcnt lgkmcnt(0)
	s_barrier
	ds_read_b32 v3, v9 offset:3072
	s_mov_b64 s[40:41], -1
	s_mov_b64 s[42:43], -1
	s_waitcnt lgkmcnt(0)
	s_barrier
	v_and_b32_e32 v18, 0x7fff, v3
	v_cmp_ne_u32_e32 vcc, 0, v18
	s_cbranch_vccz .LBB67_134
.LBB67_130:                             ;   in Loop: Header=BB67_131 Depth=2
	s_and_b64 s[40:41], exec, s[40:41]
	s_or_b64 s[30:31], s[40:41], s[30:31]
	s_andn2_b64 s[38:39], s[38:39], exec
	s_and_b64 s[40:41], s[42:43], exec
	s_or_b64 s[38:39], s[38:39], s[40:41]
	s_andn2_b64 exec, exec, s[30:31]
	s_cbranch_execz .LBB67_135
.LBB67_131:                             ;   Parent Loop BB67_16 Depth=1
                                        ; =>  This Inner Loop Header: Depth=2
	v_cmp_gt_i32_e32 vcc, s60, v17
	s_and_saveexec_b64 s[40:41], vcc
	s_cbranch_execz .LBB67_129
; %bb.132:                              ;   in Loop: Header=BB67_131 Depth=2
	v_ashrrev_i32_e32 v3, 31, v2
	v_lshl_add_u64 v[18:19], v[2:3], 1, s[72:73]
	global_load_ushort v3, v[18:19], off
	s_waitcnt vmcnt(0)
	v_cmp_lt_i16_e32 vcc, -1, v3
	v_lshlrev_b32_e32 v18, 16, v3
	s_nop 0
	v_cndmask_b32_e32 v19, v33, v35, vcc
	v_xor_b32_sdwa v19, v19, v3 dst_sel:DWORD dst_unused:UNUSED_PAD src0_sel:DWORD src1_sel:WORD_0
	v_cmp_o_f32_e32 vcc, v18, v18
	s_nop 1
	v_cndmask_b32_e32 v18, v33, v19, vcc
	v_and_b32_e32 v18, v18, v39
	v_cmp_eq_u32_e32 vcc, v18, v29
	s_and_b64 exec, exec, vcc
	s_cbranch_execz .LBB67_129
; %bb.133:                              ;   in Loop: Header=BB67_131 Depth=2
	v_perm_b32 v3, v3, s61, v38
	ds_write_b32 v9, v3 offset:3072
	s_branch .LBB67_129
.LBB67_134:                             ;   in Loop: Header=BB67_131 Depth=2
	v_add_u32_e32 v17, s64, v17
	v_cmp_le_i32_e32 vcc, s16, v17
	v_add_u32_e32 v2, s66, v2
	s_mov_b64 s[42:43], 0
	s_orn2_b64 s[40:41], vcc, exec
	s_branch .LBB67_130
.LBB67_135:                             ;   in Loop: Header=BB67_16 Depth=1
	s_or_b64 exec, exec, s[30:31]
	v_lshrrev_b32_e32 v40, 16, v3
	s_and_b64 s[30:31], s[38:39], exec
.LBB67_136:                             ;   in Loop: Header=BB67_16 Depth=1
	s_or_b64 exec, exec, s[36:37]
.LBB67_137:                             ;   in Loop: Header=BB67_16 Depth=1
	s_and_b64 vcc, exec, s[34:35]
	s_cbranch_vccz .LBB67_148
; %bb.138:                              ;   in Loop: Header=BB67_16 Depth=1
	v_readlane_b32 s24, v56, 8
	s_add_i32 s40, s45, s24
	s_abs_i32 s25, s40
	s_mul_hi_u32 s26, s25, s79
	s_mul_i32 s26, s26, s64
	s_sub_i32 s25, s25, s26
	s_ashr_i32 s24, s40, 31
	s_sub_i32 s26, s25, s64
	s_cmp_ge_u32 s25, s64
	s_cselect_b32 s25, s26, s25
	s_sub_i32 s26, s25, s64
	s_cmp_ge_u32 s25, s64
	s_cselect_b32 s25, s26, s25
	s_xor_b32 s25, s25, s24
	s_sub_i32 s24, s24, s25
	s_add_i32 s40, s40, s24
	v_cmp_gt_i32_e32 vcc, s40, v0
                                        ; implicit-def: $vgpr40
	s_and_saveexec_b64 s[24:25], vcc
	s_cbranch_execz .LBB67_147
; %bb.139:                              ;   in Loop: Header=BB67_16 Depth=1
	s_mov_b64 s[26:27], 0
	v_mov_b32_e32 v2, v21
	v_mov_b32_e32 v3, v0
                                        ; implicit-def: $sgpr34_sgpr35
	s_branch .LBB67_142
.LBB67_140:                             ;   in Loop: Header=BB67_142 Depth=2
	s_or_b64 exec, exec, s[36:37]
	s_waitcnt lgkmcnt(0)
	s_barrier
	ds_read_b32 v17, v9 offset:3072
	s_mov_b64 s[36:37], -1
	s_mov_b64 s[38:39], -1
	s_waitcnt lgkmcnt(0)
	s_barrier
	v_and_b32_e32 v18, 0x7fff, v17
	v_cmp_eq_u32_e32 vcc, 0, v18
	s_cbranch_vccnz .LBB67_145
.LBB67_141:                             ;   in Loop: Header=BB67_142 Depth=2
	s_and_b64 s[36:37], exec, s[36:37]
	s_or_b64 s[26:27], s[36:37], s[26:27]
	s_andn2_b64 s[34:35], s[34:35], exec
	s_and_b64 s[36:37], s[38:39], exec
	s_or_b64 s[34:35], s[34:35], s[36:37]
	s_andn2_b64 exec, exec, s[26:27]
	s_cbranch_execz .LBB67_146
.LBB67_142:                             ;   Parent Loop BB67_16 Depth=1
                                        ; =>  This Inner Loop Header: Depth=2
	v_cmp_gt_i32_e32 vcc, s45, v3
	s_and_saveexec_b64 s[36:37], vcc
	s_cbranch_execz .LBB67_140
; %bb.143:                              ;   in Loop: Header=BB67_142 Depth=2
	ds_read_u16 v17, v2
	s_waitcnt lgkmcnt(0)
	v_cmp_lt_i16_e32 vcc, -1, v17
	v_lshlrev_b32_e32 v18, 16, v17
	s_nop 0
	v_cndmask_b32_e32 v19, v33, v35, vcc
	v_xor_b32_sdwa v19, v19, v17 dst_sel:DWORD dst_unused:UNUSED_PAD src0_sel:DWORD src1_sel:WORD_0
	v_cmp_o_f32_e32 vcc, v18, v18
	s_nop 1
	v_cndmask_b32_e32 v18, v33, v19, vcc
	v_and_b32_e32 v18, v18, v39
	v_cmp_eq_u32_e32 vcc, v18, v29
	s_and_b64 exec, exec, vcc
	s_cbranch_execz .LBB67_140
; %bb.144:                              ;   in Loop: Header=BB67_142 Depth=2
	v_perm_b32 v17, v17, s61, v38
	ds_write_b32 v9, v17 offset:3072
	s_branch .LBB67_140
.LBB67_145:                             ;   in Loop: Header=BB67_142 Depth=2
	v_add_u32_e32 v3, s64, v3
	v_cmp_le_i32_e32 vcc, s40, v3
	v_add_u32_e32 v2, s83, v2
	s_mov_b64 s[38:39], 0
	s_orn2_b64 s[36:37], vcc, exec
	s_branch .LBB67_141
.LBB67_146:                             ;   in Loop: Header=BB67_16 Depth=1
	s_or_b64 exec, exec, s[26:27]
	s_andn2_b64 s[26:27], s[30:31], exec
	s_and_b64 s[30:31], s[34:35], exec
	v_lshrrev_b32_e32 v40, 16, v17
	s_or_b64 s[30:31], s[26:27], s[30:31]
.LBB67_147:                             ;   in Loop: Header=BB67_16 Depth=1
	s_or_b64 exec, exec, s[24:25]
	s_mov_b64 s[24:25], 0
	s_mov_b64 s[26:27], -1
.LBB67_148:                             ;   in Loop: Header=BB67_16 Depth=1
	s_orn2_b64 s[30:31], s[30:31], exec
.LBB67_149:                             ;   in Loop: Header=BB67_16 Depth=1
	s_or_b64 exec, exec, s[28:29]
	s_mov_b64 s[34:35], 0
	s_and_saveexec_b64 s[28:29], s[30:31]
	s_cbranch_execz .LBB67_238
; %bb.150:                              ;   in Loop: Header=BB67_16 Depth=1
	s_xor_b64 s[30:31], s[6:7], -1
	s_mov_b64 s[38:39], 0
	v_mov_b32_e32 v17, 1
	v_mov_b32_e32 v5, 1
	s_and_saveexec_b64 s[6:7], s[30:31]
	s_cbranch_execz .LBB67_159
; %bb.151:                              ;   in Loop: Header=BB67_16 Depth=1
	v_cmp_ge_i32_e32 vcc, s44, v16
	s_and_saveexec_b64 s[30:31], vcc
	s_xor_b64 s[30:31], exec, s[30:31]
	s_cbranch_execz .LBB67_156
; %bb.152:                              ;   in Loop: Header=BB67_16 Depth=1
	ds_read_b32 v2, v9 offset:4096
	v_and_b32_e32 v3, v29, v8
	v_lshl_or_b32 v29, 1, v34, v3
	v_or_b32_e32 v39, v39, v4
	s_waitcnt lgkmcnt(0)
	v_cmp_ne_u32_e32 vcc, 0, v2
	s_cbranch_vccnz .LBB67_156
; %bb.153:                              ;   in Loop: Header=BB67_16 Depth=1
	s_mov_b64 s[34:35], exec
	v_readlane_b32 s36, v56, 5
	v_readlane_b32 s37, v56, 6
	s_and_b64 s[36:37], s[34:35], s[36:37]
	s_mov_b64 exec, s[36:37]
; %bb.154:                              ;   in Loop: Header=BB67_16 Depth=1
	v_mov_b32_e32 v2, s44
	ds_write_b32 v9, v2 offset:4100
; %bb.155:                              ;   in Loop: Header=BB67_16 Depth=1
	s_or_b64 exec, exec, s[34:35]
	s_waitcnt lgkmcnt(0)
	s_barrier
.LBB67_156:                             ;   in Loop: Header=BB67_16 Depth=1
	s_or_saveexec_b64 s[30:31], s[30:31]
	s_mov_b64 s[34:35], 0
	v_mov_b32_e32 v5, 8
	s_xor_b64 exec, exec, s[30:31]
; %bb.157:                              ;   in Loop: Header=BB67_16 Depth=1
	s_mov_b64 s[34:35], exec
	v_subrev_u32_e32 v16, s44, v16
	v_mov_b32_e32 v5, 0
; %bb.158:                              ;   in Loop: Header=BB67_16 Depth=1
	s_or_b64 exec, exec, s[30:31]
	s_and_b64 s[38:39], s[34:35], exec
	v_mov_b32_e32 v17, v16
.LBB67_159:                             ;   in Loop: Header=BB67_16 Depth=1
	s_or_b64 exec, exec, s[6:7]
	s_mov_b64 s[6:7], -1
                                        ; implicit-def: $sgpr34_sgpr35
                                        ; implicit-def: $sgpr36_sgpr37
	s_and_saveexec_b64 s[30:31], s[38:39]
	s_cbranch_execz .LBB67_237
; %bb.160:                              ;   in Loop: Header=BB67_16 Depth=1
	s_cmp_eq_u32 s52, 1
	s_cselect_b64 s[6:7], -1, 0
	v_cmp_eq_u32_e32 vcc, 1, v17
	s_and_b64 s[6:7], s[6:7], vcc
	s_mov_b64 s[40:41], -1
                                        ; implicit-def: $sgpr36_sgpr37
                                        ; implicit-def: $sgpr34_sgpr35
	s_and_saveexec_b64 s[38:39], s[6:7]
	s_cbranch_execz .LBB67_186
; %bb.161:                              ;   in Loop: Header=BB67_16 Depth=1
	ds_read_b32 v2, v9 offset:4096
	s_waitcnt lgkmcnt(0)
	s_barrier
	v_readfirstlane_b32 s53, v2
	s_and_saveexec_b64 s[34:35], s[4:5]
; %bb.162:                              ;   in Loop: Header=BB67_16 Depth=1
	ds_write_b16 v22, v9
; %bb.163:                              ;   in Loop: Header=BB67_16 Depth=1
	s_or_b64 exec, exec, s[34:35]
	v_and_b32_e32 v2, v29, v8
	v_lshl_or_b32 v29, 2, v34, v2
	v_or_b32_e32 v39, v39, v4
	s_mov_b64 s[34:35], -1
	s_mov_b64 s[36:37], 0
	s_cmp_gt_i32 s53, 0
	s_mov_b64 s[40:41], 0
	s_mov_b64 s[42:43], -1
	s_waitcnt lgkmcnt(0)
	s_barrier
                                        ; implicit-def: $vgpr40
	s_cbranch_scc1 .LBB67_174
; %bb.164:                              ;   in Loop: Header=BB67_16 Depth=1
	s_mov_b64 s[42:43], 0
                                        ; implicit-def: $vgpr40
	s_mov_b64 s[44:45], exec
	v_readlane_b32 s46, v56, 29
	v_readlane_b32 s47, v56, 30
	s_and_b64 s[46:47], s[44:45], s[46:47]
	s_mov_b64 exec, s[46:47]
	s_cbranch_execz .LBB67_173
; %bb.165:                              ;   in Loop: Header=BB67_16 Depth=1
	v_mov_b32_e32 v2, v6
	v_mov_b32_e32 v16, v0
                                        ; implicit-def: $sgpr46_sgpr47
	s_branch .LBB67_168
.LBB67_166:                             ;   in Loop: Header=BB67_168 Depth=2
	s_or_b64 exec, exec, s[48:49]
	s_waitcnt lgkmcnt(0)
	s_barrier
	ds_read_b32 v3, v9 offset:3072
	s_mov_b64 s[48:49], -1
	s_mov_b64 s[50:51], -1
	s_waitcnt lgkmcnt(0)
	s_barrier
	v_and_b32_e32 v18, 0x7fff, v3
	v_cmp_ne_u32_e32 vcc, 0, v18
	s_cbranch_vccz .LBB67_171
.LBB67_167:                             ;   in Loop: Header=BB67_168 Depth=2
	s_and_b64 s[48:49], exec, s[48:49]
	s_or_b64 s[40:41], s[48:49], s[40:41]
	s_andn2_b64 s[46:47], s[46:47], exec
	s_and_b64 s[48:49], s[50:51], exec
	s_or_b64 s[46:47], s[46:47], s[48:49]
	s_andn2_b64 exec, exec, s[40:41]
	s_cbranch_execz .LBB67_172
.LBB67_168:                             ;   Parent Loop BB67_16 Depth=1
                                        ; =>  This Inner Loop Header: Depth=2
	v_cmp_gt_i32_e32 vcc, s60, v16
	s_and_saveexec_b64 s[48:49], vcc
	s_cbranch_execz .LBB67_166
; %bb.169:                              ;   in Loop: Header=BB67_168 Depth=2
	v_ashrrev_i32_e32 v3, 31, v2
	v_lshl_add_u64 v[18:19], v[2:3], 1, s[72:73]
	global_load_ushort v3, v[18:19], off
	s_waitcnt vmcnt(0)
	v_cmp_lt_i16_e32 vcc, -1, v3
	v_lshlrev_b32_e32 v18, 16, v3
	s_nop 0
	v_cndmask_b32_e32 v19, v33, v35, vcc
	v_xor_b32_sdwa v19, v19, v3 dst_sel:DWORD dst_unused:UNUSED_PAD src0_sel:DWORD src1_sel:WORD_0
	v_cmp_o_f32_e32 vcc, v18, v18
	s_nop 1
	v_cndmask_b32_e32 v18, v33, v19, vcc
	v_and_b32_e32 v18, v18, v39
	v_cmp_eq_u32_e32 vcc, v18, v29
	s_and_b64 exec, exec, vcc
	s_cbranch_execz .LBB67_166
; %bb.170:                              ;   in Loop: Header=BB67_168 Depth=2
	v_perm_b32 v3, v3, s61, v38
	ds_write_b32 v9, v3 offset:3072
	s_branch .LBB67_166
.LBB67_171:                             ;   in Loop: Header=BB67_168 Depth=2
	v_add_u32_e32 v16, s64, v16
	v_cmp_le_i32_e32 vcc, s16, v16
	v_add_u32_e32 v2, s66, v2
	s_mov_b64 s[50:51], 0
	s_orn2_b64 s[48:49], vcc, exec
	s_branch .LBB67_167
.LBB67_172:                             ;   in Loop: Header=BB67_16 Depth=1
	s_or_b64 exec, exec, s[40:41]
	v_lshrrev_b32_e32 v40, 16, v3
	s_and_b64 s[40:41], s[46:47], exec
.LBB67_173:                             ;   in Loop: Header=BB67_16 Depth=1
	s_or_b64 exec, exec, s[44:45]
.LBB67_174:                             ;   in Loop: Header=BB67_16 Depth=1
	s_and_b64 vcc, exec, s[42:43]
	s_cbranch_vccz .LBB67_185
; %bb.175:                              ;   in Loop: Header=BB67_16 Depth=1
	v_readlane_b32 s34, v56, 8
	s_add_i32 s48, s53, s34
	s_abs_i32 s35, s48
	s_mul_hi_u32 s36, s35, s79
	s_mul_i32 s36, s36, s64
	s_sub_i32 s35, s35, s36
	s_ashr_i32 s34, s48, 31
	s_sub_i32 s36, s35, s64
	s_cmp_ge_u32 s35, s64
	s_cselect_b32 s35, s36, s35
	s_sub_i32 s36, s35, s64
	s_cmp_ge_u32 s35, s64
	s_cselect_b32 s35, s36, s35
	s_xor_b32 s35, s35, s34
	s_sub_i32 s34, s34, s35
	s_add_i32 s48, s48, s34
	v_cmp_gt_i32_e32 vcc, s48, v0
                                        ; implicit-def: $vgpr40
	s_and_saveexec_b64 s[34:35], vcc
	s_cbranch_execz .LBB67_184
; %bb.176:                              ;   in Loop: Header=BB67_16 Depth=1
	s_mov_b64 s[36:37], 0
	v_mov_b32_e32 v2, v21
	v_mov_b32_e32 v3, v0
                                        ; implicit-def: $sgpr42_sgpr43
	s_branch .LBB67_179
.LBB67_177:                             ;   in Loop: Header=BB67_179 Depth=2
	s_or_b64 exec, exec, s[44:45]
	s_waitcnt lgkmcnt(0)
	s_barrier
	ds_read_b32 v16, v9 offset:3072
	s_mov_b64 s[44:45], -1
	s_mov_b64 s[46:47], -1
	s_waitcnt lgkmcnt(0)
	s_barrier
	v_and_b32_e32 v18, 0x7fff, v16
	v_cmp_eq_u32_e32 vcc, 0, v18
	s_cbranch_vccnz .LBB67_182
.LBB67_178:                             ;   in Loop: Header=BB67_179 Depth=2
	s_and_b64 s[44:45], exec, s[44:45]
	s_or_b64 s[36:37], s[44:45], s[36:37]
	s_andn2_b64 s[42:43], s[42:43], exec
	s_and_b64 s[44:45], s[46:47], exec
	s_or_b64 s[42:43], s[42:43], s[44:45]
	s_andn2_b64 exec, exec, s[36:37]
	s_cbranch_execz .LBB67_183
.LBB67_179:                             ;   Parent Loop BB67_16 Depth=1
                                        ; =>  This Inner Loop Header: Depth=2
	v_cmp_gt_i32_e32 vcc, s53, v3
	s_and_saveexec_b64 s[44:45], vcc
	s_cbranch_execz .LBB67_177
; %bb.180:                              ;   in Loop: Header=BB67_179 Depth=2
	ds_read_u16 v16, v2
	s_waitcnt lgkmcnt(0)
	v_cmp_lt_i16_e32 vcc, -1, v16
	v_lshlrev_b32_e32 v18, 16, v16
	s_nop 0
	v_cndmask_b32_e32 v19, v33, v35, vcc
	v_xor_b32_sdwa v19, v19, v16 dst_sel:DWORD dst_unused:UNUSED_PAD src0_sel:DWORD src1_sel:WORD_0
	v_cmp_o_f32_e32 vcc, v18, v18
	s_nop 1
	v_cndmask_b32_e32 v18, v33, v19, vcc
	v_and_b32_e32 v18, v18, v39
	v_cmp_eq_u32_e32 vcc, v18, v29
	s_and_b64 exec, exec, vcc
	s_cbranch_execz .LBB67_177
; %bb.181:                              ;   in Loop: Header=BB67_179 Depth=2
	v_perm_b32 v16, v16, s61, v38
	ds_write_b32 v9, v16 offset:3072
	s_branch .LBB67_177
.LBB67_182:                             ;   in Loop: Header=BB67_179 Depth=2
	v_add_u32_e32 v3, s64, v3
	v_cmp_le_i32_e32 vcc, s48, v3
	v_add_u32_e32 v2, s83, v2
	s_mov_b64 s[46:47], 0
	s_orn2_b64 s[44:45], vcc, exec
	s_branch .LBB67_178
.LBB67_183:                             ;   in Loop: Header=BB67_16 Depth=1
	s_or_b64 exec, exec, s[36:37]
	s_andn2_b64 s[36:37], s[40:41], exec
	s_and_b64 s[40:41], s[42:43], exec
	v_lshrrev_b32_e32 v40, 16, v16
	s_or_b64 s[40:41], s[36:37], s[40:41]
.LBB67_184:                             ;   in Loop: Header=BB67_16 Depth=1
	s_or_b64 exec, exec, s[34:35]
	s_mov_b64 s[34:35], 0
	s_mov_b64 s[36:37], -1
.LBB67_185:                             ;   in Loop: Header=BB67_16 Depth=1
	s_orn2_b64 s[40:41], s[40:41], exec
.LBB67_186:                             ;   in Loop: Header=BB67_16 Depth=1
	s_or_b64 exec, exec, s[38:39]
	s_mov_b64 s[42:43], 0
	s_and_saveexec_b64 s[38:39], s[40:41]
	s_cbranch_execz .LBB67_236
; %bb.187:                              ;   in Loop: Header=BB67_16 Depth=1
	s_xor_b64 s[40:41], s[6:7], -1
	s_mov_b64 s[46:47], 0
	v_mov_b32_e32 v16, 1
	v_mov_b32_e32 v5, 1
	s_and_saveexec_b64 s[6:7], s[40:41]
	s_cbranch_execz .LBB67_196
; %bb.188:                              ;   in Loop: Header=BB67_16 Depth=1
	v_cmp_ge_i32_e32 vcc, s52, v17
	s_and_saveexec_b64 s[40:41], vcc
	s_xor_b64 s[40:41], exec, s[40:41]
	s_cbranch_execz .LBB67_193
; %bb.189:                              ;   in Loop: Header=BB67_16 Depth=1
	ds_read_b32 v2, v9 offset:4096
	v_and_b32_e32 v3, v29, v8
	v_lshl_or_b32 v29, 2, v34, v3
	v_or_b32_e32 v39, v39, v4
	s_waitcnt lgkmcnt(0)
	v_cmp_ne_u32_e32 vcc, 0, v2
	s_cbranch_vccnz .LBB67_193
; %bb.190:                              ;   in Loop: Header=BB67_16 Depth=1
	s_mov_b64 s[42:43], exec
	v_readlane_b32 s44, v56, 5
	v_readlane_b32 s45, v56, 6
	s_and_b64 s[44:45], s[42:43], s[44:45]
	s_mov_b64 exec, s[44:45]
; %bb.191:                              ;   in Loop: Header=BB67_16 Depth=1
	v_mov_b32_e32 v2, s52
	ds_write_b32 v9, v2 offset:4100
; %bb.192:                              ;   in Loop: Header=BB67_16 Depth=1
	s_or_b64 exec, exec, s[42:43]
	s_waitcnt lgkmcnt(0)
	s_barrier
.LBB67_193:                             ;   in Loop: Header=BB67_16 Depth=1
	s_or_saveexec_b64 s[40:41], s[40:41]
	s_mov_b64 s[42:43], 0
	v_mov_b32_e32 v5, 8
	s_xor_b64 exec, exec, s[40:41]
; %bb.194:                              ;   in Loop: Header=BB67_16 Depth=1
	s_mov_b64 s[42:43], exec
	v_subrev_u32_e32 v17, s52, v17
	v_mov_b32_e32 v5, 0
; %bb.195:                              ;   in Loop: Header=BB67_16 Depth=1
	s_or_b64 exec, exec, s[40:41]
	s_and_b64 s[46:47], s[42:43], exec
	v_mov_b32_e32 v16, v17
.LBB67_196:                             ;   in Loop: Header=BB67_16 Depth=1
	s_or_b64 exec, exec, s[6:7]
	s_mov_b64 s[6:7], -1
                                        ; implicit-def: $sgpr44_sgpr45
                                        ; implicit-def: $sgpr42_sgpr43
	s_and_saveexec_b64 s[40:41], s[46:47]
	s_cbranch_execz .LBB67_235
; %bb.197:                              ;   in Loop: Header=BB67_16 Depth=1
	s_cmp_eq_u32 s19, 1
	s_cselect_b64 s[6:7], -1, 0
	v_cmp_eq_u32_e32 vcc, 1, v16
	s_and_b64 s[6:7], s[6:7], vcc
	s_mov_b64 s[48:49], -1
                                        ; implicit-def: $sgpr44_sgpr45
                                        ; implicit-def: $sgpr42_sgpr43
	s_and_saveexec_b64 s[46:47], s[6:7]
	s_cbranch_execz .LBB67_223
; %bb.198:                              ;   in Loop: Header=BB67_16 Depth=1
	ds_read_b32 v2, v9 offset:4096
	s_waitcnt lgkmcnt(0)
	s_barrier
	v_readfirstlane_b32 s74, v2
	s_and_saveexec_b64 s[42:43], s[4:5]
; %bb.199:                              ;   in Loop: Header=BB67_16 Depth=1
	ds_write_b16 v22, v9
; %bb.200:                              ;   in Loop: Header=BB67_16 Depth=1
	s_or_b64 exec, exec, s[42:43]
	v_or_b32_e32 v29, v29, v4
	v_or_b32_e32 v39, v39, v4
	s_mov_b64 s[42:43], -1
	s_mov_b64 s[44:45], 0
	s_cmp_gt_i32 s74, 0
	s_mov_b64 s[48:49], 0
	s_mov_b64 s[50:51], -1
	s_waitcnt lgkmcnt(0)
	s_barrier
                                        ; implicit-def: $vgpr40
	s_cbranch_scc1 .LBB67_211
; %bb.201:                              ;   in Loop: Header=BB67_16 Depth=1
	s_mov_b64 s[50:51], 0
                                        ; implicit-def: $vgpr40
	s_mov_b64 s[52:53], exec
	v_readlane_b32 s54, v56, 29
	v_readlane_b32 s55, v56, 30
	s_and_b64 s[54:55], s[52:53], s[54:55]
	s_mov_b64 exec, s[54:55]
	s_cbranch_execz .LBB67_210
; %bb.202:                              ;   in Loop: Header=BB67_16 Depth=1
	v_mov_b32_e32 v2, v6
	v_mov_b32_e32 v8, v0
                                        ; implicit-def: $sgpr54_sgpr55
	s_branch .LBB67_205
.LBB67_203:                             ;   in Loop: Header=BB67_205 Depth=2
	s_or_b64 exec, exec, s[56:57]
	s_waitcnt lgkmcnt(0)
	s_barrier
	ds_read_b32 v3, v9 offset:3072
	s_mov_b64 s[56:57], -1
	s_mov_b64 s[58:59], -1
	s_waitcnt lgkmcnt(0)
	s_barrier
	v_and_b32_e32 v17, 0x7fff, v3
	v_cmp_ne_u32_e32 vcc, 0, v17
	s_cbranch_vccz .LBB67_208
.LBB67_204:                             ;   in Loop: Header=BB67_205 Depth=2
	s_and_b64 s[56:57], exec, s[56:57]
	s_or_b64 s[48:49], s[56:57], s[48:49]
	s_andn2_b64 s[54:55], s[54:55], exec
	s_and_b64 s[56:57], s[58:59], exec
	s_or_b64 s[54:55], s[54:55], s[56:57]
	s_andn2_b64 exec, exec, s[48:49]
	s_cbranch_execz .LBB67_209
.LBB67_205:                             ;   Parent Loop BB67_16 Depth=1
                                        ; =>  This Inner Loop Header: Depth=2
	v_cmp_gt_i32_e32 vcc, s60, v8
	s_and_saveexec_b64 s[56:57], vcc
	s_cbranch_execz .LBB67_203
; %bb.206:                              ;   in Loop: Header=BB67_205 Depth=2
	v_ashrrev_i32_e32 v3, 31, v2
	v_lshl_add_u64 v[18:19], v[2:3], 1, s[72:73]
	global_load_ushort v3, v[18:19], off
	s_waitcnt vmcnt(0)
	v_cmp_lt_i16_e32 vcc, -1, v3
	v_lshlrev_b32_e32 v17, 16, v3
	s_nop 0
	v_cndmask_b32_e32 v18, v33, v35, vcc
	v_xor_b32_sdwa v18, v18, v3 dst_sel:DWORD dst_unused:UNUSED_PAD src0_sel:DWORD src1_sel:WORD_0
	v_cmp_o_f32_e32 vcc, v17, v17
	s_nop 1
	v_cndmask_b32_e32 v17, v33, v18, vcc
	v_and_b32_e32 v17, v17, v39
	v_cmp_eq_u32_e32 vcc, v17, v29
	s_and_b64 exec, exec, vcc
	s_cbranch_execz .LBB67_203
; %bb.207:                              ;   in Loop: Header=BB67_205 Depth=2
	v_perm_b32 v3, v3, s61, v38
	ds_write_b32 v9, v3 offset:3072
	s_branch .LBB67_203
.LBB67_208:                             ;   in Loop: Header=BB67_205 Depth=2
	v_add_u32_e32 v8, s64, v8
	v_cmp_le_i32_e32 vcc, s16, v8
	v_add_u32_e32 v2, s66, v2
	s_mov_b64 s[58:59], 0
	s_orn2_b64 s[56:57], vcc, exec
	s_branch .LBB67_204
.LBB67_209:                             ;   in Loop: Header=BB67_16 Depth=1
	s_or_b64 exec, exec, s[48:49]
	v_lshrrev_b32_e32 v40, 16, v3
	s_and_b64 s[48:49], s[54:55], exec
.LBB67_210:                             ;   in Loop: Header=BB67_16 Depth=1
	s_or_b64 exec, exec, s[52:53]
.LBB67_211:                             ;   in Loop: Header=BB67_16 Depth=1
	s_and_b64 vcc, exec, s[50:51]
	s_cbranch_vccz .LBB67_222
; %bb.212:                              ;   in Loop: Header=BB67_16 Depth=1
	v_readlane_b32 s42, v56, 8
	s_add_i32 s56, s74, s42
	s_abs_i32 s43, s56
	s_mul_hi_u32 s44, s43, s79
	s_mul_i32 s44, s44, s64
	s_sub_i32 s43, s43, s44
	s_ashr_i32 s42, s56, 31
	s_sub_i32 s44, s43, s64
	s_cmp_ge_u32 s43, s64
	s_cselect_b32 s43, s44, s43
	s_sub_i32 s44, s43, s64
	s_cmp_ge_u32 s43, s64
	s_cselect_b32 s43, s44, s43
	s_xor_b32 s43, s43, s42
	s_sub_i32 s42, s42, s43
	s_add_i32 s56, s56, s42
	v_cmp_gt_i32_e32 vcc, s56, v0
                                        ; implicit-def: $vgpr40
	s_and_saveexec_b64 s[42:43], vcc
	s_cbranch_execz .LBB67_221
; %bb.213:                              ;   in Loop: Header=BB67_16 Depth=1
	s_mov_b64 s[44:45], 0
	v_mov_b32_e32 v2, v21
	v_mov_b32_e32 v3, v0
                                        ; implicit-def: $sgpr50_sgpr51
	s_branch .LBB67_216
.LBB67_214:                             ;   in Loop: Header=BB67_216 Depth=2
	s_or_b64 exec, exec, s[52:53]
	s_waitcnt lgkmcnt(0)
	s_barrier
	ds_read_b32 v8, v9 offset:3072
	s_mov_b64 s[52:53], -1
	s_mov_b64 s[54:55], -1
	s_waitcnt lgkmcnt(0)
	s_barrier
	v_and_b32_e32 v17, 0x7fff, v8
	v_cmp_eq_u32_e32 vcc, 0, v17
	s_cbranch_vccnz .LBB67_219
.LBB67_215:                             ;   in Loop: Header=BB67_216 Depth=2
	s_and_b64 s[52:53], exec, s[52:53]
	s_or_b64 s[44:45], s[52:53], s[44:45]
	s_andn2_b64 s[50:51], s[50:51], exec
	s_and_b64 s[52:53], s[54:55], exec
	s_or_b64 s[50:51], s[50:51], s[52:53]
	s_andn2_b64 exec, exec, s[44:45]
	s_cbranch_execz .LBB67_220
.LBB67_216:                             ;   Parent Loop BB67_16 Depth=1
                                        ; =>  This Inner Loop Header: Depth=2
	v_cmp_gt_i32_e32 vcc, s74, v3
	s_and_saveexec_b64 s[52:53], vcc
	s_cbranch_execz .LBB67_214
; %bb.217:                              ;   in Loop: Header=BB67_216 Depth=2
	ds_read_u16 v8, v2
	s_waitcnt lgkmcnt(0)
	v_cmp_lt_i16_e32 vcc, -1, v8
	v_lshlrev_b32_e32 v17, 16, v8
	s_nop 0
	v_cndmask_b32_e32 v18, v33, v35, vcc
	v_xor_b32_sdwa v18, v18, v8 dst_sel:DWORD dst_unused:UNUSED_PAD src0_sel:DWORD src1_sel:WORD_0
	v_cmp_o_f32_e32 vcc, v17, v17
	s_nop 1
	v_cndmask_b32_e32 v17, v33, v18, vcc
	v_and_b32_e32 v17, v17, v39
	v_cmp_eq_u32_e32 vcc, v17, v29
	s_and_b64 exec, exec, vcc
	s_cbranch_execz .LBB67_214
; %bb.218:                              ;   in Loop: Header=BB67_216 Depth=2
	v_perm_b32 v8, v8, s61, v38
	ds_write_b32 v9, v8 offset:3072
	s_branch .LBB67_214
.LBB67_219:                             ;   in Loop: Header=BB67_216 Depth=2
	v_add_u32_e32 v3, s64, v3
	v_cmp_le_i32_e32 vcc, s56, v3
	v_add_u32_e32 v2, s83, v2
	s_mov_b64 s[54:55], 0
	s_orn2_b64 s[52:53], vcc, exec
	s_branch .LBB67_215
.LBB67_220:                             ;   in Loop: Header=BB67_16 Depth=1
	s_or_b64 exec, exec, s[44:45]
	s_andn2_b64 s[44:45], s[48:49], exec
	s_and_b64 s[48:49], s[50:51], exec
	v_lshrrev_b32_e32 v40, 16, v8
	s_or_b64 s[48:49], s[44:45], s[48:49]
.LBB67_221:                             ;   in Loop: Header=BB67_16 Depth=1
	s_or_b64 exec, exec, s[42:43]
	s_mov_b64 s[42:43], 0
	s_mov_b64 s[44:45], -1
.LBB67_222:                             ;   in Loop: Header=BB67_16 Depth=1
	s_orn2_b64 s[48:49], s[48:49], exec
.LBB67_223:                             ;   in Loop: Header=BB67_16 Depth=1
	s_or_b64 exec, exec, s[46:47]
	s_mov_b64 s[50:51], 0
	s_and_saveexec_b64 s[46:47], s[48:49]
	s_cbranch_execz .LBB67_234
; %bb.224:                              ;   in Loop: Header=BB67_16 Depth=1
	s_xor_b64 s[48:49], s[6:7], -1
	v_mov_b32_e32 v5, 1
	v_mov_b32_e32 v2, 1
	s_and_saveexec_b64 s[6:7], s[48:49]
	s_cbranch_execz .LBB67_233
; %bb.225:                              ;   in Loop: Header=BB67_16 Depth=1
	v_cmp_ge_i32_e32 vcc, s19, v16
	s_and_saveexec_b64 s[48:49], vcc
	s_xor_b64 s[48:49], exec, s[48:49]
	s_cbranch_execz .LBB67_230
; %bb.226:                              ;   in Loop: Header=BB67_16 Depth=1
	ds_read_b32 v2, v9 offset:4096
	v_or_b32_e32 v29, v29, v4
	v_or_b32_e32 v39, v39, v4
	s_waitcnt lgkmcnt(0)
	v_cmp_ne_u32_e32 vcc, 0, v2
	s_cbranch_vccnz .LBB67_230
; %bb.227:                              ;   in Loop: Header=BB67_16 Depth=1
	s_mov_b64 s[50:51], exec
	v_readlane_b32 s52, v56, 5
	v_readlane_b32 s53, v56, 6
	s_and_b64 s[52:53], s[50:51], s[52:53]
	s_mov_b64 exec, s[52:53]
; %bb.228:                              ;   in Loop: Header=BB67_16 Depth=1
	v_mov_b32_e32 v2, s19
	ds_write_b32 v9, v2 offset:4100
; %bb.229:                              ;   in Loop: Header=BB67_16 Depth=1
	s_or_b64 exec, exec, s[50:51]
	s_waitcnt lgkmcnt(0)
	s_barrier
.LBB67_230:                             ;   in Loop: Header=BB67_16 Depth=1
	s_andn2_saveexec_b64 s[48:49], s[48:49]
; %bb.231:                              ;   in Loop: Header=BB67_16 Depth=1
	v_subrev_u32_e32 v16, s19, v16
; %bb.232:                              ;   in Loop: Header=BB67_16 Depth=1
	s_or_b64 exec, exec, s[48:49]
	v_mov_b32_e32 v5, 8
	v_mov_b32_e32 v2, v16
.LBB67_233:                             ;   in Loop: Header=BB67_16 Depth=1
	s_or_b64 exec, exec, s[6:7]
	s_mov_b64 s[50:51], exec
	v_mov_b32_e32 v16, v2
.LBB67_234:                             ;   in Loop: Header=BB67_16 Depth=1
	s_or_b64 exec, exec, s[46:47]
	s_orn2_b64 s[6:7], s[50:51], exec
.LBB67_235:                             ;   in Loop: Header=BB67_16 Depth=1
	s_or_b64 exec, exec, s[40:41]
	s_andn2_b64 s[36:37], s[36:37], exec
	s_and_b64 s[40:41], s[44:45], exec
	s_or_b64 s[36:37], s[36:37], s[40:41]
	s_andn2_b64 s[34:35], s[34:35], exec
	s_and_b64 s[40:41], s[42:43], exec
	s_or_b64 s[34:35], s[34:35], s[40:41]
	s_and_b64 s[42:43], s[6:7], exec
	v_mov_b32_e32 v17, v16
.LBB67_236:                             ;   in Loop: Header=BB67_16 Depth=1
	s_or_b64 exec, exec, s[38:39]
	s_orn2_b64 s[6:7], s[42:43], exec
.LBB67_237:                             ;   in Loop: Header=BB67_16 Depth=1
	s_or_b64 exec, exec, s[30:31]
	s_andn2_b64 s[26:27], s[26:27], exec
	s_and_b64 s[30:31], s[36:37], exec
	s_or_b64 s[26:27], s[26:27], s[30:31]
	s_andn2_b64 s[24:25], s[24:25], exec
	s_and_b64 s[30:31], s[34:35], exec
	s_or_b64 s[24:25], s[24:25], s[30:31]
	s_and_b64 s[34:35], s[6:7], exec
	v_mov_b32_e32 v16, v17
.LBB67_238:                             ;   in Loop: Header=BB67_16 Depth=1
	s_or_b64 exec, exec, s[28:29]
	s_orn2_b64 s[6:7], s[34:35], exec
.LBB67_239:                             ;   in Loop: Header=BB67_16 Depth=1
	s_or_b64 exec, exec, s[22:23]
	s_mov_b64 s[22:23], 0
                                        ; implicit-def: $sgpr30
	s_and_saveexec_b64 s[28:29], s[6:7]
	s_xor_b64 s[6:7], exec, s[28:29]
	s_cbranch_execz .LBB67_14
; %bb.240:                              ;   in Loop: Header=BB67_16 Depth=1
	v_and_b32_e32 v2, 7, v5
	v_cmp_eq_u32_e32 vcc, 0, v2
	s_mov_b64 s[20:21], -1
	s_mov_b64 s[22:23], -1
                                        ; implicit-def: $sgpr30
	s_and_saveexec_b64 s[28:29], vcc
	s_cbranch_execz .LBB67_13
; %bb.241:                              ;   in Loop: Header=BB67_16 Depth=1
	v_add_u32_e32 v2, -2, v34
	v_cmp_eq_u32_e32 vcc, 0, v34
	s_xor_b32 s30, s18, 1
	s_xor_b64 s[22:23], exec, -1
	s_orn2_b64 s[20:21], vcc, exec
	v_mov_b32_e32 v34, v2
	s_branch .LBB67_13
.LBB67_242:
	s_or_b64 exec, exec, s[92:93]
	s_xor_b64 s[4:5], s[98:99], -1
	s_xor_b64 s[2:3], s[94:95], -1
	;; [unrolled: 1-line block ×3, first 2 shown]
	s_mov_b64 s[0:1], 0
	s_and_saveexec_b64 s[8:9], s[2:3]
	s_xor_b64 s[2:3], exec, s[8:9]
	s_cbranch_execnz .LBB67_247
; %bb.243:
	s_andn2_saveexec_b64 s[2:3], s[2:3]
	s_cbranch_execnz .LBB67_267
.LBB67_244:
	s_or_b64 exec, exec, s[2:3]
	s_and_saveexec_b64 s[2:3], s[0:1]
.LBB67_245:
	; divergent unreachable
.LBB67_246:
	s_endpgm
.LBB67_247:
	s_and_saveexec_b64 s[0:1], s[4:5]
	s_xor_b64 s[4:5], exec, s[0:1]
	s_cbranch_execz .LBB67_265
; %bb.248:
	s_and_saveexec_b64 s[0:1], s[6:7]
	s_xor_b64 s[0:1], exec, s[0:1]
; %bb.249:
	v_and_b32_e32 v1, 0x8000, v29
	v_mov_b32_e32 v2, 0x8000
	v_mov_b32_e32 v3, 0xffff
	v_cmp_eq_u32_e32 vcc, 0, v1
	s_nop 1
	v_cndmask_b32_e32 v1, v2, v3, vcc
	v_xor_b32_e32 v40, v1, v29
; %bb.250:
	s_or_b64 exec, exec, s[0:1]
	s_mov_b64 s[0:1], exec
	v_readlane_b32 s6, v56, 5
	v_readlane_b32 s7, v56, 6
	s_and_b64 s[6:7], s[0:1], s[6:7]
	s_mov_b64 exec, s[6:7]
; %bb.251:
	v_mov_b32_e32 v1, 0
	v_mov_b32_e32 v2, s60
	ds_write_b32 v1, v2 offset:4108
; %bb.252:
	s_or_b64 exec, exec, s[0:1]
	v_mov_b32_e32 v1, 0
	s_waitcnt lgkmcnt(0)
	s_barrier
	ds_read_b32 v1, v1 offset:4108
	s_waitcnt lgkmcnt(0)
	v_min_i32_e32 v1, s60, v1
	v_cmp_lt_i32_e32 vcc, v0, v1
	s_and_saveexec_b64 s[6:7], vcc
	s_cbranch_execz .LBB67_262
; %bb.253:
	v_lshlrev_b32_e32 v3, 16, v40
	v_cmp_u_f32_e32 vcc, v3, v3
	s_mov_b64 s[8:9], 0
	s_xor_b64 s[12:13], vcc, -1
                                        ; implicit-def: $sgpr10_sgpr11
                                        ; implicit-def: $sgpr16_sgpr17
                                        ; implicit-def: $sgpr14_sgpr15
	s_branch .LBB67_255
.LBB67_254:                             ;   in Loop: Header=BB67_255 Depth=1
	s_or_b64 exec, exec, s[0:1]
	s_and_b64 s[0:1], exec, s[16:17]
	s_or_b64 s[8:9], s[0:1], s[8:9]
	s_andn2_b64 s[0:1], s[10:11], exec
	s_and_b64 s[10:11], s[14:15], exec
	s_or_b64 s[10:11], s[0:1], s[10:11]
	s_andn2_b64 exec, exec, s[8:9]
	s_cbranch_execz .LBB67_257
.LBB67_255:                             ; =>This Inner Loop Header: Depth=1
	v_ashrrev_i32_e32 v7, 31, v6
	v_lshl_add_u64 v[4:5], v[6:7], 1, s[72:73]
	global_load_ushort v4, v[4:5], off
	v_mov_b32_e32 v2, v0
	s_or_b64 s[14:15], s[14:15], exec
	s_or_b64 s[16:17], s[16:17], exec
	s_waitcnt vmcnt(0)
	v_lshlrev_b32_e32 v0, 16, v4
	v_cmp_o_f32_e64 s[0:1], v0, v0
	v_cmp_neq_f32_e32 vcc, v0, v3
	s_or_b64 s[0:1], s[12:13], s[0:1]
	s_and_b64 s[18:19], vcc, s[0:1]
                                        ; implicit-def: $vgpr0
	s_and_saveexec_b64 s[0:1], s[18:19]
	s_cbranch_execz .LBB67_254
; %bb.256:                              ;   in Loop: Header=BB67_255 Depth=1
	v_add_u32_e32 v0, s64, v2
	v_cmp_ge_i32_e32 vcc, v0, v1
	s_andn2_b64 s[16:17], s[16:17], exec
	s_and_b64 s[18:19], vcc, exec
	v_add_u32_e32 v6, s66, v6
	s_andn2_b64 s[14:15], s[14:15], exec
	s_or_b64 s[16:17], s[16:17], s[18:19]
	s_branch .LBB67_254
.LBB67_257:
	s_or_b64 exec, exec, s[8:9]
	s_and_saveexec_b64 s[0:1], s[10:11]
	s_xor_b64 s[0:1], exec, s[0:1]
	s_cbranch_execz .LBB67_262
; %bb.258:
	s_mov_b64 s[0:1], exec
	s_brev_b32 s8, -2
.LBB67_259:                             ; =>This Inner Loop Header: Depth=1
	s_ff1_i32_b64 s9, s[0:1]
	v_readlane_b32 s12, v2, s9
	s_lshl_b64 s[10:11], 1, s9
	s_min_i32 s8, s8, s12
	s_andn2_b64 s[0:1], s[0:1], s[10:11]
	s_cmp_lg_u64 s[0:1], 0
	s_cbranch_scc1 .LBB67_259
; %bb.260:
	v_mbcnt_lo_u32_b32 v0, exec_lo, 0
	v_mbcnt_hi_u32_b32 v0, exec_hi, v0
	v_cmp_eq_u32_e32 vcc, 0, v0
	s_and_saveexec_b64 s[0:1], vcc
	s_xor_b64 s[0:1], exec, s[0:1]
; %bb.261:
	v_mov_b32_e32 v0, 0
	v_mov_b32_e32 v1, s8
	ds_min_i32 v0, v1 offset:4108
.LBB67_262:
	s_or_b64 exec, exec, s[6:7]
	s_waitcnt lgkmcnt(0)
	s_barrier
	s_mov_b64 s[0:1], exec
	v_readlane_b32 s6, v56, 5
	v_readlane_b32 s7, v56, 6
	s_and_b64 s[6:7], s[0:1], s[6:7]
	s_mov_b64 exec, s[6:7]
	s_cbranch_execz .LBB67_264
; %bb.263:
	v_readlane_b32 s6, v56, 0
	s_mul_i32 s6, s6, s62
	v_readlane_b32 s7, v56, 7
	s_add_i32 s6, s6, s65
	s_mul_i32 s7, s7, s33
	s_add_i32 s8, s7, s67
	s_ashr_i32 s7, s6, 31
	v_mov_b32_e32 v2, 0
	s_lshl_b64 s[6:7], s[6:7], 1
	v_readlane_b32 s10, v56, 1
	ds_read_b32 v0, v2 offset:4108
	v_readlane_b32 s11, v56, 2
	s_add_u32 s6, s10, s6
	s_addc_u32 s7, s11, s7
	s_ashr_i32 s9, s8, 31
	s_lshl_b64 s[8:9], s[8:9], 3
	v_readlane_b32 s10, v56, 3
	v_readlane_b32 s11, v56, 4
	s_add_u32 s8, s10, s8
	s_addc_u32 s9, s11, s9
	s_waitcnt lgkmcnt(0)
	v_ashrrev_i32_e32 v1, 31, v0
	global_store_dwordx2 v2, v[0:1], s[8:9]
	global_store_short v2, v40, s[6:7]
.LBB67_264:
	s_or_b64 exec, exec, s[0:1]
.LBB67_265:
	s_or_saveexec_b64 s[0:1], s[4:5]
	s_mov_b64 s[4:5], 0
	s_xor_b64 exec, exec, s[0:1]
	s_cbranch_execnz .LBB67_268
.LBB67_266:
	s_or_b64 exec, exec, s[0:1]
	s_and_b64 s[0:1], s[4:5], exec
	s_andn2_saveexec_b64 s[2:3], s[2:3]
	s_cbranch_execz .LBB67_244
.LBB67_267:
	s_or_b64 s[0:1], s[0:1], exec
	s_trap 2
	s_or_b64 exec, exec, s[2:3]
	s_and_saveexec_b64 s[2:3], s[0:1]
	s_cbranch_execnz .LBB67_245
	s_branch .LBB67_246
.LBB67_268:
	s_mov_b64 s[4:5], exec
	s_trap 2
	s_branch .LBB67_266
	.section	.rodata,"a",@progbits
	.p2align	6, 0x0
	.amdhsa_kernel _ZN2at6native12_GLOBAL__N_114gatherKthValueIN3c108BFloat16EiLin1EEEvNS_4cuda6detail10TensorInfoIKT_T0_EESA_SA_SA_SA_NS7_IS8_SA_EENS7_IlSA_EE
		.amdhsa_group_segment_fixed_size 4112
		.amdhsa_private_segment_fixed_size 0
		.amdhsa_kernarg_size 920
		.amdhsa_user_sgpr_count 2
		.amdhsa_user_sgpr_dispatch_ptr 0
		.amdhsa_user_sgpr_queue_ptr 0
		.amdhsa_user_sgpr_kernarg_segment_ptr 1
		.amdhsa_user_sgpr_dispatch_id 0
		.amdhsa_user_sgpr_kernarg_preload_length 0
		.amdhsa_user_sgpr_kernarg_preload_offset 0
		.amdhsa_user_sgpr_private_segment_size 0
		.amdhsa_uses_dynamic_stack 0
		.amdhsa_enable_private_segment 0
		.amdhsa_system_sgpr_workgroup_id_x 1
		.amdhsa_system_sgpr_workgroup_id_y 1
		.amdhsa_system_sgpr_workgroup_id_z 1
		.amdhsa_system_sgpr_workgroup_info 0
		.amdhsa_system_vgpr_workitem_id 0
		.amdhsa_next_free_vgpr 57
		.amdhsa_next_free_sgpr 100
		.amdhsa_accum_offset 60
		.amdhsa_reserve_vcc 1
		.amdhsa_float_round_mode_32 0
		.amdhsa_float_round_mode_16_64 0
		.amdhsa_float_denorm_mode_32 3
		.amdhsa_float_denorm_mode_16_64 3
		.amdhsa_dx10_clamp 1
		.amdhsa_ieee_mode 1
		.amdhsa_fp16_overflow 0
		.amdhsa_tg_split 0
		.amdhsa_exception_fp_ieee_invalid_op 0
		.amdhsa_exception_fp_denorm_src 0
		.amdhsa_exception_fp_ieee_div_zero 0
		.amdhsa_exception_fp_ieee_overflow 0
		.amdhsa_exception_fp_ieee_underflow 0
		.amdhsa_exception_fp_ieee_inexact 0
		.amdhsa_exception_int_div_zero 0
	.end_amdhsa_kernel
	.section	.text._ZN2at6native12_GLOBAL__N_114gatherKthValueIN3c108BFloat16EiLin1EEEvNS_4cuda6detail10TensorInfoIKT_T0_EESA_SA_SA_SA_NS7_IS8_SA_EENS7_IlSA_EE,"axG",@progbits,_ZN2at6native12_GLOBAL__N_114gatherKthValueIN3c108BFloat16EiLin1EEEvNS_4cuda6detail10TensorInfoIKT_T0_EESA_SA_SA_SA_NS7_IS8_SA_EENS7_IlSA_EE,comdat
.Lfunc_end67:
	.size	_ZN2at6native12_GLOBAL__N_114gatherKthValueIN3c108BFloat16EiLin1EEEvNS_4cuda6detail10TensorInfoIKT_T0_EESA_SA_SA_SA_NS7_IS8_SA_EENS7_IlSA_EE, .Lfunc_end67-_ZN2at6native12_GLOBAL__N_114gatherKthValueIN3c108BFloat16EiLin1EEEvNS_4cuda6detail10TensorInfoIKT_T0_EESA_SA_SA_SA_NS7_IS8_SA_EENS7_IlSA_EE
                                        ; -- End function
	.set _ZN2at6native12_GLOBAL__N_114gatherKthValueIN3c108BFloat16EiLin1EEEvNS_4cuda6detail10TensorInfoIKT_T0_EESA_SA_SA_SA_NS7_IS8_SA_EENS7_IlSA_EE.num_vgpr, 57
	.set _ZN2at6native12_GLOBAL__N_114gatherKthValueIN3c108BFloat16EiLin1EEEvNS_4cuda6detail10TensorInfoIKT_T0_EESA_SA_SA_SA_NS7_IS8_SA_EENS7_IlSA_EE.num_agpr, 0
	.set _ZN2at6native12_GLOBAL__N_114gatherKthValueIN3c108BFloat16EiLin1EEEvNS_4cuda6detail10TensorInfoIKT_T0_EESA_SA_SA_SA_NS7_IS8_SA_EENS7_IlSA_EE.numbered_sgpr, 100
	.set _ZN2at6native12_GLOBAL__N_114gatherKthValueIN3c108BFloat16EiLin1EEEvNS_4cuda6detail10TensorInfoIKT_T0_EESA_SA_SA_SA_NS7_IS8_SA_EENS7_IlSA_EE.num_named_barrier, 0
	.set _ZN2at6native12_GLOBAL__N_114gatherKthValueIN3c108BFloat16EiLin1EEEvNS_4cuda6detail10TensorInfoIKT_T0_EESA_SA_SA_SA_NS7_IS8_SA_EENS7_IlSA_EE.private_seg_size, 0
	.set _ZN2at6native12_GLOBAL__N_114gatherKthValueIN3c108BFloat16EiLin1EEEvNS_4cuda6detail10TensorInfoIKT_T0_EESA_SA_SA_SA_NS7_IS8_SA_EENS7_IlSA_EE.uses_vcc, 1
	.set _ZN2at6native12_GLOBAL__N_114gatherKthValueIN3c108BFloat16EiLin1EEEvNS_4cuda6detail10TensorInfoIKT_T0_EESA_SA_SA_SA_NS7_IS8_SA_EENS7_IlSA_EE.uses_flat_scratch, 0
	.set _ZN2at6native12_GLOBAL__N_114gatherKthValueIN3c108BFloat16EiLin1EEEvNS_4cuda6detail10TensorInfoIKT_T0_EESA_SA_SA_SA_NS7_IS8_SA_EENS7_IlSA_EE.has_dyn_sized_stack, 0
	.set _ZN2at6native12_GLOBAL__N_114gatherKthValueIN3c108BFloat16EiLin1EEEvNS_4cuda6detail10TensorInfoIKT_T0_EESA_SA_SA_SA_NS7_IS8_SA_EENS7_IlSA_EE.has_recursion, 0
	.set _ZN2at6native12_GLOBAL__N_114gatherKthValueIN3c108BFloat16EiLin1EEEvNS_4cuda6detail10TensorInfoIKT_T0_EESA_SA_SA_SA_NS7_IS8_SA_EENS7_IlSA_EE.has_indirect_call, 0
	.section	.AMDGPU.csdata,"",@progbits
; Kernel info:
; codeLenInByte = 10840
; TotalNumSgprs: 106
; NumVgprs: 57
; NumAgprs: 0
; TotalNumVgprs: 57
; ScratchSize: 0
; MemoryBound: 0
; FloatMode: 240
; IeeeMode: 1
; LDSByteSize: 4112 bytes/workgroup (compile time only)
; SGPRBlocks: 13
; VGPRBlocks: 7
; NumSGPRsForWavesPerEU: 106
; NumVGPRsForWavesPerEU: 57
; AccumOffset: 60
; Occupancy: 7
; WaveLimiterHint : 1
; COMPUTE_PGM_RSRC2:SCRATCH_EN: 0
; COMPUTE_PGM_RSRC2:USER_SGPR: 2
; COMPUTE_PGM_RSRC2:TRAP_HANDLER: 0
; COMPUTE_PGM_RSRC2:TGID_X_EN: 1
; COMPUTE_PGM_RSRC2:TGID_Y_EN: 1
; COMPUTE_PGM_RSRC2:TGID_Z_EN: 1
; COMPUTE_PGM_RSRC2:TIDIG_COMP_CNT: 0
; COMPUTE_PGM_RSRC3_GFX90A:ACCUM_OFFSET: 14
; COMPUTE_PGM_RSRC3_GFX90A:TG_SPLIT: 0
	.section	.text._ZN2at6native12_GLOBAL__N_114gatherKthValueIN3c108BFloat16ElLi1EEEvNS_4cuda6detail10TensorInfoIKT_T0_EESA_SA_SA_SA_NS7_IS8_SA_EENS7_IlSA_EE,"axG",@progbits,_ZN2at6native12_GLOBAL__N_114gatherKthValueIN3c108BFloat16ElLi1EEEvNS_4cuda6detail10TensorInfoIKT_T0_EESA_SA_SA_SA_NS7_IS8_SA_EENS7_IlSA_EE,comdat
	.globl	_ZN2at6native12_GLOBAL__N_114gatherKthValueIN3c108BFloat16ElLi1EEEvNS_4cuda6detail10TensorInfoIKT_T0_EESA_SA_SA_SA_NS7_IS8_SA_EENS7_IlSA_EE ; -- Begin function _ZN2at6native12_GLOBAL__N_114gatherKthValueIN3c108BFloat16ElLi1EEEvNS_4cuda6detail10TensorInfoIKT_T0_EESA_SA_SA_SA_NS7_IS8_SA_EENS7_IlSA_EE
	.p2align	8
	.type	_ZN2at6native12_GLOBAL__N_114gatherKthValueIN3c108BFloat16ElLi1EEEvNS_4cuda6detail10TensorInfoIKT_T0_EESA_SA_SA_SA_NS7_IS8_SA_EENS7_IlSA_EE,@function
_ZN2at6native12_GLOBAL__N_114gatherKthValueIN3c108BFloat16ElLi1EEEvNS_4cuda6detail10TensorInfoIKT_T0_EESA_SA_SA_SA_NS7_IS8_SA_EENS7_IlSA_EE: ; @_ZN2at6native12_GLOBAL__N_114gatherKthValueIN3c108BFloat16ElLi1EEEvNS_4cuda6detail10TensorInfoIKT_T0_EESA_SA_SA_SA_NS7_IS8_SA_EENS7_IlSA_EE
; %bb.0:
	s_load_dwordx2 s[10:11], s[0:1], 0x500
	s_load_dwordx8 s[56:63], s[0:1], 0x1a0
	s_add_u32 s8, s0, 0x500
	s_addc_u32 s9, s1, 0
	s_mov_b32 s15, 0
	s_waitcnt lgkmcnt(0)
	s_mul_i32 s4, s11, s4
	s_add_i32 s3, s4, s3
	s_mul_i32 s3, s3, s10
	s_add_i32 s14, s3, s2
	v_mov_b64_e32 v[2:3], s[14:15]
	v_cmp_le_i64_e32 vcc, s[60:61], v[2:3]
	s_cbranch_vccnz .LBB68_274
; %bb.1:
	s_load_dwordx2 s[4:5], s[0:1], 0x430
                                        ; implicit-def: $vgpr70 : SGPR spill to VGPR lane
	v_cmp_eq_u32_e64 s[12:13], 0, v0
	s_waitcnt lgkmcnt(0)
	v_writelane_b32 v70, s4, 0
	s_nop 1
	v_writelane_b32 v70, s5, 1
	s_load_dwordx2 s[4:5], s[0:1], 0x360
	s_waitcnt lgkmcnt(0)
	v_writelane_b32 v70, s4, 2
	s_nop 1
	v_writelane_b32 v70, s5, 3
	s_load_dwordx2 s[4:5], s[0:1], 0x290
	;; [unrolled: 5-line block ×4, first 2 shown]
	s_load_dwordx2 s[4:5], s[0:1], 0x0
	s_mov_b64 s[0:1], exec
	v_writelane_b32 v70, s12, 8
	s_nop 1
	v_writelane_b32 v70, s13, 9
	s_and_b64 s[12:13], s[0:1], s[12:13]
	s_mov_b64 exec, s[12:13]
	s_cbranch_execz .LBB68_3
; %bb.2:
	v_mov_b32_e32 v2, 0
	v_mov_b32_e32 v4, s56
	;; [unrolled: 1-line block ×4, first 2 shown]
	ds_write_b32 v2, v2 offset:5136
	ds_write_b128 v2, v[2:5] offset:5120
.LBB68_3:
	s_or_b64 exec, exec, s[0:1]
	s_waitcnt lgkmcnt(0)
	s_mul_i32 s0, s7, s14
	s_mul_hi_u32 s1, s6, s14
	s_add_i32 s1, s1, s0
	s_mov_b32 s0, s14
	v_writelane_b32 v70, s0, 10
	v_mbcnt_lo_u32_b32 v1, -1, 0
	v_mbcnt_hi_u32_b32 v40, -1, v1
	v_writelane_b32 v70, s1, 11
	s_mul_i32 s0, s6, s14
	s_lshl_b64 s[0:1], s[0:1], 1
	s_add_u32 s0, s4, s0
	v_cmp_gt_u32_e32 vcc, 64, v0
	v_cmp_gt_i32_e64 s[6:7], 4, v40
	s_addc_u32 s1, s5, s1
	s_and_b64 s[80:81], vcc, s[6:7]
	v_cmp_gt_u32_e64 s[6:7], 2, v0
	v_mov_b64_e32 v[4:5], 0x600
	s_nop 0
	v_writelane_b32 v70, s6, 12
	s_barrier
	s_nop 0
	v_writelane_b32 v70, s7, 13
	v_cmp_gt_i64_e64 s[6:7], s[56:57], v[4:5]
	s_load_dword s3, s[8:9], 0xc
	v_mov_b32_e32 v3, 0
	v_writelane_b32 v70, s6, 14
	v_mov_b32_e32 v1, v3
	v_mov_b32_e32 v19, -1
	v_writelane_b32 v70, s7, 15
	v_mad_u64_u32 v[4:5], s[6:7], s62, v0, 0
	v_mov_b32_e32 v2, v5
	v_mad_u64_u32 v[6:7], s[6:7], s63, v0, v[2:3]
	v_cmp_gt_i64_e64 s[6:7], s[56:57], v[0:1]
	v_lshlrev_b32_e32 v2, 2, v40
	s_waitcnt lgkmcnt(0)
	s_and_b32 s72, s3, 0xffff
	s_bfe_u32 s3, s3, 0xa0006
	v_writelane_b32 v70, s6, 16
	v_and_b32_e32 v43, 0x100, v2
	s_cmp_gt_u32 s72, 63
	v_lshrrev_b32_e32 v2, 1, v0
	v_writelane_b32 v70, s7, 17
	s_cselect_b64 s[6:7], -1, 0
	v_and_b32_e32 v2, 0x1e0, v2
	v_mov_b32_e32 v5, v6
	v_lshlrev_b64 v[6:7], v40, -1
	v_writelane_b32 v70, s6, 18
	v_or_b32_e32 v44, 0xc00, v2
	v_add_u32_e32 v2, 2, v0
	v_not_b32_e32 v16, v6
	v_writelane_b32 v70, s7, 19
	s_add_u32 s6, s72, -1
	v_mov_b32_e32 v6, s57
	v_cmp_gt_i64_e32 vcc, s[56:57], v[2:3]
	v_not_b32_e32 v17, v7
	s_addc_u32 s7, 0, -1
	v_cndmask_b32_e32 v7, 0, v6, vcc
	v_mov_b32_e32 v6, s56
	s_add_u32 s92, s6, s56
	v_cndmask_b32_e32 v6, v2, v6, vcc
	v_not_b32_e32 v18, v0
	v_writelane_b32 v70, s6, 20
	s_addc_u32 s65, s7, s57
	v_lshl_add_u64 v[6:7], v[6:7], 0, v[18:19]
	v_writelane_b32 v70, s7, 21
	s_cmp_lt_u32 s2, s10
	v_cmp_lt_u64_e64 s[6:7], 3, v[6:7]
	s_cselect_b32 s2, 12, 18
	s_add_u32 s82, s8, s2
	v_writelane_b32 v70, s6, 22
	v_and_b32_e32 v20, -4, v6
	v_mov_b32_e32 v21, v7
	v_writelane_b32 v70, s7, 23
	s_mov_b32 s2, s63
	v_writelane_b32 v70, s2, 24
	v_cmp_ne_u64_e64 s[6:7], v[6:7], v[20:21]
	s_addc_u32 s83, s9, 0
	s_add_i32 s2, s3, -1
	v_writelane_b32 v70, s6, 25
	s_and_b32 s2, s2, 0xffff
	v_lshlrev_b32_e32 v18, 3, v0
	v_writelane_b32 v70, s7, 26
	s_bfe_u32 s6, s72, 0x30006
	s_cmp_gt_u32 s2, 6
	s_cselect_b64 s[8:9], -1, 0
	v_writelane_b32 v70, s8, 27
	s_and_b32 s74, s3, 0x3f8
	s_cmp_lg_u32 s6, 0
	v_writelane_b32 v70, s9, 28
	v_writelane_b32 v70, s6, 29
	s_cselect_b64 s[2:3], -1, 0
	v_writelane_b32 v70, s2, 30
	v_or_b32_e32 v6, 6, v18
	s_mov_b32 s75, s63
	v_writelane_b32 v70, s3, 31
	s_lshl_b64 s[2:3], s[62:63], 1
	v_writelane_b32 v70, s2, 32
	s_mov_b32 s66, s62
	s_mov_b32 s79, 0
	v_writelane_b32 v70, s3, 33
	v_mad_u64_u32 v[24:25], s[2:3], s62, v6, 0
	v_mov_b32_e32 v2, v25
	v_mad_u64_u32 v[6:7], s[2:3], s63, v6, v[2:3]
	v_mov_b32_e32 v25, v6
	v_or_b32_e32 v6, 4, v18
	v_mad_u64_u32 v[26:27], s[2:3], s62, v6, 0
	v_mov_b32_e32 v2, v27
	v_mad_u64_u32 v[6:7], s[2:3], s63, v6, v[2:3]
	v_mov_b32_e32 v27, v6
	v_or_b32_e32 v6, 2, v18
	v_mad_u64_u32 v[28:29], s[2:3], s62, v6, 0
	v_mov_b32_e32 v2, v29
	v_mad_u64_u32 v[6:7], s[2:3], s63, v6, v[2:3]
	s_mul_i32 s2, s63, s72
	s_mul_hi_u32 s3, s62, s72
	s_add_i32 s3, s3, s2
	s_mul_i32 s2, s62, s72
	s_lshl_b64 s[76:77], s[2:3], 1
	v_writelane_b32 v70, s76, 34
	v_lshlrev_b32_e32 v41, 1, v0
	s_mov_b32 s51, s63
	v_writelane_b32 v70, s77, 35
	v_writelane_b32 v70, s80, 36
	v_mov_b32_e32 v2, 0xc00
	v_cmp_eq_u32_e64 s[4:5], 0, v40
	v_writelane_b32 v70, s81, 37
	v_writelane_b32 v70, s82, 38
	v_add_u32_e32 v42, 0xc00, v41
	v_lshl_add_u64 v[12:13], v[4:5], 1, s[0:1]
	v_writelane_b32 v70, s83, 39
	v_writelane_b32 v70, s75, 40
	;; [unrolled: 1-line block ×3, first 2 shown]
	v_lshlrev_b32_e32 v14, 2, v0
	v_mov_b32_e32 v15, v3
	s_mov_b32 s33, 0xffff
	s_mov_b32 s73, s79
	v_lshl_add_u64 v[22:23], v[20:21], 0, v[0:1]
	s_mov_b32 s85, s62
	s_mov_b32 s84, s63
	;; [unrolled: 1-line block ×4, first 2 shown]
	s_lshl_b64 s[94:95], s[62:63], 3
	v_mov_b32_e32 v29, v6
	v_lshlrev_b64 v[30:31], 3, v[4:5]
	v_lshl_add_u64 v[32:33], s[56:57], 0, v[0:1]
	v_lshl_or_b32 v46, v40, 3, v2
	s_lshl_b32 s52, s72, 1
	s_mov_b32 s86, 14
	s_mov_b64 s[96:97], 0
	v_mov_b64_e32 v[34:35], s[58:59]
	s_mov_b32 s53, 0x5040100
	v_mov_b64_e32 v[54:55], s[56:57]
	s_movk_i32 s55, 0x3f80
	v_mov_b32_e32 v47, 0xffff
	v_mov_b32_e32 v48, 0x8000
	v_mov_b32_e32 v49, 0x5040100
	v_mov_b32_e32 v51, 0
	v_mov_b32_e32 v45, 0
	v_mov_b32_e32 v50, 0
	s_mov_b32 s67, 0
	v_writelane_b32 v70, s51, 42
                                        ; implicit-def: $sgpr2_sgpr3
                                        ; implicit-def: $sgpr60_sgpr61
                                        ; implicit-def: $sgpr98_sgpr99
                                        ; implicit-def: $sgpr68_sgpr69
                                        ; implicit-def: $sgpr58_sgpr59
                                        ; implicit-def: $sgpr70_sgpr71
	v_writelane_b32 v70, s52, 43
	s_branch .LBB68_7
.LBB68_4:                               ;   in Loop: Header=BB68_7 Depth=1
	s_or_b64 exec, exec, s[12:13]
	s_and_b64 s[8:9], s[8:9], exec
	s_andn2_b64 s[24:25], s[24:25], exec
	s_andn2_b64 s[2:3], s[2:3], exec
	s_orn2_b64 s[18:19], s[10:11], exec
.LBB68_5:                               ;   in Loop: Header=BB68_7 Depth=1
	s_or_b64 exec, exec, s[6:7]
	s_andn2_b64 s[6:7], s[70:71], exec
	s_and_b64 s[8:9], s[8:9], exec
	s_or_b64 s[20:21], s[6:7], s[8:9]
	s_andn2_b64 s[6:7], s[58:59], exec
	s_and_b64 s[8:9], s[24:25], exec
	s_or_b64 s[58:59], s[6:7], s[8:9]
	;; [unrolled: 3-line block ×3, first 2 shown]
	s_orn2_b64 s[2:3], s[18:19], exec
.LBB68_6:                               ;   in Loop: Header=BB68_7 Depth=1
	s_or_b64 exec, exec, s[16:17]
	s_and_b64 s[2:3], exec, s[2:3]
	s_or_b64 s[96:97], s[2:3], s[96:97]
	s_andn2_b64 s[2:3], s[98:99], exec
	s_and_b64 s[6:7], s[20:21], exec
	s_or_b64 s[98:99], s[2:3], s[6:7]
	s_andn2_b64 s[2:3], s[60:61], exec
	s_and_b64 s[6:7], s[58:59], exec
	s_or_b64 s[60:61], s[2:3], s[6:7]
	v_readlane_b32 s2, v70, 44
	v_readlane_b32 s3, v70, 45
	s_andn2_b64 s[2:3], s[2:3], exec
	s_and_b64 s[6:7], s[68:69], exec
	s_mov_b64 s[70:71], s[20:21]
	s_or_b64 s[2:3], s[2:3], s[6:7]
	v_mov_b64_e32 v[34:35], v[8:9]
	s_andn2_b64 exec, exec, s[96:97]
	s_cbranch_execz .LBB68_270
.LBB68_7:                               ; =>This Loop Header: Depth=1
                                        ;     Child Loop BB68_12 Depth 2
                                        ;     Child Loop BB68_26 Depth 2
	;; [unrolled: 1-line block ×17, first 2 shown]
	ds_read_b128 v[4:7], v3 offset:5120
	v_writelane_b32 v70, s2, 44
	s_waitcnt lgkmcnt(0)
	v_readfirstlane_b32 s13, v5
	v_readfirstlane_b32 s12, v4
	v_writelane_b32 v70, s3, 45
	s_nop 0
	v_cmp_gt_i64_e64 s[2:3], s[12:13], 0
	s_and_b64 vcc, exec, s[2:3]
	s_cbranch_vccnz .LBB68_39
; %bb.8:                                ;   in Loop: Header=BB68_7 Depth=1
	v_readlane_b32 s2, v70, 14
	v_readlane_b32 s3, v70, 15
	s_and_b64 vcc, exec, s[2:3]
	s_cbranch_vccz .LBB68_20
; %bb.9:                                ;   in Loop: Header=BB68_7 Depth=1
	s_mov_b64 s[2:3], 0x601
	v_cmp_gt_i64_e32 vcc, s[2:3], v[6:7]
	s_mov_b64 s[6:7], 0
	s_mov_b64 s[2:3], 0
	s_cbranch_vccz .LBB68_21
; %bb.10:                               ;   in Loop: Header=BB68_7 Depth=1
	global_load_ushort v6, v3, s[82:83]
	global_load_ushort v8, v[12:13], off
	v_mov_b64_e32 v[4:5], s[0:1]
	v_readlane_b32 s14, v70, 32
	v_readlane_b32 s15, v70, 33
	s_mov_b64 s[8:9], 0
	s_waitcnt vmcnt(1)
	v_and_b32_e32 v2, 0xffff, v6
	v_readfirstlane_b32 s2, v6
	v_lshl_add_u64 v[6:7], v[0:1], 0, v[2:3]
	s_and_b32 s10, 0xffff, s2
	v_mad_u64_u32 v[4:5], s[2:3], s14, v6, v[4:5]
	v_mul_lo_u32 v7, s14, v7
	v_mul_lo_u32 v9, s15, v6
	s_mul_i32 s2, s15, s10
	s_mul_hi_u32 s3, s14, s10
	s_mul_i32 s10, s14, s10
	v_add3_u32 v5, v9, v5, v7
	s_add_i32 s11, s3, s2
	v_mov_b64_e32 v[6:7], v[0:1]
	s_branch .LBB68_12
.LBB68_11:                              ;   in Loop: Header=BB68_12 Depth=2
	s_or_b64 exec, exec, s[2:3]
	v_lshl_add_u64 v[4:5], v[4:5], 0, s[10:11]
	v_mov_b32_e32 v8, v9
	s_andn2_b64 exec, exec, s[8:9]
	s_cbranch_execz .LBB68_73
.LBB68_12:                              ;   Parent Loop BB68_7 Depth=1
                                        ; =>  This Inner Loop Header: Depth=2
	v_lshl_add_u64 v[6:7], v[6:7], 0, v[2:3]
	v_cmp_gt_i64_e64 s[2:3], s[56:57], v[6:7]
	v_cmp_le_i64_e32 vcc, s[56:57], v[6:7]
	s_waitcnt lgkmcnt(0)
	v_mov_b32_e32 v10, 0
	v_mov_b32_e32 v9, 0
	s_and_saveexec_b64 s[14:15], s[2:3]
	s_cbranch_execz .LBB68_14
; %bb.13:                               ;   in Loop: Header=BB68_12 Depth=2
	global_load_ushort v9, v[4:5], off
.LBB68_14:                              ;   in Loop: Header=BB68_12 Depth=2
	s_or_b64 exec, exec, s[14:15]
	s_waitcnt vmcnt(0)
	v_cmp_lt_i16_e64 s[2:3], -1, v8
	v_lshlrev_b32_e32 v36, 16, v8
	s_nop 0
	v_cndmask_b32_e64 v11, v47, v48, s[2:3]
	v_xor_b32_sdwa v11, v11, v8 dst_sel:DWORD dst_unused:UNUSED_PAD src0_sel:DWORD src1_sel:WORD_0
	v_cmp_o_f32_e64 s[2:3], v36, v36
	s_nop 1
	v_cndmask_b32_e64 v11, v47, v11, s[2:3]
	v_and_b32_e32 v11, v11, v50
	v_cmp_eq_u32_e64 s[14:15], v11, v45
	s_cmp_lg_u64 s[14:15], 0
	s_cselect_b64 s[2:3], -1, 0
	s_and_b64 s[2:3], s[4:5], s[2:3]
	s_and_saveexec_b64 s[16:17], s[2:3]
	s_cbranch_execz .LBB68_18
; %bb.15:                               ;   in Loop: Header=BB68_12 Depth=2
	s_mov_b64 s[20:21], exec
	v_mbcnt_lo_u32_b32 v10, s20, 0
	v_mbcnt_hi_u32_b32 v10, s21, v10
	s_bcnt1_i32_b64 s13, s[14:15]
	v_cmp_eq_u32_e64 s[2:3], 0, v10
                                        ; implicit-def: $vgpr11
	s_and_saveexec_b64 s[18:19], s[2:3]
; %bb.16:                               ;   in Loop: Header=BB68_12 Depth=2
	s_bcnt1_i32_b64 s2, s[20:21]
	s_mul_i32 s2, s13, s2
	v_mov_b32_e32 v11, s2
	ds_add_rtn_u32 v11, v3, v11 offset:5136
; %bb.17:                               ;   in Loop: Header=BB68_12 Depth=2
	s_or_b64 exec, exec, s[18:19]
	s_waitcnt lgkmcnt(0)
	v_readfirstlane_b32 s2, v11
	s_nop 1
	v_mov_b32_e32 v11, s2
	v_mad_u32_u24 v10, s13, v10, v11
.LBB68_18:                              ;   in Loop: Header=BB68_12 Depth=2
	s_or_b64 exec, exec, s[16:17]
	ds_bpermute_b32 v10, v43, v10
	s_and_b64 s[2:3], exec, vcc
	s_or_b64 s[8:9], s[2:3], s[8:9]
	s_and_saveexec_b64 s[2:3], s[14:15]
	s_cbranch_execz .LBB68_11
; %bb.19:                               ;   in Loop: Header=BB68_12 Depth=2
	v_and_b32_e32 v36, s14, v16
	v_and_b32_e32 v11, s15, v17
	v_bcnt_u32_b32 v36, v36, 0
	v_bcnt_u32_b32 v11, v11, v36
	v_lshlrev_b32_e32 v11, 1, v11
	s_waitcnt lgkmcnt(0)
	v_lshl_add_u32 v10, v10, 1, v11
	ds_write_b16 v10, v8
	s_branch .LBB68_11
.LBB68_20:                              ;   in Loop: Header=BB68_7 Depth=1
	s_mov_b64 s[6:7], -1
	s_mov_b64 s[2:3], 0
.LBB68_21:                              ;   in Loop: Header=BB68_7 Depth=1
	s_and_b64 vcc, exec, s[6:7]
	s_cbranch_vccz .LBB68_37
.LBB68_22:                              ;   in Loop: Header=BB68_7 Depth=1
	s_mov_b64 s[2:3], exec
	v_readlane_b32 s6, v70, 16
	v_readlane_b32 s7, v70, 17
	s_and_b64 s[6:7], s[2:3], s[6:7]
	s_mov_b64 exec, s[6:7]
	s_cbranch_execz .LBB68_34
; %bb.23:                               ;   in Loop: Header=BB68_7 Depth=1
	global_load_ushort v2, v3, s[82:83]
	global_load_ushort v38, v[12:13], off
	v_mov_b32_e32 v8, v0
	s_waitcnt vmcnt(1)
	v_readfirstlane_b32 s8, v2
	v_add_u32_sdwa v2, v2, v0 dst_sel:DWORD dst_unused:UNUSED_PAD src0_sel:WORD_0 src1_sel:DWORD
	v_cmp_gt_i64_e32 vcc, s[56:57], v[2:3]
	s_and_saveexec_b64 s[6:7], vcc
	s_cbranch_execz .LBB68_33
; %bb.24:                               ;   in Loop: Header=BB68_7 Depth=1
	s_and_b32 s78, s8, 0xffff
	s_cmp_eq_u32 s78, 1
	v_readlane_b32 s10, v70, 22
	s_cselect_b64 s[8:9], -1, 0
	v_readlane_b32 s11, v70, 23
	s_and_b64 s[14:15], s[10:11], s[8:9]
	s_mov_b64 s[10:11], -1
	v_mov_b64_e32 v[6:7], v[0:1]
	v_mov_b64_e32 v[4:5], v[2:3]
                                        ; implicit-def: $vgpr8_vgpr9
	s_and_saveexec_b64 s[8:9], s[14:15]
	s_cbranch_execz .LBB68_28
; %bb.25:                               ;   in Loop: Header=BB68_7 Depth=1
	v_lshl_add_u64 v[8:9], v[2:3], 0, 3
	v_lshl_add_u64 v[6:7], v[2:3], 0, 2
	;; [unrolled: 1-line block ×3, first 2 shown]
	v_mov_b64_e32 v[10:11], v[8:9]
	s_waitcnt vmcnt(0)
	v_lshlrev_b32_e32 v52, 16, v38
	s_mov_b64 s[10:11], 0
	v_mov_b64_e32 v[36:37], v[20:21]
	v_mov_b32_e32 v39, v41
	v_mov_b64_e32 v[8:9], v[6:7]
	v_mov_b64_e32 v[6:7], v[4:5]
	;; [unrolled: 1-line block ×3, first 2 shown]
	v_readlane_b32 s13, v70, 24
.LBB68_26:                              ;   Parent Loop BB68_7 Depth=1
                                        ; =>  This Inner Loop Header: Depth=2
	v_mul_lo_u32 v38, v11, s66
	v_mul_lo_u32 v53, v10, s51
	v_mad_u64_u32 v[56:57], s[14:15], v10, s66, 0
	v_mul_lo_u32 v64, v9, s91
	v_mul_lo_u32 v65, v8, s13
	v_mad_u64_u32 v[58:59], s[14:15], v8, s91, 0
	;; [unrolled: 3-line block ×4, first 2 shown]
	v_add3_u32 v57, v57, v53, v38
	v_add3_u32 v59, v59, v65, v64
	;; [unrolled: 1-line block ×4, first 2 shown]
	v_lshl_add_u64 v[58:59], v[58:59], 1, s[0:1]
	v_lshl_add_u64 v[56:57], v[56:57], 1, s[0:1]
	v_lshl_add_u64 v[62:63], v[62:63], 1, s[0:1]
	v_lshl_add_u64 v[60:61], v[60:61], 1, s[0:1]
	global_load_ushort v53, v[58:59], off
	global_load_ushort v38, v[56:57], off
	s_nop 0
	global_load_ushort v56, v[60:61], off
	global_load_ushort v57, v[62:63], off
	v_lshl_add_u64 v[36:37], v[36:37], 0, -4
	v_cmp_eq_u64_e32 vcc, 0, v[36:37]
	v_lshl_add_u64 v[10:11], v[10:11], 0, 4
	v_lshl_add_u64 v[8:9], v[8:9], 0, 4
	;; [unrolled: 1-line block ×4, first 2 shown]
	s_or_b64 s[10:11], vcc, s[10:11]
	s_waitcnt vmcnt(2)
	v_perm_b32 v58, v38, v53, s53
	s_waitcnt vmcnt(1)
	v_perm_b32 v53, v53, v56, s53
	s_waitcnt vmcnt(0)
	v_alignbit_b32 v52, v57, v52, 16
	ds_write_b64 v39, v[52:53]
	v_add_u32_e32 v39, 8, v39
	v_mov_b32_e32 v52, v58
	s_andn2_b64 exec, exec, s[10:11]
	s_cbranch_execnz .LBB68_26
; %bb.27:                               ;   in Loop: Header=BB68_7 Depth=1
	s_or_b64 exec, exec, s[10:11]
	v_readlane_b32 s10, v70, 25
	v_lshl_add_u64 v[4:5], v[2:3], 0, v[20:21]
	v_readlane_b32 s11, v70, 26
	v_lshl_add_u64 v[8:9], v[4:5], 0, -1
	s_orn2_b64 s[10:11], s[10:11], exec
	v_mov_b64_e32 v[6:7], v[22:23]
.LBB68_28:                              ;   in Loop: Header=BB68_7 Depth=1
	s_or_b64 exec, exec, s[8:9]
	s_and_saveexec_b64 s[8:9], s[10:11]
	s_cbranch_execz .LBB68_32
; %bb.29:                               ;   in Loop: Header=BB68_7 Depth=1
	v_mov_b64_e32 v[8:9], s[0:1]
	v_readlane_b32 s18, v70, 32
	v_readlane_b32 s19, v70, 33
	s_sub_u32 s10, 0, s78
	v_mad_u64_u32 v[8:9], s[16:17], s18, v4, v[8:9]
	v_mul_lo_u32 v2, s18, v5
	v_mul_lo_u32 v7, s19, v4
	s_mul_i32 s13, s19, s78
	s_mul_hi_u32 s16, s18, s78
	s_mov_b64 s[14:15], 0
	s_subb_u32 s11, 0, 0
	v_add3_u32 v9, v7, v9, v2
	s_add_i32 s17, s16, s13
	s_mul_i32 s16, s18, s78
.LBB68_30:                              ;   Parent Loop BB68_7 Depth=1
                                        ; =>  This Inner Loop Header: Depth=2
	s_waitcnt vmcnt(0)
	v_mov_b32_e32 v2, v38
	global_load_ushort v38, v[8:9], off
	v_mov_b64_e32 v[10:11], v[4:5]
	v_lshlrev_b32_e32 v4, 1, v6
	ds_write_b16 v4, v2
	v_lshl_add_u64 v[4:5], v[10:11], 0, s[78:79]
	v_cmp_le_i64_e32 vcc, s[56:57], v[4:5]
	v_lshl_add_u64 v[8:9], v[8:9], 0, s[16:17]
	s_or_b64 s[14:15], vcc, s[14:15]
	v_mov_b64_e32 v[6:7], v[10:11]
	s_andn2_b64 exec, exec, s[14:15]
	s_cbranch_execnz .LBB68_30
; %bb.31:                               ;   in Loop: Header=BB68_7 Depth=1
	s_or_b64 exec, exec, s[14:15]
	v_lshl_add_u64 v[8:9], s[10:11], 0, v[4:5]
.LBB68_32:                              ;   in Loop: Header=BB68_7 Depth=1
	s_or_b64 exec, exec, s[8:9]
.LBB68_33:                              ;   in Loop: Header=BB68_7 Depth=1
	s_or_b64 exec, exec, s[6:7]
	v_lshlrev_b32_e32 v2, 1, v8
	s_waitcnt vmcnt(0)
	ds_write_b16 v2, v38
.LBB68_34:                              ;   in Loop: Header=BB68_7 Depth=1
	s_or_b64 exec, exec, s[2:3]
	s_waitcnt lgkmcnt(0)
	s_barrier
	s_mov_b64 s[2:3], exec
	v_readlane_b32 s6, v70, 8
	v_readlane_b32 s7, v70, 9
	s_and_b64 s[6:7], s[2:3], s[6:7]
	s_mov_b64 exec, s[6:7]
; %bb.35:                               ;   in Loop: Header=BB68_7 Depth=1
	ds_write_b64 v3, v[54:55] offset:5120
; %bb.36:                               ;   in Loop: Header=BB68_7 Depth=1
	s_or_b64 exec, exec, s[2:3]
	s_mov_b64 s[2:3], -1
	s_waitcnt lgkmcnt(0)
	s_barrier
.LBB68_37:                              ;   in Loop: Header=BB68_7 Depth=1
	s_and_b64 vcc, exec, s[2:3]
	s_cbranch_vccz .LBB68_39
; %bb.38:                               ;   in Loop: Header=BB68_7 Depth=1
	ds_read_b64 v[4:5], v3 offset:5120
	s_waitcnt lgkmcnt(0)
	v_readfirstlane_b32 s12, v4
.LBB68_39:                              ;   in Loop: Header=BB68_7 Depth=1
	s_cmp_lt_i32 s12, 1
	s_mov_b64 s[2:3], -1
                                        ; implicit-def: $vgpr4_vgpr5
                                        ; implicit-def: $vgpr8_vgpr9
	s_cbranch_scc1 .LBB68_49
; %bb.40:                               ;   in Loop: Header=BB68_7 Depth=1
	s_and_b64 vcc, exec, s[2:3]
	s_cbranch_vccnz .LBB68_63
.LBB68_41:                              ;   in Loop: Header=BB68_7 Depth=1
	s_lshl_b32 s6, s67, 6
	s_and_saveexec_b64 s[2:3], s[4:5]
	s_cbranch_execz .LBB68_43
.LBB68_42:                              ;   in Loop: Header=BB68_7 Depth=1
	v_lshl_add_u32 v2, s6, 3, v44
	ds_write_b128 v2, v[4:7]
	ds_write_b128 v2, v[8:11] offset:16
.LBB68_43:                              ;   in Loop: Header=BB68_7 Depth=1
	s_or_b64 exec, exec, s[2:3]
	s_waitcnt lgkmcnt(0)
	s_barrier
	s_and_saveexec_b64 s[2:3], s[80:81]
	s_cbranch_execz .LBB68_81
; %bb.44:                               ;   in Loop: Header=BB68_7 Depth=1
	v_readlane_b32 s8, v70, 18
	v_readlane_b32 s9, v70, 19
	s_andn2_b64 vcc, exec, s[8:9]
	v_mov_b64_e32 v[4:5], 0
	s_cbranch_vccnz .LBB68_80
; %bb.45:                               ;   in Loop: Header=BB68_7 Depth=1
	v_readlane_b32 s8, v70, 27
	v_readlane_b32 s9, v70, 28
	s_andn2_b64 vcc, exec, s[8:9]
	s_cbranch_vccnz .LBB68_76
; %bb.46:                               ;   in Loop: Header=BB68_7 Depth=1
	v_lshl_add_u32 v2, s67, 9, v46
	v_mov_b64_e32 v[4:5], 0
	s_mov_b32 s7, 0
.LBB68_47:                              ;   Parent Loop BB68_7 Depth=1
                                        ; =>  This Inner Loop Header: Depth=2
	ds_read2_b64 v[6:9], v2 offset1:4
	ds_read2_b64 v[36:39], v2 offset0:8 offset1:12
	ds_read2_b64 v[56:59], v2 offset0:16 offset1:20
	;; [unrolled: 1-line block ×3, first 2 shown]
	s_add_i32 s7, s7, 8
	s_waitcnt lgkmcnt(3)
	v_lshl_add_u64 v[4:5], v[6:7], 0, v[4:5]
	v_lshl_add_u64 v[4:5], v[8:9], 0, v[4:5]
	s_waitcnt lgkmcnt(2)
	v_lshl_add_u64 v[4:5], v[36:37], 0, v[4:5]
	v_lshl_add_u64 v[4:5], v[38:39], 0, v[4:5]
	;; [unrolled: 3-line block ×3, first 2 shown]
	s_waitcnt lgkmcnt(0)
	v_lshl_add_u64 v[4:5], v[60:61], 0, v[4:5]
	v_add_u32_e32 v2, 0x100, v2
	s_cmp_eq_u32 s74, s7
	v_lshl_add_u64 v[4:5], v[62:63], 0, v[4:5]
	s_cbranch_scc0 .LBB68_47
; %bb.48:                               ;   in Loop: Header=BB68_7 Depth=1
	s_mov_b32 s7, s74
	s_branch .LBB68_77
.LBB68_49:                              ;   in Loop: Header=BB68_7 Depth=1
	global_load_ushort v2, v3, s[82:83]
	s_mov_b32 s2, s79
	s_waitcnt vmcnt(0)
	v_readfirstlane_b32 s3, v2
	s_and_b32 s10, s3, 0xffff
	s_lshl_b32 s78, s10, 2
	s_mov_b32 s3, s57
	s_cmp_lg_u64 s[2:3], 0
	s_cbranch_scc0 .LBB68_72
; %bb.50:                               ;   in Loop: Header=BB68_7 Depth=1
	s_add_u32 s2, s78, 0
	s_addc_u32 s3, 0, 0
	s_xor_b64 s[2:3], s[2:3], 0
	v_cvt_f32_u32_e32 v2, s2
	v_cvt_f32_u32_e32 v4, s3
	s_sub_u32 s8, 0, s2
	s_subb_u32 s9, 0, s3
	v_fmac_f32_e32 v2, 0x4f800000, v4
	v_rcp_f32_e32 v2, v2
	s_nop 0
	v_mul_f32_e32 v2, 0x5f7ffffc, v2
	v_mul_f32_e32 v4, 0x2f800000, v2
	v_trunc_f32_e32 v4, v4
	v_fmac_f32_e32 v2, 0xcf800000, v4
	v_cvt_u32_f32_e32 v4, v4
	v_cvt_u32_f32_e32 v2, v2
	v_readfirstlane_b32 s11, v4
	v_readfirstlane_b32 s6, v2
	s_mul_i32 s7, s8, s11
	s_mul_hi_u32 s14, s8, s6
	s_mul_i32 s13, s9, s6
	s_add_i32 s7, s14, s7
	s_mul_i32 s15, s8, s6
	s_add_i32 s7, s7, s13
	s_mul_i32 s14, s6, s7
	s_mul_hi_u32 s16, s6, s15
	s_mul_hi_u32 s13, s6, s7
	s_add_u32 s14, s16, s14
	s_addc_u32 s13, 0, s13
	s_mul_hi_u32 s17, s11, s15
	s_mul_i32 s15, s11, s15
	s_add_u32 s14, s14, s15
	s_mul_hi_u32 s16, s11, s7
	s_addc_u32 s13, s13, s17
	s_addc_u32 s14, s16, 0
	s_mul_i32 s7, s11, s7
	s_add_u32 s7, s13, s7
	s_addc_u32 s13, 0, s14
	s_add_u32 s14, s6, s7
	s_cselect_b64 s[6:7], -1, 0
	s_cmp_lg_u64 s[6:7], 0
	s_addc_u32 s11, s11, s13
	s_mul_i32 s6, s8, s11
	s_mul_hi_u32 s7, s8, s14
	s_add_i32 s6, s7, s6
	s_mul_i32 s9, s9, s14
	s_add_i32 s6, s6, s9
	s_mul_i32 s8, s8, s14
	s_mul_hi_u32 s9, s11, s8
	s_mul_i32 s13, s11, s8
	s_mul_i32 s16, s14, s6
	s_mul_hi_u32 s8, s14, s8
	s_mul_hi_u32 s15, s14, s6
	s_add_u32 s8, s8, s16
	s_addc_u32 s15, 0, s15
	s_add_u32 s8, s8, s13
	s_mul_hi_u32 s7, s11, s6
	s_addc_u32 s8, s15, s9
	s_addc_u32 s7, s7, 0
	s_mul_i32 s6, s11, s6
	s_add_u32 s6, s8, s6
	s_addc_u32 s8, 0, s7
	s_add_u32 s13, s14, s6
	s_cselect_b64 s[6:7], -1, 0
	s_cmp_lg_u64 s[6:7], 0
	s_addc_u32 s11, s11, s8
	s_ashr_i32 s6, s57, 31
	s_add_u32 s8, s56, s6
	s_mov_b32 s7, s6
	s_addc_u32 s9, s57, s6
	s_xor_b64 s[8:9], s[8:9], s[6:7]
	s_mul_i32 s15, s8, s11
	s_mul_hi_u32 s16, s8, s13
	s_mul_hi_u32 s14, s8, s11
	s_add_u32 s15, s16, s15
	s_addc_u32 s14, 0, s14
	s_mul_hi_u32 s17, s9, s13
	s_mul_i32 s13, s9, s13
	s_add_u32 s13, s15, s13
	s_mul_hi_u32 s16, s9, s11
	s_addc_u32 s13, s14, s17
	s_addc_u32 s14, s16, 0
	s_mul_i32 s11, s9, s11
	s_add_u32 s11, s13, s11
	s_addc_u32 s13, 0, s14
	s_mul_i32 s13, s2, s13
	s_mul_hi_u32 s14, s2, s11
	s_add_i32 s13, s14, s13
	s_mul_i32 s14, s3, s11
	s_add_i32 s13, s13, s14
	s_sub_i32 s16, s9, s13
	s_mul_i32 s11, s2, s11
	s_sub_u32 s8, s8, s11
	s_cselect_b64 s[14:15], -1, 0
	s_cmp_lg_u64 s[14:15], 0
	s_subb_u32 s11, s16, s3
	s_sub_u32 s18, s8, s2
	s_cselect_b64 s[16:17], -1, 0
	s_cmp_lg_u64 s[16:17], 0
	s_subb_u32 s19, s11, 0
	s_cmp_ge_u32 s19, s3
	s_cselect_b32 s20, -1, 0
	s_cmp_ge_u32 s18, s2
	s_cselect_b32 s21, -1, 0
	s_cmp_eq_u32 s19, s3
	s_cselect_b32 s20, s21, s20
	s_cmp_lg_u64 s[16:17], 0
	s_subb_u32 s11, s11, s3
	s_sub_u32 s21, s18, s2
	s_cselect_b64 s[16:17], -1, 0
	s_cmp_lg_u64 s[16:17], 0
	s_subb_u32 s11, s11, 0
	s_cmp_lg_u32 s20, 0
	s_cselect_b32 s16, s21, s18
	s_cselect_b32 s11, s11, s19
	s_cmp_lg_u64 s[14:15], 0
	s_subb_u32 s9, s9, s13
	s_cmp_ge_u32 s9, s3
	s_cselect_b32 s13, -1, 0
	s_cmp_ge_u32 s8, s2
	s_cselect_b32 s2, -1, 0
	s_cmp_eq_u32 s9, s3
	s_cselect_b32 s2, s2, s13
	s_cmp_lg_u32 s2, 0
	s_cselect_b32 s3, s11, s9
	s_cselect_b32 s2, s16, s8
	s_xor_b64 s[2:3], s[2:3], s[6:7]
	s_sub_u32 s88, s2, s6
	s_subb_u32 s89, s3, s6
	s_mov_b32 s66, s91
	s_mov_b32 s75, s90
	s_cbranch_execnz .LBB68_52
.LBB68_51:                              ;   in Loop: Header=BB68_7 Depth=1
	v_cvt_f32_u32_e32 v2, s78
	s_sub_i32 s2, 0, s78
	s_mov_b32 s89, s79
	v_rcp_iflag_f32_e32 v2, v2
	s_nop 0
	v_mul_f32_e32 v2, 0x4f7ffffe, v2
	v_cvt_u32_f32_e32 v2, v2
	s_nop 0
	v_readfirstlane_b32 s3, v2
	s_mul_i32 s2, s2, s3
	s_mul_hi_u32 s2, s3, s2
	s_add_i32 s3, s3, s2
	s_mul_hi_u32 s2, s56, s3
	s_mul_i32 s2, s2, s78
	s_sub_i32 s2, s56, s2
	s_sub_i32 s3, s2, s78
	s_cmp_ge_u32 s2, s78
	s_cselect_b32 s2, s3, s2
	s_sub_i32 s3, s2, s78
	s_cmp_ge_u32 s2, s78
	s_cselect_b32 s88, s3, s2
.LBB68_52:                              ;   in Loop: Header=BB68_7 Depth=1
	s_sub_u32 s90, s56, s88
	s_subb_u32 s91, s57, s89
	s_mov_b32 s11, s79
	v_cmp_gt_i64_e32 vcc, s[90:91], v[14:15]
	v_mov_b64_e32 v[4:5], 0
	v_mov_b64_e32 v[6:7], 0
	;; [unrolled: 1-line block ×4, first 2 shown]
	s_and_saveexec_b64 s[30:31], vcc
	s_cbranch_execz .LBB68_56
; %bb.53:                               ;   in Loop: Header=BB68_7 Depth=1
	s_mul_i32 s2, s95, s10
	s_mul_hi_u32 s3, s94, s10
	s_mov_b32 s93, s65
	s_add_i32 s13, s3, s2
	s_mov_b64 s[64:65], 0
	s_mov_b64 s[76:77], s[0:1]
	;; [unrolled: 1-line block ×6, first 2 shown]
	v_mov_b64_e32 v[36:37], v[14:15]
.LBB68_54:                              ;   Parent Loop BB68_7 Depth=1
                                        ; =>  This Inner Loop Header: Depth=2
	v_lshl_add_u64 v[4:5], s[76:77], 0, v[30:31]
	v_lshl_add_u64 v[6:7], s[76:77], 0, v[28:29]
	;; [unrolled: 1-line block ×4, first 2 shown]
	global_load_ushort v2, v[4:5], off
	s_nop 0
	global_load_ushort v4, v[6:7], off
	global_load_ushort v5, v[8:9], off
	s_nop 0
	global_load_ushort v6, v[10:11], off
	s_mul_i32 s87, s94, s10
	v_lshl_add_u64 v[36:37], v[36:37], 0, s[78:79]
	v_cmp_le_i64_e32 vcc, s[90:91], v[36:37]
	s_waitcnt vmcnt(3)
	v_cmp_lt_i16_e64 s[2:3], -1, v2
	s_nop 1
	v_cndmask_b32_e64 v11, v47, v48, s[2:3]
	s_waitcnt vmcnt(2)
	v_cmp_lt_i16_e64 s[2:3], -1, v4
	v_lshlrev_b32_e32 v7, 16, v2
	v_lshlrev_b32_e32 v8, 16, v4
	v_cndmask_b32_e64 v38, v47, v48, s[2:3]
	s_waitcnt vmcnt(1)
	v_cmp_lt_i16_e64 s[2:3], -1, v5
	v_xor_b32_sdwa v2, v11, v2 dst_sel:DWORD dst_unused:UNUSED_PAD src0_sel:DWORD src1_sel:WORD_0
	v_cmp_o_f32_e64 s[18:19], v7, v7
	v_cndmask_b32_e64 v39, v47, v48, s[2:3]
	s_waitcnt vmcnt(0)
	v_cmp_lt_i16_e64 s[2:3], -1, v6
	v_lshlrev_b32_e32 v9, 16, v5
	v_xor_b32_sdwa v4, v38, v4 dst_sel:DWORD dst_unused:UNUSED_PAD src0_sel:DWORD src1_sel:WORD_0
	v_cndmask_b32_e64 v52, v47, v48, s[2:3]
	v_cmp_o_f32_e64 s[2:3], v8, v8
	v_cndmask_b32_e64 v2, v47, v2, s[18:19]
	v_lshlrev_b32_e32 v10, 16, v6
	v_xor_b32_sdwa v5, v39, v5 dst_sel:DWORD dst_unused:UNUSED_PAD src0_sel:DWORD src1_sel:WORD_0
	v_cmp_o_f32_e64 s[14:15], v9, v9
	v_cndmask_b32_e64 v4, v47, v4, s[2:3]
	v_and_b32_e32 v7, v2, v50
	v_bfe_u32 v2, v2, s86, 2
	v_xor_b32_sdwa v6, v52, v6 dst_sel:DWORD dst_unused:UNUSED_PAD src0_sel:DWORD src1_sel:WORD_0
	v_cmp_o_f32_e64 s[16:17], v10, v10
	v_cndmask_b32_e64 v5, v47, v5, s[14:15]
	v_and_b32_e32 v8, v4, v50
	v_bfe_u32 v4, v4, s86, 2
	v_cmp_eq_u32_e64 s[2:3], v7, v45
	v_cmp_eq_u32_e64 s[20:21], 0, v2
	v_cndmask_b32_e64 v6, v47, v6, s[16:17]
	v_and_b32_e32 v9, v5, v50
	v_bfe_u32 v5, v5, s86, 2
	v_cmp_eq_u32_e64 s[14:15], v8, v45
	v_cmp_eq_u32_e64 s[22:23], 0, v4
	s_and_b64 s[20:21], s[2:3], s[20:21]
	v_and_b32_e32 v10, v6, v50
	v_bfe_u32 v6, v6, s86, 2
	v_cmp_eq_u32_e64 s[16:17], v9, v45
	v_cmp_eq_u32_e64 s[24:25], 0, v5
	;; [unrolled: 1-line block ×5, first 2 shown]
	v_cndmask_b32_e64 v2, 0, 1, s[20:21]
	s_and_b64 s[20:21], s[14:15], s[22:23]
	v_cmp_eq_u32_e64 s[18:19], v10, v45
	v_cmp_eq_u32_e64 s[26:27], 0, v6
	;; [unrolled: 1-line block ×5, first 2 shown]
	v_cndmask_b32_e64 v4, 0, 1, s[20:21]
	s_and_b64 s[20:21], s[16:17], s[24:25]
	v_cmp_eq_u32_e64 s[36:37], 1, v5
	v_cmp_eq_u32_e64 s[44:45], 2, v5
	;; [unrolled: 1-line block ×3, first 2 shown]
	v_cndmask_b32_e64 v5, 0, 1, s[20:21]
	s_and_b64 s[20:21], s[18:19], s[26:27]
	v_cmp_eq_u32_e64 s[38:39], 1, v6
	v_cmp_eq_u32_e64 s[46:47], 2, v6
	;; [unrolled: 1-line block ×3, first 2 shown]
	v_cndmask_b32_e64 v6, 0, 1, s[20:21]
	v_cmp_ne_u32_e64 s[20:21], 0, v2
	v_cmp_ne_u32_e64 s[22:23], 0, v4
	v_cmp_ne_u32_e64 s[24:25], 0, v5
	v_cmp_ne_u32_e64 s[26:27], 0, v6
	s_bcnt1_i32_b64 s20, s[20:21]
	s_bcnt1_i32_b64 s21, s[22:23]
	s_bcnt1_i32_b64 s22, s[24:25]
	s_bcnt1_i32_b64 s23, s[26:27]
	s_add_u32 s20, s20, s80
	s_addc_u32 s24, 0, s81
	s_add_u32 s20, s20, s21
	s_addc_u32 s21, s24, 0
	s_add_u32 s20, s20, s22
	s_addc_u32 s21, s21, 0
	s_add_u32 s80, s20, s23
	s_addc_u32 s81, s21, 0
	s_and_b64 s[20:21], s[2:3], s[28:29]
	v_cndmask_b32_e64 v2, 0, 1, s[20:21]
	s_and_b64 s[20:21], s[14:15], s[34:35]
	v_cndmask_b32_e64 v6, 0, 1, s[20:21]
	s_and_b64 s[20:21], s[16:17], s[36:37]
	v_cndmask_b32_e64 v7, 0, 1, s[20:21]
	s_and_b64 s[20:21], s[18:19], s[38:39]
	v_cndmask_b32_e64 v8, 0, 1, s[20:21]
	v_cmp_ne_u32_e64 s[20:21], 0, v2
	v_cmp_ne_u32_e64 s[22:23], 0, v6
	v_cmp_ne_u32_e64 s[24:25], 0, v7
	v_cmp_ne_u32_e64 s[26:27], 0, v8
	s_bcnt1_i32_b64 s20, s[20:21]
	s_bcnt1_i32_b64 s21, s[22:23]
	s_bcnt1_i32_b64 s22, s[24:25]
	s_bcnt1_i32_b64 s23, s[26:27]
	s_add_u32 s6, s20, s6
	s_addc_u32 s7, 0, s7
	s_add_u32 s6, s6, s21
	s_addc_u32 s7, s7, 0
	s_add_u32 s6, s6, s22
	s_addc_u32 s7, s7, 0
	s_add_u32 s6, s6, s23
	s_addc_u32 s7, s7, 0
	s_and_b64 s[20:21], s[2:3], s[40:41]
	v_cndmask_b32_e64 v2, 0, 1, s[20:21]
	s_and_b64 s[20:21], s[14:15], s[42:43]
	v_cndmask_b32_e64 v8, 0, 1, s[20:21]
	s_and_b64 s[20:21], s[16:17], s[44:45]
	v_cndmask_b32_e64 v9, 0, 1, s[20:21]
	s_and_b64 s[20:21], s[18:19], s[46:47]
	;; [unrolled: 24-line block ×3, first 2 shown]
	v_cndmask_b32_e64 v38, 0, 1, s[2:3]
	v_cmp_ne_u32_e64 s[2:3], 0, v2
	v_cmp_ne_u32_e64 s[14:15], 0, v10
	;; [unrolled: 1-line block ×4, first 2 shown]
	s_bcnt1_i32_b64 s2, s[2:3]
	s_bcnt1_i32_b64 s3, s[14:15]
	s_bcnt1_i32_b64 s14, s[16:17]
	s_bcnt1_i32_b64 s15, s[18:19]
	s_add_u32 s2, s2, s8
	s_addc_u32 s8, 0, s9
	s_add_u32 s2, s2, s3
	s_addc_u32 s3, s8, 0
	;; [unrolled: 2-line block ×5, first 2 shown]
	v_mov_b64_e32 v[4:5], s[80:81]
	v_mov_b64_e32 v[6:7], s[6:7]
	;; [unrolled: 1-line block ×3, first 2 shown]
	s_or_b64 s[64:65], vcc, s[64:65]
	v_mov_b64_e32 v[10:11], s[8:9]
	s_andn2_b64 exec, exec, s[64:65]
	s_cbranch_execnz .LBB68_54
; %bb.55:                               ;   in Loop: Header=BB68_7 Depth=1
	s_or_b64 exec, exec, s[64:65]
	v_readlane_b32 s76, v70, 34
	v_readlane_b32 s80, v70, 36
	;; [unrolled: 1-line block ×5, first 2 shown]
	s_mov_b32 s65, s93
	v_readlane_b32 s83, v70, 39
	v_readlane_b32 s51, v70, 42
	;; [unrolled: 1-line block ×3, first 2 shown]
	s_mov_b32 s53, 0x5040100
	s_movk_i32 s55, 0x3f80
.LBB68_56:                              ;   in Loop: Header=BB68_7 Depth=1
	s_or_b64 exec, exec, s[30:31]
	v_lshl_add_u64 v[36:37], s[90:91], 0, v[0:1]
	v_cmp_gt_i64_e32 vcc, s[56:57], v[36:37]
	s_and_saveexec_b64 s[6:7], vcc
	s_mov_b32 s90, s75
	v_readlane_b32 s75, v70, 40
	s_mov_b32 s91, s66
	v_readlane_b32 s66, v70, 41
	s_cbranch_execz .LBB68_62
; %bb.57:                               ;   in Loop: Header=BB68_7 Depth=1
	v_mul_lo_u32 v2, v37, s62
	v_mul_lo_u32 v52, v36, s63
	v_mad_u64_u32 v[38:39], s[2:3], v36, s62, 0
	v_add3_u32 v39, v39, v52, v2
	v_lshl_add_u64 v[38:39], v[38:39], 1, s[0:1]
	global_load_ushort v2, v[38:39], off
	v_lshl_add_u64 v[38:39], v[32:33], 0, s[10:11]
	v_mov_b32_e32 v52, s89
	v_subrev_co_u32_e32 v53, vcc, s88, v38
	v_readlane_b32 s8, v70, 32
	s_nop 0
	v_subb_co_u32_e32 v38, vcc, v39, v52, vcc
	v_mul_lo_u32 v52, s8, v38
	v_mov_b64_e32 v[38:39], s[0:1]
	v_readlane_b32 s9, v70, 33
	v_mad_u64_u32 v[38:39], s[2:3], s8, v53, v[38:39]
	s_nop 0
	v_mul_lo_u32 v56, s9, v53
	s_mul_i32 s2, s9, s10
	s_mul_hi_u32 s3, s8, s10
	v_add3_u32 v39, v56, v39, v52
	s_add_i32 s9, s3, s2
	s_mul_i32 s8, s8, s10
	s_mov_b64 s[14:15], 0
	s_branch .LBB68_59
.LBB68_58:                              ;   in Loop: Header=BB68_59 Depth=2
	s_or_b64 exec, exec, s[16:17]
	s_and_b64 s[2:3], exec, vcc
	s_waitcnt vmcnt(0)
	v_cmp_lt_i16_e32 vcc, -1, v2
	v_lshlrev_b32_e32 v56, 16, v2
	s_or_b64 s[14:15], s[2:3], s[14:15]
	v_cndmask_b32_e32 v53, v47, v48, vcc
	v_xor_b32_sdwa v2, v53, v2 dst_sel:DWORD dst_unused:UNUSED_PAD src0_sel:DWORD src1_sel:WORD_0
	v_cmp_o_f32_e32 vcc, v56, v56
	v_lshl_add_u64 v[38:39], v[38:39], 0, s[8:9]
	s_nop 0
	v_cndmask_b32_e32 v2, v47, v2, vcc
	v_and_b32_e32 v53, v2, v50
	v_bfe_u32 v2, v2, s86, 2
	v_cmp_eq_u32_e32 vcc, v53, v45
	v_cmp_eq_u32_e64 s[2:3], 0, v2
	s_and_b64 s[2:3], vcc, s[2:3]
	s_nop 0
	v_cndmask_b32_e64 v53, 0, 1, s[2:3]
	v_cmp_ne_u32_e64 s[2:3], 0, v53
	s_bcnt1_i32_b64 s78, s[2:3]
	v_cmp_eq_u32_e64 s[2:3], 1, v2
	s_and_b64 s[2:3], vcc, s[2:3]
	v_lshl_add_u64 v[4:5], s[78:79], 0, v[4:5]
	v_cndmask_b32_e64 v53, 0, 1, s[2:3]
	v_cmp_ne_u32_e64 s[2:3], 0, v53
	s_bcnt1_i32_b64 s78, s[2:3]
	v_cmp_eq_u32_e64 s[2:3], 2, v2
	s_and_b64 s[2:3], vcc, s[2:3]
	v_lshl_add_u64 v[6:7], s[78:79], 0, v[6:7]
	;; [unrolled: 6-line block ×3, first 2 shown]
	v_cndmask_b32_e64 v2, 0, 1, s[2:3]
	v_cmp_ne_u32_e32 vcc, 0, v2
	s_bcnt1_i32_b64 s78, vcc
	v_lshl_add_u64 v[10:11], s[78:79], 0, v[10:11]
	v_mov_b32_e32 v2, v52
	s_andn2_b64 exec, exec, s[14:15]
	s_cbranch_execz .LBB68_61
.LBB68_59:                              ;   Parent Loop BB68_7 Depth=1
                                        ; =>  This Inner Loop Header: Depth=2
	v_lshl_add_u64 v[36:37], v[36:37], 0, s[10:11]
	v_cmp_gt_i64_e64 s[2:3], s[56:57], v[36:37]
	v_cmp_le_i64_e32 vcc, s[56:57], v[36:37]
	v_mov_b32_e32 v52, 0
	s_and_saveexec_b64 s[16:17], s[2:3]
	s_cbranch_execz .LBB68_58
; %bb.60:                               ;   in Loop: Header=BB68_59 Depth=2
	global_load_ushort v52, v[38:39], off
	s_branch .LBB68_58
.LBB68_61:                              ;   in Loop: Header=BB68_7 Depth=1
	s_or_b64 exec, exec, s[14:15]
.LBB68_62:                              ;   in Loop: Header=BB68_7 Depth=1
	s_or_b64 exec, exec, s[6:7]
	s_branch .LBB68_41
.LBB68_63:                              ;   in Loop: Header=BB68_7 Depth=1
	global_load_ushort v2, v3, s[82:83]
	v_mov_b64_e32 v[8:9], 0
	s_waitcnt vmcnt(0)
	v_readfirstlane_b32 s2, v2
	s_and_b32 s13, 0xffff, s2
	s_lshl_b32 s78, s13, 2
	v_cvt_f32_u32_e32 v4, s78
	s_sub_i32 s2, 0, s78
	v_rcp_iflag_f32_e32 v6, v4
	v_mov_b64_e32 v[4:5], 0
	v_mul_f32_e32 v6, 0x4f7ffffe, v6
	v_cvt_u32_f32_e32 v10, v6
	v_mov_b64_e32 v[6:7], 0
	v_readfirstlane_b32 s3, v10
	s_mul_i32 s2, s2, s3
	s_mul_hi_u32 s2, s3, s2
	s_add_i32 s3, s3, s2
	s_mul_hi_u32 s2, s12, s3
	s_mul_i32 s3, s2, s78
	s_sub_i32 s3, s12, s3
	s_add_i32 s6, s2, 1
	s_sub_i32 s7, s3, s78
	s_cmp_ge_u32 s3, s78
	s_cselect_b32 s2, s6, s2
	s_cselect_b32 s3, s7, s3
	s_add_i32 s6, s2, 1
	s_cmp_ge_u32 s3, s78
	s_cselect_b32 s2, s6, s2
	s_mul_hi_u32 s7, s13, s2
	s_mul_i32 s6, s13, s2
	s_lshl_b64 s[8:9], s[6:7], 2
	v_cmp_gt_u64_e32 vcc, s[8:9], v[14:15]
	v_mov_b64_e32 v[10:11], 0
	s_and_saveexec_b64 s[10:11], vcc
	s_cbranch_execz .LBB68_67
; %bb.64:                               ;   in Loop: Header=BB68_7 Depth=1
	s_mov_b32 s89, s65
	s_lshl_b32 s7, s13, 3
	s_mov_b64 s[30:31], 0
	v_mov_b32_e32 v38, v18
	s_mov_b64 s[64:65], 0
	s_mov_b64 s[76:77], 0
	;; [unrolled: 1-line block ×4, first 2 shown]
	v_mov_b64_e32 v[36:37], v[14:15]
.LBB68_65:                              ;   Parent Loop BB68_7 Depth=1
                                        ; =>  This Inner Loop Header: Depth=2
	ds_read_b64 v[4:5], v38
	v_lshl_add_u64 v[36:37], v[36:37], 0, s[78:79]
	v_cmp_le_u64_e32 vcc, s[8:9], v[36:37]
	v_add_u32_e32 v38, s7, v38
	s_waitcnt lgkmcnt(0)
	v_cmp_lt_i16_e64 s[2:3], -1, v4
	v_lshlrev_b32_e32 v6, 16, v4
	s_nop 0
	v_cndmask_b32_e64 v10, v47, v48, s[2:3]
	v_cmp_gt_i16_sdwa s[2:3], v4, v19 src0_sel:WORD_1 src1_sel:DWORD
	v_and_b32_e32 v7, 0xffff0000, v4
	v_cmp_o_f32_e64 s[18:19], v6, v6
	v_cndmask_b32_e64 v11, v47, v48, s[2:3]
	v_cmp_lt_i16_e64 s[2:3], -1, v5
	v_xor_b32_sdwa v11, v11, v4 dst_sel:DWORD dst_unused:UNUSED_PAD src0_sel:DWORD src1_sel:WORD_1
	v_bitop3_b32 v4, v10, v4, s33 bitop3:0x78
	v_cndmask_b32_e64 v39, v47, v48, s[2:3]
	v_cmp_gt_i16_sdwa s[2:3], v5, v19 src0_sel:WORD_1 src1_sel:DWORD
	v_lshlrev_b32_e32 v8, 16, v5
	v_cndmask_b32_e64 v4, v47, v4, s[18:19]
	v_cndmask_b32_e64 v52, v47, v48, s[2:3]
	v_cmp_o_f32_e64 s[2:3], v7, v7
	v_and_b32_e32 v9, 0xffff0000, v5
	v_bitop3_b32 v7, v39, v5, s33 bitop3:0x78
	v_cmp_o_f32_e64 s[14:15], v8, v8
	v_cndmask_b32_e64 v6, v47, v11, s[2:3]
	v_and_b32_e32 v8, v4, v50
	v_bfe_u32 v4, v4, s86, 2
	v_xor_b32_sdwa v5, v52, v5 dst_sel:DWORD dst_unused:UNUSED_PAD src0_sel:DWORD src1_sel:WORD_1
	v_cmp_o_f32_e64 s[16:17], v9, v9
	v_cndmask_b32_e64 v7, v47, v7, s[14:15]
	v_and_b32_e32 v9, v6, v50
	v_bfe_u32 v6, v6, s86, 2
	v_cmp_eq_u32_e64 s[20:21], v8, v45
	v_cmp_eq_u32_e64 s[2:3], 0, v4
	v_cndmask_b32_e64 v5, v47, v5, s[16:17]
	v_and_b32_e32 v10, v7, v50
	v_bfe_u32 v7, v7, s86, 2
	v_cmp_eq_u32_e64 s[18:19], v9, v45
	v_cmp_eq_u32_e64 s[34:35], 0, v6
	s_and_b64 s[2:3], s[20:21], s[2:3]
	v_and_b32_e32 v11, v5, v50
	v_bfe_u32 v5, v5, s86, 2
	v_cmp_eq_u32_e64 s[16:17], v10, v45
	v_cmp_eq_u32_e64 s[36:37], 0, v7
	v_cmp_eq_u32_e64 s[40:41], 1, v4
	v_cmp_eq_u32_e64 s[48:49], 2, v4
	v_cmp_eq_u32_e64 s[28:29], 3, v4
	v_cndmask_b32_e64 v4, 0, 1, s[2:3]
	s_and_b64 s[2:3], s[18:19], s[34:35]
	v_cmp_eq_u32_e64 s[14:15], v11, v45
	v_cmp_eq_u32_e64 s[38:39], 0, v5
	;; [unrolled: 1-line block ×5, first 2 shown]
	v_cndmask_b32_e64 v5, 0, 1, s[2:3]
	s_and_b64 s[2:3], s[16:17], s[36:37]
	v_cmp_eq_u32_e64 s[42:43], 1, v6
	v_cmp_eq_u32_e64 s[50:51], 2, v6
	;; [unrolled: 1-line block ×3, first 2 shown]
	v_cndmask_b32_e64 v6, 0, 1, s[2:3]
	s_and_b64 s[2:3], s[14:15], s[38:39]
	v_cmp_eq_u32_e64 s[44:45], 1, v7
	v_cmp_eq_u32_e64 s[52:53], 2, v7
	v_cmp_eq_u32_e64 s[24:25], 3, v7
	v_cndmask_b32_e64 v7, 0, 1, s[2:3]
	v_cmp_ne_u32_e64 s[2:3], 0, v4
	v_cmp_ne_u32_e64 s[34:35], 0, v5
	v_cmp_ne_u32_e64 s[36:37], 0, v6
	v_cmp_ne_u32_e64 s[38:39], 0, v7
	s_bcnt1_i32_b64 s2, s[2:3]
	s_bcnt1_i32_b64 s3, s[34:35]
	s_bcnt1_i32_b64 s34, s[36:37]
	s_bcnt1_i32_b64 s35, s[38:39]
	s_add_u32 s2, s2, s82
	s_addc_u32 s36, 0, s83
	s_add_u32 s2, s2, s3
	s_addc_u32 s3, s36, 0
	s_add_u32 s2, s2, s34
	s_addc_u32 s3, s3, 0
	s_add_u32 s82, s2, s35
	s_addc_u32 s83, s3, 0
	s_and_b64 s[2:3], s[20:21], s[40:41]
	v_cndmask_b32_e64 v6, 0, 1, s[2:3]
	s_and_b64 s[2:3], s[18:19], s[42:43]
	v_cndmask_b32_e64 v7, 0, 1, s[2:3]
	s_and_b64 s[2:3], s[16:17], s[44:45]
	v_cndmask_b32_e64 v8, 0, 1, s[2:3]
	s_and_b64 s[2:3], s[14:15], s[46:47]
	v_cndmask_b32_e64 v9, 0, 1, s[2:3]
	v_cmp_ne_u32_e64 s[2:3], 0, v6
	v_cmp_ne_u32_e64 s[34:35], 0, v7
	v_cmp_ne_u32_e64 s[36:37], 0, v8
	v_cmp_ne_u32_e64 s[38:39], 0, v9
	s_bcnt1_i32_b64 s2, s[2:3]
	s_bcnt1_i32_b64 s3, s[34:35]
	s_bcnt1_i32_b64 s34, s[36:37]
	s_bcnt1_i32_b64 s35, s[38:39]
	s_add_u32 s2, s2, s80
	s_addc_u32 s36, 0, s81
	s_add_u32 s2, s2, s3
	s_addc_u32 s3, s36, 0
	s_add_u32 s2, s2, s34
	s_addc_u32 s3, s3, 0
	s_add_u32 s80, s2, s35
	s_addc_u32 s81, s3, 0
	s_and_b64 s[2:3], s[20:21], s[48:49]
	v_cndmask_b32_e64 v8, 0, 1, s[2:3]
	s_and_b64 s[2:3], s[18:19], s[50:51]
	v_cndmask_b32_e64 v9, 0, 1, s[2:3]
	s_and_b64 s[2:3], s[16:17], s[52:53]
	v_cndmask_b32_e64 v10, 0, 1, s[2:3]
	s_and_b64 s[2:3], s[14:15], s[54:55]
	;; [unrolled: 24-line block ×3, first 2 shown]
	v_cndmask_b32_e64 v52, 0, 1, s[2:3]
	v_cmp_ne_u32_e64 s[2:3], 0, v10
	v_cmp_ne_u32_e64 s[14:15], 0, v11
	;; [unrolled: 1-line block ×4, first 2 shown]
	s_bcnt1_i32_b64 s2, s[2:3]
	s_bcnt1_i32_b64 s3, s[14:15]
	;; [unrolled: 1-line block ×4, first 2 shown]
	s_add_u32 s2, s2, s64
	s_addc_u32 s16, 0, s65
	s_add_u32 s2, s2, s3
	s_addc_u32 s3, s16, 0
	;; [unrolled: 2-line block ×4, first 2 shown]
	v_mov_b64_e32 v[4:5], s[82:83]
	v_mov_b64_e32 v[6:7], s[80:81]
	;; [unrolled: 1-line block ×3, first 2 shown]
	s_or_b64 s[30:31], vcc, s[30:31]
	v_mov_b64_e32 v[10:11], s[64:65]
	s_andn2_b64 exec, exec, s[30:31]
	s_cbranch_execnz .LBB68_65
; %bb.66:                               ;   in Loop: Header=BB68_7 Depth=1
	s_or_b64 exec, exec, s[30:31]
	v_readlane_b32 s76, v70, 34
	v_readlane_b32 s80, v70, 36
	;; [unrolled: 1-line block ×5, first 2 shown]
	s_mov_b32 s65, s89
	v_readlane_b32 s83, v70, 39
	v_readlane_b32 s51, v70, 42
	;; [unrolled: 1-line block ×3, first 2 shown]
	s_mov_b32 s53, 0x5040100
	s_movk_i32 s55, 0x3f80
.LBB68_67:                              ;   in Loop: Header=BB68_7 Depth=1
	s_or_b64 exec, exec, s[10:11]
	s_and_b32 s10, s12, 0x7fffffff
	s_mov_b32 s11, s79
	v_lshl_add_u64 v[36:37], s[8:9], 0, v[0:1]
	v_and_b32_e32 v2, 0xffff, v2
	v_cmp_gt_u64_e32 vcc, s[10:11], v[36:37]
	s_and_saveexec_b64 s[8:9], vcc
	s_cbranch_execz .LBB68_71
; %bb.68:                               ;   in Loop: Header=BB68_7 Depth=1
	v_lshl_add_u32 v38, s6, 3, v41
	s_lshl_b32 s12, s13, 1
	s_mov_b64 s[6:7], 0
.LBB68_69:                              ;   Parent Loop BB68_7 Depth=1
                                        ; =>  This Inner Loop Header: Depth=2
	ds_read_u16 v39, v38
	v_lshl_add_u64 v[36:37], v[36:37], 0, v[2:3]
	v_cmp_le_u64_e32 vcc, s[10:11], v[36:37]
	v_add_u32_e32 v38, s12, v38
	s_waitcnt lgkmcnt(0)
	v_cmp_lt_i16_e64 s[2:3], -1, v39
	v_lshlrev_b32_e32 v52, 16, v39
	s_nop 0
	v_cndmask_b32_e64 v53, v47, v48, s[2:3]
	v_xor_b32_sdwa v39, v53, v39 dst_sel:DWORD dst_unused:UNUSED_PAD src0_sel:DWORD src1_sel:WORD_0
	v_cmp_o_f32_e64 s[2:3], v52, v52
	s_nop 1
	v_cndmask_b32_e64 v39, v47, v39, s[2:3]
	v_and_b32_e32 v52, v39, v50
	v_bfe_u32 v39, v39, s86, 2
	v_cmp_eq_u32_e64 s[2:3], v52, v45
	v_cmp_eq_u32_e64 s[14:15], 0, v39
	;; [unrolled: 1-line block ×3, first 2 shown]
	s_and_b64 s[14:15], s[2:3], s[14:15]
	v_cmp_eq_u32_e64 s[18:19], 2, v39
	v_cmp_eq_u32_e64 s[20:21], 3, v39
	v_cndmask_b32_e64 v39, 0, 1, s[14:15]
	s_and_b64 s[14:15], s[2:3], s[16:17]
	v_cndmask_b32_e64 v52, 0, 1, s[14:15]
	s_and_b64 s[14:15], s[2:3], s[18:19]
	s_and_b64 s[2:3], s[2:3], s[20:21]
	v_cndmask_b32_e64 v56, 0, 1, s[2:3]
	v_cmp_ne_u32_e64 s[2:3], 0, v39
	v_cndmask_b32_e64 v53, 0, 1, s[14:15]
	v_cmp_ne_u32_e64 s[14:15], 0, v52
	s_bcnt1_i32_b64 s78, s[2:3]
	v_cmp_ne_u32_e64 s[16:17], 0, v53
	v_lshl_add_u64 v[4:5], s[78:79], 0, v[4:5]
	s_bcnt1_i32_b64 s78, s[14:15]
	v_cmp_ne_u32_e64 s[18:19], 0, v56
	v_lshl_add_u64 v[6:7], s[78:79], 0, v[6:7]
	s_bcnt1_i32_b64 s78, s[16:17]
	v_lshl_add_u64 v[8:9], s[78:79], 0, v[8:9]
	s_bcnt1_i32_b64 s78, s[18:19]
	s_or_b64 s[6:7], vcc, s[6:7]
	v_lshl_add_u64 v[10:11], s[78:79], 0, v[10:11]
	s_andn2_b64 exec, exec, s[6:7]
	s_cbranch_execnz .LBB68_69
; %bb.70:                               ;   in Loop: Header=BB68_7 Depth=1
	s_or_b64 exec, exec, s[6:7]
.LBB68_71:                              ;   in Loop: Header=BB68_7 Depth=1
	s_or_b64 exec, exec, s[8:9]
	s_lshl_b32 s6, s67, 6
	s_and_saveexec_b64 s[2:3], s[4:5]
	s_cbranch_execnz .LBB68_42
	s_branch .LBB68_43
.LBB68_72:                              ;   in Loop: Header=BB68_7 Depth=1
                                        ; implicit-def: $sgpr88_sgpr89
	s_mov_b32 s66, s91
	s_mov_b32 s75, s90
	s_branch .LBB68_51
.LBB68_73:                              ;   in Loop: Header=BB68_7 Depth=1
	s_or_b64 exec, exec, s[8:9]
	s_waitcnt lgkmcnt(0)
	s_barrier
	s_mov_b64 s[2:3], exec
	v_readlane_b32 s8, v70, 8
	v_readlane_b32 s9, v70, 9
	s_and_b64 s[8:9], s[2:3], s[8:9]
	s_mov_b64 exec, s[8:9]
	s_cbranch_execz .LBB68_75
; %bb.74:                               ;   in Loop: Header=BB68_7 Depth=1
	ds_read_b32 v4, v3 offset:5136
	s_waitcnt lgkmcnt(0)
	v_ashrrev_i32_e32 v5, 31, v4
	ds_write_b64 v3, v[4:5] offset:5120
.LBB68_75:                              ;   in Loop: Header=BB68_7 Depth=1
	s_or_b64 exec, exec, s[2:3]
	s_waitcnt lgkmcnt(0)
	s_barrier
	s_mov_b64 s[2:3], -1
	s_and_b64 vcc, exec, s[6:7]
	s_cbranch_vccnz .LBB68_22
	s_branch .LBB68_37
.LBB68_76:                              ;   in Loop: Header=BB68_7 Depth=1
	s_mov_b32 s7, 0
	v_mov_b64_e32 v[4:5], 0
.LBB68_77:                              ;   in Loop: Header=BB68_7 Depth=1
	v_readlane_b32 s8, v70, 30
	v_readlane_b32 s9, v70, 31
	s_andn2_b64 vcc, exec, s[8:9]
	s_cbranch_vccnz .LBB68_80
; %bb.78:                               ;   in Loop: Header=BB68_7 Depth=1
	s_lshl_b32 s8, s67, 9
	s_lshl_b32 s7, s7, 5
	s_add_i32 s8, s8, s7
	v_add_u32_e32 v2, s8, v46
	v_readlane_b32 s7, v70, 29
.LBB68_79:                              ;   Parent Loop BB68_7 Depth=1
                                        ; =>  This Inner Loop Header: Depth=2
	ds_read_b64 v[6:7], v2
	s_add_i32 s7, s7, -1
	v_add_u32_e32 v2, 32, v2
	s_cmp_lg_u32 s7, 0
	s_waitcnt lgkmcnt(0)
	v_lshl_add_u64 v[4:5], v[6:7], 0, v[4:5]
	s_cbranch_scc1 .LBB68_79
.LBB68_80:                              ;   in Loop: Header=BB68_7 Depth=1
	v_add_lshl_u32 v2, s6, v40, 3
	ds_write_b64 v2, v[4:5] offset:3072
.LBB68_81:                              ;   in Loop: Header=BB68_7 Depth=1
	s_or_b64 exec, exec, s[2:3]
	s_lshl_b32 s2, s6, 3
	v_mov_b32_e32 v2, s2
	s_waitcnt lgkmcnt(0)
	s_barrier
	ds_read_b128 v[8:11], v2 offset:3088
	ds_read_b128 v[4:7], v2 offset:3072
	s_lshl_b32 s54, 3, s86
	v_cmp_eq_u64_e64 s[2:3], 1, v[34:35]
	s_not_b32 s48, s54
	s_waitcnt lgkmcnt(1)
	v_readfirstlane_b32 s22, v8
	s_waitcnt lgkmcnt(0)
	v_cmp_eq_u64_e32 vcc, 1, v[4:5]
	v_readfirstlane_b32 s23, v9
	v_readfirstlane_b32 s14, v10
	v_readfirstlane_b32 s15, v11
	s_and_b64 s[10:11], vcc, s[2:3]
	s_mov_b64 s[2:3], -1
	s_mov_b64 s[18:19], -1
                                        ; implicit-def: $sgpr8_sgpr9
                                        ; implicit-def: $sgpr6_sgpr7
	s_and_saveexec_b64 s[12:13], s[10:11]
	s_cbranch_execz .LBB68_113
; %bb.82:                               ;   in Loop: Header=BB68_7 Depth=1
	ds_read_b64 v[8:9], v3 offset:5120
	s_waitcnt lgkmcnt(0)
	s_barrier
	v_readfirstlane_b32 s16, v8
	v_readfirstlane_b32 s17, v9
	s_mov_b64 s[6:7], exec
	v_readlane_b32 s8, v70, 12
	v_readlane_b32 s9, v70, 13
	s_and_b64 s[8:9], s[6:7], s[8:9]
	s_mov_b64 exec, s[8:9]
; %bb.83:                               ;   in Loop: Header=BB68_7 Depth=1
	ds_write_b16 v42, v3
; %bb.84:                               ;   in Loop: Header=BB68_7 Depth=1
	s_or_b64 exec, exec, s[6:7]
	v_cmp_lt_i64_e64 s[18:19], s[16:17], 1
	v_and_b32_e32 v45, s48, v45
	v_or_b32_e32 v50, s54, v50
	s_mov_b64 s[6:7], -1
	s_mov_b64 s[8:9], 0
	s_and_b64 vcc, exec, s[18:19]
	s_mov_b64 s[18:19], 0
	s_mov_b64 s[20:21], -1
	s_waitcnt lgkmcnt(0)
	s_barrier
                                        ; implicit-def: $vgpr51
	s_cbranch_vccz .LBB68_98
; %bb.85:                               ;   in Loop: Header=BB68_7 Depth=1
	s_mov_b32 s64, s79
	s_cmp_lg_u64 s[64:65], 0
	s_cbranch_scc0 .LBB68_139
; %bb.86:                               ;   in Loop: Header=BB68_7 Depth=1
	s_add_u32 s18, s72, 0
	s_addc_u32 s19, 0, 0
	s_xor_b64 s[18:19], s[18:19], 0
	v_cvt_f32_u32_e32 v2, s18
	v_cvt_f32_u32_e32 v8, s19
	s_sub_u32 s24, 0, s18
	s_subb_u32 s25, 0, s19
	v_fmac_f32_e32 v2, 0x4f800000, v8
	v_rcp_f32_e32 v2, v2
	s_nop 0
	v_mul_f32_e32 v2, 0x5f7ffffc, v2
	v_mul_f32_e32 v8, 0x2f800000, v2
	v_trunc_f32_e32 v8, v8
	v_fmac_f32_e32 v2, 0xcf800000, v8
	v_cvt_u32_f32_e32 v8, v8
	v_cvt_u32_f32_e32 v2, v2
	v_readfirstlane_b32 s26, v8
	v_readfirstlane_b32 s20, v2
	s_mul_i32 s21, s24, s26
	s_mul_hi_u32 s28, s24, s20
	s_mul_i32 s27, s25, s20
	s_add_i32 s21, s28, s21
	s_mul_i32 s29, s24, s20
	s_add_i32 s21, s21, s27
	s_mul_i32 s28, s20, s21
	s_mul_hi_u32 s30, s20, s29
	s_mul_hi_u32 s27, s20, s21
	s_add_u32 s28, s30, s28
	s_addc_u32 s27, 0, s27
	s_mul_hi_u32 s31, s26, s29
	s_mul_i32 s29, s26, s29
	s_add_u32 s28, s28, s29
	s_mul_hi_u32 s30, s26, s21
	s_addc_u32 s27, s27, s31
	s_addc_u32 s28, s30, 0
	s_mul_i32 s21, s26, s21
	s_add_u32 s21, s27, s21
	s_addc_u32 s27, 0, s28
	s_add_u32 s28, s20, s21
	s_cselect_b64 s[20:21], -1, 0
	s_cmp_lg_u64 s[20:21], 0
	s_addc_u32 s26, s26, s27
	s_mul_i32 s20, s24, s26
	s_mul_hi_u32 s21, s24, s28
	s_add_i32 s20, s21, s20
	s_mul_i32 s25, s25, s28
	s_add_i32 s20, s20, s25
	s_mul_i32 s24, s24, s28
	s_mul_hi_u32 s25, s26, s24
	s_mul_i32 s27, s26, s24
	s_mul_i32 s30, s28, s20
	s_mul_hi_u32 s24, s28, s24
	s_mul_hi_u32 s29, s28, s20
	s_add_u32 s24, s24, s30
	s_addc_u32 s29, 0, s29
	s_add_u32 s24, s24, s27
	s_mul_hi_u32 s21, s26, s20
	s_addc_u32 s24, s29, s25
	s_addc_u32 s21, s21, 0
	s_mul_i32 s20, s26, s20
	s_add_u32 s20, s24, s20
	s_addc_u32 s24, 0, s21
	s_add_u32 s27, s28, s20
	s_cselect_b64 s[20:21], -1, 0
	s_cmp_lg_u64 s[20:21], 0
	s_addc_u32 s26, s26, s24
	s_ashr_i32 s20, s65, 31
	s_add_u32 s24, s92, s20
	s_mov_b32 s21, s20
	s_addc_u32 s25, s65, s20
	s_xor_b64 s[24:25], s[24:25], s[20:21]
	s_mul_i32 s29, s24, s26
	s_mul_hi_u32 s30, s24, s27
	s_mul_hi_u32 s28, s24, s26
	s_add_u32 s29, s30, s29
	s_addc_u32 s28, 0, s28
	s_mul_hi_u32 s31, s25, s27
	s_mul_i32 s27, s25, s27
	s_add_u32 s27, s29, s27
	s_mul_hi_u32 s30, s25, s26
	s_addc_u32 s27, s28, s31
	s_addc_u32 s28, s30, 0
	s_mul_i32 s26, s25, s26
	s_add_u32 s26, s27, s26
	s_addc_u32 s27, 0, s28
	s_mul_i32 s27, s18, s27
	s_mul_hi_u32 s28, s18, s26
	s_add_i32 s27, s28, s27
	s_mul_i32 s28, s19, s26
	s_add_i32 s30, s27, s28
	s_sub_i32 s28, s25, s30
	s_mul_i32 s26, s18, s26
	s_sub_u32 s24, s24, s26
	s_cselect_b64 s[26:27], -1, 0
	s_cmp_lg_u64 s[26:27], 0
	s_subb_u32 s31, s28, s19
	s_sub_u32 s34, s24, s18
	s_cselect_b64 s[28:29], -1, 0
	s_cmp_lg_u64 s[28:29], 0
	s_subb_u32 s35, s31, 0
	s_cmp_ge_u32 s35, s19
	s_cselect_b32 s36, -1, 0
	s_cmp_ge_u32 s34, s18
	s_cselect_b32 s37, -1, 0
	s_cmp_eq_u32 s35, s19
	s_cselect_b32 s36, s37, s36
	s_cmp_lg_u64 s[28:29], 0
	s_subb_u32 s31, s31, s19
	s_sub_u32 s37, s34, s18
	s_cselect_b64 s[28:29], -1, 0
	s_cmp_lg_u64 s[28:29], 0
	s_subb_u32 s28, s31, 0
	s_cmp_lg_u32 s36, 0
	s_cselect_b32 s29, s37, s34
	s_cselect_b32 s28, s28, s35
	s_cmp_lg_u64 s[26:27], 0
	s_subb_u32 s25, s25, s30
	s_cmp_ge_u32 s25, s19
	s_cselect_b32 s26, -1, 0
	s_cmp_ge_u32 s24, s18
	s_cselect_b32 s18, -1, 0
	s_cmp_eq_u32 s25, s19
	s_cselect_b32 s18, s18, s26
	s_cmp_lg_u32 s18, 0
	s_cselect_b32 s19, s28, s25
	s_cselect_b32 s18, s29, s24
	s_xor_b64 s[18:19], s[18:19], s[20:21]
	s_sub_u32 s18, s18, s20
	s_subb_u32 s19, s19, s20
	s_cbranch_execnz .LBB68_88
.LBB68_87:                              ;   in Loop: Header=BB68_7 Depth=1
	v_cvt_f32_u32_e32 v2, s72
	s_sub_i32 s18, 0, s72
	v_rcp_iflag_f32_e32 v2, v2
	s_nop 0
	v_mul_f32_e32 v2, 0x4f7ffffe, v2
	v_cvt_u32_f32_e32 v2, v2
	s_nop 0
	v_readfirstlane_b32 s19, v2
	s_mul_i32 s18, s18, s19
	s_mul_hi_u32 s18, s19, s18
	s_add_i32 s19, s19, s18
	s_mul_hi_u32 s18, s92, s19
	s_mul_i32 s18, s18, s72
	s_sub_i32 s18, s92, s18
	s_sub_i32 s19, s18, s72
	s_cmp_ge_u32 s18, s72
	s_cselect_b32 s18, s19, s18
	s_sub_i32 s19, s18, s72
	s_cmp_ge_u32 s18, s72
	s_cselect_b32 s78, s19, s18
	s_mov_b64 s[18:19], s[78:79]
.LBB68_88:                              ;   in Loop: Header=BB68_7 Depth=1
	s_sub_u32 s26, s92, s18
	s_subb_u32 s27, s65, s19
	v_cmp_gt_i64_e32 vcc, s[26:27], v[0:1]
	s_mov_b64 s[20:21], 0
	s_mov_b64 s[18:19], 0
                                        ; implicit-def: $vgpr51
	s_and_saveexec_b64 s[24:25], vcc
	s_cbranch_execz .LBB68_97
; %bb.89:                               ;   in Loop: Header=BB68_7 Depth=1
	v_mov_b64_e32 v[8:9], v[12:13]
	v_mov_b64_e32 v[10:11], v[0:1]
                                        ; implicit-def: $sgpr28_sgpr29
	s_branch .LBB68_92
.LBB68_90:                              ;   in Loop: Header=BB68_92 Depth=2
	s_or_b64 exec, exec, s[30:31]
	s_waitcnt lgkmcnt(0)
	s_barrier
	ds_read_b32 v2, v3 offset:3072
	s_mov_b64 s[30:31], -1
	s_mov_b64 s[34:35], -1
	s_waitcnt lgkmcnt(0)
	s_barrier
	v_and_b32_e32 v36, 0x7fff, v2
	v_cmp_ne_u32_e32 vcc, 0, v36
	s_cbranch_vccz .LBB68_95
.LBB68_91:                              ;   in Loop: Header=BB68_92 Depth=2
	s_and_b64 s[30:31], exec, s[30:31]
	s_or_b64 s[18:19], s[30:31], s[18:19]
	s_andn2_b64 s[28:29], s[28:29], exec
	s_and_b64 s[30:31], s[34:35], exec
	s_or_b64 s[28:29], s[28:29], s[30:31]
	s_andn2_b64 exec, exec, s[18:19]
	s_cbranch_execz .LBB68_96
.LBB68_92:                              ;   Parent Loop BB68_7 Depth=1
                                        ; =>  This Inner Loop Header: Depth=2
	v_cmp_gt_i64_e32 vcc, s[56:57], v[10:11]
	s_and_saveexec_b64 s[30:31], vcc
	s_cbranch_execz .LBB68_90
; %bb.93:                               ;   in Loop: Header=BB68_92 Depth=2
	global_load_ushort v2, v[8:9], off
	s_waitcnt vmcnt(0)
	v_cmp_lt_i16_e32 vcc, -1, v2
	v_lshlrev_b32_e32 v36, 16, v2
	s_nop 0
	v_cndmask_b32_e32 v37, v47, v48, vcc
	v_xor_b32_sdwa v37, v37, v2 dst_sel:DWORD dst_unused:UNUSED_PAD src0_sel:DWORD src1_sel:WORD_0
	v_cmp_o_f32_e32 vcc, v36, v36
	s_nop 1
	v_cndmask_b32_e32 v36, v47, v37, vcc
	v_and_b32_e32 v36, v36, v50
	v_cmp_eq_u32_e32 vcc, v36, v45
	s_and_b64 exec, exec, vcc
	s_cbranch_execz .LBB68_90
; %bb.94:                               ;   in Loop: Header=BB68_92 Depth=2
	v_perm_b32 v2, v2, s55, v49
	ds_write_b32 v3, v2 offset:3072
	s_branch .LBB68_90
.LBB68_95:                              ;   in Loop: Header=BB68_92 Depth=2
	v_lshl_add_u64 v[10:11], v[10:11], 0, s[72:73]
	v_cmp_le_i64_e32 vcc, s[26:27], v[10:11]
	v_lshl_add_u64 v[8:9], v[8:9], 0, s[76:77]
	s_mov_b64 s[34:35], 0
	s_orn2_b64 s[30:31], vcc, exec
	s_branch .LBB68_91
.LBB68_96:                              ;   in Loop: Header=BB68_7 Depth=1
	s_or_b64 exec, exec, s[18:19]
	v_lshrrev_b32_e32 v51, 16, v2
	s_and_b64 s[18:19], s[28:29], exec
.LBB68_97:                              ;   in Loop: Header=BB68_7 Depth=1
	s_or_b64 exec, exec, s[24:25]
.LBB68_98:                              ;   in Loop: Header=BB68_7 Depth=1
	s_and_b64 vcc, exec, s[20:21]
	s_cbranch_vccz .LBB68_112
; %bb.99:                               ;   in Loop: Header=BB68_7 Depth=1
	v_readlane_b32 s6, v70, 20
	s_add_u32 s24, s16, s6
	v_readlane_b32 s6, v70, 21
	s_addc_u32 s7, s17, s6
	s_mov_b32 s6, s79
	s_cmp_lg_u64 s[6:7], 0
	s_cbranch_scc0 .LBB68_140
; %bb.100:                              ;   in Loop: Header=BB68_7 Depth=1
	s_add_u32 s8, s72, 0
	s_addc_u32 s9, 0, 0
	s_xor_b64 s[8:9], s[8:9], 0
	v_cvt_f32_u32_e32 v2, s8
	v_cvt_f32_u32_e32 v8, s9
	s_sub_u32 s6, 0, s8
	s_subb_u32 s25, 0, s9
	v_fmac_f32_e32 v2, 0x4f800000, v8
	v_rcp_f32_e32 v2, v2
	s_nop 0
	v_mul_f32_e32 v2, 0x5f7ffffc, v2
	v_mul_f32_e32 v8, 0x2f800000, v2
	v_trunc_f32_e32 v8, v8
	v_fmac_f32_e32 v2, 0xcf800000, v8
	v_cvt_u32_f32_e32 v8, v8
	v_cvt_u32_f32_e32 v2, v2
	v_readfirstlane_b32 s26, v8
	v_readfirstlane_b32 s20, v2
	s_mul_i32 s21, s6, s26
	s_mul_hi_u32 s28, s6, s20
	s_mul_i32 s27, s25, s20
	s_add_i32 s21, s28, s21
	s_mul_i32 s29, s6, s20
	s_add_i32 s21, s21, s27
	s_mul_i32 s28, s20, s21
	s_mul_hi_u32 s30, s20, s29
	s_mul_hi_u32 s27, s20, s21
	s_add_u32 s28, s30, s28
	s_addc_u32 s27, 0, s27
	s_mul_hi_u32 s31, s26, s29
	s_mul_i32 s29, s26, s29
	s_add_u32 s28, s28, s29
	s_mul_hi_u32 s30, s26, s21
	s_addc_u32 s27, s27, s31
	s_addc_u32 s28, s30, 0
	s_mul_i32 s21, s26, s21
	s_add_u32 s21, s27, s21
	s_addc_u32 s27, 0, s28
	s_add_u32 s28, s20, s21
	s_cselect_b64 s[20:21], -1, 0
	s_cmp_lg_u64 s[20:21], 0
	s_addc_u32 s26, s26, s27
	s_mul_i32 s20, s6, s26
	s_mul_hi_u32 s21, s6, s28
	s_add_i32 s20, s21, s20
	s_mul_i32 s25, s25, s28
	s_add_i32 s20, s20, s25
	s_mul_i32 s6, s6, s28
	s_mul_hi_u32 s25, s26, s6
	s_mul_i32 s27, s26, s6
	s_mul_i32 s30, s28, s20
	s_mul_hi_u32 s6, s28, s6
	s_mul_hi_u32 s29, s28, s20
	s_add_u32 s6, s6, s30
	s_addc_u32 s29, 0, s29
	s_add_u32 s6, s6, s27
	s_mul_hi_u32 s21, s26, s20
	s_addc_u32 s6, s29, s25
	s_addc_u32 s21, s21, 0
	s_mul_i32 s20, s26, s20
	s_add_u32 s6, s6, s20
	s_addc_u32 s25, 0, s21
	s_add_u32 s6, s28, s6
	s_cselect_b64 s[20:21], -1, 0
	s_cmp_lg_u64 s[20:21], 0
	s_addc_u32 s25, s26, s25
	s_ashr_i32 s20, s7, 31
	s_add_u32 s26, s24, s20
	s_mov_b32 s21, s20
	s_addc_u32 s27, s7, s20
	s_xor_b64 s[26:27], s[26:27], s[20:21]
	s_mul_i32 s29, s26, s25
	s_mul_hi_u32 s30, s26, s6
	s_mul_hi_u32 s28, s26, s25
	s_add_u32 s29, s30, s29
	s_addc_u32 s28, 0, s28
	s_mul_hi_u32 s31, s27, s6
	s_mul_i32 s6, s27, s6
	s_add_u32 s6, s29, s6
	s_mul_hi_u32 s30, s27, s25
	s_addc_u32 s6, s28, s31
	s_addc_u32 s28, s30, 0
	s_mul_i32 s25, s27, s25
	s_add_u32 s6, s6, s25
	s_addc_u32 s25, 0, s28
	s_mul_i32 s25, s8, s25
	s_mul_hi_u32 s28, s8, s6
	s_add_i32 s25, s28, s25
	s_mul_i32 s28, s9, s6
	s_add_i32 s25, s25, s28
	s_sub_i32 s30, s27, s25
	s_mul_i32 s6, s8, s6
	s_sub_u32 s6, s26, s6
	s_cselect_b64 s[28:29], -1, 0
	s_cmp_lg_u64 s[28:29], 0
	s_subb_u32 s26, s30, s9
	s_sub_u32 s34, s6, s8
	s_cselect_b64 s[30:31], -1, 0
	s_cmp_lg_u64 s[30:31], 0
	s_subb_u32 s35, s26, 0
	s_cmp_ge_u32 s35, s9
	s_cselect_b32 s36, -1, 0
	s_cmp_ge_u32 s34, s8
	s_cselect_b32 s37, -1, 0
	s_cmp_eq_u32 s35, s9
	s_cselect_b32 s36, s37, s36
	s_cmp_lg_u64 s[30:31], 0
	s_subb_u32 s26, s26, s9
	s_sub_u32 s37, s34, s8
	s_cselect_b64 s[30:31], -1, 0
	s_cmp_lg_u64 s[30:31], 0
	s_subb_u32 s26, s26, 0
	s_cmp_lg_u32 s36, 0
	s_cselect_b32 s30, s37, s34
	s_cselect_b32 s26, s26, s35
	s_cmp_lg_u64 s[28:29], 0
	s_subb_u32 s25, s27, s25
	s_cmp_ge_u32 s25, s9
	s_cselect_b32 s27, -1, 0
	s_cmp_ge_u32 s6, s8
	s_cselect_b32 s8, -1, 0
	s_cmp_eq_u32 s25, s9
	s_cselect_b32 s8, s8, s27
	s_cmp_lg_u32 s8, 0
	s_cselect_b32 s9, s26, s25
	s_cselect_b32 s8, s30, s6
	s_xor_b64 s[8:9], s[8:9], s[20:21]
	s_sub_u32 s8, s8, s20
	s_subb_u32 s9, s9, s20
	s_cbranch_execnz .LBB68_102
.LBB68_101:                             ;   in Loop: Header=BB68_7 Depth=1
	v_cvt_f32_u32_e32 v2, s72
	s_sub_i32 s6, 0, s72
	v_rcp_iflag_f32_e32 v2, v2
	s_nop 0
	v_mul_f32_e32 v2, 0x4f7ffffe, v2
	v_cvt_u32_f32_e32 v2, v2
	s_nop 0
	v_readfirstlane_b32 s8, v2
	s_mul_i32 s6, s6, s8
	s_mul_hi_u32 s6, s8, s6
	s_add_i32 s8, s8, s6
	s_mul_hi_u32 s6, s24, s8
	s_mul_i32 s6, s6, s72
	s_sub_i32 s6, s24, s6
	s_sub_i32 s8, s6, s72
	s_cmp_ge_u32 s6, s72
	s_cselect_b32 s6, s8, s6
	s_sub_i32 s8, s6, s72
	s_cmp_ge_u32 s6, s72
	s_cselect_b32 s78, s8, s6
	s_mov_b64 s[8:9], s[78:79]
.LBB68_102:                             ;   in Loop: Header=BB68_7 Depth=1
	s_sub_u32 s8, s24, s8
	s_subb_u32 s9, s7, s9
	v_cmp_gt_i64_e32 vcc, s[8:9], v[0:1]
                                        ; implicit-def: $vgpr51
	s_and_saveexec_b64 s[6:7], vcc
	s_cbranch_execz .LBB68_111
; %bb.103:                              ;   in Loop: Header=BB68_7 Depth=1
	s_mov_b64 s[20:21], 0
	v_mov_b32_e32 v2, v41
	v_mov_b64_e32 v[8:9], v[0:1]
                                        ; implicit-def: $sgpr24_sgpr25
	s_branch .LBB68_106
.LBB68_104:                             ;   in Loop: Header=BB68_106 Depth=2
	s_or_b64 exec, exec, s[26:27]
	s_waitcnt lgkmcnt(0)
	s_barrier
	ds_read_b32 v10, v3 offset:3072
	s_mov_b64 s[26:27], -1
	s_mov_b64 s[28:29], -1
	s_waitcnt lgkmcnt(0)
	s_barrier
	v_and_b32_e32 v11, 0x7fff, v10
	v_cmp_ne_u32_e32 vcc, 0, v11
	s_cbranch_vccz .LBB68_109
.LBB68_105:                             ;   in Loop: Header=BB68_106 Depth=2
	s_and_b64 s[26:27], exec, s[26:27]
	s_or_b64 s[20:21], s[26:27], s[20:21]
	s_andn2_b64 s[24:25], s[24:25], exec
	s_and_b64 s[26:27], s[28:29], exec
	s_or_b64 s[24:25], s[24:25], s[26:27]
	s_andn2_b64 exec, exec, s[20:21]
	s_cbranch_execz .LBB68_110
.LBB68_106:                             ;   Parent Loop BB68_7 Depth=1
                                        ; =>  This Inner Loop Header: Depth=2
	v_cmp_gt_u64_e32 vcc, s[16:17], v[8:9]
	s_and_saveexec_b64 s[26:27], vcc
	s_cbranch_execz .LBB68_104
; %bb.107:                              ;   in Loop: Header=BB68_106 Depth=2
	ds_read_u16 v10, v2
	s_waitcnt lgkmcnt(0)
	v_cmp_lt_i16_e32 vcc, -1, v10
	v_lshlrev_b32_e32 v11, 16, v10
	s_nop 0
	v_cndmask_b32_e32 v36, v47, v48, vcc
	v_xor_b32_sdwa v36, v36, v10 dst_sel:DWORD dst_unused:UNUSED_PAD src0_sel:DWORD src1_sel:WORD_0
	v_cmp_o_f32_e32 vcc, v11, v11
	s_nop 1
	v_cndmask_b32_e32 v11, v47, v36, vcc
	v_and_b32_e32 v11, v11, v50
	v_cmp_eq_u32_e32 vcc, v11, v45
	s_and_b64 exec, exec, vcc
	s_cbranch_execz .LBB68_104
; %bb.108:                              ;   in Loop: Header=BB68_106 Depth=2
	v_perm_b32 v10, v10, s55, v49
	ds_write_b32 v3, v10 offset:3072
	s_branch .LBB68_104
.LBB68_109:                             ;   in Loop: Header=BB68_106 Depth=2
	v_lshl_add_u64 v[8:9], v[8:9], 0, s[72:73]
	v_cmp_le_i64_e32 vcc, s[8:9], v[8:9]
	v_add_u32_e32 v2, s52, v2
	s_mov_b64 s[28:29], 0
	s_orn2_b64 s[26:27], vcc, exec
	s_branch .LBB68_105
.LBB68_110:                             ;   in Loop: Header=BB68_7 Depth=1
	s_or_b64 exec, exec, s[20:21]
	s_andn2_b64 s[8:9], s[18:19], exec
	s_and_b64 s[16:17], s[24:25], exec
	v_lshrrev_b32_e32 v51, 16, v10
	s_or_b64 s[18:19], s[8:9], s[16:17]
.LBB68_111:                             ;   in Loop: Header=BB68_7 Depth=1
	s_or_b64 exec, exec, s[6:7]
	s_mov_b64 s[6:7], 0
	s_mov_b64 s[8:9], -1
.LBB68_112:                             ;   in Loop: Header=BB68_7 Depth=1
	s_orn2_b64 s[18:19], s[18:19], exec
.LBB68_113:                             ;   in Loop: Header=BB68_7 Depth=1
	s_or_b64 exec, exec, s[12:13]
	s_andn2_b64 s[12:13], s[58:59], exec
	s_and_b64 s[8:9], s[8:9], exec
	s_or_b64 s[58:59], s[12:13], s[8:9]
	s_andn2_b64 s[8:9], s[68:69], exec
	s_and_b64 s[6:7], s[6:7], exec
	s_andn2_b64 s[20:21], s[70:71], exec
	s_or_b64 s[68:69], s[8:9], s[6:7]
                                        ; implicit-def: $vgpr8_vgpr9
	s_and_saveexec_b64 s[16:17], s[18:19]
	s_cbranch_execz .LBB68_6
; %bb.114:                              ;   in Loop: Header=BB68_7 Depth=1
	s_mov_b64 s[70:71], s[20:21]
	s_xor_b64 s[6:7], s[10:11], -1
	v_mov_b32_e32 v2, 1
	s_mov_b64 s[8:9], 0
	v_mov_b64_e32 v[8:9], 1
	s_and_saveexec_b64 s[2:3], s[6:7]
	s_cbranch_execz .LBB68_123
; %bb.115:                              ;   in Loop: Header=BB68_7 Depth=1
	v_cmp_le_i64_e32 vcc, v[34:35], v[4:5]
	s_and_saveexec_b64 s[6:7], vcc
	s_xor_b64 s[6:7], exec, s[6:7]
	s_cbranch_execz .LBB68_120
; %bb.116:                              ;   in Loop: Header=BB68_7 Depth=1
	ds_read_b64 v[8:9], v3 offset:5120
	v_and_b32_e32 v45, s48, v45
	v_or_b32_e32 v50, s54, v50
	s_waitcnt lgkmcnt(0)
	v_cmp_ne_u64_e32 vcc, 0, v[8:9]
	s_cbranch_vccnz .LBB68_120
; %bb.117:                              ;   in Loop: Header=BB68_7 Depth=1
	s_mov_b64 s[8:9], exec
	v_readlane_b32 s10, v70, 8
	v_readlane_b32 s11, v70, 9
	s_and_b64 s[10:11], s[8:9], s[10:11]
	s_mov_b64 exec, s[10:11]
; %bb.118:                              ;   in Loop: Header=BB68_7 Depth=1
	ds_write_b64 v3, v[4:5] offset:5128
; %bb.119:                              ;   in Loop: Header=BB68_7 Depth=1
	s_or_b64 exec, exec, s[8:9]
	s_waitcnt lgkmcnt(0)
	s_barrier
.LBB68_120:                             ;   in Loop: Header=BB68_7 Depth=1
	s_or_saveexec_b64 s[6:7], s[6:7]
	s_mov_b64 s[8:9], 0
	v_mov_b32_e32 v2, 8
	s_xor_b64 exec, exec, s[6:7]
; %bb.121:                              ;   in Loop: Header=BB68_7 Depth=1
	v_sub_co_u32_e32 v34, vcc, v34, v4
	s_mov_b64 s[8:9], exec
	s_nop 0
	v_subb_co_u32_e32 v35, vcc, v35, v5, vcc
	v_mov_b32_e32 v2, 0
; %bb.122:                              ;   in Loop: Header=BB68_7 Depth=1
	s_or_b64 exec, exec, s[6:7]
	s_and_b64 s[8:9], s[8:9], exec
	v_mov_b64_e32 v[8:9], v[34:35]
.LBB68_123:                             ;   in Loop: Header=BB68_7 Depth=1
	s_or_b64 exec, exec, s[2:3]
	s_mov_b64 s[18:19], -1
	s_mov_b64 s[6:7], -1
                                        ; implicit-def: $sgpr2_sgpr3
                                        ; implicit-def: $sgpr24_sgpr25
	s_and_saveexec_b64 s[10:11], s[8:9]
	s_xor_b64 s[20:21], exec, s[10:11]
	s_cbranch_execz .LBB68_265
; %bb.124:                              ;   in Loop: Header=BB68_7 Depth=1
	v_cmp_eq_u64_e32 vcc, 1, v[6:7]
	v_cmp_eq_u64_e64 s[2:3], 1, v[8:9]
	s_and_b64 s[10:11], vcc, s[2:3]
                                        ; implicit-def: $sgpr24_sgpr25
                                        ; implicit-def: $sgpr2_sgpr3
	s_and_saveexec_b64 s[12:13], s[10:11]
	s_cbranch_execz .LBB68_158
; %bb.125:                              ;   in Loop: Header=BB68_7 Depth=1
	ds_read_b64 v[4:5], v3 offset:5120
	s_waitcnt lgkmcnt(0)
	s_barrier
	v_readfirstlane_b32 s26, v4
	v_readfirstlane_b32 s27, v5
	s_mov_b64 s[2:3], exec
	v_readlane_b32 s6, v70, 12
	v_readlane_b32 s7, v70, 13
	s_and_b64 s[6:7], s[2:3], s[6:7]
	s_mov_b64 exec, s[6:7]
; %bb.126:                              ;   in Loop: Header=BB68_7 Depth=1
	ds_write_b16 v42, v3
; %bb.127:                              ;   in Loop: Header=BB68_7 Depth=1
	s_or_b64 exec, exec, s[2:3]
	v_and_b32_e32 v4, s48, v45
	v_cmp_gt_i64_e64 s[6:7], s[26:27], 0
	v_lshl_or_b32 v45, 1, s86, v4
	v_or_b32_e32 v50, s54, v50
	s_mov_b64 s[2:3], -1
	s_mov_b64 s[24:25], 0
	s_and_b64 vcc, exec, s[6:7]
	s_mov_b64 s[6:7], 0
	s_mov_b64 s[8:9], -1
	s_waitcnt lgkmcnt(0)
	s_barrier
                                        ; implicit-def: $vgpr51
	s_cbranch_vccnz .LBB68_143
; %bb.128:                              ;   in Loop: Header=BB68_7 Depth=1
	s_mov_b32 s64, s79
	s_cmp_lg_u64 s[64:65], 0
	s_cbranch_scc0 .LBB68_185
; %bb.129:                              ;   in Loop: Header=BB68_7 Depth=1
	s_add_u32 s6, s72, 0
	s_addc_u32 s7, 0, 0
	s_xor_b64 s[6:7], s[6:7], 0
	v_cvt_f32_u32_e32 v4, s6
	v_cvt_f32_u32_e32 v5, s7
	s_sub_u32 s28, 0, s6
	s_subb_u32 s29, 0, s7
	v_fmac_f32_e32 v4, 0x4f800000, v5
	v_rcp_f32_e32 v4, v4
	s_nop 0
	v_mul_f32_e32 v4, 0x5f7ffffc, v4
	v_mul_f32_e32 v5, 0x2f800000, v4
	v_trunc_f32_e32 v5, v5
	v_fmac_f32_e32 v4, 0xcf800000, v5
	v_cvt_u32_f32_e32 v5, v5
	v_cvt_u32_f32_e32 v4, v4
	v_readfirstlane_b32 s30, v5
	v_readfirstlane_b32 s8, v4
	s_mul_i32 s9, s28, s30
	s_mul_hi_u32 s34, s28, s8
	s_mul_i32 s31, s29, s8
	s_add_i32 s9, s34, s9
	s_mul_i32 s35, s28, s8
	s_add_i32 s9, s9, s31
	s_mul_i32 s34, s8, s9
	s_mul_hi_u32 s36, s8, s35
	s_mul_hi_u32 s31, s8, s9
	s_add_u32 s34, s36, s34
	s_addc_u32 s31, 0, s31
	s_mul_hi_u32 s37, s30, s35
	s_mul_i32 s35, s30, s35
	s_add_u32 s34, s34, s35
	s_mul_hi_u32 s36, s30, s9
	s_addc_u32 s31, s31, s37
	s_addc_u32 s34, s36, 0
	s_mul_i32 s9, s30, s9
	s_add_u32 s9, s31, s9
	s_addc_u32 s31, 0, s34
	s_add_u32 s34, s8, s9
	s_cselect_b64 s[8:9], -1, 0
	s_cmp_lg_u64 s[8:9], 0
	s_addc_u32 s30, s30, s31
	s_mul_i32 s8, s28, s30
	s_mul_hi_u32 s9, s28, s34
	s_add_i32 s8, s9, s8
	s_mul_i32 s29, s29, s34
	s_add_i32 s8, s8, s29
	s_mul_i32 s28, s28, s34
	s_mul_hi_u32 s29, s30, s28
	s_mul_i32 s31, s30, s28
	s_mul_i32 s36, s34, s8
	s_mul_hi_u32 s28, s34, s28
	s_mul_hi_u32 s35, s34, s8
	s_add_u32 s28, s28, s36
	s_addc_u32 s35, 0, s35
	s_add_u32 s28, s28, s31
	s_mul_hi_u32 s9, s30, s8
	s_addc_u32 s28, s35, s29
	s_addc_u32 s9, s9, 0
	s_mul_i32 s8, s30, s8
	s_add_u32 s8, s28, s8
	s_addc_u32 s28, 0, s9
	s_add_u32 s31, s34, s8
	s_cselect_b64 s[8:9], -1, 0
	s_cmp_lg_u64 s[8:9], 0
	s_addc_u32 s30, s30, s28
	s_ashr_i32 s8, s65, 31
	s_add_u32 s28, s92, s8
	s_mov_b32 s9, s8
	s_addc_u32 s29, s65, s8
	s_xor_b64 s[28:29], s[28:29], s[8:9]
	s_mul_i32 s35, s28, s30
	s_mul_hi_u32 s36, s28, s31
	s_mul_hi_u32 s34, s28, s30
	s_add_u32 s35, s36, s35
	s_addc_u32 s34, 0, s34
	s_mul_hi_u32 s37, s29, s31
	s_mul_i32 s31, s29, s31
	s_add_u32 s31, s35, s31
	s_mul_hi_u32 s36, s29, s30
	s_addc_u32 s31, s34, s37
	s_addc_u32 s34, s36, 0
	s_mul_i32 s30, s29, s30
	s_add_u32 s30, s31, s30
	s_addc_u32 s31, 0, s34
	s_mul_i32 s31, s6, s31
	s_mul_hi_u32 s34, s6, s30
	s_add_i32 s31, s34, s31
	s_mul_i32 s34, s7, s30
	s_add_i32 s36, s31, s34
	s_sub_i32 s34, s29, s36
	s_mul_i32 s30, s6, s30
	s_sub_u32 s28, s28, s30
	s_cselect_b64 s[30:31], -1, 0
	s_cmp_lg_u64 s[30:31], 0
	s_subb_u32 s37, s34, s7
	s_sub_u32 s38, s28, s6
	s_cselect_b64 s[34:35], -1, 0
	s_cmp_lg_u64 s[34:35], 0
	s_subb_u32 s39, s37, 0
	s_cmp_ge_u32 s39, s7
	s_cselect_b32 s40, -1, 0
	s_cmp_ge_u32 s38, s6
	s_cselect_b32 s41, -1, 0
	s_cmp_eq_u32 s39, s7
	s_cselect_b32 s40, s41, s40
	s_cmp_lg_u64 s[34:35], 0
	s_subb_u32 s37, s37, s7
	s_sub_u32 s41, s38, s6
	s_cselect_b64 s[34:35], -1, 0
	s_cmp_lg_u64 s[34:35], 0
	s_subb_u32 s34, s37, 0
	s_cmp_lg_u32 s40, 0
	s_cselect_b32 s35, s41, s38
	s_cselect_b32 s34, s34, s39
	s_cmp_lg_u64 s[30:31], 0
	s_subb_u32 s29, s29, s36
	s_cmp_ge_u32 s29, s7
	s_cselect_b32 s30, -1, 0
	s_cmp_ge_u32 s28, s6
	s_cselect_b32 s6, -1, 0
	s_cmp_eq_u32 s29, s7
	s_cselect_b32 s6, s6, s30
	s_cmp_lg_u32 s6, 0
	s_cselect_b32 s7, s34, s29
	s_cselect_b32 s6, s35, s28
	s_xor_b64 s[6:7], s[6:7], s[8:9]
	s_sub_u32 s6, s6, s8
	s_subb_u32 s7, s7, s8
	s_cbranch_execnz .LBB68_131
.LBB68_130:                             ;   in Loop: Header=BB68_7 Depth=1
	v_cvt_f32_u32_e32 v4, s72
	s_sub_i32 s6, 0, s72
	v_rcp_iflag_f32_e32 v4, v4
	s_nop 0
	v_mul_f32_e32 v4, 0x4f7ffffe, v4
	v_cvt_u32_f32_e32 v4, v4
	s_nop 0
	v_readfirstlane_b32 s7, v4
	s_mul_i32 s6, s6, s7
	s_mul_hi_u32 s6, s7, s6
	s_add_i32 s7, s7, s6
	s_mul_hi_u32 s6, s92, s7
	s_mul_i32 s6, s6, s72
	s_sub_i32 s6, s92, s6
	s_sub_i32 s7, s6, s72
	s_cmp_ge_u32 s6, s72
	s_cselect_b32 s6, s7, s6
	s_sub_i32 s7, s6, s72
	s_cmp_ge_u32 s6, s72
	s_cselect_b32 s78, s7, s6
	s_mov_b64 s[6:7], s[78:79]
.LBB68_131:                             ;   in Loop: Header=BB68_7 Depth=1
	s_sub_u32 s30, s92, s6
	s_subb_u32 s31, s65, s7
	v_cmp_gt_i64_e32 vcc, s[30:31], v[0:1]
	s_mov_b64 s[8:9], 0
	s_mov_b64 s[6:7], 0
                                        ; implicit-def: $vgpr51
	s_and_saveexec_b64 s[28:29], vcc
	s_cbranch_execz .LBB68_142
; %bb.132:                              ;   in Loop: Header=BB68_7 Depth=1
	v_mov_b64_e32 v[4:5], v[12:13]
	v_mov_b64_e32 v[10:11], v[0:1]
                                        ; implicit-def: $sgpr34_sgpr35
	s_branch .LBB68_135
.LBB68_133:                             ;   in Loop: Header=BB68_135 Depth=2
	s_or_b64 exec, exec, s[36:37]
	s_waitcnt lgkmcnt(0)
	s_barrier
	ds_read_b32 v34, v3 offset:3072
	s_mov_b64 s[36:37], -1
	s_mov_b64 s[38:39], -1
	s_waitcnt lgkmcnt(0)
	s_barrier
	v_and_b32_e32 v35, 0x7fff, v34
	v_cmp_ne_u32_e32 vcc, 0, v35
	s_cbranch_vccz .LBB68_138
.LBB68_134:                             ;   in Loop: Header=BB68_135 Depth=2
	s_and_b64 s[36:37], exec, s[36:37]
	s_or_b64 s[6:7], s[36:37], s[6:7]
	s_andn2_b64 s[34:35], s[34:35], exec
	s_and_b64 s[36:37], s[38:39], exec
	s_or_b64 s[34:35], s[34:35], s[36:37]
	s_andn2_b64 exec, exec, s[6:7]
	s_cbranch_execz .LBB68_141
.LBB68_135:                             ;   Parent Loop BB68_7 Depth=1
                                        ; =>  This Inner Loop Header: Depth=2
	v_cmp_gt_i64_e32 vcc, s[56:57], v[10:11]
	s_and_saveexec_b64 s[36:37], vcc
	s_cbranch_execz .LBB68_133
; %bb.136:                              ;   in Loop: Header=BB68_135 Depth=2
	global_load_ushort v34, v[4:5], off
	s_waitcnt vmcnt(0)
	v_cmp_lt_i16_e32 vcc, -1, v34
	v_lshlrev_b32_e32 v35, 16, v34
	s_nop 0
	v_cndmask_b32_e32 v36, v47, v48, vcc
	v_xor_b32_sdwa v36, v36, v34 dst_sel:DWORD dst_unused:UNUSED_PAD src0_sel:DWORD src1_sel:WORD_0
	v_cmp_o_f32_e32 vcc, v35, v35
	s_nop 1
	v_cndmask_b32_e32 v35, v47, v36, vcc
	v_and_b32_e32 v35, v35, v50
	v_cmp_eq_u32_e32 vcc, v35, v45
	s_and_b64 exec, exec, vcc
	s_cbranch_execz .LBB68_133
; %bb.137:                              ;   in Loop: Header=BB68_135 Depth=2
	v_perm_b32 v34, v34, s55, v49
	ds_write_b32 v3, v34 offset:3072
	s_branch .LBB68_133
.LBB68_138:                             ;   in Loop: Header=BB68_135 Depth=2
	v_lshl_add_u64 v[10:11], v[10:11], 0, s[72:73]
	v_cmp_le_i64_e32 vcc, s[30:31], v[10:11]
	v_lshl_add_u64 v[4:5], v[4:5], 0, s[76:77]
	s_mov_b64 s[38:39], 0
	s_orn2_b64 s[36:37], vcc, exec
	s_branch .LBB68_134
.LBB68_139:                             ;   in Loop: Header=BB68_7 Depth=1
                                        ; implicit-def: $sgpr18_sgpr19
	s_andn2_b64 vcc, exec, s[20:21]
	s_cbranch_vccz .LBB68_87
	s_branch .LBB68_88
.LBB68_140:                             ;   in Loop: Header=BB68_7 Depth=1
                                        ; implicit-def: $sgpr8_sgpr9
	s_branch .LBB68_101
.LBB68_141:                             ;   in Loop: Header=BB68_7 Depth=1
	s_or_b64 exec, exec, s[6:7]
	v_lshrrev_b32_e32 v51, 16, v34
	s_and_b64 s[6:7], s[34:35], exec
.LBB68_142:                             ;   in Loop: Header=BB68_7 Depth=1
	s_or_b64 exec, exec, s[28:29]
.LBB68_143:                             ;   in Loop: Header=BB68_7 Depth=1
	s_and_b64 vcc, exec, s[8:9]
	s_cbranch_vccz .LBB68_157
; %bb.144:                              ;   in Loop: Header=BB68_7 Depth=1
	v_readlane_b32 s2, v70, 20
	s_add_u32 s28, s26, s2
	v_readlane_b32 s2, v70, 21
	s_addc_u32 s3, s27, s2
	s_mov_b32 s2, s79
	s_cmp_lg_u64 s[2:3], 0
	s_cbranch_scc0 .LBB68_186
; %bb.145:                              ;   in Loop: Header=BB68_7 Depth=1
	s_add_u32 s8, s72, 0
	s_addc_u32 s9, 0, 0
	s_xor_b64 s[8:9], s[8:9], 0
	v_cvt_f32_u32_e32 v4, s8
	v_cvt_f32_u32_e32 v5, s9
	s_sub_u32 s2, 0, s8
	s_subb_u32 s29, 0, s9
	v_fmac_f32_e32 v4, 0x4f800000, v5
	v_rcp_f32_e32 v4, v4
	s_nop 0
	v_mul_f32_e32 v4, 0x5f7ffffc, v4
	v_mul_f32_e32 v5, 0x2f800000, v4
	v_trunc_f32_e32 v5, v5
	v_fmac_f32_e32 v4, 0xcf800000, v5
	v_cvt_u32_f32_e32 v5, v5
	v_cvt_u32_f32_e32 v4, v4
	v_readfirstlane_b32 s30, v5
	v_readfirstlane_b32 s24, v4
	s_mul_i32 s25, s2, s30
	s_mul_hi_u32 s34, s2, s24
	s_mul_i32 s31, s29, s24
	s_add_i32 s25, s34, s25
	s_mul_i32 s35, s2, s24
	s_add_i32 s25, s25, s31
	s_mul_i32 s34, s24, s25
	s_mul_hi_u32 s36, s24, s35
	s_mul_hi_u32 s31, s24, s25
	s_add_u32 s34, s36, s34
	s_addc_u32 s31, 0, s31
	s_mul_hi_u32 s37, s30, s35
	s_mul_i32 s35, s30, s35
	s_add_u32 s34, s34, s35
	s_mul_hi_u32 s36, s30, s25
	s_addc_u32 s31, s31, s37
	s_addc_u32 s34, s36, 0
	s_mul_i32 s25, s30, s25
	s_add_u32 s25, s31, s25
	s_addc_u32 s31, 0, s34
	s_add_u32 s34, s24, s25
	s_cselect_b64 s[24:25], -1, 0
	s_cmp_lg_u64 s[24:25], 0
	s_addc_u32 s30, s30, s31
	s_mul_i32 s24, s2, s30
	s_mul_hi_u32 s25, s2, s34
	s_add_i32 s24, s25, s24
	s_mul_i32 s29, s29, s34
	s_add_i32 s24, s24, s29
	s_mul_i32 s2, s2, s34
	s_mul_hi_u32 s29, s30, s2
	s_mul_i32 s31, s30, s2
	s_mul_i32 s36, s34, s24
	s_mul_hi_u32 s2, s34, s2
	s_mul_hi_u32 s35, s34, s24
	s_add_u32 s2, s2, s36
	s_addc_u32 s35, 0, s35
	s_add_u32 s2, s2, s31
	s_mul_hi_u32 s25, s30, s24
	s_addc_u32 s2, s35, s29
	s_addc_u32 s25, s25, 0
	s_mul_i32 s24, s30, s24
	s_add_u32 s2, s2, s24
	s_addc_u32 s29, 0, s25
	s_add_u32 s2, s34, s2
	s_cselect_b64 s[24:25], -1, 0
	s_cmp_lg_u64 s[24:25], 0
	s_addc_u32 s29, s30, s29
	s_ashr_i32 s24, s3, 31
	s_add_u32 s30, s28, s24
	s_mov_b32 s25, s24
	s_addc_u32 s31, s3, s24
	s_xor_b64 s[30:31], s[30:31], s[24:25]
	s_mul_i32 s35, s30, s29
	s_mul_hi_u32 s36, s30, s2
	s_mul_hi_u32 s34, s30, s29
	s_add_u32 s35, s36, s35
	s_addc_u32 s34, 0, s34
	s_mul_hi_u32 s37, s31, s2
	s_mul_i32 s2, s31, s2
	s_add_u32 s2, s35, s2
	s_mul_hi_u32 s36, s31, s29
	s_addc_u32 s2, s34, s37
	s_addc_u32 s34, s36, 0
	s_mul_i32 s29, s31, s29
	s_add_u32 s2, s2, s29
	s_addc_u32 s29, 0, s34
	s_mul_i32 s29, s8, s29
	s_mul_hi_u32 s34, s8, s2
	s_add_i32 s29, s34, s29
	s_mul_i32 s34, s9, s2
	s_add_i32 s29, s29, s34
	s_sub_i32 s36, s31, s29
	s_mul_i32 s2, s8, s2
	s_sub_u32 s2, s30, s2
	s_cselect_b64 s[34:35], -1, 0
	s_cmp_lg_u64 s[34:35], 0
	s_subb_u32 s30, s36, s9
	s_sub_u32 s38, s2, s8
	s_cselect_b64 s[36:37], -1, 0
	s_cmp_lg_u64 s[36:37], 0
	s_subb_u32 s39, s30, 0
	s_cmp_ge_u32 s39, s9
	s_cselect_b32 s40, -1, 0
	s_cmp_ge_u32 s38, s8
	s_cselect_b32 s41, -1, 0
	s_cmp_eq_u32 s39, s9
	s_cselect_b32 s40, s41, s40
	s_cmp_lg_u64 s[36:37], 0
	s_subb_u32 s30, s30, s9
	s_sub_u32 s41, s38, s8
	s_cselect_b64 s[36:37], -1, 0
	s_cmp_lg_u64 s[36:37], 0
	s_subb_u32 s30, s30, 0
	s_cmp_lg_u32 s40, 0
	s_cselect_b32 s36, s41, s38
	s_cselect_b32 s30, s30, s39
	s_cmp_lg_u64 s[34:35], 0
	s_subb_u32 s29, s31, s29
	s_cmp_ge_u32 s29, s9
	s_cselect_b32 s31, -1, 0
	s_cmp_ge_u32 s2, s8
	s_cselect_b32 s8, -1, 0
	s_cmp_eq_u32 s29, s9
	s_cselect_b32 s8, s8, s31
	s_cmp_lg_u32 s8, 0
	s_cselect_b32 s9, s30, s29
	s_cselect_b32 s8, s36, s2
	s_xor_b64 s[8:9], s[8:9], s[24:25]
	s_sub_u32 s8, s8, s24
	s_subb_u32 s9, s9, s24
	s_cbranch_execnz .LBB68_147
.LBB68_146:                             ;   in Loop: Header=BB68_7 Depth=1
	v_cvt_f32_u32_e32 v4, s72
	s_sub_i32 s2, 0, s72
	v_rcp_iflag_f32_e32 v4, v4
	s_nop 0
	v_mul_f32_e32 v4, 0x4f7ffffe, v4
	v_cvt_u32_f32_e32 v4, v4
	s_nop 0
	v_readfirstlane_b32 s8, v4
	s_mul_i32 s2, s2, s8
	s_mul_hi_u32 s2, s8, s2
	s_add_i32 s8, s8, s2
	s_mul_hi_u32 s2, s28, s8
	s_mul_i32 s2, s2, s72
	s_sub_i32 s2, s28, s2
	s_sub_i32 s8, s2, s72
	s_cmp_ge_u32 s2, s72
	s_cselect_b32 s2, s8, s2
	s_sub_i32 s8, s2, s72
	s_cmp_ge_u32 s2, s72
	s_cselect_b32 s78, s8, s2
	s_mov_b64 s[8:9], s[78:79]
.LBB68_147:                             ;   in Loop: Header=BB68_7 Depth=1
	s_sub_u32 s8, s28, s8
	s_subb_u32 s9, s3, s9
	v_cmp_gt_i64_e32 vcc, s[8:9], v[0:1]
                                        ; implicit-def: $vgpr51
	s_and_saveexec_b64 s[2:3], vcc
	s_cbranch_execz .LBB68_156
; %bb.148:                              ;   in Loop: Header=BB68_7 Depth=1
	s_mov_b64 s[24:25], 0
	v_mov_b32_e32 v10, v41
	v_mov_b64_e32 v[4:5], v[0:1]
                                        ; implicit-def: $sgpr28_sgpr29
	s_branch .LBB68_151
.LBB68_149:                             ;   in Loop: Header=BB68_151 Depth=2
	s_or_b64 exec, exec, s[30:31]
	s_waitcnt lgkmcnt(0)
	s_barrier
	ds_read_b32 v11, v3 offset:3072
	s_mov_b64 s[30:31], -1
	s_mov_b64 s[34:35], -1
	s_waitcnt lgkmcnt(0)
	s_barrier
	v_and_b32_e32 v34, 0x7fff, v11
	v_cmp_eq_u32_e32 vcc, 0, v34
	s_cbranch_vccnz .LBB68_154
.LBB68_150:                             ;   in Loop: Header=BB68_151 Depth=2
	s_and_b64 s[30:31], exec, s[30:31]
	s_or_b64 s[24:25], s[30:31], s[24:25]
	s_andn2_b64 s[28:29], s[28:29], exec
	s_and_b64 s[30:31], s[34:35], exec
	s_or_b64 s[28:29], s[28:29], s[30:31]
	s_andn2_b64 exec, exec, s[24:25]
	s_cbranch_execz .LBB68_155
.LBB68_151:                             ;   Parent Loop BB68_7 Depth=1
                                        ; =>  This Inner Loop Header: Depth=2
	v_cmp_gt_u64_e32 vcc, s[26:27], v[4:5]
	s_and_saveexec_b64 s[30:31], vcc
	s_cbranch_execz .LBB68_149
; %bb.152:                              ;   in Loop: Header=BB68_151 Depth=2
	ds_read_u16 v11, v10
	s_waitcnt lgkmcnt(0)
	v_cmp_lt_i16_e32 vcc, -1, v11
	v_lshlrev_b32_e32 v34, 16, v11
	s_nop 0
	v_cndmask_b32_e32 v35, v47, v48, vcc
	v_xor_b32_sdwa v35, v35, v11 dst_sel:DWORD dst_unused:UNUSED_PAD src0_sel:DWORD src1_sel:WORD_0
	v_cmp_o_f32_e32 vcc, v34, v34
	s_nop 1
	v_cndmask_b32_e32 v34, v47, v35, vcc
	v_and_b32_e32 v34, v34, v50
	v_cmp_eq_u32_e32 vcc, v34, v45
	s_and_b64 exec, exec, vcc
	s_cbranch_execz .LBB68_149
; %bb.153:                              ;   in Loop: Header=BB68_151 Depth=2
	v_perm_b32 v11, v11, s55, v49
	ds_write_b32 v3, v11 offset:3072
	s_branch .LBB68_149
.LBB68_154:                             ;   in Loop: Header=BB68_151 Depth=2
	v_lshl_add_u64 v[4:5], v[4:5], 0, s[72:73]
	v_cmp_le_i64_e32 vcc, s[8:9], v[4:5]
	v_add_u32_e32 v10, s52, v10
	s_mov_b64 s[34:35], 0
	s_orn2_b64 s[30:31], vcc, exec
	s_branch .LBB68_150
.LBB68_155:                             ;   in Loop: Header=BB68_7 Depth=1
	s_or_b64 exec, exec, s[24:25]
	s_andn2_b64 s[6:7], s[6:7], exec
	s_and_b64 s[8:9], s[28:29], exec
	v_lshrrev_b32_e32 v51, 16, v11
	s_or_b64 s[6:7], s[6:7], s[8:9]
.LBB68_156:                             ;   in Loop: Header=BB68_7 Depth=1
	s_or_b64 exec, exec, s[2:3]
	s_mov_b64 s[2:3], 0
	s_mov_b64 s[24:25], -1
.LBB68_157:                             ;   in Loop: Header=BB68_7 Depth=1
	s_orn2_b64 s[6:7], s[6:7], exec
.LBB68_158:                             ;   in Loop: Header=BB68_7 Depth=1
	s_or_b64 exec, exec, s[12:13]
	s_mov_b64 s[8:9], 0
	s_and_saveexec_b64 s[12:13], s[6:7]
	s_cbranch_execz .LBB68_264
; %bb.159:                              ;   in Loop: Header=BB68_7 Depth=1
	s_xor_b64 s[10:11], s[10:11], -1
	v_mov_b32_e32 v2, 1
	v_mov_b64_e32 v[4:5], 1
	s_and_saveexec_b64 s[6:7], s[10:11]
	s_cbranch_execz .LBB68_169
; %bb.160:                              ;   in Loop: Header=BB68_7 Depth=1
	v_cmp_le_i64_e32 vcc, v[8:9], v[6:7]
	s_and_saveexec_b64 s[8:9], vcc
	s_xor_b64 s[8:9], exec, s[8:9]
	s_cbranch_execz .LBB68_166
; %bb.161:                              ;   in Loop: Header=BB68_7 Depth=1
	ds_read_b64 v[4:5], v3 offset:5120
	v_and_b32_e32 v2, s48, v45
	v_lshl_or_b32 v45, 1, s86, v2
	v_or_b32_e32 v50, s54, v50
	s_waitcnt lgkmcnt(0)
	v_cmp_ne_u64_e32 vcc, 0, v[4:5]
	s_cbranch_vccnz .LBB68_165
; %bb.162:                              ;   in Loop: Header=BB68_7 Depth=1
	s_mov_b64 s[10:11], exec
	v_readlane_b32 s26, v70, 8
	v_readlane_b32 s27, v70, 9
	s_and_b64 s[26:27], s[10:11], s[26:27]
	s_mov_b64 exec, s[26:27]
; %bb.163:                              ;   in Loop: Header=BB68_7 Depth=1
	ds_write_b64 v3, v[6:7] offset:5128
; %bb.164:                              ;   in Loop: Header=BB68_7 Depth=1
	s_or_b64 exec, exec, s[10:11]
	s_waitcnt lgkmcnt(0)
	s_barrier
.LBB68_165:                             ;   in Loop: Header=BB68_7 Depth=1
                                        ; implicit-def: $vgpr4_vgpr5_vgpr6_vgpr7
.LBB68_166:                             ;   in Loop: Header=BB68_7 Depth=1
	s_or_saveexec_b64 s[8:9], s[8:9]
	s_mov_b64 s[10:11], 0
	v_mov_b32_e32 v2, 8
	s_xor_b64 exec, exec, s[8:9]
; %bb.167:                              ;   in Loop: Header=BB68_7 Depth=1
	v_sub_co_u32_e32 v8, vcc, v8, v6
	s_mov_b64 s[10:11], exec
	s_nop 0
	v_subb_co_u32_e32 v9, vcc, v9, v7, vcc
	v_mov_b32_e32 v2, 0
; %bb.168:                              ;   in Loop: Header=BB68_7 Depth=1
	s_or_b64 exec, exec, s[8:9]
	s_and_b64 s[8:9], s[10:11], exec
	v_mov_b64_e32 v[4:5], v[8:9]
.LBB68_169:                             ;   in Loop: Header=BB68_7 Depth=1
	s_or_b64 exec, exec, s[6:7]
	s_mov_b64 s[6:7], -1
                                        ; implicit-def: $sgpr28_sgpr29
                                        ; implicit-def: $sgpr34_sgpr35
	s_and_saveexec_b64 s[26:27], s[8:9]
	s_cbranch_execz .LBB68_263
; %bb.170:                              ;   in Loop: Header=BB68_7 Depth=1
	s_cmp_eq_u64 s[22:23], 1
	s_cselect_b64 s[6:7], -1, 0
	v_cmp_eq_u64_e32 vcc, 1, v[4:5]
	s_and_b64 s[10:11], s[6:7], vcc
	s_mov_b64 s[6:7], -1
                                        ; implicit-def: $sgpr34_sgpr35
                                        ; implicit-def: $sgpr28_sgpr29
	s_and_saveexec_b64 s[36:37], s[10:11]
	s_cbranch_execz .LBB68_204
; %bb.171:                              ;   in Loop: Header=BB68_7 Depth=1
	ds_read_b64 v[6:7], v3 offset:5120
	s_waitcnt lgkmcnt(0)
	s_barrier
	v_readfirstlane_b32 s38, v6
	v_readfirstlane_b32 s39, v7
	s_mov_b64 s[6:7], exec
	v_readlane_b32 s8, v70, 12
	v_readlane_b32 s9, v70, 13
	s_and_b64 s[8:9], s[6:7], s[8:9]
	s_mov_b64 exec, s[8:9]
; %bb.172:                              ;   in Loop: Header=BB68_7 Depth=1
	ds_write_b16 v42, v3
; %bb.173:                              ;   in Loop: Header=BB68_7 Depth=1
	s_or_b64 exec, exec, s[6:7]
	v_and_b32_e32 v6, s48, v45
	v_cmp_gt_i64_e64 s[6:7], s[38:39], 0
	v_lshl_or_b32 v45, 2, s86, v6
	v_or_b32_e32 v50, s54, v50
	s_mov_b64 s[28:29], -1
	s_mov_b64 s[34:35], 0
	s_and_b64 vcc, exec, s[6:7]
	s_mov_b64 s[6:7], 0
	s_mov_b64 s[8:9], -1
	s_waitcnt lgkmcnt(0)
	s_barrier
                                        ; implicit-def: $vgpr51
	s_cbranch_vccnz .LBB68_189
; %bb.174:                              ;   in Loop: Header=BB68_7 Depth=1
	s_mov_b32 s64, s79
	s_cmp_lg_u64 s[64:65], 0
	s_cbranch_scc0 .LBB68_230
; %bb.175:                              ;   in Loop: Header=BB68_7 Depth=1
	s_add_u32 s6, s72, 0
	s_addc_u32 s7, 0, 0
	s_xor_b64 s[6:7], s[6:7], 0
	v_cvt_f32_u32_e32 v6, s6
	v_cvt_f32_u32_e32 v7, s7
	s_sub_u32 s30, 0, s6
	s_subb_u32 s31, 0, s7
	v_fmac_f32_e32 v6, 0x4f800000, v7
	v_rcp_f32_e32 v6, v6
	s_nop 0
	v_mul_f32_e32 v6, 0x5f7ffffc, v6
	v_mul_f32_e32 v7, 0x2f800000, v6
	v_trunc_f32_e32 v7, v7
	v_fmac_f32_e32 v6, 0xcf800000, v7
	v_cvt_u32_f32_e32 v7, v7
	v_cvt_u32_f32_e32 v6, v6
	v_readfirstlane_b32 s40, v7
	v_readfirstlane_b32 s8, v6
	s_mul_i32 s9, s30, s40
	s_mul_hi_u32 s42, s30, s8
	s_mul_i32 s41, s31, s8
	s_add_i32 s9, s42, s9
	s_mul_i32 s43, s30, s8
	s_add_i32 s9, s9, s41
	s_mul_i32 s42, s8, s9
	s_mul_hi_u32 s44, s8, s43
	s_mul_hi_u32 s41, s8, s9
	s_add_u32 s42, s44, s42
	s_addc_u32 s41, 0, s41
	s_mul_hi_u32 s45, s40, s43
	s_mul_i32 s43, s40, s43
	s_add_u32 s42, s42, s43
	s_mul_hi_u32 s44, s40, s9
	s_addc_u32 s41, s41, s45
	s_addc_u32 s42, s44, 0
	s_mul_i32 s9, s40, s9
	s_add_u32 s9, s41, s9
	s_addc_u32 s41, 0, s42
	s_add_u32 s42, s8, s9
	s_cselect_b64 s[8:9], -1, 0
	s_cmp_lg_u64 s[8:9], 0
	s_addc_u32 s40, s40, s41
	s_mul_i32 s8, s30, s40
	s_mul_hi_u32 s9, s30, s42
	s_add_i32 s8, s9, s8
	s_mul_i32 s31, s31, s42
	s_add_i32 s8, s8, s31
	s_mul_i32 s30, s30, s42
	s_mul_hi_u32 s31, s40, s30
	s_mul_i32 s41, s40, s30
	s_mul_i32 s44, s42, s8
	s_mul_hi_u32 s30, s42, s30
	s_mul_hi_u32 s43, s42, s8
	s_add_u32 s30, s30, s44
	s_addc_u32 s43, 0, s43
	s_add_u32 s30, s30, s41
	s_mul_hi_u32 s9, s40, s8
	s_addc_u32 s30, s43, s31
	s_addc_u32 s9, s9, 0
	s_mul_i32 s8, s40, s8
	s_add_u32 s8, s30, s8
	s_addc_u32 s30, 0, s9
	s_add_u32 s41, s42, s8
	s_cselect_b64 s[8:9], -1, 0
	s_cmp_lg_u64 s[8:9], 0
	s_addc_u32 s40, s40, s30
	s_ashr_i32 s8, s65, 31
	s_add_u32 s30, s92, s8
	s_mov_b32 s9, s8
	s_addc_u32 s31, s65, s8
	s_xor_b64 s[30:31], s[30:31], s[8:9]
	s_mul_i32 s43, s30, s40
	s_mul_hi_u32 s44, s30, s41
	s_mul_hi_u32 s42, s30, s40
	s_add_u32 s43, s44, s43
	s_addc_u32 s42, 0, s42
	s_mul_hi_u32 s45, s31, s41
	s_mul_i32 s41, s31, s41
	s_add_u32 s41, s43, s41
	s_mul_hi_u32 s44, s31, s40
	s_addc_u32 s41, s42, s45
	s_addc_u32 s42, s44, 0
	s_mul_i32 s40, s31, s40
	s_add_u32 s40, s41, s40
	s_addc_u32 s41, 0, s42
	s_mul_i32 s41, s6, s41
	s_mul_hi_u32 s42, s6, s40
	s_add_i32 s41, s42, s41
	s_mul_i32 s42, s7, s40
	s_add_i32 s44, s41, s42
	s_sub_i32 s42, s31, s44
	s_mul_i32 s40, s6, s40
	s_sub_u32 s30, s30, s40
	s_cselect_b64 s[40:41], -1, 0
	s_cmp_lg_u64 s[40:41], 0
	s_subb_u32 s45, s42, s7
	s_sub_u32 s46, s30, s6
	s_cselect_b64 s[42:43], -1, 0
	s_cmp_lg_u64 s[42:43], 0
	s_subb_u32 s47, s45, 0
	s_cmp_ge_u32 s47, s7
	s_cselect_b32 s49, -1, 0
	s_cmp_ge_u32 s46, s6
	s_cselect_b32 s50, -1, 0
	s_cmp_eq_u32 s47, s7
	s_cselect_b32 s49, s50, s49
	s_cmp_lg_u64 s[42:43], 0
	s_subb_u32 s45, s45, s7
	s_sub_u32 s50, s46, s6
	s_cselect_b64 s[42:43], -1, 0
	s_cmp_lg_u64 s[42:43], 0
	s_subb_u32 s42, s45, 0
	s_cmp_lg_u32 s49, 0
	s_cselect_b32 s43, s50, s46
	s_cselect_b32 s42, s42, s47
	s_cmp_lg_u64 s[40:41], 0
	s_subb_u32 s31, s31, s44
	s_cmp_ge_u32 s31, s7
	s_cselect_b32 s40, -1, 0
	s_cmp_ge_u32 s30, s6
	s_cselect_b32 s6, -1, 0
	s_cmp_eq_u32 s31, s7
	s_cselect_b32 s6, s6, s40
	s_cmp_lg_u32 s6, 0
	s_cselect_b32 s7, s42, s31
	s_cselect_b32 s6, s43, s30
	s_xor_b64 s[6:7], s[6:7], s[8:9]
	s_sub_u32 s6, s6, s8
	s_subb_u32 s7, s7, s8
	s_cbranch_execnz .LBB68_177
.LBB68_176:                             ;   in Loop: Header=BB68_7 Depth=1
	v_cvt_f32_u32_e32 v6, s72
	s_sub_i32 s6, 0, s72
	v_rcp_iflag_f32_e32 v6, v6
	s_nop 0
	v_mul_f32_e32 v6, 0x4f7ffffe, v6
	v_cvt_u32_f32_e32 v6, v6
	s_nop 0
	v_readfirstlane_b32 s7, v6
	s_mul_i32 s6, s6, s7
	s_mul_hi_u32 s6, s7, s6
	s_add_i32 s7, s7, s6
	s_mul_hi_u32 s6, s92, s7
	s_mul_i32 s6, s6, s72
	s_sub_i32 s6, s92, s6
	s_sub_i32 s7, s6, s72
	s_cmp_ge_u32 s6, s72
	s_cselect_b32 s6, s7, s6
	s_sub_i32 s7, s6, s72
	s_cmp_ge_u32 s6, s72
	s_cselect_b32 s78, s7, s6
	s_mov_b64 s[6:7], s[78:79]
.LBB68_177:                             ;   in Loop: Header=BB68_7 Depth=1
	s_sub_u32 s40, s92, s6
	s_subb_u32 s41, s65, s7
	v_cmp_gt_i64_e32 vcc, s[40:41], v[0:1]
	s_mov_b64 s[8:9], 0
	s_mov_b64 s[6:7], 0
                                        ; implicit-def: $vgpr51
	s_and_saveexec_b64 s[30:31], vcc
	s_cbranch_execz .LBB68_188
; %bb.178:                              ;   in Loop: Header=BB68_7 Depth=1
	v_mov_b64_e32 v[6:7], v[12:13]
	v_mov_b64_e32 v[8:9], v[0:1]
                                        ; implicit-def: $sgpr42_sgpr43
	s_branch .LBB68_181
.LBB68_179:                             ;   in Loop: Header=BB68_181 Depth=2
	s_or_b64 exec, exec, s[44:45]
	s_waitcnt lgkmcnt(0)
	s_barrier
	ds_read_b32 v10, v3 offset:3072
	s_mov_b64 s[44:45], -1
	s_mov_b64 s[46:47], -1
	s_waitcnt lgkmcnt(0)
	s_barrier
	v_and_b32_e32 v11, 0x7fff, v10
	v_cmp_ne_u32_e32 vcc, 0, v11
	s_cbranch_vccz .LBB68_184
.LBB68_180:                             ;   in Loop: Header=BB68_181 Depth=2
	s_and_b64 s[44:45], exec, s[44:45]
	s_or_b64 s[6:7], s[44:45], s[6:7]
	s_andn2_b64 s[42:43], s[42:43], exec
	s_and_b64 s[44:45], s[46:47], exec
	s_or_b64 s[42:43], s[42:43], s[44:45]
	s_andn2_b64 exec, exec, s[6:7]
	s_cbranch_execz .LBB68_187
.LBB68_181:                             ;   Parent Loop BB68_7 Depth=1
                                        ; =>  This Inner Loop Header: Depth=2
	v_cmp_gt_i64_e32 vcc, s[56:57], v[8:9]
	s_and_saveexec_b64 s[44:45], vcc
	s_cbranch_execz .LBB68_179
; %bb.182:                              ;   in Loop: Header=BB68_181 Depth=2
	global_load_ushort v10, v[6:7], off
	s_waitcnt vmcnt(0)
	v_cmp_lt_i16_e32 vcc, -1, v10
	v_lshlrev_b32_e32 v11, 16, v10
	s_nop 0
	v_cndmask_b32_e32 v34, v47, v48, vcc
	v_xor_b32_sdwa v34, v34, v10 dst_sel:DWORD dst_unused:UNUSED_PAD src0_sel:DWORD src1_sel:WORD_0
	v_cmp_o_f32_e32 vcc, v11, v11
	s_nop 1
	v_cndmask_b32_e32 v11, v47, v34, vcc
	v_and_b32_e32 v11, v11, v50
	v_cmp_eq_u32_e32 vcc, v11, v45
	s_and_b64 exec, exec, vcc
	s_cbranch_execz .LBB68_179
; %bb.183:                              ;   in Loop: Header=BB68_181 Depth=2
	v_perm_b32 v10, v10, s55, v49
	ds_write_b32 v3, v10 offset:3072
	s_branch .LBB68_179
.LBB68_184:                             ;   in Loop: Header=BB68_181 Depth=2
	v_lshl_add_u64 v[8:9], v[8:9], 0, s[72:73]
	v_cmp_le_i64_e32 vcc, s[40:41], v[8:9]
	v_lshl_add_u64 v[6:7], v[6:7], 0, s[76:77]
	s_mov_b64 s[46:47], 0
	s_orn2_b64 s[44:45], vcc, exec
	s_branch .LBB68_180
.LBB68_185:                             ;   in Loop: Header=BB68_7 Depth=1
                                        ; implicit-def: $sgpr6_sgpr7
	s_andn2_b64 vcc, exec, s[8:9]
	s_cbranch_vccz .LBB68_130
	s_branch .LBB68_131
.LBB68_186:                             ;   in Loop: Header=BB68_7 Depth=1
                                        ; implicit-def: $sgpr8_sgpr9
	s_branch .LBB68_146
.LBB68_187:                             ;   in Loop: Header=BB68_7 Depth=1
	s_or_b64 exec, exec, s[6:7]
	v_lshrrev_b32_e32 v51, 16, v10
	s_and_b64 s[6:7], s[42:43], exec
.LBB68_188:                             ;   in Loop: Header=BB68_7 Depth=1
	s_or_b64 exec, exec, s[30:31]
.LBB68_189:                             ;   in Loop: Header=BB68_7 Depth=1
	s_and_b64 vcc, exec, s[8:9]
	s_cbranch_vccz .LBB68_203
; %bb.190:                              ;   in Loop: Header=BB68_7 Depth=1
	v_readlane_b32 s8, v70, 20
	s_add_u32 s34, s38, s8
	v_readlane_b32 s8, v70, 21
	s_addc_u32 s9, s39, s8
	s_mov_b32 s8, s79
	s_cmp_lg_u64 s[8:9], 0
	s_cbranch_scc0 .LBB68_231
; %bb.191:                              ;   in Loop: Header=BB68_7 Depth=1
	s_add_u32 s28, s72, 0
	s_addc_u32 s29, 0, 0
	s_xor_b64 s[28:29], s[28:29], 0
	v_cvt_f32_u32_e32 v6, s28
	v_cvt_f32_u32_e32 v7, s29
	s_sub_u32 s8, 0, s28
	s_subb_u32 s35, 0, s29
	v_fmac_f32_e32 v6, 0x4f800000, v7
	v_rcp_f32_e32 v6, v6
	s_nop 0
	v_mul_f32_e32 v6, 0x5f7ffffc, v6
	v_mul_f32_e32 v7, 0x2f800000, v6
	v_trunc_f32_e32 v7, v7
	v_fmac_f32_e32 v6, 0xcf800000, v7
	v_cvt_u32_f32_e32 v7, v7
	v_cvt_u32_f32_e32 v6, v6
	v_readfirstlane_b32 s40, v7
	v_readfirstlane_b32 s30, v6
	s_mul_i32 s31, s8, s40
	s_mul_hi_u32 s42, s8, s30
	s_mul_i32 s41, s35, s30
	s_add_i32 s31, s42, s31
	s_mul_i32 s43, s8, s30
	s_add_i32 s31, s31, s41
	s_mul_i32 s42, s30, s31
	s_mul_hi_u32 s44, s30, s43
	s_mul_hi_u32 s41, s30, s31
	s_add_u32 s42, s44, s42
	s_addc_u32 s41, 0, s41
	s_mul_hi_u32 s45, s40, s43
	s_mul_i32 s43, s40, s43
	s_add_u32 s42, s42, s43
	s_mul_hi_u32 s44, s40, s31
	s_addc_u32 s41, s41, s45
	s_addc_u32 s42, s44, 0
	s_mul_i32 s31, s40, s31
	s_add_u32 s31, s41, s31
	s_addc_u32 s41, 0, s42
	s_add_u32 s42, s30, s31
	s_cselect_b64 s[30:31], -1, 0
	s_cmp_lg_u64 s[30:31], 0
	s_addc_u32 s40, s40, s41
	s_mul_i32 s30, s8, s40
	s_mul_hi_u32 s31, s8, s42
	s_add_i32 s30, s31, s30
	s_mul_i32 s35, s35, s42
	s_add_i32 s30, s30, s35
	s_mul_i32 s8, s8, s42
	s_mul_hi_u32 s35, s40, s8
	s_mul_i32 s41, s40, s8
	s_mul_i32 s44, s42, s30
	s_mul_hi_u32 s8, s42, s8
	s_mul_hi_u32 s43, s42, s30
	s_add_u32 s8, s8, s44
	s_addc_u32 s43, 0, s43
	s_add_u32 s8, s8, s41
	s_mul_hi_u32 s31, s40, s30
	s_addc_u32 s8, s43, s35
	s_addc_u32 s31, s31, 0
	s_mul_i32 s30, s40, s30
	s_add_u32 s8, s8, s30
	s_addc_u32 s35, 0, s31
	s_add_u32 s8, s42, s8
	s_cselect_b64 s[30:31], -1, 0
	s_cmp_lg_u64 s[30:31], 0
	s_addc_u32 s35, s40, s35
	s_ashr_i32 s30, s9, 31
	s_add_u32 s40, s34, s30
	s_mov_b32 s31, s30
	s_addc_u32 s41, s9, s30
	s_xor_b64 s[40:41], s[40:41], s[30:31]
	s_mul_i32 s43, s40, s35
	s_mul_hi_u32 s44, s40, s8
	s_mul_hi_u32 s42, s40, s35
	s_add_u32 s43, s44, s43
	s_addc_u32 s42, 0, s42
	s_mul_hi_u32 s45, s41, s8
	s_mul_i32 s8, s41, s8
	s_add_u32 s8, s43, s8
	s_mul_hi_u32 s44, s41, s35
	s_addc_u32 s8, s42, s45
	s_addc_u32 s42, s44, 0
	s_mul_i32 s35, s41, s35
	s_add_u32 s8, s8, s35
	s_addc_u32 s35, 0, s42
	s_mul_i32 s35, s28, s35
	s_mul_hi_u32 s42, s28, s8
	s_add_i32 s35, s42, s35
	s_mul_i32 s42, s29, s8
	s_add_i32 s35, s35, s42
	s_sub_i32 s44, s41, s35
	s_mul_i32 s8, s28, s8
	s_sub_u32 s8, s40, s8
	s_cselect_b64 s[42:43], -1, 0
	s_cmp_lg_u64 s[42:43], 0
	s_subb_u32 s40, s44, s29
	s_sub_u32 s46, s8, s28
	s_cselect_b64 s[44:45], -1, 0
	s_cmp_lg_u64 s[44:45], 0
	s_subb_u32 s47, s40, 0
	s_cmp_ge_u32 s47, s29
	s_cselect_b32 s49, -1, 0
	s_cmp_ge_u32 s46, s28
	s_cselect_b32 s50, -1, 0
	s_cmp_eq_u32 s47, s29
	s_cselect_b32 s49, s50, s49
	s_cmp_lg_u64 s[44:45], 0
	s_subb_u32 s40, s40, s29
	s_sub_u32 s50, s46, s28
	s_cselect_b64 s[44:45], -1, 0
	s_cmp_lg_u64 s[44:45], 0
	s_subb_u32 s40, s40, 0
	s_cmp_lg_u32 s49, 0
	s_cselect_b32 s44, s50, s46
	s_cselect_b32 s40, s40, s47
	s_cmp_lg_u64 s[42:43], 0
	s_subb_u32 s35, s41, s35
	s_cmp_ge_u32 s35, s29
	s_cselect_b32 s41, -1, 0
	s_cmp_ge_u32 s8, s28
	s_cselect_b32 s28, -1, 0
	s_cmp_eq_u32 s35, s29
	s_cselect_b32 s28, s28, s41
	s_cmp_lg_u32 s28, 0
	s_cselect_b32 s29, s40, s35
	s_cselect_b32 s28, s44, s8
	s_xor_b64 s[28:29], s[28:29], s[30:31]
	s_sub_u32 s28, s28, s30
	s_subb_u32 s29, s29, s30
	s_cbranch_execnz .LBB68_193
.LBB68_192:                             ;   in Loop: Header=BB68_7 Depth=1
	v_cvt_f32_u32_e32 v6, s72
	s_sub_i32 s8, 0, s72
	v_rcp_iflag_f32_e32 v6, v6
	s_nop 0
	v_mul_f32_e32 v6, 0x4f7ffffe, v6
	v_cvt_u32_f32_e32 v6, v6
	s_nop 0
	v_readfirstlane_b32 s28, v6
	s_mul_i32 s8, s8, s28
	s_mul_hi_u32 s8, s28, s8
	s_add_i32 s28, s28, s8
	s_mul_hi_u32 s8, s34, s28
	s_mul_i32 s8, s8, s72
	s_sub_i32 s8, s34, s8
	s_sub_i32 s28, s8, s72
	s_cmp_ge_u32 s8, s72
	s_cselect_b32 s8, s28, s8
	s_sub_i32 s28, s8, s72
	s_cmp_ge_u32 s8, s72
	s_cselect_b32 s78, s28, s8
	s_mov_b64 s[28:29], s[78:79]
.LBB68_193:                             ;   in Loop: Header=BB68_7 Depth=1
	s_sub_u32 s28, s34, s28
	s_subb_u32 s29, s9, s29
	v_cmp_gt_i64_e32 vcc, s[28:29], v[0:1]
                                        ; implicit-def: $vgpr51
	s_and_saveexec_b64 s[8:9], vcc
	s_cbranch_execz .LBB68_202
; %bb.194:                              ;   in Loop: Header=BB68_7 Depth=1
	s_mov_b64 s[30:31], 0
	v_mov_b32_e32 v8, v41
	v_mov_b64_e32 v[6:7], v[0:1]
                                        ; implicit-def: $sgpr34_sgpr35
	s_branch .LBB68_197
.LBB68_195:                             ;   in Loop: Header=BB68_197 Depth=2
	s_or_b64 exec, exec, s[40:41]
	s_waitcnt lgkmcnt(0)
	s_barrier
	ds_read_b32 v9, v3 offset:3072
	s_mov_b64 s[40:41], -1
	s_mov_b64 s[42:43], -1
	s_waitcnt lgkmcnt(0)
	s_barrier
	v_and_b32_e32 v10, 0x7fff, v9
	v_cmp_eq_u32_e32 vcc, 0, v10
	s_cbranch_vccnz .LBB68_200
.LBB68_196:                             ;   in Loop: Header=BB68_197 Depth=2
	s_and_b64 s[40:41], exec, s[40:41]
	s_or_b64 s[30:31], s[40:41], s[30:31]
	s_andn2_b64 s[34:35], s[34:35], exec
	s_and_b64 s[40:41], s[42:43], exec
	s_or_b64 s[34:35], s[34:35], s[40:41]
	s_andn2_b64 exec, exec, s[30:31]
	s_cbranch_execz .LBB68_201
.LBB68_197:                             ;   Parent Loop BB68_7 Depth=1
                                        ; =>  This Inner Loop Header: Depth=2
	v_cmp_gt_u64_e32 vcc, s[38:39], v[6:7]
	s_and_saveexec_b64 s[40:41], vcc
	s_cbranch_execz .LBB68_195
; %bb.198:                              ;   in Loop: Header=BB68_197 Depth=2
	ds_read_u16 v9, v8
	s_waitcnt lgkmcnt(0)
	v_cmp_lt_i16_e32 vcc, -1, v9
	v_lshlrev_b32_e32 v10, 16, v9
	s_nop 0
	v_cndmask_b32_e32 v11, v47, v48, vcc
	v_xor_b32_sdwa v11, v11, v9 dst_sel:DWORD dst_unused:UNUSED_PAD src0_sel:DWORD src1_sel:WORD_0
	v_cmp_o_f32_e32 vcc, v10, v10
	s_nop 1
	v_cndmask_b32_e32 v10, v47, v11, vcc
	v_and_b32_e32 v10, v10, v50
	v_cmp_eq_u32_e32 vcc, v10, v45
	s_and_b64 exec, exec, vcc
	s_cbranch_execz .LBB68_195
; %bb.199:                              ;   in Loop: Header=BB68_197 Depth=2
	v_perm_b32 v9, v9, s55, v49
	ds_write_b32 v3, v9 offset:3072
	s_branch .LBB68_195
.LBB68_200:                             ;   in Loop: Header=BB68_197 Depth=2
	v_lshl_add_u64 v[6:7], v[6:7], 0, s[72:73]
	v_cmp_le_i64_e32 vcc, s[28:29], v[6:7]
	v_add_u32_e32 v8, s52, v8
	s_mov_b64 s[42:43], 0
	s_orn2_b64 s[40:41], vcc, exec
	s_branch .LBB68_196
.LBB68_201:                             ;   in Loop: Header=BB68_7 Depth=1
	s_or_b64 exec, exec, s[30:31]
	s_andn2_b64 s[6:7], s[6:7], exec
	s_and_b64 s[28:29], s[34:35], exec
	v_lshrrev_b32_e32 v51, 16, v9
	s_or_b64 s[6:7], s[6:7], s[28:29]
.LBB68_202:                             ;   in Loop: Header=BB68_7 Depth=1
	s_or_b64 exec, exec, s[8:9]
	s_mov_b64 s[28:29], 0
	s_mov_b64 s[34:35], -1
.LBB68_203:                             ;   in Loop: Header=BB68_7 Depth=1
	s_orn2_b64 s[6:7], s[6:7], exec
.LBB68_204:                             ;   in Loop: Header=BB68_7 Depth=1
	s_or_b64 exec, exec, s[36:37]
	s_mov_b64 s[8:9], 0
	s_and_saveexec_b64 s[36:37], s[6:7]
	s_cbranch_execz .LBB68_262
; %bb.205:                              ;   in Loop: Header=BB68_7 Depth=1
	s_xor_b64 s[8:9], s[10:11], -1
	v_mov_b32_e32 v2, 1
	s_mov_b64 s[30:31], 0
	v_mov_b64_e32 v[6:7], 1
	s_and_saveexec_b64 s[6:7], s[8:9]
	s_cbranch_execz .LBB68_214
; %bb.206:                              ;   in Loop: Header=BB68_7 Depth=1
	v_cmp_ge_i64_e32 vcc, s[22:23], v[4:5]
	s_and_saveexec_b64 s[8:9], vcc
	s_xor_b64 s[8:9], exec, s[8:9]
	s_cbranch_execz .LBB68_211
; %bb.207:                              ;   in Loop: Header=BB68_7 Depth=1
	ds_read_b64 v[6:7], v3 offset:5120
	v_and_b32_e32 v2, s48, v45
	v_lshl_or_b32 v45, 2, s86, v2
	v_or_b32_e32 v50, s54, v50
	s_waitcnt lgkmcnt(0)
	v_cmp_ne_u64_e32 vcc, 0, v[6:7]
	s_cbranch_vccnz .LBB68_211
; %bb.208:                              ;   in Loop: Header=BB68_7 Depth=1
	s_mov_b64 s[10:11], exec
	v_readlane_b32 s30, v70, 8
	v_readlane_b32 s31, v70, 9
	s_and_b64 s[30:31], s[10:11], s[30:31]
	s_mov_b64 exec, s[30:31]
; %bb.209:                              ;   in Loop: Header=BB68_7 Depth=1
	v_mov_b64_e32 v[6:7], s[22:23]
	ds_write_b64 v3, v[6:7] offset:5128
; %bb.210:                              ;   in Loop: Header=BB68_7 Depth=1
	s_or_b64 exec, exec, s[10:11]
	s_waitcnt lgkmcnt(0)
	s_barrier
.LBB68_211:                             ;   in Loop: Header=BB68_7 Depth=1
	s_or_saveexec_b64 s[8:9], s[8:9]
	s_mov_b64 s[10:11], 0
	v_mov_b32_e32 v2, 8
	s_xor_b64 exec, exec, s[8:9]
; %bb.212:                              ;   in Loop: Header=BB68_7 Depth=1
	v_mov_b32_e32 v2, s23
	v_subrev_co_u32_e32 v4, vcc, s22, v4
	s_mov_b64 s[10:11], exec
	s_nop 0
	v_subb_co_u32_e32 v5, vcc, v5, v2, vcc
	v_mov_b32_e32 v2, 0
; %bb.213:                              ;   in Loop: Header=BB68_7 Depth=1
	s_or_b64 exec, exec, s[8:9]
	s_and_b64 s[30:31], s[10:11], exec
	v_mov_b64_e32 v[6:7], v[4:5]
.LBB68_214:                             ;   in Loop: Header=BB68_7 Depth=1
	s_or_b64 exec, exec, s[6:7]
	s_mov_b64 s[22:23], -1
                                        ; implicit-def: $sgpr8_sgpr9
                                        ; implicit-def: $sgpr6_sgpr7
	s_and_saveexec_b64 s[10:11], s[30:31]
	s_cbranch_execz .LBB68_261
; %bb.215:                              ;   in Loop: Header=BB68_7 Depth=1
	s_cmp_eq_u64 s[14:15], 1
	s_cselect_b64 s[6:7], -1, 0
	v_cmp_eq_u64_e32 vcc, 1, v[6:7]
	s_and_b64 s[22:23], s[6:7], vcc
	s_mov_b64 s[40:41], -1
                                        ; implicit-def: $sgpr8_sgpr9
                                        ; implicit-def: $sgpr6_sgpr7
	s_and_saveexec_b64 s[38:39], s[22:23]
	s_cbranch_execz .LBB68_249
; %bb.216:                              ;   in Loop: Header=BB68_7 Depth=1
	ds_read_b64 v[4:5], v3 offset:5120
	s_waitcnt lgkmcnt(0)
	s_barrier
	v_readfirstlane_b32 s40, v4
	v_readfirstlane_b32 s41, v5
	s_mov_b64 s[6:7], exec
	v_readlane_b32 s8, v70, 12
	v_readlane_b32 s9, v70, 13
	s_and_b64 s[8:9], s[6:7], s[8:9]
	s_mov_b64 exec, s[8:9]
; %bb.217:                              ;   in Loop: Header=BB68_7 Depth=1
	ds_write_b16 v42, v3
; %bb.218:                              ;   in Loop: Header=BB68_7 Depth=1
	s_or_b64 exec, exec, s[6:7]
	v_cmp_gt_i64_e64 s[30:31], s[40:41], 0
	v_or_b32_e32 v45, s54, v45
	v_or_b32_e32 v50, s54, v50
	s_mov_b64 s[6:7], -1
	s_mov_b64 s[8:9], 0
	s_and_b64 vcc, exec, s[30:31]
	s_mov_b64 s[30:31], 0
	s_mov_b64 s[42:43], -1
	s_waitcnt lgkmcnt(0)
	s_barrier
                                        ; implicit-def: $vgpr51
	s_cbranch_vccnz .LBB68_234
; %bb.219:                              ;   in Loop: Header=BB68_7 Depth=1
	s_mov_b32 s64, s79
	s_cmp_lg_u64 s[64:65], 0
	s_cbranch_scc0 .LBB68_268
; %bb.220:                              ;   in Loop: Header=BB68_7 Depth=1
	s_add_u32 s30, s72, 0
	s_addc_u32 s31, 0, 0
	s_xor_b64 s[30:31], s[30:31], 0
	v_cvt_f32_u32_e32 v4, s30
	v_cvt_f32_u32_e32 v5, s31
	s_sub_u32 s44, 0, s30
	s_subb_u32 s45, 0, s31
	v_fmac_f32_e32 v4, 0x4f800000, v5
	v_rcp_f32_e32 v4, v4
	s_nop 0
	v_mul_f32_e32 v4, 0x5f7ffffc, v4
	v_mul_f32_e32 v5, 0x2f800000, v4
	v_trunc_f32_e32 v5, v5
	v_fmac_f32_e32 v4, 0xcf800000, v5
	v_cvt_u32_f32_e32 v5, v5
	v_cvt_u32_f32_e32 v4, v4
	v_readfirstlane_b32 s46, v5
	v_readfirstlane_b32 s42, v4
	s_mul_i32 s43, s44, s46
	s_mul_hi_u32 s48, s44, s42
	s_mul_i32 s47, s45, s42
	s_add_i32 s43, s48, s43
	s_mul_i32 s49, s44, s42
	s_add_i32 s43, s43, s47
	s_mul_i32 s48, s42, s43
	s_mul_hi_u32 s50, s42, s49
	s_mul_hi_u32 s47, s42, s43
	s_add_u32 s48, s50, s48
	s_addc_u32 s47, 0, s47
	s_mul_hi_u32 s51, s46, s49
	s_mul_i32 s49, s46, s49
	s_add_u32 s48, s48, s49
	s_mul_hi_u32 s50, s46, s43
	s_addc_u32 s47, s47, s51
	s_addc_u32 s48, s50, 0
	s_mul_i32 s43, s46, s43
	s_add_u32 s43, s47, s43
	s_addc_u32 s47, 0, s48
	s_add_u32 s48, s42, s43
	s_cselect_b64 s[42:43], -1, 0
	s_cmp_lg_u64 s[42:43], 0
	s_addc_u32 s46, s46, s47
	s_mul_i32 s42, s44, s46
	s_mul_hi_u32 s43, s44, s48
	s_add_i32 s42, s43, s42
	s_mul_i32 s45, s45, s48
	s_add_i32 s42, s42, s45
	s_mul_i32 s44, s44, s48
	s_mul_hi_u32 s45, s46, s44
	s_mul_i32 s47, s46, s44
	s_mul_i32 s50, s48, s42
	s_mul_hi_u32 s44, s48, s44
	s_mul_hi_u32 s49, s48, s42
	s_add_u32 s44, s44, s50
	s_addc_u32 s49, 0, s49
	s_add_u32 s44, s44, s47
	s_mul_hi_u32 s43, s46, s42
	s_addc_u32 s44, s49, s45
	s_addc_u32 s43, s43, 0
	s_mul_i32 s42, s46, s42
	s_add_u32 s42, s44, s42
	s_addc_u32 s44, 0, s43
	s_add_u32 s47, s48, s42
	s_cselect_b64 s[42:43], -1, 0
	s_cmp_lg_u64 s[42:43], 0
	s_addc_u32 s46, s46, s44
	s_ashr_i32 s42, s65, 31
	s_add_u32 s44, s92, s42
	s_mov_b32 s43, s42
	s_addc_u32 s45, s65, s42
	s_xor_b64 s[44:45], s[44:45], s[42:43]
	s_mul_i32 s49, s44, s46
	s_mul_hi_u32 s50, s44, s47
	s_mul_hi_u32 s48, s44, s46
	s_add_u32 s49, s50, s49
	s_addc_u32 s48, 0, s48
	s_mul_hi_u32 s51, s45, s47
	s_mul_i32 s47, s45, s47
	s_add_u32 s47, s49, s47
	s_mul_hi_u32 s50, s45, s46
	s_addc_u32 s47, s48, s51
	s_addc_u32 s48, s50, 0
	s_mul_i32 s46, s45, s46
	s_add_u32 s46, s47, s46
	s_addc_u32 s47, 0, s48
	s_mul_i32 s47, s30, s47
	s_mul_hi_u32 s48, s30, s46
	s_add_i32 s47, s48, s47
	s_mul_i32 s48, s31, s46
	s_add_i32 s50, s47, s48
	s_sub_i32 s48, s45, s50
	s_mul_i32 s46, s30, s46
	s_sub_u32 s44, s44, s46
	s_cselect_b64 s[46:47], -1, 0
	s_cmp_lg_u64 s[46:47], 0
	s_subb_u32 s51, s48, s31
	s_sub_u32 s52, s44, s30
	s_cselect_b64 s[48:49], -1, 0
	s_cmp_lg_u64 s[48:49], 0
	s_subb_u32 s53, s51, 0
	s_cmp_ge_u32 s53, s31
	s_cselect_b32 s55, -1, 0
	s_cmp_ge_u32 s52, s30
	s_cselect_b32 s64, -1, 0
	s_cmp_eq_u32 s53, s31
	s_cselect_b32 s55, s64, s55
	s_cmp_lg_u64 s[48:49], 0
	s_subb_u32 s51, s51, s31
	s_sub_u32 s64, s52, s30
	s_cselect_b64 s[48:49], -1, 0
	s_cmp_lg_u64 s[48:49], 0
	s_subb_u32 s48, s51, 0
	s_cmp_lg_u32 s55, 0
	s_cselect_b32 s49, s64, s52
	s_cselect_b32 s48, s48, s53
	s_cmp_lg_u64 s[46:47], 0
	s_subb_u32 s45, s45, s50
	s_cmp_ge_u32 s45, s31
	s_cselect_b32 s46, -1, 0
	s_cmp_ge_u32 s44, s30
	s_cselect_b32 s30, -1, 0
	s_cmp_eq_u32 s45, s31
	s_cselect_b32 s30, s30, s46
	s_cmp_lg_u32 s30, 0
	s_cselect_b32 s31, s48, s45
	s_cselect_b32 s30, s49, s44
	s_xor_b64 s[30:31], s[30:31], s[42:43]
	s_sub_u32 s30, s30, s42
	s_movk_i32 s55, 0x3f80
	s_subb_u32 s31, s31, s42
	s_cbranch_execnz .LBB68_222
.LBB68_221:                             ;   in Loop: Header=BB68_7 Depth=1
	v_cvt_f32_u32_e32 v4, s72
	s_sub_i32 s30, 0, s72
	v_rcp_iflag_f32_e32 v4, v4
	s_nop 0
	v_mul_f32_e32 v4, 0x4f7ffffe, v4
	v_cvt_u32_f32_e32 v4, v4
	s_nop 0
	v_readfirstlane_b32 s31, v4
	s_mul_i32 s30, s30, s31
	s_mul_hi_u32 s30, s31, s30
	s_add_i32 s31, s31, s30
	s_mul_hi_u32 s30, s92, s31
	s_mul_i32 s30, s30, s72
	s_sub_i32 s30, s92, s30
	s_sub_i32 s31, s30, s72
	s_cmp_ge_u32 s30, s72
	s_cselect_b32 s30, s31, s30
	s_sub_i32 s31, s30, s72
	s_cmp_ge_u32 s30, s72
	s_cselect_b32 s78, s31, s30
	s_mov_b64 s[30:31], s[78:79]
.LBB68_222:                             ;   in Loop: Header=BB68_7 Depth=1
	s_sub_u32 s46, s92, s30
	s_subb_u32 s47, s65, s31
	v_cmp_gt_i64_e32 vcc, s[46:47], v[0:1]
	s_mov_b64 s[42:43], 0
	s_mov_b64 s[30:31], 0
                                        ; implicit-def: $vgpr51
	s_and_saveexec_b64 s[44:45], vcc
	s_cbranch_execz .LBB68_233
; %bb.223:                              ;   in Loop: Header=BB68_7 Depth=1
	v_mov_b64_e32 v[4:5], v[12:13]
	v_mov_b64_e32 v[8:9], v[0:1]
                                        ; implicit-def: $sgpr48_sgpr49
	s_branch .LBB68_226
.LBB68_224:                             ;   in Loop: Header=BB68_226 Depth=2
	s_or_b64 exec, exec, s[50:51]
	s_waitcnt lgkmcnt(0)
	s_barrier
	ds_read_b32 v10, v3 offset:3072
	s_mov_b64 s[50:51], -1
	s_mov_b64 s[52:53], -1
	s_waitcnt lgkmcnt(0)
	s_barrier
	v_and_b32_e32 v11, 0x7fff, v10
	v_cmp_ne_u32_e32 vcc, 0, v11
	s_cbranch_vccz .LBB68_229
.LBB68_225:                             ;   in Loop: Header=BB68_226 Depth=2
	s_and_b64 s[50:51], exec, s[50:51]
	s_or_b64 s[30:31], s[50:51], s[30:31]
	s_andn2_b64 s[48:49], s[48:49], exec
	s_and_b64 s[50:51], s[52:53], exec
	s_or_b64 s[48:49], s[48:49], s[50:51]
	s_andn2_b64 exec, exec, s[30:31]
	s_cbranch_execz .LBB68_232
.LBB68_226:                             ;   Parent Loop BB68_7 Depth=1
                                        ; =>  This Inner Loop Header: Depth=2
	v_cmp_gt_i64_e32 vcc, s[56:57], v[8:9]
	s_and_saveexec_b64 s[50:51], vcc
	s_cbranch_execz .LBB68_224
; %bb.227:                              ;   in Loop: Header=BB68_226 Depth=2
	global_load_ushort v10, v[4:5], off
	s_waitcnt vmcnt(0)
	v_cmp_lt_i16_e32 vcc, -1, v10
	v_lshlrev_b32_e32 v11, 16, v10
	s_nop 0
	v_cndmask_b32_e32 v34, v47, v48, vcc
	v_xor_b32_sdwa v34, v34, v10 dst_sel:DWORD dst_unused:UNUSED_PAD src0_sel:DWORD src1_sel:WORD_0
	v_cmp_o_f32_e32 vcc, v11, v11
	s_nop 1
	v_cndmask_b32_e32 v11, v47, v34, vcc
	v_and_b32_e32 v11, v11, v50
	v_cmp_eq_u32_e32 vcc, v11, v45
	s_and_b64 exec, exec, vcc
	s_cbranch_execz .LBB68_224
; %bb.228:                              ;   in Loop: Header=BB68_226 Depth=2
	v_perm_b32 v10, v10, s55, v49
	ds_write_b32 v3, v10 offset:3072
	s_branch .LBB68_224
.LBB68_229:                             ;   in Loop: Header=BB68_226 Depth=2
	v_lshl_add_u64 v[8:9], v[8:9], 0, s[72:73]
	v_cmp_le_i64_e32 vcc, s[46:47], v[8:9]
	v_lshl_add_u64 v[4:5], v[4:5], 0, s[76:77]
	s_mov_b64 s[52:53], 0
	s_orn2_b64 s[50:51], vcc, exec
	s_branch .LBB68_225
.LBB68_230:                             ;   in Loop: Header=BB68_7 Depth=1
                                        ; implicit-def: $sgpr6_sgpr7
	s_andn2_b64 vcc, exec, s[8:9]
	s_cbranch_vccz .LBB68_176
	s_branch .LBB68_177
.LBB68_231:                             ;   in Loop: Header=BB68_7 Depth=1
                                        ; implicit-def: $sgpr28_sgpr29
	s_branch .LBB68_192
.LBB68_232:                             ;   in Loop: Header=BB68_7 Depth=1
	s_or_b64 exec, exec, s[30:31]
	v_lshrrev_b32_e32 v51, 16, v10
	s_and_b64 s[30:31], s[48:49], exec
.LBB68_233:                             ;   in Loop: Header=BB68_7 Depth=1
	s_or_b64 exec, exec, s[44:45]
	v_readlane_b32 s51, v70, 42
	v_readlane_b32 s52, v70, 43
	s_mov_b32 s53, 0x5040100
.LBB68_234:                             ;   in Loop: Header=BB68_7 Depth=1
	s_and_b64 vcc, exec, s[42:43]
	s_cbranch_vccz .LBB68_248
; %bb.235:                              ;   in Loop: Header=BB68_7 Depth=1
	v_readlane_b32 s6, v70, 20
	s_add_u32 s44, s40, s6
	v_readlane_b32 s6, v70, 21
	s_addc_u32 s7, s41, s6
	s_mov_b32 s6, s79
	s_cmp_lg_u64 s[6:7], 0
	s_cbranch_scc0 .LBB68_269
; %bb.236:                              ;   in Loop: Header=BB68_7 Depth=1
	s_add_u32 s8, s72, 0
	s_addc_u32 s9, 0, 0
	s_xor_b64 s[8:9], s[8:9], 0
	v_cvt_f32_u32_e32 v4, s8
	v_cvt_f32_u32_e32 v5, s9
	s_sub_u32 s6, 0, s8
	s_subb_u32 s45, 0, s9
	v_fmac_f32_e32 v4, 0x4f800000, v5
	v_rcp_f32_e32 v4, v4
	s_nop 0
	v_mul_f32_e32 v4, 0x5f7ffffc, v4
	v_mul_f32_e32 v5, 0x2f800000, v4
	v_trunc_f32_e32 v5, v5
	v_fmac_f32_e32 v4, 0xcf800000, v5
	v_cvt_u32_f32_e32 v5, v5
	v_cvt_u32_f32_e32 v4, v4
	v_readfirstlane_b32 s46, v5
	v_readfirstlane_b32 s42, v4
	s_mul_i32 s43, s6, s46
	s_mul_hi_u32 s48, s6, s42
	s_mul_i32 s47, s45, s42
	s_add_i32 s43, s48, s43
	s_mul_i32 s49, s6, s42
	s_add_i32 s43, s43, s47
	s_mul_i32 s48, s42, s43
	s_mul_hi_u32 s50, s42, s49
	s_mul_hi_u32 s47, s42, s43
	s_add_u32 s48, s50, s48
	s_addc_u32 s47, 0, s47
	s_mul_hi_u32 s51, s46, s49
	s_mul_i32 s49, s46, s49
	s_add_u32 s48, s48, s49
	s_mul_hi_u32 s50, s46, s43
	s_addc_u32 s47, s47, s51
	s_addc_u32 s48, s50, 0
	s_mul_i32 s43, s46, s43
	s_add_u32 s43, s47, s43
	s_addc_u32 s47, 0, s48
	s_add_u32 s48, s42, s43
	s_cselect_b64 s[42:43], -1, 0
	s_cmp_lg_u64 s[42:43], 0
	s_addc_u32 s46, s46, s47
	s_mul_i32 s42, s6, s46
	s_mul_hi_u32 s43, s6, s48
	s_add_i32 s42, s43, s42
	s_mul_i32 s45, s45, s48
	s_add_i32 s42, s42, s45
	s_mul_i32 s6, s6, s48
	s_mul_hi_u32 s45, s46, s6
	s_mul_i32 s47, s46, s6
	s_mul_i32 s50, s48, s42
	s_mul_hi_u32 s6, s48, s6
	s_mul_hi_u32 s49, s48, s42
	s_add_u32 s6, s6, s50
	s_addc_u32 s49, 0, s49
	s_add_u32 s6, s6, s47
	s_mul_hi_u32 s43, s46, s42
	s_addc_u32 s6, s49, s45
	s_addc_u32 s43, s43, 0
	s_mul_i32 s42, s46, s42
	s_add_u32 s6, s6, s42
	s_addc_u32 s45, 0, s43
	s_add_u32 s6, s48, s6
	s_cselect_b64 s[42:43], -1, 0
	s_cmp_lg_u64 s[42:43], 0
	s_addc_u32 s45, s46, s45
	s_ashr_i32 s42, s7, 31
	s_add_u32 s46, s44, s42
	s_mov_b32 s43, s42
	s_addc_u32 s47, s7, s42
	s_xor_b64 s[46:47], s[46:47], s[42:43]
	s_mul_i32 s49, s46, s45
	s_mul_hi_u32 s50, s46, s6
	s_mul_hi_u32 s48, s46, s45
	s_add_u32 s49, s50, s49
	s_addc_u32 s48, 0, s48
	s_mul_hi_u32 s51, s47, s6
	s_mul_i32 s6, s47, s6
	s_add_u32 s6, s49, s6
	s_mul_hi_u32 s50, s47, s45
	s_addc_u32 s6, s48, s51
	s_addc_u32 s48, s50, 0
	s_mul_i32 s45, s47, s45
	s_add_u32 s6, s6, s45
	s_addc_u32 s45, 0, s48
	s_mul_i32 s45, s8, s45
	s_mul_hi_u32 s48, s8, s6
	s_add_i32 s45, s48, s45
	s_mul_i32 s48, s9, s6
	s_add_i32 s45, s45, s48
	s_sub_i32 s50, s47, s45
	s_mul_i32 s6, s8, s6
	s_sub_u32 s6, s46, s6
	s_cselect_b64 s[48:49], -1, 0
	s_cmp_lg_u64 s[48:49], 0
	s_subb_u32 s46, s50, s9
	s_sub_u32 s52, s6, s8
	s_cselect_b64 s[50:51], -1, 0
	s_cmp_lg_u64 s[50:51], 0
	s_subb_u32 s53, s46, 0
	s_cmp_ge_u32 s53, s9
	s_cselect_b32 s55, -1, 0
	s_cmp_ge_u32 s52, s8
	s_cselect_b32 s64, -1, 0
	s_cmp_eq_u32 s53, s9
	s_cselect_b32 s55, s64, s55
	s_cmp_lg_u64 s[50:51], 0
	s_subb_u32 s46, s46, s9
	s_sub_u32 s64, s52, s8
	s_cselect_b64 s[50:51], -1, 0
	s_cmp_lg_u64 s[50:51], 0
	s_subb_u32 s46, s46, 0
	s_cmp_lg_u32 s55, 0
	s_cselect_b32 s50, s64, s52
	s_cselect_b32 s46, s46, s53
	s_cmp_lg_u64 s[48:49], 0
	s_subb_u32 s45, s47, s45
	s_cmp_ge_u32 s45, s9
	s_cselect_b32 s47, -1, 0
	s_cmp_ge_u32 s6, s8
	s_cselect_b32 s8, -1, 0
	s_cmp_eq_u32 s45, s9
	s_cselect_b32 s8, s8, s47
	s_cmp_lg_u32 s8, 0
	s_cselect_b32 s9, s46, s45
	s_cselect_b32 s8, s50, s6
	s_xor_b64 s[8:9], s[8:9], s[42:43]
	s_sub_u32 s8, s8, s42
	v_readlane_b32 s51, v70, 42
	s_movk_i32 s55, 0x3f80
	v_readlane_b32 s52, v70, 43
	s_mov_b32 s53, 0x5040100
	s_subb_u32 s9, s9, s42
	s_cbranch_execnz .LBB68_238
.LBB68_237:                             ;   in Loop: Header=BB68_7 Depth=1
	v_cvt_f32_u32_e32 v4, s72
	s_sub_i32 s6, 0, s72
	v_rcp_iflag_f32_e32 v4, v4
	s_nop 0
	v_mul_f32_e32 v4, 0x4f7ffffe, v4
	v_cvt_u32_f32_e32 v4, v4
	s_nop 0
	v_readfirstlane_b32 s8, v4
	s_mul_i32 s6, s6, s8
	s_mul_hi_u32 s6, s8, s6
	s_add_i32 s8, s8, s6
	s_mul_hi_u32 s6, s44, s8
	s_mul_i32 s6, s6, s72
	s_sub_i32 s6, s44, s6
	s_sub_i32 s8, s6, s72
	s_cmp_ge_u32 s6, s72
	s_cselect_b32 s6, s8, s6
	s_sub_i32 s8, s6, s72
	s_cmp_ge_u32 s6, s72
	s_cselect_b32 s78, s8, s6
	s_mov_b64 s[8:9], s[78:79]
.LBB68_238:                             ;   in Loop: Header=BB68_7 Depth=1
	s_sub_u32 s8, s44, s8
	s_subb_u32 s9, s7, s9
	v_cmp_gt_i64_e32 vcc, s[8:9], v[0:1]
                                        ; implicit-def: $vgpr51
	s_and_saveexec_b64 s[6:7], vcc
	s_cbranch_execz .LBB68_247
; %bb.239:                              ;   in Loop: Header=BB68_7 Depth=1
	s_mov_b64 s[42:43], 0
	v_mov_b32_e32 v8, v41
	v_mov_b64_e32 v[4:5], v[0:1]
                                        ; implicit-def: $sgpr44_sgpr45
	s_branch .LBB68_242
.LBB68_240:                             ;   in Loop: Header=BB68_242 Depth=2
	s_or_b64 exec, exec, s[46:47]
	s_waitcnt lgkmcnt(0)
	s_barrier
	ds_read_b32 v9, v3 offset:3072
	s_mov_b64 s[46:47], -1
	s_mov_b64 s[48:49], -1
	s_waitcnt lgkmcnt(0)
	s_barrier
	v_and_b32_e32 v10, 0x7fff, v9
	v_cmp_eq_u32_e32 vcc, 0, v10
	s_cbranch_vccnz .LBB68_245
.LBB68_241:                             ;   in Loop: Header=BB68_242 Depth=2
	s_and_b64 s[46:47], exec, s[46:47]
	s_or_b64 s[42:43], s[46:47], s[42:43]
	s_andn2_b64 s[44:45], s[44:45], exec
	s_and_b64 s[46:47], s[48:49], exec
	s_or_b64 s[44:45], s[44:45], s[46:47]
	s_andn2_b64 exec, exec, s[42:43]
	s_cbranch_execz .LBB68_246
.LBB68_242:                             ;   Parent Loop BB68_7 Depth=1
                                        ; =>  This Inner Loop Header: Depth=2
	v_cmp_gt_u64_e32 vcc, s[40:41], v[4:5]
	s_and_saveexec_b64 s[46:47], vcc
	s_cbranch_execz .LBB68_240
; %bb.243:                              ;   in Loop: Header=BB68_242 Depth=2
	ds_read_u16 v9, v8
	s_waitcnt lgkmcnt(0)
	v_cmp_lt_i16_e32 vcc, -1, v9
	v_lshlrev_b32_e32 v10, 16, v9
	s_nop 0
	v_cndmask_b32_e32 v11, v47, v48, vcc
	v_xor_b32_sdwa v11, v11, v9 dst_sel:DWORD dst_unused:UNUSED_PAD src0_sel:DWORD src1_sel:WORD_0
	v_cmp_o_f32_e32 vcc, v10, v10
	s_nop 1
	v_cndmask_b32_e32 v10, v47, v11, vcc
	v_and_b32_e32 v10, v10, v50
	v_cmp_eq_u32_e32 vcc, v10, v45
	s_and_b64 exec, exec, vcc
	s_cbranch_execz .LBB68_240
; %bb.244:                              ;   in Loop: Header=BB68_242 Depth=2
	v_perm_b32 v9, v9, s55, v49
	ds_write_b32 v3, v9 offset:3072
	s_branch .LBB68_240
.LBB68_245:                             ;   in Loop: Header=BB68_242 Depth=2
	v_lshl_add_u64 v[4:5], v[4:5], 0, s[72:73]
	v_cmp_le_i64_e32 vcc, s[8:9], v[4:5]
	v_add_u32_e32 v8, s52, v8
	s_mov_b64 s[48:49], 0
	s_orn2_b64 s[46:47], vcc, exec
	s_branch .LBB68_241
.LBB68_246:                             ;   in Loop: Header=BB68_7 Depth=1
	s_or_b64 exec, exec, s[42:43]
	s_andn2_b64 s[8:9], s[30:31], exec
	s_and_b64 s[30:31], s[44:45], exec
	v_lshrrev_b32_e32 v51, 16, v9
	s_or_b64 s[30:31], s[8:9], s[30:31]
.LBB68_247:                             ;   in Loop: Header=BB68_7 Depth=1
	s_or_b64 exec, exec, s[6:7]
	s_mov_b64 s[6:7], 0
	s_mov_b64 s[8:9], -1
.LBB68_248:                             ;   in Loop: Header=BB68_7 Depth=1
	s_orn2_b64 s[40:41], s[30:31], exec
.LBB68_249:                             ;   in Loop: Header=BB68_7 Depth=1
	s_or_b64 exec, exec, s[38:39]
	s_mov_b64 s[38:39], 0
	s_and_saveexec_b64 s[30:31], s[40:41]
	s_cbranch_execz .LBB68_260
; %bb.250:                              ;   in Loop: Header=BB68_7 Depth=1
	s_xor_b64 s[38:39], s[22:23], -1
	v_mov_b64_e32 v[4:5], 1
	v_mov_b32_e32 v2, 1
	s_and_saveexec_b64 s[22:23], s[38:39]
	s_cbranch_execz .LBB68_259
; %bb.251:                              ;   in Loop: Header=BB68_7 Depth=1
	v_cmp_ge_i64_e32 vcc, s[14:15], v[6:7]
	s_and_saveexec_b64 s[38:39], vcc
	s_xor_b64 s[38:39], exec, s[38:39]
	s_cbranch_execz .LBB68_256
; %bb.252:                              ;   in Loop: Header=BB68_7 Depth=1
	ds_read_b64 v[4:5], v3 offset:5120
	v_or_b32_e32 v45, s54, v45
	v_or_b32_e32 v50, s54, v50
	s_waitcnt lgkmcnt(0)
	v_cmp_ne_u64_e32 vcc, 0, v[4:5]
	s_cbranch_vccnz .LBB68_256
; %bb.253:                              ;   in Loop: Header=BB68_7 Depth=1
	s_mov_b64 s[40:41], exec
	v_readlane_b32 s42, v70, 8
	v_readlane_b32 s43, v70, 9
	s_and_b64 s[42:43], s[40:41], s[42:43]
	s_mov_b64 exec, s[42:43]
; %bb.254:                              ;   in Loop: Header=BB68_7 Depth=1
	v_mov_b64_e32 v[4:5], s[14:15]
	ds_write_b64 v3, v[4:5] offset:5128
; %bb.255:                              ;   in Loop: Header=BB68_7 Depth=1
	s_or_b64 exec, exec, s[40:41]
	s_waitcnt lgkmcnt(0)
	s_barrier
.LBB68_256:                             ;   in Loop: Header=BB68_7 Depth=1
	s_andn2_saveexec_b64 s[38:39], s[38:39]
; %bb.257:                              ;   in Loop: Header=BB68_7 Depth=1
	v_mov_b32_e32 v2, s15
	v_subrev_co_u32_e32 v6, vcc, s14, v6
	s_nop 1
	v_subb_co_u32_e32 v7, vcc, v7, v2, vcc
; %bb.258:                              ;   in Loop: Header=BB68_7 Depth=1
	s_or_b64 exec, exec, s[38:39]
	v_mov_b32_e32 v2, 8
	v_mov_b64_e32 v[4:5], v[6:7]
.LBB68_259:                             ;   in Loop: Header=BB68_7 Depth=1
	s_or_b64 exec, exec, s[22:23]
	s_mov_b64 s[38:39], exec
	v_mov_b64_e32 v[6:7], v[4:5]
.LBB68_260:                             ;   in Loop: Header=BB68_7 Depth=1
	s_or_b64 exec, exec, s[30:31]
	s_orn2_b64 s[22:23], s[38:39], exec
.LBB68_261:                             ;   in Loop: Header=BB68_7 Depth=1
	s_or_b64 exec, exec, s[10:11]
	s_andn2_b64 s[10:11], s[34:35], exec
	s_and_b64 s[8:9], s[8:9], exec
	s_or_b64 s[34:35], s[10:11], s[8:9]
	s_andn2_b64 s[8:9], s[28:29], exec
	s_and_b64 s[6:7], s[6:7], exec
	s_or_b64 s[28:29], s[8:9], s[6:7]
	s_and_b64 s[8:9], s[22:23], exec
	v_mov_b64_e32 v[4:5], v[6:7]
.LBB68_262:                             ;   in Loop: Header=BB68_7 Depth=1
	s_or_b64 exec, exec, s[36:37]
	s_orn2_b64 s[6:7], s[8:9], exec
.LBB68_263:                             ;   in Loop: Header=BB68_7 Depth=1
	s_or_b64 exec, exec, s[26:27]
	s_andn2_b64 s[8:9], s[24:25], exec
	s_and_b64 s[10:11], s[34:35], exec
	s_or_b64 s[24:25], s[8:9], s[10:11]
	s_andn2_b64 s[2:3], s[2:3], exec
	s_and_b64 s[8:9], s[28:29], exec
	s_or_b64 s[2:3], s[2:3], s[8:9]
	s_and_b64 s[8:9], s[6:7], exec
	v_mov_b64_e32 v[8:9], v[4:5]
.LBB68_264:                             ;   in Loop: Header=BB68_7 Depth=1
	s_or_b64 exec, exec, s[12:13]
	s_orn2_b64 s[6:7], s[8:9], exec
.LBB68_265:                             ;   in Loop: Header=BB68_7 Depth=1
	s_or_b64 exec, exec, s[20:21]
	s_mov_b64 s[8:9], 0
	s_and_saveexec_b64 s[10:11], s[6:7]
	s_xor_b64 s[6:7], exec, s[10:11]
	s_cbranch_execz .LBB68_5
; %bb.266:                              ;   in Loop: Header=BB68_7 Depth=1
	v_and_b32_e32 v2, 7, v2
	v_cmp_eq_u32_e32 vcc, 0, v2
	s_mov_b64 s[10:11], -1
	s_mov_b64 s[8:9], -1
	s_and_saveexec_b64 s[12:13], vcc
	s_cbranch_execz .LBB68_4
; %bb.267:                              ;   in Loop: Header=BB68_7 Depth=1
	s_xor_b32 s67, s67, 1
	s_add_i32 s14, s86, -2
	s_cmp_eq_u32 s86, 0
	s_cselect_b64 s[10:11], -1, 0
	s_xor_b64 s[8:9], exec, -1
	s_orn2_b64 s[10:11], s[10:11], exec
	s_mov_b32 s86, s14
	s_branch .LBB68_4
.LBB68_268:                             ;   in Loop: Header=BB68_7 Depth=1
                                        ; implicit-def: $sgpr30_sgpr31
	s_andn2_b64 vcc, exec, s[42:43]
	s_cbranch_vccz .LBB68_221
	s_branch .LBB68_222
.LBB68_269:                             ;   in Loop: Header=BB68_7 Depth=1
                                        ; implicit-def: $sgpr8_sgpr9
	s_branch .LBB68_237
.LBB68_270:
	s_or_b64 exec, exec, s[96:97]
	s_xor_b64 s[4:5], s[60:61], -1
	s_xor_b64 s[0:1], s[2:3], -1
	;; [unrolled: 1-line block ×3, first 2 shown]
	s_mov_b64 s[2:3], 0
	s_and_saveexec_b64 s[8:9], s[0:1]
	s_xor_b64 s[0:1], exec, s[8:9]
	s_cbranch_execnz .LBB68_275
; %bb.271:
	s_andn2_saveexec_b64 s[0:1], s[0:1]
	s_cbranch_execnz .LBB68_297
.LBB68_272:
	s_or_b64 exec, exec, s[0:1]
	s_and_saveexec_b64 s[0:1], s[2:3]
.LBB68_273:
	; divergent unreachable
.LBB68_274:
	s_endpgm
.LBB68_275:
	s_and_saveexec_b64 s[2:3], s[4:5]
	s_xor_b64 s[4:5], exec, s[2:3]
	s_cbranch_execz .LBB68_295
; %bb.276:
	s_and_saveexec_b64 s[2:3], s[6:7]
	s_xor_b64 s[2:3], exec, s[2:3]
; %bb.277:
	v_and_b32_e32 v2, 0x8000, v45
	v_mov_b32_e32 v3, 0x8000
	v_mov_b32_e32 v4, 0xffff
	v_cmp_eq_u32_e32 vcc, 0, v2
	s_nop 1
	v_cndmask_b32_e32 v2, v3, v4, vcc
	v_xor_b32_e32 v51, v2, v45
; %bb.278:
	s_or_b64 exec, exec, s[2:3]
	s_mov_b64 s[2:3], exec
	v_readlane_b32 s6, v70, 8
	v_readlane_b32 s7, v70, 9
	s_and_b64 s[6:7], s[2:3], s[6:7]
	v_readlane_b32 s26, v70, 10
	v_readlane_b32 s27, v70, 11
	s_mov_b64 exec, s[6:7]
; %bb.279:
	v_mov_b32_e32 v2, 0
	v_mov_b32_e32 v3, s56
	ds_write_b32 v2, v3 offset:5140
; %bb.280:
	s_or_b64 exec, exec, s[2:3]
	s_waitcnt lgkmcnt(0)
	s_barrier
	s_mov_b64 s[6:7], exec
	v_readlane_b32 s2, v70, 16
	v_readlane_b32 s3, v70, 17
	s_and_b64 s[2:3], s[6:7], s[2:3]
	s_mov_b64 exec, s[2:3]
	s_cbranch_execz .LBB68_292
; %bb.281:
	v_mov_b32_e32 v2, 0
	ds_read_b32 v4, v2 offset:5140
	v_lshlrev_b32_e32 v6, 16, v51
	v_cmp_u_f32_e32 vcc, v6, v6
	s_mov_b64 s[8:9], 0
	s_xor_b64 s[10:11], vcc, -1
	s_waitcnt lgkmcnt(0)
	v_ashrrev_i32_e32 v5, 31, v4
                                        ; implicit-def: $sgpr12_sgpr13
                                        ; implicit-def: $sgpr14_sgpr15
                                        ; implicit-def: $sgpr16_sgpr17
	s_branch .LBB68_284
.LBB68_282:                             ;   in Loop: Header=BB68_284 Depth=1
	s_or_b64 exec, exec, s[22:23]
	s_andn2_b64 s[16:17], s[16:17], exec
	s_and_b64 s[2:3], s[2:3], exec
	s_or_b64 s[16:17], s[16:17], s[2:3]
	s_andn2_b64 s[2:3], s[14:15], exec
	s_and_b64 s[14:15], s[20:21], exec
	s_or_b64 s[14:15], s[2:3], s[14:15]
.LBB68_283:                             ;   in Loop: Header=BB68_284 Depth=1
	s_or_b64 exec, exec, s[18:19]
	s_and_b64 s[2:3], exec, s[14:15]
	s_or_b64 s[8:9], s[2:3], s[8:9]
	s_andn2_b64 s[2:3], s[12:13], exec
	s_and_b64 s[12:13], s[16:17], exec
	s_or_b64 s[12:13], s[2:3], s[12:13]
	s_andn2_b64 exec, exec, s[8:9]
	s_cbranch_execz .LBB68_287
.LBB68_284:                             ; =>This Inner Loop Header: Depth=1
	v_mov_b64_e32 v[2:3], v[0:1]
	v_cmp_lt_i64_e32 vcc, v[2:3], v[4:5]
	s_or_b64 s[16:17], s[16:17], exec
	s_or_b64 s[14:15], s[14:15], exec
                                        ; implicit-def: $vgpr0_vgpr1
	s_and_saveexec_b64 s[18:19], vcc
	s_cbranch_execz .LBB68_283
; %bb.285:                              ;   in Loop: Header=BB68_284 Depth=1
	global_load_ushort v0, v[12:13], off
	s_mov_b64 s[20:21], -1
	s_waitcnt vmcnt(0)
	v_lshlrev_b32_e32 v0, 16, v0
	v_cmp_o_f32_e64 s[2:3], v0, v0
	v_cmp_neq_f32_e32 vcc, v0, v6
	s_or_b64 s[2:3], s[10:11], s[2:3]
	s_and_b64 s[24:25], vcc, s[2:3]
	s_mov_b64 s[2:3], 0
                                        ; implicit-def: $vgpr0_vgpr1
	s_and_saveexec_b64 s[22:23], s[24:25]
	s_cbranch_execz .LBB68_282
; %bb.286:                              ;   in Loop: Header=BB68_284 Depth=1
	v_lshl_add_u64 v[0:1], v[2:3], 0, s[72:73]
	v_cmp_le_i64_e32 vcc, s[56:57], v[0:1]
	s_mov_b64 s[2:3], exec
	v_lshl_add_u64 v[12:13], v[12:13], 0, s[76:77]
	s_orn2_b64 s[20:21], vcc, exec
	s_branch .LBB68_282
.LBB68_287:
	s_or_b64 exec, exec, s[8:9]
	s_xor_b64 s[2:3], s[12:13], -1
	s_and_saveexec_b64 s[8:9], s[2:3]
	s_xor_b64 s[8:9], exec, s[8:9]
	s_cbranch_execz .LBB68_292
; %bb.288:
	s_mov_b64 s[2:3], exec
	s_brev_b32 s8, -2
.LBB68_289:                             ; =>This Inner Loop Header: Depth=1
	s_ff1_i32_b64 s9, s[2:3]
	v_readlane_b32 s12, v2, s9
	s_lshl_b64 s[10:11], 1, s9
	s_min_i32 s8, s8, s12
	s_andn2_b64 s[2:3], s[2:3], s[10:11]
	s_cmp_lg_u64 s[2:3], 0
	s_cbranch_scc1 .LBB68_289
; %bb.290:
	v_mbcnt_lo_u32_b32 v0, exec_lo, 0
	v_mbcnt_hi_u32_b32 v0, exec_hi, v0
	v_cmp_eq_u32_e32 vcc, 0, v0
	s_and_saveexec_b64 s[2:3], vcc
	s_xor_b64 s[2:3], exec, s[2:3]
; %bb.291:
	v_mov_b32_e32 v0, 0
	v_mov_b32_e32 v1, s8
	ds_min_i32 v0, v1 offset:5140
.LBB68_292:
	s_or_b64 exec, exec, s[6:7]
	s_waitcnt lgkmcnt(0)
	s_barrier
	s_mov_b64 s[2:3], exec
	v_readlane_b32 s6, v70, 8
	v_readlane_b32 s7, v70, 9
	s_and_b64 s[6:7], s[2:3], s[6:7]
	s_mov_b64 exec, s[6:7]
	s_cbranch_execz .LBB68_294
; %bb.293:
	v_readlane_b32 s8, v70, 4
	v_readlane_b32 s9, v70, 5
	;; [unrolled: 1-line block ×3, first 2 shown]
	s_mul_i32 s6, s9, s26
	s_mul_hi_u32 s7, s8, s26
	v_readlane_b32 s11, v70, 1
	v_mov_b32_e32 v2, 0
	s_add_i32 s7, s7, s6
	s_mul_i32 s6, s8, s26
	s_mul_i32 s8, s11, s26
	s_mul_hi_u32 s9, s10, s26
	ds_read_b32 v0, v2 offset:5140
	s_add_i32 s9, s9, s8
	s_mul_i32 s8, s10, s26
	s_lshl_b64 s[6:7], s[6:7], 1
	v_readlane_b32 s10, v70, 6
	v_readlane_b32 s11, v70, 7
	s_add_u32 s6, s10, s6
	s_addc_u32 s7, s11, s7
	s_lshl_b64 s[8:9], s[8:9], 3
	v_readlane_b32 s10, v70, 2
	v_readlane_b32 s11, v70, 3
	s_add_u32 s8, s10, s8
	s_addc_u32 s9, s11, s9
	s_waitcnt lgkmcnt(0)
	v_ashrrev_i32_e32 v1, 31, v0
	global_store_dwordx2 v2, v[0:1], s[8:9]
	global_store_short v2, v51, s[6:7]
.LBB68_294:
	s_or_b64 exec, exec, s[2:3]
.LBB68_295:
	s_or_saveexec_b64 s[2:3], s[4:5]
	s_mov_b64 s[4:5], 0
	s_xor_b64 exec, exec, s[2:3]
	s_cbranch_execnz .LBB68_298
.LBB68_296:
	s_or_b64 exec, exec, s[2:3]
	s_and_b64 s[2:3], s[4:5], exec
	s_andn2_saveexec_b64 s[0:1], s[0:1]
	s_cbranch_execz .LBB68_272
.LBB68_297:
	s_or_b64 s[2:3], s[2:3], exec
	s_trap 2
	s_or_b64 exec, exec, s[0:1]
	s_and_saveexec_b64 s[0:1], s[2:3]
	s_cbranch_execnz .LBB68_273
	s_branch .LBB68_274
.LBB68_298:
	s_mov_b64 s[4:5], exec
	s_trap 2
	s_branch .LBB68_296
	.section	.rodata,"a",@progbits
	.p2align	6, 0x0
	.amdhsa_kernel _ZN2at6native12_GLOBAL__N_114gatherKthValueIN3c108BFloat16ElLi1EEEvNS_4cuda6detail10TensorInfoIKT_T0_EESA_SA_SA_SA_NS7_IS8_SA_EENS7_IlSA_EE
		.amdhsa_group_segment_fixed_size 5144
		.amdhsa_private_segment_fixed_size 0
		.amdhsa_kernarg_size 1536
		.amdhsa_user_sgpr_count 2
		.amdhsa_user_sgpr_dispatch_ptr 0
		.amdhsa_user_sgpr_queue_ptr 0
		.amdhsa_user_sgpr_kernarg_segment_ptr 1
		.amdhsa_user_sgpr_dispatch_id 0
		.amdhsa_user_sgpr_kernarg_preload_length 0
		.amdhsa_user_sgpr_kernarg_preload_offset 0
		.amdhsa_user_sgpr_private_segment_size 0
		.amdhsa_uses_dynamic_stack 0
		.amdhsa_enable_private_segment 0
		.amdhsa_system_sgpr_workgroup_id_x 1
		.amdhsa_system_sgpr_workgroup_id_y 1
		.amdhsa_system_sgpr_workgroup_id_z 1
		.amdhsa_system_sgpr_workgroup_info 0
		.amdhsa_system_vgpr_workitem_id 0
		.amdhsa_next_free_vgpr 71
		.amdhsa_next_free_sgpr 100
		.amdhsa_accum_offset 72
		.amdhsa_reserve_vcc 1
		.amdhsa_float_round_mode_32 0
		.amdhsa_float_round_mode_16_64 0
		.amdhsa_float_denorm_mode_32 3
		.amdhsa_float_denorm_mode_16_64 3
		.amdhsa_dx10_clamp 1
		.amdhsa_ieee_mode 1
		.amdhsa_fp16_overflow 0
		.amdhsa_tg_split 0
		.amdhsa_exception_fp_ieee_invalid_op 0
		.amdhsa_exception_fp_denorm_src 0
		.amdhsa_exception_fp_ieee_div_zero 0
		.amdhsa_exception_fp_ieee_overflow 0
		.amdhsa_exception_fp_ieee_underflow 0
		.amdhsa_exception_fp_ieee_inexact 0
		.amdhsa_exception_int_div_zero 0
	.end_amdhsa_kernel
	.section	.text._ZN2at6native12_GLOBAL__N_114gatherKthValueIN3c108BFloat16ElLi1EEEvNS_4cuda6detail10TensorInfoIKT_T0_EESA_SA_SA_SA_NS7_IS8_SA_EENS7_IlSA_EE,"axG",@progbits,_ZN2at6native12_GLOBAL__N_114gatherKthValueIN3c108BFloat16ElLi1EEEvNS_4cuda6detail10TensorInfoIKT_T0_EESA_SA_SA_SA_NS7_IS8_SA_EENS7_IlSA_EE,comdat
.Lfunc_end68:
	.size	_ZN2at6native12_GLOBAL__N_114gatherKthValueIN3c108BFloat16ElLi1EEEvNS_4cuda6detail10TensorInfoIKT_T0_EESA_SA_SA_SA_NS7_IS8_SA_EENS7_IlSA_EE, .Lfunc_end68-_ZN2at6native12_GLOBAL__N_114gatherKthValueIN3c108BFloat16ElLi1EEEvNS_4cuda6detail10TensorInfoIKT_T0_EESA_SA_SA_SA_NS7_IS8_SA_EENS7_IlSA_EE
                                        ; -- End function
	.set _ZN2at6native12_GLOBAL__N_114gatherKthValueIN3c108BFloat16ElLi1EEEvNS_4cuda6detail10TensorInfoIKT_T0_EESA_SA_SA_SA_NS7_IS8_SA_EENS7_IlSA_EE.num_vgpr, 71
	.set _ZN2at6native12_GLOBAL__N_114gatherKthValueIN3c108BFloat16ElLi1EEEvNS_4cuda6detail10TensorInfoIKT_T0_EESA_SA_SA_SA_NS7_IS8_SA_EENS7_IlSA_EE.num_agpr, 0
	.set _ZN2at6native12_GLOBAL__N_114gatherKthValueIN3c108BFloat16ElLi1EEEvNS_4cuda6detail10TensorInfoIKT_T0_EESA_SA_SA_SA_NS7_IS8_SA_EENS7_IlSA_EE.numbered_sgpr, 100
	.set _ZN2at6native12_GLOBAL__N_114gatherKthValueIN3c108BFloat16ElLi1EEEvNS_4cuda6detail10TensorInfoIKT_T0_EESA_SA_SA_SA_NS7_IS8_SA_EENS7_IlSA_EE.num_named_barrier, 0
	.set _ZN2at6native12_GLOBAL__N_114gatherKthValueIN3c108BFloat16ElLi1EEEvNS_4cuda6detail10TensorInfoIKT_T0_EESA_SA_SA_SA_NS7_IS8_SA_EENS7_IlSA_EE.private_seg_size, 0
	.set _ZN2at6native12_GLOBAL__N_114gatherKthValueIN3c108BFloat16ElLi1EEEvNS_4cuda6detail10TensorInfoIKT_T0_EESA_SA_SA_SA_NS7_IS8_SA_EENS7_IlSA_EE.uses_vcc, 1
	.set _ZN2at6native12_GLOBAL__N_114gatherKthValueIN3c108BFloat16ElLi1EEEvNS_4cuda6detail10TensorInfoIKT_T0_EESA_SA_SA_SA_NS7_IS8_SA_EENS7_IlSA_EE.uses_flat_scratch, 0
	.set _ZN2at6native12_GLOBAL__N_114gatherKthValueIN3c108BFloat16ElLi1EEEvNS_4cuda6detail10TensorInfoIKT_T0_EESA_SA_SA_SA_NS7_IS8_SA_EENS7_IlSA_EE.has_dyn_sized_stack, 0
	.set _ZN2at6native12_GLOBAL__N_114gatherKthValueIN3c108BFloat16ElLi1EEEvNS_4cuda6detail10TensorInfoIKT_T0_EESA_SA_SA_SA_NS7_IS8_SA_EENS7_IlSA_EE.has_recursion, 0
	.set _ZN2at6native12_GLOBAL__N_114gatherKthValueIN3c108BFloat16ElLi1EEEvNS_4cuda6detail10TensorInfoIKT_T0_EESA_SA_SA_SA_NS7_IS8_SA_EENS7_IlSA_EE.has_indirect_call, 0
	.section	.AMDGPU.csdata,"",@progbits
; Kernel info:
; codeLenInByte = 17212
; TotalNumSgprs: 106
; NumVgprs: 71
; NumAgprs: 0
; TotalNumVgprs: 71
; ScratchSize: 0
; MemoryBound: 0
; FloatMode: 240
; IeeeMode: 1
; LDSByteSize: 5144 bytes/workgroup (compile time only)
; SGPRBlocks: 13
; VGPRBlocks: 8
; NumSGPRsForWavesPerEU: 106
; NumVGPRsForWavesPerEU: 71
; AccumOffset: 72
; Occupancy: 7
; WaveLimiterHint : 1
; COMPUTE_PGM_RSRC2:SCRATCH_EN: 0
; COMPUTE_PGM_RSRC2:USER_SGPR: 2
; COMPUTE_PGM_RSRC2:TRAP_HANDLER: 0
; COMPUTE_PGM_RSRC2:TGID_X_EN: 1
; COMPUTE_PGM_RSRC2:TGID_Y_EN: 1
; COMPUTE_PGM_RSRC2:TGID_Z_EN: 1
; COMPUTE_PGM_RSRC2:TIDIG_COMP_CNT: 0
; COMPUTE_PGM_RSRC3_GFX90A:ACCUM_OFFSET: 17
; COMPUTE_PGM_RSRC3_GFX90A:TG_SPLIT: 0
	.section	.text._ZN2at6native12_GLOBAL__N_114gatherKthValueIN3c108BFloat16ElLi2EEEvNS_4cuda6detail10TensorInfoIKT_T0_EESA_SA_SA_SA_NS7_IS8_SA_EENS7_IlSA_EE,"axG",@progbits,_ZN2at6native12_GLOBAL__N_114gatherKthValueIN3c108BFloat16ElLi2EEEvNS_4cuda6detail10TensorInfoIKT_T0_EESA_SA_SA_SA_NS7_IS8_SA_EENS7_IlSA_EE,comdat
	.globl	_ZN2at6native12_GLOBAL__N_114gatherKthValueIN3c108BFloat16ElLi2EEEvNS_4cuda6detail10TensorInfoIKT_T0_EESA_SA_SA_SA_NS7_IS8_SA_EENS7_IlSA_EE ; -- Begin function _ZN2at6native12_GLOBAL__N_114gatherKthValueIN3c108BFloat16ElLi2EEEvNS_4cuda6detail10TensorInfoIKT_T0_EESA_SA_SA_SA_NS7_IS8_SA_EENS7_IlSA_EE
	.p2align	8
	.type	_ZN2at6native12_GLOBAL__N_114gatherKthValueIN3c108BFloat16ElLi2EEEvNS_4cuda6detail10TensorInfoIKT_T0_EESA_SA_SA_SA_NS7_IS8_SA_EENS7_IlSA_EE,@function
_ZN2at6native12_GLOBAL__N_114gatherKthValueIN3c108BFloat16ElLi2EEEvNS_4cuda6detail10TensorInfoIKT_T0_EESA_SA_SA_SA_NS7_IS8_SA_EENS7_IlSA_EE: ; @_ZN2at6native12_GLOBAL__N_114gatherKthValueIN3c108BFloat16ElLi2EEEvNS_4cuda6detail10TensorInfoIKT_T0_EESA_SA_SA_SA_NS7_IS8_SA_EENS7_IlSA_EE
; %bb.0:
	s_load_dwordx2 s[12:13], s[0:1], 0x500
	s_load_dwordx8 s[56:63], s[0:1], 0x1a0
	s_add_u32 s10, s0, 0x500
	s_addc_u32 s11, s1, 0
	s_mov_b32 s29, 0
	s_waitcnt lgkmcnt(0)
	s_mul_i32 s4, s13, s4
	s_add_i32 s3, s4, s3
	s_mul_i32 s3, s3, s12
	s_add_i32 s28, s3, s2
	v_mov_b64_e32 v[2:3], s[28:29]
	v_cmp_le_i64_e32 vcc, s[60:61], v[2:3]
	s_cbranch_vccnz .LBB69_283
; %bb.1:
	s_load_dwordx2 s[8:9], s[0:1], 0x10
	s_load_dwordx2 s[26:27], s[0:1], 0x1d0
	s_mov_b32 s4, s29
	s_waitcnt lgkmcnt(0)
	s_mov_b32 s5, s9
	s_cmp_lg_u64 s[4:5], 0
	s_cbranch_scc0 .LBB69_296
; %bb.2:
	s_ashr_i32 s4, s9, 31
	s_add_u32 s6, s8, s4
	s_mov_b32 s5, s4
	s_addc_u32 s7, s9, s4
	s_xor_b64 s[14:15], s[6:7], s[4:5]
	v_cvt_f32_u32_e32 v1, s14
	v_cvt_f32_u32_e32 v2, s15
	s_sub_u32 s3, 0, s14
	s_subb_u32 s13, 0, s15
	v_fmamk_f32 v1, v2, 0x4f800000, v1
	v_rcp_f32_e32 v1, v1
	s_nop 0
	v_mul_f32_e32 v1, 0x5f7ffffc, v1
	v_mul_f32_e32 v2, 0x2f800000, v1
	v_trunc_f32_e32 v2, v2
	v_fmamk_f32 v1, v2, 0xcf800000, v1
	v_cvt_u32_f32_e32 v2, v2
	v_cvt_u32_f32_e32 v1, v1
	v_readfirstlane_b32 s18, v2
	v_readfirstlane_b32 s16, v1
	s_mul_i32 s17, s3, s18
	s_mul_hi_u32 s20, s3, s16
	s_mul_i32 s19, s13, s16
	s_add_i32 s17, s20, s17
	s_add_i32 s17, s17, s19
	s_mul_i32 s21, s3, s16
	s_mul_i32 s20, s16, s17
	s_mul_hi_u32 s22, s16, s21
	s_mul_hi_u32 s19, s16, s17
	s_add_u32 s20, s22, s20
	s_addc_u32 s19, 0, s19
	s_mul_hi_u32 s23, s18, s21
	s_mul_i32 s21, s18, s21
	s_add_u32 s20, s20, s21
	s_mul_hi_u32 s22, s18, s17
	s_addc_u32 s19, s19, s23
	s_addc_u32 s20, s22, 0
	s_mul_i32 s17, s18, s17
	s_add_u32 s17, s19, s17
	s_addc_u32 s19, 0, s20
	s_add_u32 s20, s16, s17
	s_cselect_b64 s[16:17], -1, 0
	s_cmp_lg_u64 s[16:17], 0
	s_addc_u32 s18, s18, s19
	s_mul_i32 s16, s3, s18
	s_mul_hi_u32 s17, s3, s20
	s_add_i32 s16, s17, s16
	s_mul_i32 s13, s13, s20
	s_add_i32 s16, s16, s13
	s_mul_i32 s3, s3, s20
	s_mul_hi_u32 s17, s18, s3
	s_mul_i32 s19, s18, s3
	s_mul_i32 s22, s20, s16
	s_mul_hi_u32 s3, s20, s3
	s_mul_hi_u32 s21, s20, s16
	s_add_u32 s3, s3, s22
	s_addc_u32 s21, 0, s21
	s_add_u32 s3, s3, s19
	s_mul_hi_u32 s13, s18, s16
	s_addc_u32 s3, s21, s17
	s_addc_u32 s13, s13, 0
	s_mul_i32 s16, s18, s16
	s_add_u32 s3, s3, s16
	s_addc_u32 s13, 0, s13
	s_add_u32 s3, s20, s3
	s_cselect_b64 s[16:17], -1, 0
	s_cmp_lg_u64 s[16:17], 0
	s_addc_u32 s13, s18, s13
	s_add_u32 s16, s28, 0
	s_addc_u32 s17, 0, 0
	s_xor_b64 s[16:17], s[16:17], 0
	s_mul_i32 s19, s16, s13
	s_mul_hi_u32 s20, s16, s3
	s_mul_hi_u32 s18, s16, s13
	s_add_u32 s19, s20, s19
	s_addc_u32 s18, 0, s18
	s_mul_hi_u32 s21, s17, s3
	s_mul_i32 s3, s17, s3
	s_add_u32 s3, s19, s3
	s_mul_hi_u32 s20, s17, s13
	s_addc_u32 s3, s18, s21
	s_addc_u32 s18, s20, 0
	s_mul_i32 s13, s17, s13
	s_add_u32 s3, s3, s13
	s_addc_u32 s13, 0, s18
	s_mul_i32 s18, s14, s13
	s_mul_hi_u32 s19, s14, s3
	s_add_i32 s18, s19, s18
	s_mul_i32 s19, s15, s3
	s_add_i32 s22, s18, s19
	s_sub_i32 s20, s17, s22
	s_mul_i32 s18, s14, s3
	s_sub_u32 s16, s16, s18
	s_cselect_b64 s[18:19], -1, 0
	s_cmp_lg_u64 s[18:19], 0
	s_subb_u32 s23, s20, s15
	s_sub_u32 s24, s16, s14
	s_cselect_b64 s[20:21], -1, 0
	s_cmp_lg_u64 s[20:21], 0
	s_subb_u32 s20, s23, 0
	s_cmp_ge_u32 s20, s15
	s_cselect_b32 s21, -1, 0
	s_cmp_ge_u32 s24, s14
	s_cselect_b32 s23, -1, 0
	s_cmp_eq_u32 s20, s15
	s_cselect_b32 s20, s23, s21
	s_add_u32 s21, s3, 1
	s_addc_u32 s23, s13, 0
	s_add_u32 s24, s3, 2
	s_addc_u32 s25, s13, 0
	s_cmp_lg_u32 s20, 0
	s_cselect_b32 s20, s24, s21
	s_cselect_b32 s21, s25, s23
	s_cmp_lg_u64 s[18:19], 0
	s_subb_u32 s17, s17, s22
	s_cmp_ge_u32 s17, s15
	s_cselect_b32 s18, -1, 0
	s_cmp_ge_u32 s16, s14
	s_cselect_b32 s14, -1, 0
	s_cmp_eq_u32 s17, s15
	s_cselect_b32 s14, s14, s18
	s_cmp_lg_u32 s14, 0
	s_cselect_b32 s15, s21, s13
	s_cselect_b32 s14, s20, s3
	s_xor_b64 s[4:5], 0, s[4:5]
	s_xor_b64 s[14:15], s[14:15], s[4:5]
	s_sub_u32 s14, s14, s4
	s_subb_u32 s15, s15, s5
	s_cbranch_execnz .LBB69_4
.LBB69_3:
	v_cvt_f32_u32_e32 v1, s8
	s_sub_i32 s3, 0, s8
	s_mov_b32 s15, 0
	v_rcp_iflag_f32_e32 v1, v1
	s_nop 0
	v_mul_f32_e32 v1, 0x4f7ffffe, v1
	v_cvt_u32_f32_e32 v1, v1
	s_nop 0
	v_readfirstlane_b32 s4, v1
	s_mul_i32 s3, s3, s4
	s_mul_hi_u32 s3, s4, s3
	s_add_i32 s4, s4, s3
	s_mul_hi_u32 s3, s28, s4
	s_mul_i32 s5, s3, s8
	s_sub_i32 s5, s28, s5
	s_add_i32 s4, s3, 1
	s_sub_i32 s6, s5, s8
	s_cmp_ge_u32 s5, s8
	s_cselect_b32 s3, s4, s3
	s_cselect_b32 s5, s6, s5
	s_add_i32 s4, s3, 1
	s_cmp_ge_u32 s5, s8
	s_cselect_b32 s14, s4, s3
.LBB69_4:
	s_load_dwordx2 s[30:31], s[0:1], 0x370
	s_mov_b32 s4, 0
	s_mov_b32 s5, s27
                                        ; implicit-def: $vgpr72 : SGPR spill to VGPR lane
	s_cmp_lg_u64 s[4:5], 0
	v_writelane_b32 v72, s26, 0
	s_nop 1
	v_writelane_b32 v72, s27, 1
	s_cbranch_scc0 .LBB69_297
; %bb.5:
	s_ashr_i32 s4, s27, 31
	s_add_u32 s6, s26, s4
	s_mov_b32 s5, s4
	s_addc_u32 s7, s27, s4
	s_xor_b64 s[16:17], s[6:7], s[4:5]
	v_cvt_f32_u32_e32 v1, s16
	v_cvt_f32_u32_e32 v2, s17
	s_sub_u32 s3, 0, s16
	s_subb_u32 s13, 0, s17
	v_fmamk_f32 v1, v2, 0x4f800000, v1
	v_rcp_f32_e32 v1, v1
	s_nop 0
	v_mul_f32_e32 v1, 0x5f7ffffc, v1
	v_mul_f32_e32 v2, 0x2f800000, v1
	v_trunc_f32_e32 v2, v2
	v_fmamk_f32 v1, v2, 0xcf800000, v1
	v_cvt_u32_f32_e32 v2, v2
	v_cvt_u32_f32_e32 v1, v1
	v_readfirstlane_b32 s20, v2
	v_readfirstlane_b32 s18, v1
	s_mul_i32 s19, s3, s20
	s_mul_hi_u32 s22, s3, s18
	s_mul_i32 s21, s13, s18
	s_add_i32 s19, s22, s19
	s_add_i32 s19, s19, s21
	s_mul_i32 s23, s3, s18
	s_mul_i32 s22, s18, s19
	s_mul_hi_u32 s24, s18, s23
	s_mul_hi_u32 s21, s18, s19
	s_add_u32 s22, s24, s22
	s_addc_u32 s21, 0, s21
	s_mul_hi_u32 s25, s20, s23
	s_mul_i32 s23, s20, s23
	s_add_u32 s22, s22, s23
	s_mul_hi_u32 s24, s20, s19
	s_addc_u32 s21, s21, s25
	s_addc_u32 s22, s24, 0
	s_mul_i32 s19, s20, s19
	s_add_u32 s19, s21, s19
	s_addc_u32 s21, 0, s22
	s_add_u32 s22, s18, s19
	s_cselect_b64 s[18:19], -1, 0
	s_cmp_lg_u64 s[18:19], 0
	s_addc_u32 s20, s20, s21
	s_mul_i32 s18, s3, s20
	s_mul_hi_u32 s19, s3, s22
	s_add_i32 s18, s19, s18
	s_mul_i32 s13, s13, s22
	s_add_i32 s18, s18, s13
	s_mul_i32 s3, s3, s22
	s_mul_hi_u32 s19, s20, s3
	s_mul_i32 s21, s20, s3
	s_mul_i32 s24, s22, s18
	s_mul_hi_u32 s3, s22, s3
	s_mul_hi_u32 s23, s22, s18
	s_add_u32 s3, s3, s24
	s_addc_u32 s23, 0, s23
	s_add_u32 s3, s3, s21
	s_mul_hi_u32 s13, s20, s18
	s_addc_u32 s3, s23, s19
	s_addc_u32 s13, s13, 0
	s_mul_i32 s18, s20, s18
	s_add_u32 s3, s3, s18
	s_addc_u32 s13, 0, s13
	s_add_u32 s3, s22, s3
	s_cselect_b64 s[18:19], -1, 0
	s_cmp_lg_u64 s[18:19], 0
	s_addc_u32 s13, s20, s13
	s_add_u32 s18, s28, 0
	s_addc_u32 s19, 0, 0
	s_xor_b64 s[18:19], s[18:19], 0
	s_mul_i32 s21, s18, s13
	s_mul_hi_u32 s22, s18, s3
	s_mul_hi_u32 s20, s18, s13
	s_add_u32 s21, s22, s21
	s_addc_u32 s20, 0, s20
	s_mul_hi_u32 s23, s19, s3
	s_mul_i32 s3, s19, s3
	s_add_u32 s3, s21, s3
	s_mul_hi_u32 s22, s19, s13
	s_addc_u32 s3, s20, s23
	s_addc_u32 s20, s22, 0
	s_mul_i32 s13, s19, s13
	s_add_u32 s3, s3, s13
	s_addc_u32 s13, 0, s20
	s_mul_i32 s20, s16, s13
	s_mul_hi_u32 s21, s16, s3
	s_add_i32 s20, s21, s20
	s_mul_i32 s21, s17, s3
	s_add_i32 s24, s20, s21
	s_sub_i32 s22, s19, s24
	s_mul_i32 s20, s16, s3
	s_sub_u32 s18, s18, s20
	s_cselect_b64 s[20:21], -1, 0
	s_cmp_lg_u64 s[20:21], 0
	s_subb_u32 s25, s22, s17
	s_sub_u32 s26, s18, s16
	s_cselect_b64 s[22:23], -1, 0
	s_cmp_lg_u64 s[22:23], 0
	s_subb_u32 s22, s25, 0
	s_cmp_ge_u32 s22, s17
	s_cselect_b32 s23, -1, 0
	s_cmp_ge_u32 s26, s16
	s_cselect_b32 s25, -1, 0
	s_cmp_eq_u32 s22, s17
	s_cselect_b32 s22, s25, s23
	s_add_u32 s23, s3, 1
	s_addc_u32 s25, s13, 0
	s_add_u32 s26, s3, 2
	s_addc_u32 s27, s13, 0
	s_cmp_lg_u32 s22, 0
	s_cselect_b32 s22, s26, s23
	s_cselect_b32 s23, s27, s25
	s_cmp_lg_u64 s[20:21], 0
	s_subb_u32 s19, s19, s24
	s_cmp_ge_u32 s19, s17
	s_cselect_b32 s20, -1, 0
	s_cmp_ge_u32 s18, s16
	s_cselect_b32 s16, -1, 0
	s_cmp_eq_u32 s19, s17
	s_cselect_b32 s16, s16, s20
	s_cmp_lg_u32 s16, 0
	s_cselect_b32 s17, s23, s13
	s_cselect_b32 s16, s22, s3
	s_xor_b64 s[4:5], 0, s[4:5]
	s_load_dwordx2 s[26:27], s[0:1], 0x1d0
	s_xor_b64 s[16:17], s[16:17], s[4:5]
	s_sub_u32 s4, s16, s4
	s_subb_u32 s5, s17, s5
	v_writelane_b32 v72, s4, 2
	s_nop 1
	v_writelane_b32 v72, s5, 3
	s_cbranch_execnz .LBB69_7
.LBB69_6:
	s_waitcnt lgkmcnt(0)
	v_cvt_f32_u32_e32 v1, s26
	s_sub_i32 s3, 0, s26
	s_mov_b32 s7, 0
	v_rcp_iflag_f32_e32 v1, v1
	s_nop 0
	v_mul_f32_e32 v1, 0x4f7ffffe, v1
	v_cvt_u32_f32_e32 v1, v1
	s_nop 0
	v_readfirstlane_b32 s4, v1
	s_mul_i32 s3, s3, s4
	s_mul_hi_u32 s3, s4, s3
	s_add_i32 s4, s4, s3
	s_mul_hi_u32 s3, s28, s4
	s_mul_i32 s5, s3, s26
	s_sub_i32 s5, s28, s5
	s_add_i32 s4, s3, 1
	s_sub_i32 s6, s5, s26
	s_cmp_ge_u32 s5, s26
	s_cselect_b32 s3, s4, s3
	s_cselect_b32 s5, s6, s5
	s_add_i32 s4, s3, 1
	s_cmp_ge_u32 s5, s26
	s_cselect_b32 s6, s4, s3
	v_writelane_b32 v72, s6, 2
	s_nop 1
	v_writelane_b32 v72, s7, 3
.LBB69_7:
	s_mov_b32 s4, 0
	s_waitcnt lgkmcnt(0)
	s_mov_b32 s5, s31
	s_cmp_lg_u64 s[4:5], 0
	s_cbranch_scc0 .LBB69_298
; %bb.8:
	s_ashr_i32 s6, s31, 31
	s_add_u32 s4, s30, s6
	s_mov_b32 s7, s6
	s_addc_u32 s5, s31, s6
	s_xor_b64 s[16:17], s[4:5], s[6:7]
	v_cvt_f32_u32_e32 v1, s16
	v_cvt_f32_u32_e32 v2, s17
	s_sub_u32 s3, 0, s16
	s_subb_u32 s13, 0, s17
	v_fmamk_f32 v1, v2, 0x4f800000, v1
	v_rcp_f32_e32 v1, v1
	s_nop 0
	v_mul_f32_e32 v1, 0x5f7ffffc, v1
	v_mul_f32_e32 v2, 0x2f800000, v1
	v_trunc_f32_e32 v2, v2
	v_fmamk_f32 v1, v2, 0xcf800000, v1
	v_cvt_u32_f32_e32 v2, v2
	v_cvt_u32_f32_e32 v1, v1
	v_readfirstlane_b32 s20, v2
	v_readfirstlane_b32 s18, v1
	s_mul_i32 s19, s3, s20
	s_mul_hi_u32 s22, s3, s18
	s_mul_i32 s21, s13, s18
	s_add_i32 s19, s22, s19
	s_add_i32 s19, s19, s21
	s_mul_i32 s23, s3, s18
	s_mul_i32 s22, s18, s19
	s_mul_hi_u32 s24, s18, s23
	s_mul_hi_u32 s21, s18, s19
	s_add_u32 s22, s24, s22
	s_addc_u32 s21, 0, s21
	s_mul_hi_u32 s25, s20, s23
	s_mul_i32 s23, s20, s23
	s_add_u32 s22, s22, s23
	s_mul_hi_u32 s24, s20, s19
	s_addc_u32 s21, s21, s25
	s_addc_u32 s22, s24, 0
	s_mul_i32 s19, s20, s19
	s_add_u32 s19, s21, s19
	s_addc_u32 s21, 0, s22
	s_add_u32 s22, s18, s19
	s_cselect_b64 s[18:19], -1, 0
	s_cmp_lg_u64 s[18:19], 0
	s_addc_u32 s20, s20, s21
	s_mul_i32 s18, s3, s20
	s_mul_hi_u32 s19, s3, s22
	s_add_i32 s18, s19, s18
	s_mul_i32 s13, s13, s22
	s_add_i32 s18, s18, s13
	s_mul_i32 s3, s3, s22
	s_mul_hi_u32 s19, s20, s3
	s_mul_i32 s21, s20, s3
	s_mul_i32 s24, s22, s18
	s_mul_hi_u32 s3, s22, s3
	s_mul_hi_u32 s23, s22, s18
	s_add_u32 s3, s3, s24
	s_addc_u32 s23, 0, s23
	s_add_u32 s3, s3, s21
	s_mul_hi_u32 s13, s20, s18
	s_addc_u32 s3, s23, s19
	s_addc_u32 s13, s13, 0
	s_mul_i32 s18, s20, s18
	s_add_u32 s3, s3, s18
	s_addc_u32 s13, 0, s13
	s_add_u32 s3, s22, s3
	s_cselect_b64 s[18:19], -1, 0
	s_cmp_lg_u64 s[18:19], 0
	s_addc_u32 s13, s20, s13
	s_add_u32 s18, s28, 0
	s_addc_u32 s19, 0, 0
	s_xor_b64 s[18:19], s[18:19], 0
	s_mul_i32 s21, s18, s13
	s_mul_hi_u32 s22, s18, s3
	s_mul_hi_u32 s20, s18, s13
	s_add_u32 s21, s22, s21
	s_addc_u32 s20, 0, s20
	s_mul_hi_u32 s23, s19, s3
	s_mul_i32 s3, s19, s3
	s_add_u32 s3, s21, s3
	s_mul_hi_u32 s22, s19, s13
	s_addc_u32 s3, s20, s23
	s_addc_u32 s20, s22, 0
	s_mul_i32 s13, s19, s13
	s_add_u32 s3, s3, s13
	s_addc_u32 s13, 0, s20
	s_mul_i32 s20, s16, s13
	s_mul_hi_u32 s21, s16, s3
	s_add_i32 s20, s21, s20
	s_mul_i32 s21, s17, s3
	s_add_i32 s24, s20, s21
	s_sub_i32 s22, s19, s24
	s_mul_i32 s20, s16, s3
	s_sub_u32 s18, s18, s20
	s_cselect_b64 s[20:21], -1, 0
	s_cmp_lg_u64 s[20:21], 0
	s_subb_u32 s25, s22, s17
	s_sub_u32 s26, s18, s16
	s_cselect_b64 s[22:23], -1, 0
	s_cmp_lg_u64 s[22:23], 0
	s_subb_u32 s22, s25, 0
	s_cmp_ge_u32 s22, s17
	s_cselect_b32 s23, -1, 0
	s_cmp_ge_u32 s26, s16
	s_cselect_b32 s25, -1, 0
	s_cmp_eq_u32 s22, s17
	s_cselect_b32 s22, s25, s23
	s_add_u32 s23, s3, 1
	s_addc_u32 s25, s13, 0
	s_add_u32 s26, s3, 2
	s_addc_u32 s27, s13, 0
	s_cmp_lg_u32 s22, 0
	s_cselect_b32 s22, s26, s23
	s_cselect_b32 s23, s27, s25
	s_cmp_lg_u64 s[20:21], 0
	s_subb_u32 s19, s19, s24
	s_cmp_ge_u32 s19, s17
	s_cselect_b32 s20, -1, 0
	s_cmp_ge_u32 s18, s16
	s_cselect_b32 s16, -1, 0
	s_cmp_eq_u32 s19, s17
	s_cselect_b32 s16, s16, s20
	s_cmp_lg_u32 s16, 0
	s_cselect_b32 s17, s23, s13
	s_cselect_b32 s16, s22, s3
	s_xor_b64 s[6:7], 0, s[6:7]
	s_xor_b64 s[16:17], s[16:17], s[6:7]
	s_sub_u32 s6, s16, s6
	s_subb_u32 s7, s17, s7
	v_writelane_b32 v72, s6, 4
	s_nop 1
	v_writelane_b32 v72, s7, 5
	s_load_dwordx2 s[16:17], s[0:1], 0x0
	s_cbranch_execnz .LBB69_10
.LBB69_9:
	v_cvt_f32_u32_e32 v1, s30
	s_sub_i32 s3, 0, s30
	s_mov_b32 s7, 0
	v_rcp_iflag_f32_e32 v1, v1
	s_nop 0
	v_mul_f32_e32 v1, 0x4f7ffffe, v1
	v_cvt_u32_f32_e32 v1, v1
	s_nop 0
	v_readfirstlane_b32 s4, v1
	s_mul_i32 s3, s3, s4
	s_mul_hi_u32 s3, s4, s3
	s_add_i32 s4, s4, s3
	s_mul_hi_u32 s3, s28, s4
	s_mul_i32 s5, s3, s30
	s_sub_i32 s5, s28, s5
	s_add_i32 s4, s3, 1
	s_sub_i32 s6, s5, s30
	s_cmp_ge_u32 s5, s30
	s_cselect_b32 s3, s4, s3
	s_cselect_b32 s5, s6, s5
	s_add_i32 s4, s3, 1
	s_cmp_ge_u32 s5, s30
	s_cselect_b32 s6, s4, s3
	v_writelane_b32 v72, s6, 4
	s_nop 1
	v_writelane_b32 v72, s7, 5
.LBB69_10:
	s_load_dwordx2 s[4:5], s[0:1], 0x360
	v_writelane_b32 v72, s30, 6
	s_mov_b32 s87, 0
	v_cmp_eq_u32_e64 s[20:21], 0, v0
	v_writelane_b32 v72, s31, 7
	s_waitcnt lgkmcnt(0)
	v_writelane_b32 v72, s4, 8
	s_nop 1
	v_writelane_b32 v72, s5, 9
	s_load_dwordx2 s[4:5], s[0:1], 0x1c0
	s_waitcnt lgkmcnt(0)
	v_writelane_b32 v72, s4, 10
	s_nop 1
	v_writelane_b32 v72, s5, 11
	s_load_dwordx4 s[4:7], s[0:1], 0xd0
	s_mov_b64 s[18:19], exec
	v_writelane_b32 v72, s20, 12
	s_nop 1
	v_writelane_b32 v72, s21, 13
	s_and_b64 s[20:21], s[18:19], s[20:21]
	s_mov_b64 exec, s[20:21]
	s_cbranch_execz .LBB69_12
; %bb.11:
	v_mov_b32_e32 v2, 0
	v_mov_b32_e32 v4, s56
	;; [unrolled: 1-line block ×4, first 2 shown]
	ds_write_b32 v2, v2 offset:5136
	ds_write_b128 v2, v[2:5] offset:5120
.LBB69_12:
	s_or_b64 exec, exec, s[18:19]
	s_load_dwordx4 s[20:23], s[0:1], 0x430
                                        ; kill: killed $sgpr0 killed $sgpr1
	v_mbcnt_lo_u32_b32 v1, -1, 0
	v_mbcnt_hi_u32_b32 v42, -1, v1
	v_cmp_gt_u32_e32 vcc, 64, v0
	v_mov_b64_e32 v[4:5], 0x600
	s_waitcnt lgkmcnt(0)
	v_writelane_b32 v72, s20, 14
	v_mov_b32_e32 v3, 0
	v_mov_b32_e32 v1, v3
	v_writelane_b32 v72, s21, 15
	v_writelane_b32 v72, s22, 16
	;; [unrolled: 1-line block ×3, first 2 shown]
	s_load_dwordx4 s[20:23], s[0:1], 0x290
	s_mul_i32 s0, s14, s9
	s_mul_hi_u32 s1, s14, s8
	s_add_i32 s0, s1, s0
	s_mul_i32 s1, s15, s8
	s_add_i32 s0, s0, s1
	s_mul_i32 s1, s14, s8
	s_sub_u32 s3, s28, s1
	s_subb_u32 s0, 0, s0
	s_mul_i32 s1, s3, s7
	s_mul_hi_u32 s7, s3, s6
	s_add_i32 s1, s7, s1
	s_mul_i32 s0, s0, s6
	s_waitcnt lgkmcnt(0)
	v_writelane_b32 v72, s20, 18
	s_add_i32 s1, s1, s0
	s_mul_i32 s0, s3, s6
	s_mul_i32 s3, s14, s5
	s_mul_hi_u32 s5, s14, s4
	v_writelane_b32 v72, s21, 19
	s_add_i32 s3, s5, s3
	s_mul_i32 s5, s15, s4
	v_writelane_b32 v72, s22, 20
	s_add_i32 s5, s3, s5
	s_mul_i32 s4, s14, s4
	v_writelane_b32 v72, s23, 21
	s_mov_b32 s8, s28
	s_lshl_b64 s[6:7], s[4:5], 1
	v_writelane_b32 v72, s8, 22
	s_add_u32 s3, s16, s6
	s_addc_u32 s4, s17, s7
	v_writelane_b32 v72, s9, 23
	s_lshl_b64 s[14:15], s[0:1], 1
	v_cmp_eq_u32_e64 s[0:1], 0, v42
	s_add_u32 s8, s3, s14
	s_addc_u32 s9, s4, s15
	v_writelane_b32 v72, s0, 24
	s_barrier
	s_nop 0
	v_writelane_b32 v72, s1, 25
	v_cmp_gt_i32_e64 s[0:1], 4, v42
	s_and_b64 s[0:1], vcc, s[0:1]
	s_nop 0
	v_writelane_b32 v72, s0, 26
	v_lshlrev_b64 v[8:9], v42, -1
	v_not_b32_e32 v18, v8
	v_writelane_b32 v72, s1, 27
	v_cmp_gt_u32_e64 s[0:1], 2, v0
	v_mov_b32_e32 v8, s57
	v_not_b32_e32 v19, v9
	v_writelane_b32 v72, s0, 28
	v_mov_b32_e32 v21, -1
	v_not_b32_e32 v20, v0
	v_writelane_b32 v72, s1, 29
	v_cmp_gt_i64_e64 s[0:1], s[56:57], v[4:5]
	v_lshlrev_b32_e32 v43, 1, v0
	v_add_u32_e32 v44, 0xc00, v43
	v_writelane_b32 v72, s0, 30
	v_lshlrev_b32_e32 v16, 2, v0
	v_mov_b32_e32 v17, v3
	v_writelane_b32 v72, s1, 31
	v_mad_u64_u32 v[4:5], s[0:1], s62, v0, 0
	v_mov_b32_e32 v2, v5
	v_mad_u64_u32 v[6:7], s[0:1], s63, v0, v[2:3]
	v_cmp_gt_i64_e64 s[0:1], s[56:57], v[0:1]
	v_lshlrev_b32_e32 v2, 2, v42
	v_and_b32_e32 v45, 0x100, v2
	v_writelane_b32 v72, s0, 32
	v_lshrrev_b32_e32 v2, 1, v0
	v_and_b32_e32 v2, 0x1e0, v2
	v_writelane_b32 v72, s1, 33
	s_load_dword s0, s[10:11], 0xc
	v_or_b32_e32 v46, 0xc00, v2
	v_add_u32_e32 v2, 2, v0
	v_cmp_gt_i64_e32 vcc, s[56:57], v[2:3]
	v_mov_b32_e32 v5, v6
	s_waitcnt lgkmcnt(0)
	s_and_b32 s84, s0, 0xffff
	s_bfe_u32 s0, s0, 0xa0006
	s_cmp_gt_u32 s84, 63
	s_cselect_b64 s[18:19], -1, 0
	s_add_u32 s1, s84, -1
	v_writelane_b32 v72, s18, 34
	s_addc_u32 s3, 0, -1
	v_cndmask_b32_e32 v9, 0, v8, vcc
	v_mov_b32_e32 v8, s56
	v_writelane_b32 v72, s19, 35
	s_add_u32 s53, s1, s56
	v_cndmask_b32_e32 v8, v2, v8, vcc
	v_writelane_b32 v72, s1, 36
	s_addc_u32 s91, s3, s57
	v_lshl_add_u64 v[8:9], v[8:9], 0, v[20:21]
	v_writelane_b32 v72, s3, 37
	s_cmp_lt_u32 s2, s12
	v_cmp_lt_u64_e64 s[2:3], 3, v[8:9]
	s_cselect_b32 s1, 12, 18
	s_add_u32 s54, s10, s1
	v_writelane_b32 v72, s2, 38
	v_and_b32_e32 v22, -4, v8
	v_mov_b32_e32 v23, v9
	v_writelane_b32 v72, s3, 39
	s_mov_b32 s1, s62
	v_writelane_b32 v72, s1, 40
	v_cmp_ne_u64_e64 s[2:3], v[8:9], v[22:23]
	s_addc_u32 s55, s11, 0
	s_add_i32 s1, s0, -1
	v_writelane_b32 v72, s2, 41
	s_and_b32 s1, s1, 0xffff
	v_lshlrev_b32_e32 v20, 3, v0
	v_writelane_b32 v72, s3, 42
	s_bfe_u32 s2, s84, 0x30006
	s_cmp_gt_u32 s1, 6
	s_cselect_b64 s[10:11], -1, 0
	v_writelane_b32 v72, s10, 43
	s_and_b32 s88, s0, 0x3f8
	s_cmp_lg_u32 s2, 0
	v_writelane_b32 v72, s11, 44
	v_writelane_b32 v72, s2, 45
	s_cselect_b64 s[0:1], -1, 0
	v_writelane_b32 v72, s0, 46
	v_or_b32_e32 v8, 6, v20
	v_lshlrev_b64 v[6:7], 1, v[4:5]
	v_writelane_b32 v72, s1, 47
	s_add_u32 s0, s6, s14
	s_addc_u32 s1, s7, s15
	s_add_u32 s2, s16, s0
	s_addc_u32 s3, s17, s1
	s_lshl_b64 s[0:1], s[62:63], 1
	v_writelane_b32 v72, s0, 48
	v_lshl_add_u64 v[14:15], s[8:9], 0, v[6:7]
	s_lshl_b32 s96, s84, 1
	v_writelane_b32 v72, s1, 49
	v_mad_u64_u32 v[26:27], s[0:1], s62, v8, 0
	v_mov_b32_e32 v2, v27
	v_mad_u64_u32 v[8:9], s[0:1], s63, v8, v[2:3]
	v_mov_b32_e32 v27, v8
	v_or_b32_e32 v8, 4, v20
	v_mad_u64_u32 v[28:29], s[0:1], s62, v8, 0
	v_mov_b32_e32 v2, v29
	v_mad_u64_u32 v[8:9], s[0:1], s63, v8, v[2:3]
	v_writelane_b32 v72, s2, 50
	v_mov_b32_e32 v29, v8
	v_or_b32_e32 v8, 2, v20
	v_writelane_b32 v72, s3, 51
	v_mad_u64_u32 v[30:31], s[0:1], s62, v8, 0
	v_writelane_b32 v72, s54, 52
	v_mov_b32_e32 v2, v31
	v_mad_u64_u32 v[8:9], s[0:1], s63, v8, v[2:3]
	v_writelane_b32 v72, s55, 53
	v_writelane_b32 v72, s8, 54
	s_mul_i32 s0, s63, s84
	s_mul_hi_u32 s1, s62, s84
	v_writelane_b32 v72, s9, 55
	v_mov_b32_e32 v2, 0xc00
	s_add_i32 s1, s1, s0
	s_mul_i32 s0, s62, s84
	v_writelane_b32 v72, s88, 56
	s_mov_b32 s33, 0xffff
	s_mov_b32 s85, s87
	v_lshl_add_u64 v[24:25], v[22:23], 0, v[0:1]
	s_mov_b32 s76, s62
	s_mov_b32 s67, s63
	;; [unrolled: 1-line block ×7, first 2 shown]
	s_lshl_b64 s[68:69], s[62:63], 3
	v_mov_b32_e32 v31, v8
	v_lshlrev_b64 v[32:33], 3, v[4:5]
	v_lshl_add_u64 v[34:35], s[56:57], 0, v[0:1]
	v_lshl_or_b32 v47, v42, 3, v2
	v_lshl_add_u64 v[12:13], s[2:3], 0, v[6:7]
	s_lshl_b64 s[92:93], s[0:1], 1
	s_mov_b32 s98, 14
	s_mov_b64 s[70:71], 0
	v_mov_b64_e32 v[36:37], s[58:59]
	v_mov_b64_e32 v[56:57], s[56:57]
	s_movk_i32 s97, 0x3f80
	v_mov_b32_e32 v49, 0xffff
	v_mov_b32_e32 v50, 0x8000
	v_mov_b32_e32 v51, 0x5040100
	v_mov_b32_e32 v53, 0
	v_mov_b32_e32 v48, 0
	v_mov_b32_e32 v52, 0
	s_mov_b32 s66, 0
	v_writelane_b32 v72, s96, 57
                                        ; implicit-def: $sgpr50_sgpr51
                                        ; implicit-def: $sgpr82_sgpr83
                                        ; implicit-def: $sgpr80_sgpr81
                                        ; implicit-def: $sgpr58_sgpr59
                                        ; implicit-def: $sgpr60_sgpr61
                                        ; implicit-def: $sgpr12_sgpr13
	v_writelane_b32 v72, s89, 58
	s_branch .LBB69_16
.LBB69_13:                              ;   in Loop: Header=BB69_16 Depth=1
	s_or_b64 exec, exec, s[18:19]
	s_and_b64 s[14:15], s[14:15], exec
	s_andn2_b64 s[24:25], s[24:25], exec
	s_andn2_b64 s[0:1], s[0:1], exec
	s_orn2_b64 s[18:19], s[6:7], exec
.LBB69_14:                              ;   in Loop: Header=BB69_16 Depth=1
	s_or_b64 exec, exec, s[2:3]
	s_andn2_b64 s[2:3], s[4:5], exec
	s_and_b64 s[6:7], s[14:15], exec
	s_or_b64 s[4:5], s[2:3], s[6:7]
	s_andn2_b64 s[2:3], s[58:59], exec
	s_and_b64 s[6:7], s[24:25], exec
	s_or_b64 s[58:59], s[2:3], s[6:7]
	;; [unrolled: 3-line block ×3, first 2 shown]
	s_orn2_b64 s[0:1], s[18:19], exec
.LBB69_15:                              ;   in Loop: Header=BB69_16 Depth=1
	s_or_b64 exec, exec, s[16:17]
	s_and_b64 s[0:1], exec, s[0:1]
	s_or_b64 s[70:71], s[0:1], s[70:71]
	s_andn2_b64 s[0:1], s[80:81], exec
	s_and_b64 s[2:3], s[4:5], exec
	s_or_b64 s[80:81], s[0:1], s[2:3]
	s_andn2_b64 s[0:1], s[82:83], exec
	s_and_b64 s[2:3], s[58:59], exec
	;; [unrolled: 3-line block ×3, first 2 shown]
	s_mov_b64 s[12:13], s[4:5]
	s_mov_b64 s[60:61], s[58:59]
	;; [unrolled: 1-line block ×3, first 2 shown]
	s_or_b64 s[50:51], s[0:1], s[2:3]
	v_mov_b64_e32 v[36:37], v[8:9]
	s_andn2_b64 exec, exec, s[70:71]
	s_cbranch_execz .LBB69_279
.LBB69_16:                              ; =>This Loop Header: Depth=1
                                        ;     Child Loop BB69_21 Depth 2
                                        ;     Child Loop BB69_35 Depth 2
	;; [unrolled: 1-line block ×17, first 2 shown]
	ds_read_b128 v[4:7], v3 offset:5120
	s_waitcnt lgkmcnt(0)
	v_readfirstlane_b32 s75, v5
	v_readfirstlane_b32 s74, v4
	s_nop 1
	v_cmp_gt_i64_e64 s[0:1], s[74:75], 0
	s_and_b64 vcc, exec, s[0:1]
	s_cbranch_vccnz .LBB69_48
; %bb.17:                               ;   in Loop: Header=BB69_16 Depth=1
	v_readlane_b32 s0, v72, 30
	v_readlane_b32 s1, v72, 31
	s_and_b64 vcc, exec, s[0:1]
	s_cbranch_vccz .LBB69_29
; %bb.18:                               ;   in Loop: Header=BB69_16 Depth=1
	s_mov_b64 s[0:1], 0x601
	v_cmp_gt_i64_e32 vcc, s[0:1], v[6:7]
	s_mov_b64 s[6:7], 0
	s_mov_b64 s[0:1], 0
	s_cbranch_vccz .LBB69_30
; %bb.19:                               ;   in Loop: Header=BB69_16 Depth=1
	global_load_ushort v6, v3, s[54:55]
	global_load_ushort v8, v[14:15], off
	v_readlane_b32 s0, v72, 50
	v_readlane_b32 s1, v72, 51
	;; [unrolled: 1-line block ×4, first 2 shown]
	v_mov_b64_e32 v[4:5], s[0:1]
	s_mov_b64 s[14:15], 0
	s_waitcnt vmcnt(1)
	v_and_b32_e32 v2, 0xffff, v6
	v_readfirstlane_b32 s0, v6
	v_lshl_add_u64 v[6:7], v[0:1], 0, v[2:3]
	s_and_b32 s2, 0xffff, s0
	v_mad_u64_u32 v[4:5], s[0:1], s16, v6, v[4:5]
	v_mul_lo_u32 v7, s16, v7
	v_mul_lo_u32 v9, s17, v6
	s_mul_i32 s0, s17, s2
	s_mul_hi_u32 s1, s16, s2
	s_mul_i32 s16, s16, s2
	v_add3_u32 v5, v9, v5, v7
	s_add_i32 s17, s1, s0
	v_mov_b64_e32 v[6:7], v[0:1]
	s_branch .LBB69_21
.LBB69_20:                              ;   in Loop: Header=BB69_21 Depth=2
	s_or_b64 exec, exec, s[2:3]
	v_lshl_add_u64 v[4:5], v[4:5], 0, s[16:17]
	v_mov_b32_e32 v8, v9
	s_andn2_b64 exec, exec, s[14:15]
	s_cbranch_execz .LBB69_82
.LBB69_21:                              ;   Parent Loop BB69_16 Depth=1
                                        ; =>  This Inner Loop Header: Depth=2
	v_lshl_add_u64 v[6:7], v[6:7], 0, v[2:3]
	v_cmp_gt_i64_e64 s[0:1], s[56:57], v[6:7]
	v_cmp_le_i64_e32 vcc, s[56:57], v[6:7]
	s_waitcnt lgkmcnt(0)
	v_mov_b32_e32 v10, 0
	v_mov_b32_e32 v9, 0
	s_and_saveexec_b64 s[2:3], s[0:1]
	s_cbranch_execz .LBB69_23
; %bb.22:                               ;   in Loop: Header=BB69_21 Depth=2
	global_load_ushort v9, v[4:5], off
.LBB69_23:                              ;   in Loop: Header=BB69_21 Depth=2
	s_or_b64 exec, exec, s[2:3]
	s_waitcnt vmcnt(0)
	v_cmp_lt_i16_e64 s[0:1], -1, v8
	v_lshlrev_b32_e32 v38, 16, v8
	v_readlane_b32 s4, v72, 24
	v_cndmask_b32_e64 v11, v49, v50, s[0:1]
	v_xor_b32_sdwa v11, v11, v8 dst_sel:DWORD dst_unused:UNUSED_PAD src0_sel:DWORD src1_sel:WORD_0
	v_cmp_o_f32_e64 s[0:1], v38, v38
	v_readlane_b32 s5, v72, 25
	s_nop 0
	v_cndmask_b32_e64 v11, v49, v11, s[0:1]
	v_and_b32_e32 v11, v11, v52
	v_cmp_eq_u32_e64 s[0:1], v11, v48
	s_cmp_lg_u64 s[0:1], 0
	s_cselect_b64 s[2:3], -1, 0
	s_and_b64 s[2:3], s[4:5], s[2:3]
	s_and_saveexec_b64 s[18:19], s[2:3]
	s_cbranch_execz .LBB69_27
; %bb.24:                               ;   in Loop: Header=BB69_21 Depth=2
	s_mov_b64 s[22:23], exec
	v_mbcnt_lo_u32_b32 v10, s22, 0
	v_mbcnt_hi_u32_b32 v10, s23, v10
	s_bcnt1_i32_b64 s24, s[0:1]
	v_cmp_eq_u32_e64 s[2:3], 0, v10
                                        ; implicit-def: $vgpr11
	s_and_saveexec_b64 s[20:21], s[2:3]
; %bb.25:                               ;   in Loop: Header=BB69_21 Depth=2
	s_bcnt1_i32_b64 s2, s[22:23]
	s_mul_i32 s2, s24, s2
	v_mov_b32_e32 v11, s2
	ds_add_rtn_u32 v11, v3, v11 offset:5136
; %bb.26:                               ;   in Loop: Header=BB69_21 Depth=2
	s_or_b64 exec, exec, s[20:21]
	s_waitcnt lgkmcnt(0)
	v_readfirstlane_b32 s2, v11
	s_nop 1
	v_mov_b32_e32 v11, s2
	v_mad_u32_u24 v10, s24, v10, v11
.LBB69_27:                              ;   in Loop: Header=BB69_21 Depth=2
	s_or_b64 exec, exec, s[18:19]
	ds_bpermute_b32 v10, v45, v10
	s_and_b64 s[2:3], exec, vcc
	s_or_b64 s[14:15], s[2:3], s[14:15]
	s_and_saveexec_b64 s[2:3], s[0:1]
	s_cbranch_execz .LBB69_20
; %bb.28:                               ;   in Loop: Header=BB69_21 Depth=2
	v_and_b32_e32 v38, s0, v18
	v_and_b32_e32 v11, s1, v19
	v_bcnt_u32_b32 v38, v38, 0
	v_bcnt_u32_b32 v11, v11, v38
	v_lshlrev_b32_e32 v11, 1, v11
	s_waitcnt lgkmcnt(0)
	v_lshl_add_u32 v10, v10, 1, v11
	ds_write_b16 v10, v8
	s_branch .LBB69_20
.LBB69_29:                              ;   in Loop: Header=BB69_16 Depth=1
	s_mov_b64 s[6:7], -1
	s_mov_b64 s[0:1], 0
.LBB69_30:                              ;   in Loop: Header=BB69_16 Depth=1
	s_and_b64 vcc, exec, s[6:7]
	s_cbranch_vccz .LBB69_46
.LBB69_31:                              ;   in Loop: Header=BB69_16 Depth=1
	s_mov_b64 s[0:1], exec
	v_readlane_b32 s2, v72, 32
	v_readlane_b32 s3, v72, 33
	s_and_b64 s[2:3], s[0:1], s[2:3]
	s_mov_b64 exec, s[2:3]
	s_cbranch_execz .LBB69_43
; %bb.32:                               ;   in Loop: Header=BB69_16 Depth=1
	global_load_ushort v2, v3, s[54:55]
	global_load_ushort v40, v[14:15], off
	v_mov_b32_e32 v8, v0
	s_waitcnt vmcnt(1)
	v_readfirstlane_b32 s6, v2
	v_add_u32_sdwa v2, v2, v0 dst_sel:DWORD dst_unused:UNUSED_PAD src0_sel:WORD_0 src1_sel:DWORD
	v_cmp_gt_i64_e32 vcc, s[56:57], v[2:3]
	s_and_saveexec_b64 s[2:3], vcc
	s_cbranch_execz .LBB69_42
; %bb.33:                               ;   in Loop: Header=BB69_16 Depth=1
	s_and_b32 s86, s6, 0xffff
	s_cmp_eq_u32 s86, 1
	v_readlane_b32 s14, v72, 38
	s_cselect_b64 s[6:7], -1, 0
	v_readlane_b32 s15, v72, 39
	s_and_b64 s[16:17], s[14:15], s[6:7]
	s_mov_b64 s[14:15], -1
	v_mov_b64_e32 v[6:7], v[0:1]
	v_mov_b64_e32 v[4:5], v[2:3]
                                        ; implicit-def: $vgpr8_vgpr9
	s_and_saveexec_b64 s[6:7], s[16:17]
	s_cbranch_execz .LBB69_37
; %bb.34:                               ;   in Loop: Header=BB69_16 Depth=1
	v_lshl_add_u64 v[8:9], v[2:3], 0, 3
	v_lshl_add_u64 v[6:7], v[2:3], 0, 2
	v_lshl_add_u64 v[4:5], v[2:3], 0, 1
	v_mov_b64_e32 v[10:11], v[8:9]
	s_waitcnt vmcnt(0)
	v_lshlrev_b32_e32 v54, 16, v40
	s_mov_b64 s[14:15], 0
	v_mov_b64_e32 v[38:39], v[22:23]
	v_mov_b32_e32 v41, v43
	v_mov_b64_e32 v[8:9], v[6:7]
	v_mov_b64_e32 v[6:7], v[4:5]
	;; [unrolled: 1-line block ×3, first 2 shown]
	s_mov_b32 s4, 0x5040100
.LBB69_35:                              ;   Parent Loop BB69_16 Depth=1
                                        ; =>  This Inner Loop Header: Depth=2
	v_readlane_b32 s16, v72, 40
	v_mul_lo_u32 v55, v10, s89
	v_mul_lo_u32 v66, v9, s94
	;; [unrolled: 1-line block ×3, first 2 shown]
	v_mad_u64_u32 v[58:59], s[16:17], v10, s16, 0
	v_mul_lo_u32 v67, v8, s78
	v_mad_u64_u32 v[60:61], s[16:17], v8, s94, 0
	v_mul_lo_u32 v68, v7, s79
	v_mul_lo_u32 v69, v6, s77
	v_mad_u64_u32 v[62:63], s[16:17], v6, s79, 0
	v_mul_lo_u32 v70, v5, s76
	v_mul_lo_u32 v71, v4, s67
	v_mad_u64_u32 v[64:65], s[16:17], v4, s76, 0
	v_add3_u32 v59, v59, v55, v40
	v_add3_u32 v61, v61, v67, v66
	v_add3_u32 v63, v63, v69, v68
	v_add3_u32 v65, v65, v71, v70
	v_lshl_add_u64 v[60:61], v[60:61], 1, s[8:9]
	v_lshl_add_u64 v[58:59], v[58:59], 1, s[8:9]
	;; [unrolled: 1-line block ×4, first 2 shown]
	global_load_ushort v55, v[60:61], off
	global_load_ushort v40, v[58:59], off
	s_nop 0
	global_load_ushort v58, v[62:63], off
	global_load_ushort v59, v[64:65], off
	v_lshl_add_u64 v[38:39], v[38:39], 0, -4
	v_cmp_eq_u64_e32 vcc, 0, v[38:39]
	v_lshl_add_u64 v[10:11], v[10:11], 0, 4
	v_lshl_add_u64 v[8:9], v[8:9], 0, 4
	;; [unrolled: 1-line block ×4, first 2 shown]
	s_or_b64 s[14:15], vcc, s[14:15]
	s_waitcnt vmcnt(2)
	v_perm_b32 v60, v40, v55, s4
	s_waitcnt vmcnt(1)
	v_perm_b32 v55, v55, v58, s4
	s_waitcnt vmcnt(0)
	v_alignbit_b32 v54, v59, v54, 16
	ds_write_b64 v41, v[54:55]
	v_add_u32_e32 v41, 8, v41
	v_mov_b32_e32 v54, v60
	s_andn2_b64 exec, exec, s[14:15]
	s_cbranch_execnz .LBB69_35
; %bb.36:                               ;   in Loop: Header=BB69_16 Depth=1
	s_or_b64 exec, exec, s[14:15]
	v_readlane_b32 s14, v72, 41
	v_lshl_add_u64 v[4:5], v[2:3], 0, v[22:23]
	v_readlane_b32 s15, v72, 42
	v_lshl_add_u64 v[8:9], v[4:5], 0, -1
	s_orn2_b64 s[14:15], s[14:15], exec
	v_mov_b64_e32 v[6:7], v[24:25]
.LBB69_37:                              ;   in Loop: Header=BB69_16 Depth=1
	s_or_b64 exec, exec, s[6:7]
	s_and_saveexec_b64 s[6:7], s[14:15]
	s_cbranch_execz .LBB69_41
; %bb.38:                               ;   in Loop: Header=BB69_16 Depth=1
	v_readlane_b32 s18, v72, 50
	v_readlane_b32 s19, v72, 51
	;; [unrolled: 1-line block ×4, first 2 shown]
	v_mov_b64_e32 v[8:9], s[18:19]
	v_mad_u64_u32 v[8:9], s[18:19], s20, v4, v[8:9]
	s_sub_u32 s14, 0, s86
	v_mul_lo_u32 v2, s20, v5
	v_mul_lo_u32 v7, s21, v4
	s_mul_i32 s18, s21, s86
	s_mul_hi_u32 s19, s20, s86
	s_mov_b64 s[16:17], 0
	s_subb_u32 s15, 0, 0
	v_add3_u32 v9, v7, v9, v2
	s_add_i32 s19, s19, s18
	s_mul_i32 s18, s20, s86
.LBB69_39:                              ;   Parent Loop BB69_16 Depth=1
                                        ; =>  This Inner Loop Header: Depth=2
	s_waitcnt vmcnt(0)
	v_mov_b32_e32 v2, v40
	global_load_ushort v40, v[8:9], off
	v_mov_b64_e32 v[10:11], v[4:5]
	v_lshlrev_b32_e32 v4, 1, v6
	ds_write_b16 v4, v2
	v_lshl_add_u64 v[4:5], v[10:11], 0, s[86:87]
	v_cmp_le_i64_e32 vcc, s[56:57], v[4:5]
	v_lshl_add_u64 v[8:9], v[8:9], 0, s[18:19]
	s_or_b64 s[16:17], vcc, s[16:17]
	v_mov_b64_e32 v[6:7], v[10:11]
	s_andn2_b64 exec, exec, s[16:17]
	s_cbranch_execnz .LBB69_39
; %bb.40:                               ;   in Loop: Header=BB69_16 Depth=1
	s_or_b64 exec, exec, s[16:17]
	v_lshl_add_u64 v[8:9], s[14:15], 0, v[4:5]
.LBB69_41:                              ;   in Loop: Header=BB69_16 Depth=1
	s_or_b64 exec, exec, s[6:7]
.LBB69_42:                              ;   in Loop: Header=BB69_16 Depth=1
	s_or_b64 exec, exec, s[2:3]
	v_lshlrev_b32_e32 v2, 1, v8
	s_waitcnt vmcnt(0)
	ds_write_b16 v2, v40
.LBB69_43:                              ;   in Loop: Header=BB69_16 Depth=1
	s_or_b64 exec, exec, s[0:1]
	s_waitcnt lgkmcnt(0)
	s_barrier
	s_mov_b64 s[0:1], exec
	v_readlane_b32 s2, v72, 12
	v_readlane_b32 s3, v72, 13
	s_and_b64 s[2:3], s[0:1], s[2:3]
	s_mov_b64 exec, s[2:3]
; %bb.44:                               ;   in Loop: Header=BB69_16 Depth=1
	ds_write_b64 v3, v[56:57] offset:5120
; %bb.45:                               ;   in Loop: Header=BB69_16 Depth=1
	s_or_b64 exec, exec, s[0:1]
	s_mov_b64 s[0:1], -1
	s_waitcnt lgkmcnt(0)
	s_barrier
.LBB69_46:                              ;   in Loop: Header=BB69_16 Depth=1
	s_and_b64 vcc, exec, s[0:1]
	s_cbranch_vccz .LBB69_48
; %bb.47:                               ;   in Loop: Header=BB69_16 Depth=1
	ds_read_b64 v[4:5], v3 offset:5120
	s_waitcnt lgkmcnt(0)
	v_readfirstlane_b32 s74, v4
.LBB69_48:                              ;   in Loop: Header=BB69_16 Depth=1
	s_cmp_lt_i32 s74, 1
	s_mov_b64 s[0:1], -1
                                        ; implicit-def: $vgpr4_vgpr5
                                        ; implicit-def: $vgpr8_vgpr9
	s_cbranch_scc0 .LBB69_63
; %bb.49:                               ;   in Loop: Header=BB69_16 Depth=1
	global_load_ushort v2, v3, s[54:55]
	s_mov_b64 s[8:9], s[80:81]
	s_mov_b32 s0, s87
	s_mov_b64 s[4:5], s[82:83]
	s_waitcnt vmcnt(0)
	v_readfirstlane_b32 s1, v2
	s_and_b32 s80, s1, 0xffff
	s_lshl_b32 s86, s80, 2
	s_mov_b32 s1, s57
	s_cmp_lg_u64 s[0:1], 0
	s_cbranch_scc0 .LBB69_81
; %bb.50:                               ;   in Loop: Header=BB69_16 Depth=1
	s_add_u32 s0, s86, 0
	s_addc_u32 s1, 0, 0
	s_xor_b64 s[0:1], s[0:1], 0
	v_cvt_f32_u32_e32 v2, s0
	v_cvt_f32_u32_e32 v4, s1
	s_sub_u32 s6, 0, s0
	s_subb_u32 s7, 0, s1
	v_fmac_f32_e32 v2, 0x4f800000, v4
	v_rcp_f32_e32 v2, v2
	s_nop 0
	v_mul_f32_e32 v2, 0x5f7ffffc, v2
	v_mul_f32_e32 v4, 0x2f800000, v2
	v_trunc_f32_e32 v4, v4
	v_fmac_f32_e32 v2, 0xcf800000, v4
	v_cvt_u32_f32_e32 v4, v4
	v_cvt_u32_f32_e32 v2, v2
	v_readfirstlane_b32 s14, v4
	v_readfirstlane_b32 s2, v2
	s_mul_i32 s3, s6, s14
	s_mul_hi_u32 s16, s6, s2
	s_mul_i32 s15, s7, s2
	s_add_i32 s3, s16, s3
	s_mul_i32 s17, s6, s2
	s_add_i32 s3, s3, s15
	s_mul_i32 s16, s2, s3
	s_mul_hi_u32 s18, s2, s17
	s_mul_hi_u32 s15, s2, s3
	s_add_u32 s16, s18, s16
	s_addc_u32 s15, 0, s15
	s_mul_hi_u32 s19, s14, s17
	s_mul_i32 s17, s14, s17
	s_add_u32 s16, s16, s17
	s_mul_hi_u32 s18, s14, s3
	s_addc_u32 s15, s15, s19
	s_addc_u32 s16, s18, 0
	s_mul_i32 s3, s14, s3
	s_add_u32 s3, s15, s3
	s_addc_u32 s15, 0, s16
	s_add_u32 s16, s2, s3
	s_cselect_b64 s[2:3], -1, 0
	s_cmp_lg_u64 s[2:3], 0
	s_addc_u32 s14, s14, s15
	s_mul_i32 s2, s6, s14
	s_mul_hi_u32 s3, s6, s16
	s_add_i32 s2, s3, s2
	s_mul_i32 s7, s7, s16
	s_add_i32 s2, s2, s7
	s_mul_i32 s6, s6, s16
	s_mul_hi_u32 s7, s14, s6
	s_mul_i32 s15, s14, s6
	s_mul_i32 s18, s16, s2
	s_mul_hi_u32 s6, s16, s6
	s_mul_hi_u32 s17, s16, s2
	s_add_u32 s6, s6, s18
	s_addc_u32 s17, 0, s17
	s_add_u32 s6, s6, s15
	s_mul_hi_u32 s3, s14, s2
	s_addc_u32 s6, s17, s7
	s_addc_u32 s3, s3, 0
	s_mul_i32 s2, s14, s2
	s_add_u32 s2, s6, s2
	s_addc_u32 s6, 0, s3
	s_add_u32 s15, s16, s2
	s_cselect_b64 s[2:3], -1, 0
	s_cmp_lg_u64 s[2:3], 0
	s_addc_u32 s14, s14, s6
	s_ashr_i32 s2, s57, 31
	s_add_u32 s6, s56, s2
	s_mov_b32 s3, s2
	s_addc_u32 s7, s57, s2
	s_xor_b64 s[6:7], s[6:7], s[2:3]
	s_mul_i32 s17, s6, s14
	s_mul_hi_u32 s18, s6, s15
	s_mul_hi_u32 s16, s6, s14
	s_add_u32 s17, s18, s17
	s_addc_u32 s16, 0, s16
	s_mul_hi_u32 s19, s7, s15
	s_mul_i32 s15, s7, s15
	s_add_u32 s15, s17, s15
	s_mul_hi_u32 s18, s7, s14
	s_addc_u32 s15, s16, s19
	s_addc_u32 s16, s18, 0
	s_mul_i32 s14, s7, s14
	s_add_u32 s14, s15, s14
	s_addc_u32 s15, 0, s16
	s_mul_i32 s15, s0, s15
	s_mul_hi_u32 s16, s0, s14
	s_add_i32 s15, s16, s15
	s_mul_i32 s16, s1, s14
	s_add_i32 s18, s15, s16
	s_sub_i32 s16, s7, s18
	s_mul_i32 s14, s0, s14
	s_sub_u32 s6, s6, s14
	s_cselect_b64 s[14:15], -1, 0
	s_cmp_lg_u64 s[14:15], 0
	s_subb_u32 s19, s16, s1
	s_sub_u32 s20, s6, s0
	s_cselect_b64 s[16:17], -1, 0
	s_cmp_lg_u64 s[16:17], 0
	s_subb_u32 s21, s19, 0
	s_cmp_ge_u32 s21, s1
	s_cselect_b32 s22, -1, 0
	s_cmp_ge_u32 s20, s0
	s_cselect_b32 s23, -1, 0
	s_cmp_eq_u32 s21, s1
	s_cselect_b32 s22, s23, s22
	s_cmp_lg_u64 s[16:17], 0
	s_subb_u32 s19, s19, s1
	s_sub_u32 s23, s20, s0
	s_cselect_b64 s[16:17], -1, 0
	s_cmp_lg_u64 s[16:17], 0
	s_subb_u32 s16, s19, 0
	s_cmp_lg_u32 s22, 0
	s_cselect_b32 s17, s23, s20
	s_cselect_b32 s16, s16, s21
	s_cmp_lg_u64 s[14:15], 0
	s_subb_u32 s7, s7, s18
	s_cmp_ge_u32 s7, s1
	s_cselect_b32 s14, -1, 0
	s_cmp_ge_u32 s6, s0
	s_cselect_b32 s0, -1, 0
	s_cmp_eq_u32 s7, s1
	s_cselect_b32 s0, s0, s14
	s_cmp_lg_u32 s0, 0
	s_cselect_b32 s1, s16, s7
	s_cselect_b32 s0, s17, s6
	s_xor_b64 s[0:1], s[0:1], s[2:3]
	s_sub_u32 s82, s0, s2
	s_subb_u32 s83, s1, s2
	s_cbranch_execnz .LBB69_52
.LBB69_51:                              ;   in Loop: Header=BB69_16 Depth=1
	v_cvt_f32_u32_e32 v2, s86
	s_sub_i32 s0, 0, s86
	s_mov_b32 s83, s87
	v_rcp_iflag_f32_e32 v2, v2
	s_nop 0
	v_mul_f32_e32 v2, 0x4f7ffffe, v2
	v_cvt_u32_f32_e32 v2, v2
	s_nop 0
	v_readfirstlane_b32 s1, v2
	s_mul_i32 s0, s0, s1
	s_mul_hi_u32 s0, s1, s0
	s_add_i32 s1, s1, s0
	s_mul_hi_u32 s0, s56, s1
	s_mul_i32 s0, s0, s86
	s_sub_i32 s0, s56, s0
	s_sub_i32 s1, s0, s86
	s_cmp_ge_u32 s0, s86
	s_cselect_b32 s0, s1, s0
	s_sub_i32 s1, s0, s86
	s_cmp_ge_u32 s0, s86
	s_cselect_b32 s82, s1, s0
.LBB69_52:                              ;   in Loop: Header=BB69_16 Depth=1
	s_sub_u32 s30, s56, s82
	s_subb_u32 s31, s57, s83
	s_mov_b32 s81, s87
	v_cmp_gt_i64_e32 vcc, s[30:31], v[16:17]
	v_mov_b64_e32 v[4:5], 0
	v_mov_b64_e32 v[6:7], 0
	;; [unrolled: 1-line block ×4, first 2 shown]
	s_and_saveexec_b64 s[72:73], vcc
	s_cbranch_execz .LBB69_56
; %bb.53:                               ;   in Loop: Header=BB69_16 Depth=1
	v_writelane_b32 v72, s50, 59
	s_mov_b32 s10, s79
	s_mov_b32 s79, s77
	v_writelane_b32 v72, s51, 60
	v_writelane_b32 v72, s66, 61
	s_mov_b32 s77, s91
	v_readlane_b32 s0, v72, 26
	v_readlane_b32 s1, v72, 27
	s_mul_i32 s0, s69, s80
	s_mul_hi_u32 s1, s68, s80
	v_readlane_b32 s90, v72, 54
	s_mov_b32 s88, s94
	s_mov_b32 s11, s78
	;; [unrolled: 1-line block ×5, first 2 shown]
	s_mov_b64 s[96:97], s[92:93]
	s_add_i32 s75, s1, s0
	s_mov_b64 s[14:15], 0
	v_readlane_b32 s91, v72, 55
	s_mov_b64 s[94:95], 0
	s_mov_b64 s[64:65], 0
	;; [unrolled: 1-line block ×4, first 2 shown]
	v_mov_b64_e32 v[38:39], v[16:17]
.LBB69_54:                              ;   Parent Loop BB69_16 Depth=1
                                        ; =>  This Inner Loop Header: Depth=2
	v_lshl_add_u64 v[4:5], s[90:91], 0, v[32:33]
	v_lshl_add_u64 v[6:7], s[90:91], 0, v[30:31]
	;; [unrolled: 1-line block ×4, first 2 shown]
	global_load_ushort v2, v[4:5], off
	s_nop 0
	global_load_ushort v4, v[6:7], off
	global_load_ushort v5, v[8:9], off
	s_nop 0
	global_load_ushort v6, v[10:11], off
	s_mul_i32 s99, s68, s80
	v_lshl_add_u64 v[38:39], v[38:39], 0, s[86:87]
	v_cmp_le_i64_e32 vcc, s[30:31], v[38:39]
	s_waitcnt vmcnt(3)
	v_cmp_lt_i16_e64 s[0:1], -1, v2
	s_nop 1
	v_cndmask_b32_e64 v11, v49, v50, s[0:1]
	s_waitcnt vmcnt(2)
	v_cmp_lt_i16_e64 s[0:1], -1, v4
	v_lshlrev_b32_e32 v7, 16, v2
	v_lshlrev_b32_e32 v8, 16, v4
	v_cndmask_b32_e64 v40, v49, v50, s[0:1]
	s_waitcnt vmcnt(1)
	v_cmp_lt_i16_e64 s[0:1], -1, v5
	v_xor_b32_sdwa v2, v11, v2 dst_sel:DWORD dst_unused:UNUSED_PAD src0_sel:DWORD src1_sel:WORD_0
	v_cmp_o_f32_e64 s[18:19], v7, v7
	v_cndmask_b32_e64 v41, v49, v50, s[0:1]
	s_waitcnt vmcnt(0)
	v_cmp_lt_i16_e64 s[0:1], -1, v6
	v_lshlrev_b32_e32 v9, 16, v5
	v_xor_b32_sdwa v4, v40, v4 dst_sel:DWORD dst_unused:UNUSED_PAD src0_sel:DWORD src1_sel:WORD_0
	v_cndmask_b32_e64 v54, v49, v50, s[0:1]
	v_cmp_o_f32_e64 s[0:1], v8, v8
	v_cndmask_b32_e64 v2, v49, v2, s[18:19]
	v_lshlrev_b32_e32 v10, 16, v6
	v_xor_b32_sdwa v5, v41, v5 dst_sel:DWORD dst_unused:UNUSED_PAD src0_sel:DWORD src1_sel:WORD_0
	v_cmp_o_f32_e64 s[2:3], v9, v9
	v_cndmask_b32_e64 v4, v49, v4, s[0:1]
	v_and_b32_e32 v7, v2, v52
	v_bfe_u32 v2, v2, s98, 2
	v_xor_b32_sdwa v6, v54, v6 dst_sel:DWORD dst_unused:UNUSED_PAD src0_sel:DWORD src1_sel:WORD_0
	v_cmp_o_f32_e64 s[16:17], v10, v10
	v_cndmask_b32_e64 v5, v49, v5, s[2:3]
	v_and_b32_e32 v8, v4, v52
	v_bfe_u32 v4, v4, s98, 2
	v_cmp_eq_u32_e64 s[0:1], v7, v48
	v_cmp_eq_u32_e64 s[20:21], 0, v2
	v_cndmask_b32_e64 v6, v49, v6, s[16:17]
	v_and_b32_e32 v9, v5, v52
	v_bfe_u32 v5, v5, s98, 2
	v_cmp_eq_u32_e64 s[2:3], v8, v48
	v_cmp_eq_u32_e64 s[22:23], 0, v4
	s_and_b64 s[20:21], s[0:1], s[20:21]
	v_and_b32_e32 v10, v6, v52
	v_bfe_u32 v6, v6, s98, 2
	v_cmp_eq_u32_e64 s[16:17], v9, v48
	v_cmp_eq_u32_e64 s[24:25], 0, v5
	;; [unrolled: 1-line block ×5, first 2 shown]
	v_cndmask_b32_e64 v2, 0, 1, s[20:21]
	s_and_b64 s[20:21], s[2:3], s[22:23]
	v_cmp_eq_u32_e64 s[18:19], v10, v48
	v_cmp_eq_u32_e64 s[26:27], 0, v6
	;; [unrolled: 1-line block ×5, first 2 shown]
	v_cndmask_b32_e64 v4, 0, 1, s[20:21]
	s_and_b64 s[20:21], s[16:17], s[24:25]
	v_cmp_eq_u32_e64 s[36:37], 1, v5
	v_cmp_eq_u32_e64 s[44:45], 2, v5
	v_cmp_eq_u32_e64 s[52:53], 3, v5
	v_cndmask_b32_e64 v5, 0, 1, s[20:21]
	s_and_b64 s[20:21], s[18:19], s[26:27]
	v_cmp_eq_u32_e64 s[38:39], 1, v6
	v_cmp_eq_u32_e64 s[46:47], 2, v6
	;; [unrolled: 1-line block ×3, first 2 shown]
	v_cndmask_b32_e64 v6, 0, 1, s[20:21]
	v_cmp_ne_u32_e64 s[20:21], 0, v2
	v_cmp_ne_u32_e64 s[22:23], 0, v4
	v_cmp_ne_u32_e64 s[24:25], 0, v5
	v_cmp_ne_u32_e64 s[26:27], 0, v6
	s_bcnt1_i32_b64 s20, s[20:21]
	s_bcnt1_i32_b64 s21, s[22:23]
	s_bcnt1_i32_b64 s22, s[24:25]
	s_bcnt1_i32_b64 s23, s[26:27]
	s_add_u32 s20, s20, s92
	s_addc_u32 s24, 0, s93
	s_add_u32 s20, s20, s21
	s_addc_u32 s21, s24, 0
	s_add_u32 s20, s20, s22
	s_addc_u32 s21, s21, 0
	s_add_u32 s92, s20, s23
	s_addc_u32 s93, s21, 0
	s_and_b64 s[20:21], s[0:1], s[28:29]
	v_cndmask_b32_e64 v2, 0, 1, s[20:21]
	s_and_b64 s[20:21], s[2:3], s[34:35]
	v_cndmask_b32_e64 v6, 0, 1, s[20:21]
	s_and_b64 s[20:21], s[16:17], s[36:37]
	v_cndmask_b32_e64 v7, 0, 1, s[20:21]
	s_and_b64 s[20:21], s[18:19], s[38:39]
	v_cndmask_b32_e64 v8, 0, 1, s[20:21]
	v_cmp_ne_u32_e64 s[20:21], 0, v2
	v_cmp_ne_u32_e64 s[22:23], 0, v6
	v_cmp_ne_u32_e64 s[24:25], 0, v7
	v_cmp_ne_u32_e64 s[26:27], 0, v8
	s_bcnt1_i32_b64 s20, s[20:21]
	s_bcnt1_i32_b64 s21, s[22:23]
	s_bcnt1_i32_b64 s22, s[24:25]
	s_bcnt1_i32_b64 s23, s[26:27]
	s_add_u32 s6, s20, s6
	s_addc_u32 s7, 0, s7
	s_add_u32 s6, s6, s21
	s_addc_u32 s7, s7, 0
	s_add_u32 s6, s6, s22
	s_addc_u32 s7, s7, 0
	s_add_u32 s6, s6, s23
	s_addc_u32 s7, s7, 0
	s_and_b64 s[20:21], s[0:1], s[40:41]
	v_cndmask_b32_e64 v2, 0, 1, s[20:21]
	s_and_b64 s[20:21], s[2:3], s[42:43]
	v_cndmask_b32_e64 v8, 0, 1, s[20:21]
	s_and_b64 s[20:21], s[16:17], s[44:45]
	v_cndmask_b32_e64 v9, 0, 1, s[20:21]
	s_and_b64 s[20:21], s[18:19], s[46:47]
	;; [unrolled: 24-line block ×3, first 2 shown]
	v_cndmask_b32_e64 v40, 0, 1, s[0:1]
	v_cmp_ne_u32_e64 s[0:1], 0, v2
	v_cmp_ne_u32_e64 s[2:3], 0, v10
	;; [unrolled: 1-line block ×4, first 2 shown]
	s_bcnt1_i32_b64 s0, s[0:1]
	s_bcnt1_i32_b64 s1, s[2:3]
	;; [unrolled: 1-line block ×4, first 2 shown]
	s_add_u32 s0, s0, s94
	s_addc_u32 s16, 0, s95
	s_add_u32 s0, s0, s1
	s_addc_u32 s1, s16, 0
	;; [unrolled: 2-line block ×5, first 2 shown]
	v_mov_b64_e32 v[4:5], s[92:93]
	v_mov_b64_e32 v[6:7], s[6:7]
	;; [unrolled: 1-line block ×3, first 2 shown]
	s_or_b64 s[14:15], vcc, s[14:15]
	v_mov_b64_e32 v[10:11], s[94:95]
	s_andn2_b64 exec, exec, s[14:15]
	s_cbranch_execnz .LBB69_54
; %bb.55:                               ;   in Loop: Header=BB69_16 Depth=1
	s_or_b64 exec, exec, s[14:15]
	v_readlane_b32 s54, v72, 52
	v_readlane_b32 s50, v72, 59
	s_mov_b64 s[92:93], s[96:97]
	s_mov_b32 s53, s89
	s_mov_b32 s91, s77
	v_readlane_b32 s55, v72, 53
	s_mov_b32 s67, s76
	s_mov_b32 s76, s78
	;; [unrolled: 1-line block ×6, first 2 shown]
	v_readlane_b32 s89, v72, 58
	v_readlane_b32 s96, v72, 57
	s_movk_i32 s97, 0x3f80
	v_readlane_b32 s66, v72, 61
	v_readlane_b32 s51, v72, 60
	;; [unrolled: 1-line block ×3, first 2 shown]
.LBB69_56:                              ;   in Loop: Header=BB69_16 Depth=1
	s_or_b64 exec, exec, s[72:73]
	v_lshl_add_u64 v[38:39], s[30:31], 0, v[0:1]
	v_cmp_gt_i64_e32 vcc, s[56:57], v[38:39]
	s_and_saveexec_b64 s[2:3], vcc
	s_cbranch_execz .LBB69_62
; %bb.57:                               ;   in Loop: Header=BB69_16 Depth=1
	v_mad_u64_u32 v[40:41], s[0:1], v38, s62, 0
	v_mul_lo_u32 v2, v39, s62
	v_mul_lo_u32 v54, v38, s63
	v_readlane_b32 s0, v72, 54
	v_add3_u32 v41, v41, v54, v2
	v_readlane_b32 s1, v72, 55
	v_mov_b32_e32 v54, s83
	v_readlane_b32 s6, v72, 48
	v_lshl_add_u64 v[40:41], v[40:41], 1, s[0:1]
	global_load_ushort v2, v[40:41], off
	v_lshl_add_u64 v[40:41], v[34:35], 0, s[80:81]
	v_subrev_co_u32_e32 v55, vcc, s82, v40
	v_readlane_b32 s0, v72, 50
	s_nop 0
	v_subb_co_u32_e32 v40, vcc, v41, v54, vcc
	v_readlane_b32 s1, v72, 51
	v_mul_lo_u32 v54, s6, v40
	v_readlane_b32 s7, v72, 49
	v_mov_b64_e32 v[40:41], s[0:1]
	v_mad_u64_u32 v[40:41], s[0:1], s6, v55, v[40:41]
	v_mul_lo_u32 v58, s7, v55
	s_mul_i32 s0, s7, s80
	s_mul_hi_u32 s1, s6, s80
	v_add3_u32 v41, v58, v41, v54
	s_add_i32 s7, s1, s0
	s_mul_i32 s6, s6, s80
	s_mov_b64 s[14:15], 0
	s_branch .LBB69_59
.LBB69_58:                              ;   in Loop: Header=BB69_59 Depth=2
	s_or_b64 exec, exec, s[16:17]
	s_and_b64 s[0:1], exec, vcc
	s_waitcnt vmcnt(0)
	v_cmp_lt_i16_e32 vcc, -1, v2
	v_lshlrev_b32_e32 v58, 16, v2
	s_or_b64 s[14:15], s[0:1], s[14:15]
	v_cndmask_b32_e32 v55, v49, v50, vcc
	v_xor_b32_sdwa v2, v55, v2 dst_sel:DWORD dst_unused:UNUSED_PAD src0_sel:DWORD src1_sel:WORD_0
	v_cmp_o_f32_e32 vcc, v58, v58
	v_lshl_add_u64 v[40:41], v[40:41], 0, s[6:7]
	s_nop 0
	v_cndmask_b32_e32 v2, v49, v2, vcc
	v_and_b32_e32 v55, v2, v52
	v_bfe_u32 v2, v2, s98, 2
	v_cmp_eq_u32_e32 vcc, v55, v48
	v_cmp_eq_u32_e64 s[0:1], 0, v2
	s_and_b64 s[0:1], vcc, s[0:1]
	s_nop 0
	v_cndmask_b32_e64 v55, 0, 1, s[0:1]
	v_cmp_ne_u32_e64 s[0:1], 0, v55
	s_bcnt1_i32_b64 s86, s[0:1]
	v_cmp_eq_u32_e64 s[0:1], 1, v2
	s_and_b64 s[0:1], vcc, s[0:1]
	v_lshl_add_u64 v[4:5], s[86:87], 0, v[4:5]
	v_cndmask_b32_e64 v55, 0, 1, s[0:1]
	v_cmp_ne_u32_e64 s[0:1], 0, v55
	s_bcnt1_i32_b64 s86, s[0:1]
	v_cmp_eq_u32_e64 s[0:1], 2, v2
	s_and_b64 s[0:1], vcc, s[0:1]
	v_lshl_add_u64 v[6:7], s[86:87], 0, v[6:7]
	;; [unrolled: 6-line block ×3, first 2 shown]
	v_cndmask_b32_e64 v2, 0, 1, s[0:1]
	v_cmp_ne_u32_e32 vcc, 0, v2
	s_bcnt1_i32_b64 s86, vcc
	v_lshl_add_u64 v[10:11], s[86:87], 0, v[10:11]
	v_mov_b32_e32 v2, v54
	s_andn2_b64 exec, exec, s[14:15]
	s_cbranch_execz .LBB69_61
.LBB69_59:                              ;   Parent Loop BB69_16 Depth=1
                                        ; =>  This Inner Loop Header: Depth=2
	v_lshl_add_u64 v[38:39], v[38:39], 0, s[80:81]
	v_cmp_gt_i64_e64 s[0:1], s[56:57], v[38:39]
	v_cmp_le_i64_e32 vcc, s[56:57], v[38:39]
	v_mov_b32_e32 v54, 0
	s_and_saveexec_b64 s[16:17], s[0:1]
	s_cbranch_execz .LBB69_58
; %bb.60:                               ;   in Loop: Header=BB69_59 Depth=2
	global_load_ushort v54, v[40:41], off
	s_branch .LBB69_58
.LBB69_61:                              ;   in Loop: Header=BB69_16 Depth=1
	s_or_b64 exec, exec, s[14:15]
.LBB69_62:                              ;   in Loop: Header=BB69_16 Depth=1
	s_or_b64 exec, exec, s[2:3]
	s_mov_b64 s[80:81], s[8:9]
	v_readlane_b32 s8, v72, 54
	s_mov_b64 s[0:1], 0
	v_readlane_b32 s9, v72, 55
	s_mov_b64 s[82:83], s[4:5]
.LBB69_63:                              ;   in Loop: Header=BB69_16 Depth=1
	s_and_b64 vcc, exec, s[0:1]
	s_cbranch_vccz .LBB69_73
; %bb.64:                               ;   in Loop: Header=BB69_16 Depth=1
	global_load_ushort v2, v3, s[54:55]
	v_mov_b64_e32 v[8:9], 0
	s_waitcnt vmcnt(0)
	v_readfirstlane_b32 s0, v2
	s_and_b32 s75, 0xffff, s0
	s_lshl_b32 s86, s75, 2
	v_cvt_f32_u32_e32 v4, s86
	s_sub_i32 s0, 0, s86
	v_rcp_iflag_f32_e32 v6, v4
	v_mov_b64_e32 v[4:5], 0
	v_mul_f32_e32 v6, 0x4f7ffffe, v6
	v_cvt_u32_f32_e32 v10, v6
	v_mov_b64_e32 v[6:7], 0
	v_readfirstlane_b32 s1, v10
	s_mul_i32 s0, s0, s1
	s_mul_hi_u32 s0, s1, s0
	s_add_i32 s1, s1, s0
	s_mul_hi_u32 s0, s74, s1
	s_mul_i32 s1, s0, s86
	s_sub_i32 s1, s74, s1
	s_add_i32 s2, s0, 1
	s_sub_i32 s3, s1, s86
	s_cmp_ge_u32 s1, s86
	s_cselect_b32 s0, s2, s0
	s_cselect_b32 s1, s3, s1
	s_add_i32 s2, s0, 1
	s_cmp_ge_u32 s1, s86
	s_cselect_b32 s0, s2, s0
	s_mul_hi_u32 s7, s75, s0
	s_mul_i32 s6, s75, s0
	s_lshl_b64 s[14:15], s[6:7], 2
	v_cmp_gt_u64_e32 vcc, s[14:15], v[16:17]
	v_mov_b64_e32 v[10:11], 0
	s_and_saveexec_b64 s[30:31], vcc
	s_cbranch_execz .LBB69_68
; %bb.65:                               ;   in Loop: Header=BB69_16 Depth=1
	s_mov_b32 s99, s89
	s_mov_b32 s89, s78
	;; [unrolled: 1-line block ×5, first 2 shown]
	s_mov_b64 s[4:5], s[82:83]
	s_mov_b64 s[8:9], s[80:81]
	;; [unrolled: 1-line block ×3, first 2 shown]
	s_mov_b32 s67, s91
	s_lshl_b32 s7, s75, 3
	s_mov_b64 s[64:65], 0
	v_mov_b32_e32 v40, v20
	s_mov_b64 s[72:73], 0
	s_mov_b64 s[80:81], 0
	;; [unrolled: 1-line block ×4, first 2 shown]
	v_mov_b64_e32 v[38:39], v[16:17]
.LBB69_66:                              ;   Parent Loop BB69_16 Depth=1
                                        ; =>  This Inner Loop Header: Depth=2
	ds_read_b64 v[4:5], v40
	v_lshl_add_u64 v[38:39], v[38:39], 0, s[86:87]
	v_cmp_le_u64_e32 vcc, s[14:15], v[38:39]
	v_add_u32_e32 v40, s7, v40
	s_waitcnt lgkmcnt(0)
	v_cmp_lt_i16_e64 s[0:1], -1, v4
	v_lshlrev_b32_e32 v6, 16, v4
	s_nop 0
	v_cndmask_b32_e64 v10, v49, v50, s[0:1]
	v_cmp_gt_i16_sdwa s[0:1], v4, v21 src0_sel:WORD_1 src1_sel:DWORD
	v_and_b32_e32 v7, 0xffff0000, v4
	v_cmp_o_f32_e64 s[18:19], v6, v6
	v_cndmask_b32_e64 v11, v49, v50, s[0:1]
	v_cmp_lt_i16_e64 s[0:1], -1, v5
	v_xor_b32_sdwa v11, v11, v4 dst_sel:DWORD dst_unused:UNUSED_PAD src0_sel:DWORD src1_sel:WORD_1
	v_bitop3_b32 v4, v10, v4, s33 bitop3:0x78
	v_cndmask_b32_e64 v41, v49, v50, s[0:1]
	v_cmp_gt_i16_sdwa s[0:1], v5, v21 src0_sel:WORD_1 src1_sel:DWORD
	v_lshlrev_b32_e32 v8, 16, v5
	v_cndmask_b32_e64 v4, v49, v4, s[18:19]
	v_cndmask_b32_e64 v54, v49, v50, s[0:1]
	v_cmp_o_f32_e64 s[0:1], v7, v7
	v_and_b32_e32 v9, 0xffff0000, v5
	v_bitop3_b32 v7, v41, v5, s33 bitop3:0x78
	v_cmp_o_f32_e64 s[2:3], v8, v8
	v_cndmask_b32_e64 v6, v49, v11, s[0:1]
	v_and_b32_e32 v8, v4, v52
	v_bfe_u32 v4, v4, s98, 2
	v_xor_b32_sdwa v5, v54, v5 dst_sel:DWORD dst_unused:UNUSED_PAD src0_sel:DWORD src1_sel:WORD_1
	v_cmp_o_f32_e64 s[16:17], v9, v9
	v_cndmask_b32_e64 v7, v49, v7, s[2:3]
	v_and_b32_e32 v9, v6, v52
	v_bfe_u32 v6, v6, s98, 2
	v_cmp_eq_u32_e64 s[20:21], v8, v48
	v_cmp_eq_u32_e64 s[2:3], 0, v4
	v_cndmask_b32_e64 v5, v49, v5, s[16:17]
	v_and_b32_e32 v10, v7, v52
	v_bfe_u32 v7, v7, s98, 2
	v_cmp_eq_u32_e64 s[18:19], v9, v48
	v_cmp_eq_u32_e64 s[34:35], 0, v6
	s_and_b64 s[2:3], s[20:21], s[2:3]
	v_and_b32_e32 v11, v5, v52
	v_bfe_u32 v5, v5, s98, 2
	v_cmp_eq_u32_e64 s[16:17], v10, v48
	v_cmp_eq_u32_e64 s[36:37], 0, v7
	;; [unrolled: 1-line block ×5, first 2 shown]
	v_cndmask_b32_e64 v4, 0, 1, s[2:3]
	s_and_b64 s[2:3], s[18:19], s[34:35]
	v_cmp_eq_u32_e64 s[0:1], v11, v48
	v_cmp_eq_u32_e64 s[38:39], 0, v5
	;; [unrolled: 1-line block ×5, first 2 shown]
	v_cndmask_b32_e64 v5, 0, 1, s[2:3]
	s_and_b64 s[2:3], s[16:17], s[36:37]
	v_cmp_eq_u32_e64 s[42:43], 1, v6
	v_cmp_eq_u32_e64 s[50:51], 2, v6
	v_cmp_eq_u32_e64 s[26:27], 3, v6
	v_cndmask_b32_e64 v6, 0, 1, s[2:3]
	s_and_b64 s[2:3], s[0:1], s[38:39]
	v_cmp_eq_u32_e64 s[44:45], 1, v7
	v_cmp_eq_u32_e64 s[52:53], 2, v7
	;; [unrolled: 1-line block ×3, first 2 shown]
	v_cndmask_b32_e64 v7, 0, 1, s[2:3]
	v_cmp_ne_u32_e64 s[2:3], 0, v4
	v_cmp_ne_u32_e64 s[34:35], 0, v5
	v_cmp_ne_u32_e64 s[36:37], 0, v6
	v_cmp_ne_u32_e64 s[38:39], 0, v7
	s_bcnt1_i32_b64 s2, s[2:3]
	s_bcnt1_i32_b64 s3, s[34:35]
	;; [unrolled: 1-line block ×4, first 2 shown]
	s_add_u32 s2, s2, s90
	s_addc_u32 s36, 0, s91
	s_add_u32 s2, s2, s3
	s_addc_u32 s3, s36, 0
	;; [unrolled: 2-line block ×4, first 2 shown]
	s_and_b64 s[2:3], s[20:21], s[40:41]
	v_cndmask_b32_e64 v6, 0, 1, s[2:3]
	s_and_b64 s[2:3], s[18:19], s[42:43]
	v_cndmask_b32_e64 v7, 0, 1, s[2:3]
	;; [unrolled: 2-line block ×4, first 2 shown]
	v_cmp_ne_u32_e64 s[2:3], 0, v6
	v_cmp_ne_u32_e64 s[34:35], 0, v7
	;; [unrolled: 1-line block ×4, first 2 shown]
	s_bcnt1_i32_b64 s2, s[2:3]
	s_bcnt1_i32_b64 s3, s[34:35]
	;; [unrolled: 1-line block ×4, first 2 shown]
	s_add_u32 s2, s2, s82
	s_addc_u32 s36, 0, s83
	s_add_u32 s2, s2, s3
	s_addc_u32 s3, s36, 0
	;; [unrolled: 2-line block ×4, first 2 shown]
	s_and_b64 s[2:3], s[20:21], s[48:49]
	v_cndmask_b32_e64 v8, 0, 1, s[2:3]
	s_and_b64 s[2:3], s[18:19], s[50:51]
	v_cndmask_b32_e64 v9, 0, 1, s[2:3]
	;; [unrolled: 2-line block ×4, first 2 shown]
	v_cmp_ne_u32_e64 s[2:3], 0, v8
	v_cmp_ne_u32_e64 s[34:35], 0, v9
	;; [unrolled: 1-line block ×4, first 2 shown]
	s_bcnt1_i32_b64 s2, s[2:3]
	s_bcnt1_i32_b64 s3, s[34:35]
	;; [unrolled: 1-line block ×4, first 2 shown]
	s_add_u32 s2, s2, s80
	s_addc_u32 s36, 0, s81
	s_add_u32 s2, s2, s3
	s_addc_u32 s3, s36, 0
	;; [unrolled: 2-line block ×4, first 2 shown]
	s_and_b64 s[2:3], s[20:21], s[28:29]
	v_cndmask_b32_e64 v10, 0, 1, s[2:3]
	s_and_b64 s[2:3], s[18:19], s[26:27]
	v_cndmask_b32_e64 v11, 0, 1, s[2:3]
	s_and_b64 s[2:3], s[16:17], s[24:25]
	s_and_b64 s[0:1], s[0:1], s[22:23]
	v_cndmask_b32_e64 v41, 0, 1, s[2:3]
	v_cndmask_b32_e64 v54, 0, 1, s[0:1]
	v_cmp_ne_u32_e64 s[0:1], 0, v10
	v_cmp_ne_u32_e64 s[2:3], 0, v11
	;; [unrolled: 1-line block ×4, first 2 shown]
	s_bcnt1_i32_b64 s0, s[0:1]
	s_bcnt1_i32_b64 s1, s[2:3]
	;; [unrolled: 1-line block ×4, first 2 shown]
	s_add_u32 s0, s0, s72
	s_addc_u32 s16, 0, s73
	s_add_u32 s0, s0, s1
	s_addc_u32 s1, s16, 0
	;; [unrolled: 2-line block ×4, first 2 shown]
	v_mov_b64_e32 v[4:5], s[90:91]
	v_mov_b64_e32 v[6:7], s[82:83]
	;; [unrolled: 1-line block ×3, first 2 shown]
	s_or_b64 s[64:65], vcc, s[64:65]
	v_mov_b64_e32 v[10:11], s[72:73]
	s_andn2_b64 exec, exec, s[64:65]
	s_cbranch_execnz .LBB69_66
; %bb.67:                               ;   in Loop: Header=BB69_16 Depth=1
	s_or_b64 exec, exec, s[64:65]
	v_readlane_b32 s54, v72, 52
	s_mov_b64 s[80:81], s[8:9]
	v_readlane_b32 s8, v72, 54
	s_mov_b32 s91, s67
	v_readlane_b32 s55, v72, 53
	s_mov_b64 s[50:51], s[10:11]
	v_readlane_b32 s9, v72, 55
	s_mov_b64 s[82:83], s[4:5]
	s_mov_b32 s53, s77
	s_mov_b32 s67, s78
	;; [unrolled: 1-line block ×5, first 2 shown]
.LBB69_68:                              ;   in Loop: Header=BB69_16 Depth=1
	s_or_b64 exec, exec, s[30:31]
	s_and_b32 s22, s74, 0x7fffffff
	s_mov_b32 s23, s87
	v_lshl_add_u64 v[38:39], s[14:15], 0, v[0:1]
	v_and_b32_e32 v2, 0xffff, v2
	v_cmp_gt_u64_e32 vcc, s[22:23], v[38:39]
	s_and_saveexec_b64 s[14:15], vcc
	s_cbranch_execz .LBB69_72
; %bb.69:                               ;   in Loop: Header=BB69_16 Depth=1
	v_lshl_add_u32 v40, s6, 3, v43
	s_lshl_b32 s24, s75, 1
	s_mov_b64 s[6:7], 0
.LBB69_70:                              ;   Parent Loop BB69_16 Depth=1
                                        ; =>  This Inner Loop Header: Depth=2
	ds_read_u16 v41, v40
	v_lshl_add_u64 v[38:39], v[38:39], 0, v[2:3]
	v_cmp_le_u64_e32 vcc, s[22:23], v[38:39]
	v_add_u32_e32 v40, s24, v40
	s_waitcnt lgkmcnt(0)
	v_cmp_lt_i16_e64 s[0:1], -1, v41
	v_lshlrev_b32_e32 v54, 16, v41
	s_nop 0
	v_cndmask_b32_e64 v55, v49, v50, s[0:1]
	v_xor_b32_sdwa v41, v55, v41 dst_sel:DWORD dst_unused:UNUSED_PAD src0_sel:DWORD src1_sel:WORD_0
	v_cmp_o_f32_e64 s[0:1], v54, v54
	s_nop 1
	v_cndmask_b32_e64 v41, v49, v41, s[0:1]
	v_and_b32_e32 v54, v41, v52
	v_bfe_u32 v41, v41, s98, 2
	v_cmp_eq_u32_e64 s[0:1], v54, v48
	v_cmp_eq_u32_e64 s[2:3], 0, v41
	;; [unrolled: 1-line block ×3, first 2 shown]
	s_and_b64 s[2:3], s[0:1], s[2:3]
	v_cmp_eq_u32_e64 s[18:19], 2, v41
	v_cmp_eq_u32_e64 s[20:21], 3, v41
	v_cndmask_b32_e64 v41, 0, 1, s[2:3]
	s_and_b64 s[2:3], s[0:1], s[16:17]
	v_cndmask_b32_e64 v54, 0, 1, s[2:3]
	s_and_b64 s[2:3], s[0:1], s[18:19]
	s_and_b64 s[0:1], s[0:1], s[20:21]
	v_cndmask_b32_e64 v58, 0, 1, s[0:1]
	v_cmp_ne_u32_e64 s[0:1], 0, v41
	v_cndmask_b32_e64 v55, 0, 1, s[2:3]
	v_cmp_ne_u32_e64 s[2:3], 0, v54
	s_bcnt1_i32_b64 s86, s[0:1]
	v_cmp_ne_u32_e64 s[16:17], 0, v55
	v_lshl_add_u64 v[4:5], s[86:87], 0, v[4:5]
	s_bcnt1_i32_b64 s86, s[2:3]
	v_cmp_ne_u32_e64 s[18:19], 0, v58
	v_lshl_add_u64 v[6:7], s[86:87], 0, v[6:7]
	s_bcnt1_i32_b64 s86, s[16:17]
	v_lshl_add_u64 v[8:9], s[86:87], 0, v[8:9]
	s_bcnt1_i32_b64 s86, s[18:19]
	s_or_b64 s[6:7], vcc, s[6:7]
	v_lshl_add_u64 v[10:11], s[86:87], 0, v[10:11]
	s_andn2_b64 exec, exec, s[6:7]
	s_cbranch_execnz .LBB69_70
; %bb.71:                               ;   in Loop: Header=BB69_16 Depth=1
	s_or_b64 exec, exec, s[6:7]
.LBB69_72:                              ;   in Loop: Header=BB69_16 Depth=1
	s_or_b64 exec, exec, s[14:15]
.LBB69_73:                              ;   in Loop: Header=BB69_16 Depth=1
	v_readlane_b32 s4, v72, 24
	s_lshl_b32 s2, s66, 6
	v_readlane_b32 s5, v72, 25
	s_and_saveexec_b64 s[0:1], s[4:5]
	s_mov_b64 s[4:5], s[12:13]
	s_cbranch_execz .LBB69_75
; %bb.74:                               ;   in Loop: Header=BB69_16 Depth=1
	v_lshl_add_u32 v2, s2, 3, v46
	ds_write_b128 v2, v[4:7]
	ds_write_b128 v2, v[8:11] offset:16
.LBB69_75:                              ;   in Loop: Header=BB69_16 Depth=1
	s_or_b64 exec, exec, s[0:1]
	s_waitcnt lgkmcnt(0)
	s_barrier
	s_mov_b64 s[0:1], exec
	v_readlane_b32 s6, v72, 26
	v_readlane_b32 s7, v72, 27
	s_and_b64 s[6:7], s[0:1], s[6:7]
	s_mov_b64 exec, s[6:7]
	s_cbranch_execz .LBB69_90
; %bb.76:                               ;   in Loop: Header=BB69_16 Depth=1
	v_readlane_b32 s6, v72, 34
	v_readlane_b32 s7, v72, 35
	s_andn2_b64 vcc, exec, s[6:7]
	v_mov_b64_e32 v[4:5], 0
	s_cbranch_vccnz .LBB69_89
; %bb.77:                               ;   in Loop: Header=BB69_16 Depth=1
	v_readlane_b32 s6, v72, 43
	v_readlane_b32 s7, v72, 44
	s_andn2_b64 vcc, exec, s[6:7]
	s_cbranch_vccnz .LBB69_85
; %bb.78:                               ;   in Loop: Header=BB69_16 Depth=1
	v_lshl_add_u32 v2, s66, 9, v47
	v_mov_b64_e32 v[4:5], 0
	s_mov_b32 s3, 0
.LBB69_79:                              ;   Parent Loop BB69_16 Depth=1
                                        ; =>  This Inner Loop Header: Depth=2
	ds_read2_b64 v[6:9], v2 offset1:4
	ds_read2_b64 v[38:41], v2 offset0:8 offset1:12
	ds_read2_b64 v[58:61], v2 offset0:16 offset1:20
	;; [unrolled: 1-line block ×3, first 2 shown]
	s_add_i32 s3, s3, 8
	s_waitcnt lgkmcnt(3)
	v_lshl_add_u64 v[4:5], v[6:7], 0, v[4:5]
	v_lshl_add_u64 v[4:5], v[8:9], 0, v[4:5]
	s_waitcnt lgkmcnt(2)
	v_lshl_add_u64 v[4:5], v[38:39], 0, v[4:5]
	v_lshl_add_u64 v[4:5], v[40:41], 0, v[4:5]
	;; [unrolled: 3-line block ×3, first 2 shown]
	s_waitcnt lgkmcnt(0)
	v_lshl_add_u64 v[4:5], v[62:63], 0, v[4:5]
	v_add_u32_e32 v2, 0x100, v2
	s_cmp_eq_u32 s88, s3
	v_lshl_add_u64 v[4:5], v[64:65], 0, v[4:5]
	s_cbranch_scc0 .LBB69_79
; %bb.80:                               ;   in Loop: Header=BB69_16 Depth=1
	s_mov_b32 s3, s88
	s_branch .LBB69_86
.LBB69_81:                              ;   in Loop: Header=BB69_16 Depth=1
                                        ; implicit-def: $sgpr82_sgpr83
	s_branch .LBB69_51
.LBB69_82:                              ;   in Loop: Header=BB69_16 Depth=1
	s_or_b64 exec, exec, s[14:15]
	s_waitcnt lgkmcnt(0)
	s_barrier
	s_mov_b64 s[0:1], exec
	v_readlane_b32 s2, v72, 12
	v_readlane_b32 s3, v72, 13
	s_and_b64 s[2:3], s[0:1], s[2:3]
	s_mov_b64 exec, s[2:3]
	s_cbranch_execz .LBB69_84
; %bb.83:                               ;   in Loop: Header=BB69_16 Depth=1
	ds_read_b32 v4, v3 offset:5136
	s_waitcnt lgkmcnt(0)
	v_ashrrev_i32_e32 v5, 31, v4
	ds_write_b64 v3, v[4:5] offset:5120
.LBB69_84:                              ;   in Loop: Header=BB69_16 Depth=1
	s_or_b64 exec, exec, s[0:1]
	s_waitcnt lgkmcnt(0)
	s_barrier
	s_mov_b64 s[0:1], -1
	s_and_b64 vcc, exec, s[6:7]
	s_cbranch_vccnz .LBB69_31
	s_branch .LBB69_46
.LBB69_85:                              ;   in Loop: Header=BB69_16 Depth=1
	s_mov_b32 s3, 0
	v_mov_b64_e32 v[4:5], 0
.LBB69_86:                              ;   in Loop: Header=BB69_16 Depth=1
	v_readlane_b32 s6, v72, 46
	v_readlane_b32 s7, v72, 47
	s_andn2_b64 vcc, exec, s[6:7]
	s_cbranch_vccnz .LBB69_89
; %bb.87:                               ;   in Loop: Header=BB69_16 Depth=1
	s_lshl_b32 s6, s66, 9
	s_lshl_b32 s3, s3, 5
	s_add_i32 s6, s6, s3
	v_add_u32_e32 v2, s6, v47
	v_readlane_b32 s3, v72, 45
.LBB69_88:                              ;   Parent Loop BB69_16 Depth=1
                                        ; =>  This Inner Loop Header: Depth=2
	ds_read_b64 v[6:7], v2
	s_add_i32 s3, s3, -1
	v_add_u32_e32 v2, 32, v2
	s_cmp_lg_u32 s3, 0
	s_waitcnt lgkmcnt(0)
	v_lshl_add_u64 v[4:5], v[6:7], 0, v[4:5]
	s_cbranch_scc1 .LBB69_88
.LBB69_89:                              ;   in Loop: Header=BB69_16 Depth=1
	v_add_lshl_u32 v2, s2, v42, 3
	ds_write_b64 v2, v[4:5] offset:3072
.LBB69_90:                              ;   in Loop: Header=BB69_16 Depth=1
	s_or_b64 exec, exec, s[0:1]
	s_lshl_b32 s0, s2, 3
	v_mov_b32_e32 v2, s0
	s_waitcnt lgkmcnt(0)
	s_barrier
	ds_read_b128 v[8:11], v2 offset:3088
	ds_read_b128 v[4:7], v2 offset:3072
	s_lshl_b32 s72, 3, s98
	v_cmp_eq_u64_e64 s[0:1], 1, v[36:37]
	s_not_b32 s52, s72
	s_waitcnt lgkmcnt(1)
	v_readfirstlane_b32 s22, v8
	s_waitcnt lgkmcnt(0)
	v_cmp_eq_u64_e32 vcc, 1, v[4:5]
	v_readfirstlane_b32 s23, v9
	v_readfirstlane_b32 s2, v10
	;; [unrolled: 1-line block ×3, first 2 shown]
	s_and_b64 s[18:19], vcc, s[0:1]
	s_mov_b64 s[0:1], -1
	s_mov_b64 s[20:21], -1
                                        ; implicit-def: $sgpr14_sgpr15
                                        ; implicit-def: $sgpr6_sgpr7
	s_and_saveexec_b64 s[16:17], s[18:19]
	s_cbranch_execz .LBB69_122
; %bb.91:                               ;   in Loop: Header=BB69_16 Depth=1
	ds_read_b64 v[8:9], v3 offset:5120
	s_waitcnt lgkmcnt(0)
	s_barrier
	v_readfirstlane_b32 s20, v8
	v_readfirstlane_b32 s21, v9
	s_mov_b64 s[6:7], exec
	v_readlane_b32 s14, v72, 28
	v_readlane_b32 s15, v72, 29
	s_and_b64 s[14:15], s[6:7], s[14:15]
	s_mov_b64 exec, s[14:15]
; %bb.92:                               ;   in Loop: Header=BB69_16 Depth=1
	ds_write_b16 v44, v3
; %bb.93:                               ;   in Loop: Header=BB69_16 Depth=1
	s_or_b64 exec, exec, s[6:7]
	v_cmp_lt_i64_e64 s[24:25], s[20:21], 1
	v_and_b32_e32 v48, s52, v48
	v_or_b32_e32 v52, s72, v52
	s_mov_b64 s[6:7], -1
	s_mov_b64 s[14:15], 0
	s_and_b64 vcc, exec, s[24:25]
	s_mov_b64 s[24:25], 0
	s_mov_b64 s[26:27], -1
	s_waitcnt lgkmcnt(0)
	s_barrier
                                        ; implicit-def: $vgpr53
	s_cbranch_vccz .LBB69_107
; %bb.94:                               ;   in Loop: Header=BB69_16 Depth=1
	s_mov_b32 s90, s87
	s_cmp_lg_u64 s[90:91], 0
	s_cbranch_scc0 .LBB69_148
; %bb.95:                               ;   in Loop: Header=BB69_16 Depth=1
	s_add_u32 s24, s84, 0
	s_addc_u32 s25, 0, 0
	s_xor_b64 s[24:25], s[24:25], 0
	v_cvt_f32_u32_e32 v2, s24
	v_cvt_f32_u32_e32 v8, s25
	s_sub_u32 s28, 0, s24
	s_subb_u32 s29, 0, s25
	v_fmac_f32_e32 v2, 0x4f800000, v8
	v_rcp_f32_e32 v2, v2
	s_nop 0
	v_mul_f32_e32 v2, 0x5f7ffffc, v2
	v_mul_f32_e32 v8, 0x2f800000, v2
	v_trunc_f32_e32 v8, v8
	v_fmac_f32_e32 v2, 0xcf800000, v8
	v_cvt_u32_f32_e32 v8, v8
	v_cvt_u32_f32_e32 v2, v2
	v_readfirstlane_b32 s30, v8
	v_readfirstlane_b32 s26, v2
	s_mul_i32 s27, s28, s30
	s_mul_hi_u32 s34, s28, s26
	s_mul_i32 s31, s29, s26
	s_add_i32 s27, s34, s27
	s_mul_i32 s35, s28, s26
	s_add_i32 s27, s27, s31
	s_mul_i32 s34, s26, s27
	s_mul_hi_u32 s36, s26, s35
	s_mul_hi_u32 s31, s26, s27
	s_add_u32 s34, s36, s34
	s_addc_u32 s31, 0, s31
	s_mul_hi_u32 s37, s30, s35
	s_mul_i32 s35, s30, s35
	s_add_u32 s34, s34, s35
	s_mul_hi_u32 s36, s30, s27
	s_addc_u32 s31, s31, s37
	s_addc_u32 s34, s36, 0
	s_mul_i32 s27, s30, s27
	s_add_u32 s27, s31, s27
	s_addc_u32 s31, 0, s34
	s_add_u32 s34, s26, s27
	s_cselect_b64 s[26:27], -1, 0
	s_cmp_lg_u64 s[26:27], 0
	s_addc_u32 s30, s30, s31
	s_mul_i32 s26, s28, s30
	s_mul_hi_u32 s27, s28, s34
	s_add_i32 s26, s27, s26
	s_mul_i32 s29, s29, s34
	s_add_i32 s26, s26, s29
	s_mul_i32 s28, s28, s34
	s_mul_hi_u32 s29, s30, s28
	s_mul_i32 s31, s30, s28
	s_mul_i32 s36, s34, s26
	s_mul_hi_u32 s28, s34, s28
	s_mul_hi_u32 s35, s34, s26
	s_add_u32 s28, s28, s36
	s_addc_u32 s35, 0, s35
	s_add_u32 s28, s28, s31
	s_mul_hi_u32 s27, s30, s26
	s_addc_u32 s28, s35, s29
	s_addc_u32 s27, s27, 0
	s_mul_i32 s26, s30, s26
	s_add_u32 s26, s28, s26
	s_addc_u32 s28, 0, s27
	s_add_u32 s31, s34, s26
	s_cselect_b64 s[26:27], -1, 0
	s_cmp_lg_u64 s[26:27], 0
	s_addc_u32 s30, s30, s28
	s_ashr_i32 s26, s91, 31
	s_add_u32 s28, s53, s26
	s_mov_b32 s27, s26
	s_addc_u32 s29, s91, s26
	s_xor_b64 s[28:29], s[28:29], s[26:27]
	s_mul_i32 s35, s28, s30
	s_mul_hi_u32 s36, s28, s31
	s_mul_hi_u32 s34, s28, s30
	s_add_u32 s35, s36, s35
	s_addc_u32 s34, 0, s34
	s_mul_hi_u32 s37, s29, s31
	s_mul_i32 s31, s29, s31
	s_add_u32 s31, s35, s31
	s_mul_hi_u32 s36, s29, s30
	s_addc_u32 s31, s34, s37
	s_addc_u32 s34, s36, 0
	s_mul_i32 s30, s29, s30
	s_add_u32 s30, s31, s30
	s_addc_u32 s31, 0, s34
	s_mul_i32 s31, s24, s31
	s_mul_hi_u32 s34, s24, s30
	s_add_i32 s31, s34, s31
	s_mul_i32 s34, s25, s30
	s_add_i32 s36, s31, s34
	s_sub_i32 s34, s29, s36
	s_mul_i32 s30, s24, s30
	s_sub_u32 s28, s28, s30
	s_cselect_b64 s[30:31], -1, 0
	s_cmp_lg_u64 s[30:31], 0
	s_subb_u32 s37, s34, s25
	s_sub_u32 s38, s28, s24
	s_cselect_b64 s[34:35], -1, 0
	s_cmp_lg_u64 s[34:35], 0
	s_subb_u32 s39, s37, 0
	s_cmp_ge_u32 s39, s25
	s_cselect_b32 s40, -1, 0
	s_cmp_ge_u32 s38, s24
	s_cselect_b32 s41, -1, 0
	s_cmp_eq_u32 s39, s25
	s_cselect_b32 s40, s41, s40
	s_cmp_lg_u64 s[34:35], 0
	s_subb_u32 s37, s37, s25
	s_sub_u32 s41, s38, s24
	s_cselect_b64 s[34:35], -1, 0
	s_cmp_lg_u64 s[34:35], 0
	s_subb_u32 s34, s37, 0
	s_cmp_lg_u32 s40, 0
	s_cselect_b32 s35, s41, s38
	s_cselect_b32 s34, s34, s39
	s_cmp_lg_u64 s[30:31], 0
	s_subb_u32 s29, s29, s36
	s_cmp_ge_u32 s29, s25
	s_cselect_b32 s30, -1, 0
	s_cmp_ge_u32 s28, s24
	s_cselect_b32 s24, -1, 0
	s_cmp_eq_u32 s29, s25
	s_cselect_b32 s24, s24, s30
	s_cmp_lg_u32 s24, 0
	s_cselect_b32 s25, s34, s29
	s_cselect_b32 s24, s35, s28
	s_xor_b64 s[24:25], s[24:25], s[26:27]
	s_sub_u32 s24, s24, s26
	s_subb_u32 s25, s25, s26
	s_cbranch_execnz .LBB69_97
.LBB69_96:                              ;   in Loop: Header=BB69_16 Depth=1
	v_cvt_f32_u32_e32 v2, s84
	s_sub_i32 s24, 0, s84
	v_rcp_iflag_f32_e32 v2, v2
	s_nop 0
	v_mul_f32_e32 v2, 0x4f7ffffe, v2
	v_cvt_u32_f32_e32 v2, v2
	s_nop 0
	v_readfirstlane_b32 s25, v2
	s_mul_i32 s24, s24, s25
	s_mul_hi_u32 s24, s25, s24
	s_add_i32 s25, s25, s24
	s_mul_hi_u32 s24, s53, s25
	s_mul_i32 s24, s24, s84
	s_sub_i32 s24, s53, s24
	s_sub_i32 s25, s24, s84
	s_cmp_ge_u32 s24, s84
	s_cselect_b32 s24, s25, s24
	s_sub_i32 s25, s24, s84
	s_cmp_ge_u32 s24, s84
	s_cselect_b32 s86, s25, s24
	s_mov_b64 s[24:25], s[86:87]
.LBB69_97:                              ;   in Loop: Header=BB69_16 Depth=1
	s_sub_u32 s30, s53, s24
	s_subb_u32 s31, s91, s25
	v_cmp_gt_i64_e32 vcc, s[30:31], v[0:1]
	s_mov_b64 s[26:27], 0
	s_mov_b64 s[24:25], 0
                                        ; implicit-def: $vgpr53
	s_and_saveexec_b64 s[28:29], vcc
	s_cbranch_execz .LBB69_106
; %bb.98:                               ;   in Loop: Header=BB69_16 Depth=1
	v_mov_b64_e32 v[8:9], v[12:13]
	v_mov_b64_e32 v[10:11], v[0:1]
                                        ; implicit-def: $sgpr34_sgpr35
	s_branch .LBB69_101
.LBB69_99:                              ;   in Loop: Header=BB69_101 Depth=2
	s_or_b64 exec, exec, s[36:37]
	s_waitcnt lgkmcnt(0)
	s_barrier
	ds_read_b32 v2, v3 offset:3072
	s_mov_b64 s[36:37], -1
	s_mov_b64 s[38:39], -1
	s_waitcnt lgkmcnt(0)
	s_barrier
	v_and_b32_e32 v38, 0x7fff, v2
	v_cmp_ne_u32_e32 vcc, 0, v38
	s_cbranch_vccz .LBB69_104
.LBB69_100:                             ;   in Loop: Header=BB69_101 Depth=2
	s_and_b64 s[36:37], exec, s[36:37]
	s_or_b64 s[24:25], s[36:37], s[24:25]
	s_andn2_b64 s[34:35], s[34:35], exec
	s_and_b64 s[36:37], s[38:39], exec
	s_or_b64 s[34:35], s[34:35], s[36:37]
	s_andn2_b64 exec, exec, s[24:25]
	s_cbranch_execz .LBB69_105
.LBB69_101:                             ;   Parent Loop BB69_16 Depth=1
                                        ; =>  This Inner Loop Header: Depth=2
	v_cmp_gt_i64_e32 vcc, s[56:57], v[10:11]
	s_and_saveexec_b64 s[36:37], vcc
	s_cbranch_execz .LBB69_99
; %bb.102:                              ;   in Loop: Header=BB69_101 Depth=2
	global_load_ushort v2, v[8:9], off
	s_waitcnt vmcnt(0)
	v_cmp_lt_i16_e32 vcc, -1, v2
	v_lshlrev_b32_e32 v38, 16, v2
	s_nop 0
	v_cndmask_b32_e32 v39, v49, v50, vcc
	v_xor_b32_sdwa v39, v39, v2 dst_sel:DWORD dst_unused:UNUSED_PAD src0_sel:DWORD src1_sel:WORD_0
	v_cmp_o_f32_e32 vcc, v38, v38
	s_nop 1
	v_cndmask_b32_e32 v38, v49, v39, vcc
	v_and_b32_e32 v38, v38, v52
	v_cmp_eq_u32_e32 vcc, v38, v48
	s_and_b64 exec, exec, vcc
	s_cbranch_execz .LBB69_99
; %bb.103:                              ;   in Loop: Header=BB69_101 Depth=2
	v_perm_b32 v2, v2, s97, v51
	ds_write_b32 v3, v2 offset:3072
	s_branch .LBB69_99
.LBB69_104:                             ;   in Loop: Header=BB69_101 Depth=2
	v_lshl_add_u64 v[10:11], v[10:11], 0, s[84:85]
	v_cmp_le_i64_e32 vcc, s[30:31], v[10:11]
	v_lshl_add_u64 v[8:9], v[8:9], 0, s[92:93]
	s_mov_b64 s[38:39], 0
	s_orn2_b64 s[36:37], vcc, exec
	s_branch .LBB69_100
.LBB69_105:                             ;   in Loop: Header=BB69_16 Depth=1
	s_or_b64 exec, exec, s[24:25]
	v_lshrrev_b32_e32 v53, 16, v2
	s_and_b64 s[24:25], s[34:35], exec
.LBB69_106:                             ;   in Loop: Header=BB69_16 Depth=1
	s_or_b64 exec, exec, s[28:29]
.LBB69_107:                             ;   in Loop: Header=BB69_16 Depth=1
	s_and_b64 vcc, exec, s[26:27]
	s_cbranch_vccz .LBB69_121
; %bb.108:                              ;   in Loop: Header=BB69_16 Depth=1
	v_readlane_b32 s6, v72, 36
	s_add_u32 s28, s20, s6
	v_readlane_b32 s6, v72, 37
	s_addc_u32 s7, s21, s6
	s_mov_b32 s6, s87
	s_cmp_lg_u64 s[6:7], 0
	s_cbranch_scc0 .LBB69_149
; %bb.109:                              ;   in Loop: Header=BB69_16 Depth=1
	s_add_u32 s14, s84, 0
	s_addc_u32 s15, 0, 0
	s_xor_b64 s[14:15], s[14:15], 0
	v_cvt_f32_u32_e32 v2, s14
	v_cvt_f32_u32_e32 v8, s15
	s_sub_u32 s6, 0, s14
	s_subb_u32 s29, 0, s15
	v_fmac_f32_e32 v2, 0x4f800000, v8
	v_rcp_f32_e32 v2, v2
	s_nop 0
	v_mul_f32_e32 v2, 0x5f7ffffc, v2
	v_mul_f32_e32 v8, 0x2f800000, v2
	v_trunc_f32_e32 v8, v8
	v_fmac_f32_e32 v2, 0xcf800000, v8
	v_cvt_u32_f32_e32 v8, v8
	v_cvt_u32_f32_e32 v2, v2
	v_readfirstlane_b32 s30, v8
	v_readfirstlane_b32 s26, v2
	s_mul_i32 s27, s6, s30
	s_mul_hi_u32 s34, s6, s26
	s_mul_i32 s31, s29, s26
	s_add_i32 s27, s34, s27
	s_mul_i32 s35, s6, s26
	s_add_i32 s27, s27, s31
	s_mul_i32 s34, s26, s27
	s_mul_hi_u32 s36, s26, s35
	s_mul_hi_u32 s31, s26, s27
	s_add_u32 s34, s36, s34
	s_addc_u32 s31, 0, s31
	s_mul_hi_u32 s37, s30, s35
	s_mul_i32 s35, s30, s35
	s_add_u32 s34, s34, s35
	s_mul_hi_u32 s36, s30, s27
	s_addc_u32 s31, s31, s37
	s_addc_u32 s34, s36, 0
	s_mul_i32 s27, s30, s27
	s_add_u32 s27, s31, s27
	s_addc_u32 s31, 0, s34
	s_add_u32 s34, s26, s27
	s_cselect_b64 s[26:27], -1, 0
	s_cmp_lg_u64 s[26:27], 0
	s_addc_u32 s30, s30, s31
	s_mul_i32 s26, s6, s30
	s_mul_hi_u32 s27, s6, s34
	s_add_i32 s26, s27, s26
	s_mul_i32 s29, s29, s34
	s_add_i32 s26, s26, s29
	s_mul_i32 s6, s6, s34
	s_mul_hi_u32 s29, s30, s6
	s_mul_i32 s31, s30, s6
	s_mul_i32 s36, s34, s26
	s_mul_hi_u32 s6, s34, s6
	s_mul_hi_u32 s35, s34, s26
	s_add_u32 s6, s6, s36
	s_addc_u32 s35, 0, s35
	s_add_u32 s6, s6, s31
	s_mul_hi_u32 s27, s30, s26
	s_addc_u32 s6, s35, s29
	s_addc_u32 s27, s27, 0
	s_mul_i32 s26, s30, s26
	s_add_u32 s6, s6, s26
	s_addc_u32 s29, 0, s27
	s_add_u32 s6, s34, s6
	s_cselect_b64 s[26:27], -1, 0
	s_cmp_lg_u64 s[26:27], 0
	s_addc_u32 s29, s30, s29
	s_ashr_i32 s26, s7, 31
	s_add_u32 s30, s28, s26
	s_mov_b32 s27, s26
	s_addc_u32 s31, s7, s26
	s_xor_b64 s[30:31], s[30:31], s[26:27]
	s_mul_i32 s35, s30, s29
	s_mul_hi_u32 s36, s30, s6
	s_mul_hi_u32 s34, s30, s29
	s_add_u32 s35, s36, s35
	s_addc_u32 s34, 0, s34
	s_mul_hi_u32 s37, s31, s6
	s_mul_i32 s6, s31, s6
	s_add_u32 s6, s35, s6
	s_mul_hi_u32 s36, s31, s29
	s_addc_u32 s6, s34, s37
	s_addc_u32 s34, s36, 0
	s_mul_i32 s29, s31, s29
	s_add_u32 s6, s6, s29
	s_addc_u32 s29, 0, s34
	s_mul_i32 s29, s14, s29
	s_mul_hi_u32 s34, s14, s6
	s_add_i32 s29, s34, s29
	s_mul_i32 s34, s15, s6
	s_add_i32 s29, s29, s34
	s_sub_i32 s36, s31, s29
	s_mul_i32 s6, s14, s6
	s_sub_u32 s6, s30, s6
	s_cselect_b64 s[34:35], -1, 0
	s_cmp_lg_u64 s[34:35], 0
	s_subb_u32 s30, s36, s15
	s_sub_u32 s38, s6, s14
	s_cselect_b64 s[36:37], -1, 0
	s_cmp_lg_u64 s[36:37], 0
	s_subb_u32 s39, s30, 0
	s_cmp_ge_u32 s39, s15
	s_cselect_b32 s40, -1, 0
	s_cmp_ge_u32 s38, s14
	s_cselect_b32 s41, -1, 0
	s_cmp_eq_u32 s39, s15
	s_cselect_b32 s40, s41, s40
	s_cmp_lg_u64 s[36:37], 0
	s_subb_u32 s30, s30, s15
	s_sub_u32 s41, s38, s14
	s_cselect_b64 s[36:37], -1, 0
	s_cmp_lg_u64 s[36:37], 0
	s_subb_u32 s30, s30, 0
	s_cmp_lg_u32 s40, 0
	s_cselect_b32 s36, s41, s38
	s_cselect_b32 s30, s30, s39
	s_cmp_lg_u64 s[34:35], 0
	s_subb_u32 s29, s31, s29
	s_cmp_ge_u32 s29, s15
	s_cselect_b32 s31, -1, 0
	s_cmp_ge_u32 s6, s14
	s_cselect_b32 s14, -1, 0
	s_cmp_eq_u32 s29, s15
	s_cselect_b32 s14, s14, s31
	s_cmp_lg_u32 s14, 0
	s_cselect_b32 s15, s30, s29
	s_cselect_b32 s14, s36, s6
	s_xor_b64 s[14:15], s[14:15], s[26:27]
	s_sub_u32 s14, s14, s26
	s_subb_u32 s15, s15, s26
	s_cbranch_execnz .LBB69_111
.LBB69_110:                             ;   in Loop: Header=BB69_16 Depth=1
	v_cvt_f32_u32_e32 v2, s84
	s_sub_i32 s6, 0, s84
	v_rcp_iflag_f32_e32 v2, v2
	s_nop 0
	v_mul_f32_e32 v2, 0x4f7ffffe, v2
	v_cvt_u32_f32_e32 v2, v2
	s_nop 0
	v_readfirstlane_b32 s14, v2
	s_mul_i32 s6, s6, s14
	s_mul_hi_u32 s6, s14, s6
	s_add_i32 s14, s14, s6
	s_mul_hi_u32 s6, s28, s14
	s_mul_i32 s6, s6, s84
	s_sub_i32 s6, s28, s6
	s_sub_i32 s14, s6, s84
	s_cmp_ge_u32 s6, s84
	s_cselect_b32 s6, s14, s6
	s_sub_i32 s14, s6, s84
	s_cmp_ge_u32 s6, s84
	s_cselect_b32 s86, s14, s6
	s_mov_b64 s[14:15], s[86:87]
.LBB69_111:                             ;   in Loop: Header=BB69_16 Depth=1
	s_sub_u32 s14, s28, s14
	s_subb_u32 s15, s7, s15
	v_cmp_gt_i64_e32 vcc, s[14:15], v[0:1]
                                        ; implicit-def: $vgpr53
	s_and_saveexec_b64 s[6:7], vcc
	s_cbranch_execz .LBB69_120
; %bb.112:                              ;   in Loop: Header=BB69_16 Depth=1
	s_mov_b64 s[26:27], 0
	v_mov_b32_e32 v2, v43
	v_mov_b64_e32 v[8:9], v[0:1]
                                        ; implicit-def: $sgpr28_sgpr29
	s_branch .LBB69_115
.LBB69_113:                             ;   in Loop: Header=BB69_115 Depth=2
	s_or_b64 exec, exec, s[30:31]
	s_waitcnt lgkmcnt(0)
	s_barrier
	ds_read_b32 v10, v3 offset:3072
	s_mov_b64 s[30:31], -1
	s_mov_b64 s[34:35], -1
	s_waitcnt lgkmcnt(0)
	s_barrier
	v_and_b32_e32 v11, 0x7fff, v10
	v_cmp_ne_u32_e32 vcc, 0, v11
	s_cbranch_vccz .LBB69_118
.LBB69_114:                             ;   in Loop: Header=BB69_115 Depth=2
	s_and_b64 s[30:31], exec, s[30:31]
	s_or_b64 s[26:27], s[30:31], s[26:27]
	s_andn2_b64 s[28:29], s[28:29], exec
	s_and_b64 s[30:31], s[34:35], exec
	s_or_b64 s[28:29], s[28:29], s[30:31]
	s_andn2_b64 exec, exec, s[26:27]
	s_cbranch_execz .LBB69_119
.LBB69_115:                             ;   Parent Loop BB69_16 Depth=1
                                        ; =>  This Inner Loop Header: Depth=2
	v_cmp_gt_u64_e32 vcc, s[20:21], v[8:9]
	s_and_saveexec_b64 s[30:31], vcc
	s_cbranch_execz .LBB69_113
; %bb.116:                              ;   in Loop: Header=BB69_115 Depth=2
	ds_read_u16 v10, v2
	s_waitcnt lgkmcnt(0)
	v_cmp_lt_i16_e32 vcc, -1, v10
	v_lshlrev_b32_e32 v11, 16, v10
	s_nop 0
	v_cndmask_b32_e32 v38, v49, v50, vcc
	v_xor_b32_sdwa v38, v38, v10 dst_sel:DWORD dst_unused:UNUSED_PAD src0_sel:DWORD src1_sel:WORD_0
	v_cmp_o_f32_e32 vcc, v11, v11
	s_nop 1
	v_cndmask_b32_e32 v11, v49, v38, vcc
	v_and_b32_e32 v11, v11, v52
	v_cmp_eq_u32_e32 vcc, v11, v48
	s_and_b64 exec, exec, vcc
	s_cbranch_execz .LBB69_113
; %bb.117:                              ;   in Loop: Header=BB69_115 Depth=2
	v_perm_b32 v10, v10, s97, v51
	ds_write_b32 v3, v10 offset:3072
	s_branch .LBB69_113
.LBB69_118:                             ;   in Loop: Header=BB69_115 Depth=2
	v_lshl_add_u64 v[8:9], v[8:9], 0, s[84:85]
	v_cmp_le_i64_e32 vcc, s[14:15], v[8:9]
	v_add_u32_e32 v2, s96, v2
	s_mov_b64 s[34:35], 0
	s_orn2_b64 s[30:31], vcc, exec
	s_branch .LBB69_114
.LBB69_119:                             ;   in Loop: Header=BB69_16 Depth=1
	s_or_b64 exec, exec, s[26:27]
	s_andn2_b64 s[14:15], s[24:25], exec
	s_and_b64 s[20:21], s[28:29], exec
	v_lshrrev_b32_e32 v53, 16, v10
	s_or_b64 s[24:25], s[14:15], s[20:21]
.LBB69_120:                             ;   in Loop: Header=BB69_16 Depth=1
	s_or_b64 exec, exec, s[6:7]
	s_mov_b64 s[6:7], 0
	s_mov_b64 s[14:15], -1
.LBB69_121:                             ;   in Loop: Header=BB69_16 Depth=1
	s_orn2_b64 s[20:21], s[24:25], exec
.LBB69_122:                             ;   in Loop: Header=BB69_16 Depth=1
	s_or_b64 exec, exec, s[16:17]
	s_andn2_b64 s[16:17], s[60:61], exec
	s_and_b64 s[14:15], s[14:15], exec
	s_or_b64 s[10:11], s[16:17], s[14:15]
	s_andn2_b64 s[14:15], s[58:59], exec
	s_and_b64 s[6:7], s[6:7], exec
	s_andn2_b64 s[4:5], s[4:5], exec
	s_mov_b64 s[58:59], s[10:11]
	s_or_b64 s[74:75], s[14:15], s[6:7]
                                        ; implicit-def: $vgpr8_vgpr9
	s_and_saveexec_b64 s[16:17], s[20:21]
	s_cbranch_execz .LBB69_15
; %bb.123:                              ;   in Loop: Header=BB69_16 Depth=1
	s_xor_b64 s[6:7], s[18:19], -1
	v_mov_b32_e32 v2, 1
	s_mov_b64 s[14:15], 0
	v_mov_b64_e32 v[8:9], 1
	s_and_saveexec_b64 s[0:1], s[6:7]
	s_cbranch_execz .LBB69_132
; %bb.124:                              ;   in Loop: Header=BB69_16 Depth=1
	v_cmp_le_i64_e32 vcc, v[36:37], v[4:5]
	s_and_saveexec_b64 s[6:7], vcc
	s_xor_b64 s[6:7], exec, s[6:7]
	s_cbranch_execz .LBB69_129
; %bb.125:                              ;   in Loop: Header=BB69_16 Depth=1
	ds_read_b64 v[8:9], v3 offset:5120
	v_and_b32_e32 v48, s52, v48
	v_or_b32_e32 v52, s72, v52
	s_waitcnt lgkmcnt(0)
	v_cmp_ne_u64_e32 vcc, 0, v[8:9]
	s_cbranch_vccnz .LBB69_129
; %bb.126:                              ;   in Loop: Header=BB69_16 Depth=1
	s_mov_b64 s[14:15], exec
	v_readlane_b32 s18, v72, 12
	v_readlane_b32 s19, v72, 13
	s_and_b64 s[18:19], s[14:15], s[18:19]
	s_mov_b64 exec, s[18:19]
; %bb.127:                              ;   in Loop: Header=BB69_16 Depth=1
	ds_write_b64 v3, v[4:5] offset:5128
; %bb.128:                              ;   in Loop: Header=BB69_16 Depth=1
	s_or_b64 exec, exec, s[14:15]
	s_waitcnt lgkmcnt(0)
	s_barrier
.LBB69_129:                             ;   in Loop: Header=BB69_16 Depth=1
	s_or_saveexec_b64 s[6:7], s[6:7]
	s_mov_b64 s[14:15], 0
	v_mov_b32_e32 v2, 8
	s_xor_b64 exec, exec, s[6:7]
; %bb.130:                              ;   in Loop: Header=BB69_16 Depth=1
	v_sub_co_u32_e32 v36, vcc, v36, v4
	s_mov_b64 s[14:15], exec
	s_nop 0
	v_subb_co_u32_e32 v37, vcc, v37, v5, vcc
	v_mov_b32_e32 v2, 0
; %bb.131:                              ;   in Loop: Header=BB69_16 Depth=1
	s_or_b64 exec, exec, s[6:7]
	s_and_b64 s[14:15], s[14:15], exec
	v_mov_b64_e32 v[8:9], v[36:37]
.LBB69_132:                             ;   in Loop: Header=BB69_16 Depth=1
	s_or_b64 exec, exec, s[0:1]
	s_mov_b64 s[18:19], -1
	s_mov_b64 s[6:7], -1
                                        ; implicit-def: $sgpr0_sgpr1
                                        ; implicit-def: $sgpr24_sgpr25
	s_and_saveexec_b64 s[20:21], s[14:15]
	s_xor_b64 s[20:21], exec, s[20:21]
	s_cbranch_execz .LBB69_274
; %bb.133:                              ;   in Loop: Header=BB69_16 Depth=1
	v_cmp_eq_u64_e32 vcc, 1, v[6:7]
	v_cmp_eq_u64_e64 s[0:1], 1, v[8:9]
	s_and_b64 s[28:29], vcc, s[0:1]
                                        ; implicit-def: $sgpr24_sgpr25
                                        ; implicit-def: $sgpr0_sgpr1
	s_and_saveexec_b64 s[26:27], s[28:29]
	s_cbranch_execz .LBB69_167
; %bb.134:                              ;   in Loop: Header=BB69_16 Depth=1
	ds_read_b64 v[4:5], v3 offset:5120
	s_waitcnt lgkmcnt(0)
	s_barrier
	v_readfirstlane_b32 s34, v4
	v_readfirstlane_b32 s35, v5
	s_mov_b64 s[0:1], exec
	v_readlane_b32 s6, v72, 28
	v_readlane_b32 s7, v72, 29
	s_and_b64 s[6:7], s[0:1], s[6:7]
	s_mov_b64 exec, s[6:7]
; %bb.135:                              ;   in Loop: Header=BB69_16 Depth=1
	ds_write_b16 v44, v3
; %bb.136:                              ;   in Loop: Header=BB69_16 Depth=1
	s_or_b64 exec, exec, s[0:1]
	v_and_b32_e32 v4, s52, v48
	v_cmp_gt_i64_e64 s[6:7], s[34:35], 0
	v_lshl_or_b32 v48, 1, s98, v4
	v_or_b32_e32 v52, s72, v52
	s_mov_b64 s[0:1], -1
	s_mov_b64 s[24:25], 0
	s_and_b64 vcc, exec, s[6:7]
	s_mov_b64 s[6:7], 0
	s_mov_b64 s[14:15], -1
	s_waitcnt lgkmcnt(0)
	s_barrier
                                        ; implicit-def: $vgpr53
	s_cbranch_vccnz .LBB69_152
; %bb.137:                              ;   in Loop: Header=BB69_16 Depth=1
	s_mov_b32 s90, s87
	s_cmp_lg_u64 s[90:91], 0
	s_cbranch_scc0 .LBB69_194
; %bb.138:                              ;   in Loop: Header=BB69_16 Depth=1
	s_add_u32 s6, s84, 0
	s_addc_u32 s7, 0, 0
	s_xor_b64 s[6:7], s[6:7], 0
	v_cvt_f32_u32_e32 v4, s6
	v_cvt_f32_u32_e32 v5, s7
	s_sub_u32 s30, 0, s6
	s_subb_u32 s31, 0, s7
	v_fmac_f32_e32 v4, 0x4f800000, v5
	v_rcp_f32_e32 v4, v4
	s_nop 0
	v_mul_f32_e32 v4, 0x5f7ffffc, v4
	v_mul_f32_e32 v5, 0x2f800000, v4
	v_trunc_f32_e32 v5, v5
	v_fmac_f32_e32 v4, 0xcf800000, v5
	v_cvt_u32_f32_e32 v5, v5
	v_cvt_u32_f32_e32 v4, v4
	v_readfirstlane_b32 s36, v5
	v_readfirstlane_b32 s14, v4
	s_mul_i32 s15, s30, s36
	s_mul_hi_u32 s38, s30, s14
	s_mul_i32 s37, s31, s14
	s_add_i32 s15, s38, s15
	s_mul_i32 s39, s30, s14
	s_add_i32 s15, s15, s37
	s_mul_i32 s38, s14, s15
	s_mul_hi_u32 s40, s14, s39
	s_mul_hi_u32 s37, s14, s15
	s_add_u32 s38, s40, s38
	s_addc_u32 s37, 0, s37
	s_mul_hi_u32 s41, s36, s39
	s_mul_i32 s39, s36, s39
	s_add_u32 s38, s38, s39
	s_mul_hi_u32 s40, s36, s15
	s_addc_u32 s37, s37, s41
	s_addc_u32 s38, s40, 0
	s_mul_i32 s15, s36, s15
	s_add_u32 s15, s37, s15
	s_addc_u32 s37, 0, s38
	s_add_u32 s38, s14, s15
	s_cselect_b64 s[14:15], -1, 0
	s_cmp_lg_u64 s[14:15], 0
	s_addc_u32 s36, s36, s37
	s_mul_i32 s14, s30, s36
	s_mul_hi_u32 s15, s30, s38
	s_add_i32 s14, s15, s14
	s_mul_i32 s31, s31, s38
	s_add_i32 s14, s14, s31
	s_mul_i32 s30, s30, s38
	s_mul_hi_u32 s31, s36, s30
	s_mul_i32 s37, s36, s30
	s_mul_i32 s40, s38, s14
	s_mul_hi_u32 s30, s38, s30
	s_mul_hi_u32 s39, s38, s14
	s_add_u32 s30, s30, s40
	s_addc_u32 s39, 0, s39
	s_add_u32 s30, s30, s37
	s_mul_hi_u32 s15, s36, s14
	s_addc_u32 s30, s39, s31
	s_addc_u32 s15, s15, 0
	s_mul_i32 s14, s36, s14
	s_add_u32 s14, s30, s14
	s_addc_u32 s30, 0, s15
	s_add_u32 s37, s38, s14
	s_cselect_b64 s[14:15], -1, 0
	s_cmp_lg_u64 s[14:15], 0
	s_addc_u32 s36, s36, s30
	s_ashr_i32 s14, s91, 31
	s_add_u32 s30, s53, s14
	s_mov_b32 s15, s14
	s_addc_u32 s31, s91, s14
	s_xor_b64 s[30:31], s[30:31], s[14:15]
	s_mul_i32 s39, s30, s36
	s_mul_hi_u32 s40, s30, s37
	s_mul_hi_u32 s38, s30, s36
	s_add_u32 s39, s40, s39
	s_addc_u32 s38, 0, s38
	s_mul_hi_u32 s41, s31, s37
	s_mul_i32 s37, s31, s37
	s_add_u32 s37, s39, s37
	s_mul_hi_u32 s40, s31, s36
	s_addc_u32 s37, s38, s41
	s_addc_u32 s38, s40, 0
	s_mul_i32 s36, s31, s36
	s_add_u32 s36, s37, s36
	s_addc_u32 s37, 0, s38
	s_mul_i32 s37, s6, s37
	s_mul_hi_u32 s38, s6, s36
	s_add_i32 s37, s38, s37
	s_mul_i32 s38, s7, s36
	s_add_i32 s40, s37, s38
	s_sub_i32 s38, s31, s40
	s_mul_i32 s36, s6, s36
	s_sub_u32 s30, s30, s36
	s_cselect_b64 s[36:37], -1, 0
	s_cmp_lg_u64 s[36:37], 0
	s_subb_u32 s41, s38, s7
	s_sub_u32 s42, s30, s6
	s_cselect_b64 s[38:39], -1, 0
	s_cmp_lg_u64 s[38:39], 0
	s_subb_u32 s43, s41, 0
	s_cmp_ge_u32 s43, s7
	s_cselect_b32 s44, -1, 0
	s_cmp_ge_u32 s42, s6
	s_cselect_b32 s45, -1, 0
	s_cmp_eq_u32 s43, s7
	s_cselect_b32 s44, s45, s44
	s_cmp_lg_u64 s[38:39], 0
	s_subb_u32 s41, s41, s7
	s_sub_u32 s45, s42, s6
	s_cselect_b64 s[38:39], -1, 0
	s_cmp_lg_u64 s[38:39], 0
	s_subb_u32 s38, s41, 0
	s_cmp_lg_u32 s44, 0
	s_cselect_b32 s39, s45, s42
	s_cselect_b32 s38, s38, s43
	s_cmp_lg_u64 s[36:37], 0
	s_subb_u32 s31, s31, s40
	s_cmp_ge_u32 s31, s7
	s_cselect_b32 s36, -1, 0
	s_cmp_ge_u32 s30, s6
	s_cselect_b32 s6, -1, 0
	s_cmp_eq_u32 s31, s7
	s_cselect_b32 s6, s6, s36
	s_cmp_lg_u32 s6, 0
	s_cselect_b32 s7, s38, s31
	s_cselect_b32 s6, s39, s30
	s_xor_b64 s[6:7], s[6:7], s[14:15]
	s_sub_u32 s6, s6, s14
	s_subb_u32 s7, s7, s14
	s_cbranch_execnz .LBB69_140
.LBB69_139:                             ;   in Loop: Header=BB69_16 Depth=1
	v_cvt_f32_u32_e32 v4, s84
	s_sub_i32 s6, 0, s84
	v_rcp_iflag_f32_e32 v4, v4
	s_nop 0
	v_mul_f32_e32 v4, 0x4f7ffffe, v4
	v_cvt_u32_f32_e32 v4, v4
	s_nop 0
	v_readfirstlane_b32 s7, v4
	s_mul_i32 s6, s6, s7
	s_mul_hi_u32 s6, s7, s6
	s_add_i32 s7, s7, s6
	s_mul_hi_u32 s6, s53, s7
	s_mul_i32 s6, s6, s84
	s_sub_i32 s6, s53, s6
	s_sub_i32 s7, s6, s84
	s_cmp_ge_u32 s6, s84
	s_cselect_b32 s6, s7, s6
	s_sub_i32 s7, s6, s84
	s_cmp_ge_u32 s6, s84
	s_cselect_b32 s86, s7, s6
	s_mov_b64 s[6:7], s[86:87]
.LBB69_140:                             ;   in Loop: Header=BB69_16 Depth=1
	s_sub_u32 s36, s53, s6
	s_subb_u32 s37, s91, s7
	v_cmp_gt_i64_e32 vcc, s[36:37], v[0:1]
	s_mov_b64 s[14:15], 0
	s_mov_b64 s[6:7], 0
                                        ; implicit-def: $vgpr53
	s_and_saveexec_b64 s[30:31], vcc
	s_cbranch_execz .LBB69_151
; %bb.141:                              ;   in Loop: Header=BB69_16 Depth=1
	v_mov_b64_e32 v[4:5], v[12:13]
	v_mov_b64_e32 v[10:11], v[0:1]
                                        ; implicit-def: $sgpr38_sgpr39
	s_branch .LBB69_144
.LBB69_142:                             ;   in Loop: Header=BB69_144 Depth=2
	s_or_b64 exec, exec, s[40:41]
	s_waitcnt lgkmcnt(0)
	s_barrier
	ds_read_b32 v36, v3 offset:3072
	s_mov_b64 s[40:41], -1
	s_mov_b64 s[42:43], -1
	s_waitcnt lgkmcnt(0)
	s_barrier
	v_and_b32_e32 v37, 0x7fff, v36
	v_cmp_ne_u32_e32 vcc, 0, v37
	s_cbranch_vccz .LBB69_147
.LBB69_143:                             ;   in Loop: Header=BB69_144 Depth=2
	s_and_b64 s[40:41], exec, s[40:41]
	s_or_b64 s[6:7], s[40:41], s[6:7]
	s_andn2_b64 s[38:39], s[38:39], exec
	s_and_b64 s[40:41], s[42:43], exec
	s_or_b64 s[38:39], s[38:39], s[40:41]
	s_andn2_b64 exec, exec, s[6:7]
	s_cbranch_execz .LBB69_150
.LBB69_144:                             ;   Parent Loop BB69_16 Depth=1
                                        ; =>  This Inner Loop Header: Depth=2
	v_cmp_gt_i64_e32 vcc, s[56:57], v[10:11]
	s_and_saveexec_b64 s[40:41], vcc
	s_cbranch_execz .LBB69_142
; %bb.145:                              ;   in Loop: Header=BB69_144 Depth=2
	global_load_ushort v36, v[4:5], off
	s_waitcnt vmcnt(0)
	v_cmp_lt_i16_e32 vcc, -1, v36
	v_lshlrev_b32_e32 v37, 16, v36
	s_nop 0
	v_cndmask_b32_e32 v38, v49, v50, vcc
	v_xor_b32_sdwa v38, v38, v36 dst_sel:DWORD dst_unused:UNUSED_PAD src0_sel:DWORD src1_sel:WORD_0
	v_cmp_o_f32_e32 vcc, v37, v37
	s_nop 1
	v_cndmask_b32_e32 v37, v49, v38, vcc
	v_and_b32_e32 v37, v37, v52
	v_cmp_eq_u32_e32 vcc, v37, v48
	s_and_b64 exec, exec, vcc
	s_cbranch_execz .LBB69_142
; %bb.146:                              ;   in Loop: Header=BB69_144 Depth=2
	v_perm_b32 v36, v36, s97, v51
	ds_write_b32 v3, v36 offset:3072
	s_branch .LBB69_142
.LBB69_147:                             ;   in Loop: Header=BB69_144 Depth=2
	v_lshl_add_u64 v[10:11], v[10:11], 0, s[84:85]
	v_cmp_le_i64_e32 vcc, s[36:37], v[10:11]
	v_lshl_add_u64 v[4:5], v[4:5], 0, s[92:93]
	s_mov_b64 s[42:43], 0
	s_orn2_b64 s[40:41], vcc, exec
	s_branch .LBB69_143
.LBB69_148:                             ;   in Loop: Header=BB69_16 Depth=1
                                        ; implicit-def: $sgpr24_sgpr25
	s_andn2_b64 vcc, exec, s[26:27]
	s_cbranch_vccz .LBB69_96
	s_branch .LBB69_97
.LBB69_149:                             ;   in Loop: Header=BB69_16 Depth=1
                                        ; implicit-def: $sgpr14_sgpr15
	s_branch .LBB69_110
.LBB69_150:                             ;   in Loop: Header=BB69_16 Depth=1
	s_or_b64 exec, exec, s[6:7]
	v_lshrrev_b32_e32 v53, 16, v36
	s_and_b64 s[6:7], s[38:39], exec
.LBB69_151:                             ;   in Loop: Header=BB69_16 Depth=1
	s_or_b64 exec, exec, s[30:31]
.LBB69_152:                             ;   in Loop: Header=BB69_16 Depth=1
	s_and_b64 vcc, exec, s[14:15]
	s_cbranch_vccz .LBB69_166
; %bb.153:                              ;   in Loop: Header=BB69_16 Depth=1
	v_readlane_b32 s0, v72, 36
	s_add_u32 s30, s34, s0
	v_readlane_b32 s0, v72, 37
	s_addc_u32 s1, s35, s0
	s_mov_b32 s0, s87
	s_cmp_lg_u64 s[0:1], 0
	s_cbranch_scc0 .LBB69_195
; %bb.154:                              ;   in Loop: Header=BB69_16 Depth=1
	s_add_u32 s14, s84, 0
	s_addc_u32 s15, 0, 0
	s_xor_b64 s[14:15], s[14:15], 0
	v_cvt_f32_u32_e32 v4, s14
	v_cvt_f32_u32_e32 v5, s15
	s_sub_u32 s0, 0, s14
	s_subb_u32 s31, 0, s15
	v_fmac_f32_e32 v4, 0x4f800000, v5
	v_rcp_f32_e32 v4, v4
	s_nop 0
	v_mul_f32_e32 v4, 0x5f7ffffc, v4
	v_mul_f32_e32 v5, 0x2f800000, v4
	v_trunc_f32_e32 v5, v5
	v_fmac_f32_e32 v4, 0xcf800000, v5
	v_cvt_u32_f32_e32 v5, v5
	v_cvt_u32_f32_e32 v4, v4
	v_readfirstlane_b32 s36, v5
	v_readfirstlane_b32 s24, v4
	s_mul_i32 s25, s0, s36
	s_mul_hi_u32 s38, s0, s24
	s_mul_i32 s37, s31, s24
	s_add_i32 s25, s38, s25
	s_mul_i32 s39, s0, s24
	s_add_i32 s25, s25, s37
	s_mul_i32 s38, s24, s25
	s_mul_hi_u32 s40, s24, s39
	s_mul_hi_u32 s37, s24, s25
	s_add_u32 s38, s40, s38
	s_addc_u32 s37, 0, s37
	s_mul_hi_u32 s41, s36, s39
	s_mul_i32 s39, s36, s39
	s_add_u32 s38, s38, s39
	s_mul_hi_u32 s40, s36, s25
	s_addc_u32 s37, s37, s41
	s_addc_u32 s38, s40, 0
	s_mul_i32 s25, s36, s25
	s_add_u32 s25, s37, s25
	s_addc_u32 s37, 0, s38
	s_add_u32 s38, s24, s25
	s_cselect_b64 s[24:25], -1, 0
	s_cmp_lg_u64 s[24:25], 0
	s_addc_u32 s36, s36, s37
	s_mul_i32 s24, s0, s36
	s_mul_hi_u32 s25, s0, s38
	s_add_i32 s24, s25, s24
	s_mul_i32 s31, s31, s38
	s_add_i32 s24, s24, s31
	s_mul_i32 s0, s0, s38
	s_mul_hi_u32 s31, s36, s0
	s_mul_i32 s37, s36, s0
	s_mul_i32 s40, s38, s24
	s_mul_hi_u32 s0, s38, s0
	s_mul_hi_u32 s39, s38, s24
	s_add_u32 s0, s0, s40
	s_addc_u32 s39, 0, s39
	s_add_u32 s0, s0, s37
	s_mul_hi_u32 s25, s36, s24
	s_addc_u32 s0, s39, s31
	s_addc_u32 s25, s25, 0
	s_mul_i32 s24, s36, s24
	s_add_u32 s0, s0, s24
	s_addc_u32 s31, 0, s25
	s_add_u32 s0, s38, s0
	s_cselect_b64 s[24:25], -1, 0
	s_cmp_lg_u64 s[24:25], 0
	s_addc_u32 s31, s36, s31
	s_ashr_i32 s24, s1, 31
	s_add_u32 s36, s30, s24
	s_mov_b32 s25, s24
	s_addc_u32 s37, s1, s24
	s_xor_b64 s[36:37], s[36:37], s[24:25]
	s_mul_i32 s39, s36, s31
	s_mul_hi_u32 s40, s36, s0
	s_mul_hi_u32 s38, s36, s31
	s_add_u32 s39, s40, s39
	s_addc_u32 s38, 0, s38
	s_mul_hi_u32 s41, s37, s0
	s_mul_i32 s0, s37, s0
	s_add_u32 s0, s39, s0
	s_mul_hi_u32 s40, s37, s31
	s_addc_u32 s0, s38, s41
	s_addc_u32 s38, s40, 0
	s_mul_i32 s31, s37, s31
	s_add_u32 s0, s0, s31
	s_addc_u32 s31, 0, s38
	s_mul_i32 s31, s14, s31
	s_mul_hi_u32 s38, s14, s0
	s_add_i32 s31, s38, s31
	s_mul_i32 s38, s15, s0
	s_add_i32 s31, s31, s38
	s_sub_i32 s40, s37, s31
	s_mul_i32 s0, s14, s0
	s_sub_u32 s0, s36, s0
	s_cselect_b64 s[38:39], -1, 0
	s_cmp_lg_u64 s[38:39], 0
	s_subb_u32 s36, s40, s15
	s_sub_u32 s42, s0, s14
	s_cselect_b64 s[40:41], -1, 0
	s_cmp_lg_u64 s[40:41], 0
	s_subb_u32 s43, s36, 0
	s_cmp_ge_u32 s43, s15
	s_cselect_b32 s44, -1, 0
	s_cmp_ge_u32 s42, s14
	s_cselect_b32 s45, -1, 0
	s_cmp_eq_u32 s43, s15
	s_cselect_b32 s44, s45, s44
	s_cmp_lg_u64 s[40:41], 0
	s_subb_u32 s36, s36, s15
	s_sub_u32 s45, s42, s14
	s_cselect_b64 s[40:41], -1, 0
	s_cmp_lg_u64 s[40:41], 0
	s_subb_u32 s36, s36, 0
	s_cmp_lg_u32 s44, 0
	s_cselect_b32 s40, s45, s42
	s_cselect_b32 s36, s36, s43
	s_cmp_lg_u64 s[38:39], 0
	s_subb_u32 s31, s37, s31
	s_cmp_ge_u32 s31, s15
	s_cselect_b32 s37, -1, 0
	s_cmp_ge_u32 s0, s14
	s_cselect_b32 s14, -1, 0
	s_cmp_eq_u32 s31, s15
	s_cselect_b32 s14, s14, s37
	s_cmp_lg_u32 s14, 0
	s_cselect_b32 s15, s36, s31
	s_cselect_b32 s14, s40, s0
	s_xor_b64 s[14:15], s[14:15], s[24:25]
	s_sub_u32 s14, s14, s24
	s_subb_u32 s15, s15, s24
	s_cbranch_execnz .LBB69_156
.LBB69_155:                             ;   in Loop: Header=BB69_16 Depth=1
	v_cvt_f32_u32_e32 v4, s84
	s_sub_i32 s0, 0, s84
	v_rcp_iflag_f32_e32 v4, v4
	s_nop 0
	v_mul_f32_e32 v4, 0x4f7ffffe, v4
	v_cvt_u32_f32_e32 v4, v4
	s_nop 0
	v_readfirstlane_b32 s14, v4
	s_mul_i32 s0, s0, s14
	s_mul_hi_u32 s0, s14, s0
	s_add_i32 s14, s14, s0
	s_mul_hi_u32 s0, s30, s14
	s_mul_i32 s0, s0, s84
	s_sub_i32 s0, s30, s0
	s_sub_i32 s14, s0, s84
	s_cmp_ge_u32 s0, s84
	s_cselect_b32 s0, s14, s0
	s_sub_i32 s14, s0, s84
	s_cmp_ge_u32 s0, s84
	s_cselect_b32 s86, s14, s0
	s_mov_b64 s[14:15], s[86:87]
.LBB69_156:                             ;   in Loop: Header=BB69_16 Depth=1
	s_sub_u32 s14, s30, s14
	s_subb_u32 s15, s1, s15
	v_cmp_gt_i64_e32 vcc, s[14:15], v[0:1]
                                        ; implicit-def: $vgpr53
	s_and_saveexec_b64 s[0:1], vcc
	s_cbranch_execz .LBB69_165
; %bb.157:                              ;   in Loop: Header=BB69_16 Depth=1
	s_mov_b64 s[24:25], 0
	v_mov_b32_e32 v10, v43
	v_mov_b64_e32 v[4:5], v[0:1]
                                        ; implicit-def: $sgpr30_sgpr31
	s_branch .LBB69_160
.LBB69_158:                             ;   in Loop: Header=BB69_160 Depth=2
	s_or_b64 exec, exec, s[36:37]
	s_waitcnt lgkmcnt(0)
	s_barrier
	ds_read_b32 v11, v3 offset:3072
	s_mov_b64 s[36:37], -1
	s_mov_b64 s[38:39], -1
	s_waitcnt lgkmcnt(0)
	s_barrier
	v_and_b32_e32 v36, 0x7fff, v11
	v_cmp_eq_u32_e32 vcc, 0, v36
	s_cbranch_vccnz .LBB69_163
.LBB69_159:                             ;   in Loop: Header=BB69_160 Depth=2
	s_and_b64 s[36:37], exec, s[36:37]
	s_or_b64 s[24:25], s[36:37], s[24:25]
	s_andn2_b64 s[30:31], s[30:31], exec
	s_and_b64 s[36:37], s[38:39], exec
	s_or_b64 s[30:31], s[30:31], s[36:37]
	s_andn2_b64 exec, exec, s[24:25]
	s_cbranch_execz .LBB69_164
.LBB69_160:                             ;   Parent Loop BB69_16 Depth=1
                                        ; =>  This Inner Loop Header: Depth=2
	v_cmp_gt_u64_e32 vcc, s[34:35], v[4:5]
	s_and_saveexec_b64 s[36:37], vcc
	s_cbranch_execz .LBB69_158
; %bb.161:                              ;   in Loop: Header=BB69_160 Depth=2
	ds_read_u16 v11, v10
	s_waitcnt lgkmcnt(0)
	v_cmp_lt_i16_e32 vcc, -1, v11
	v_lshlrev_b32_e32 v36, 16, v11
	s_nop 0
	v_cndmask_b32_e32 v37, v49, v50, vcc
	v_xor_b32_sdwa v37, v37, v11 dst_sel:DWORD dst_unused:UNUSED_PAD src0_sel:DWORD src1_sel:WORD_0
	v_cmp_o_f32_e32 vcc, v36, v36
	s_nop 1
	v_cndmask_b32_e32 v36, v49, v37, vcc
	v_and_b32_e32 v36, v36, v52
	v_cmp_eq_u32_e32 vcc, v36, v48
	s_and_b64 exec, exec, vcc
	s_cbranch_execz .LBB69_158
; %bb.162:                              ;   in Loop: Header=BB69_160 Depth=2
	v_perm_b32 v11, v11, s97, v51
	ds_write_b32 v3, v11 offset:3072
	s_branch .LBB69_158
.LBB69_163:                             ;   in Loop: Header=BB69_160 Depth=2
	v_lshl_add_u64 v[4:5], v[4:5], 0, s[84:85]
	v_cmp_le_i64_e32 vcc, s[14:15], v[4:5]
	v_add_u32_e32 v10, s96, v10
	s_mov_b64 s[38:39], 0
	s_orn2_b64 s[36:37], vcc, exec
	s_branch .LBB69_159
.LBB69_164:                             ;   in Loop: Header=BB69_16 Depth=1
	s_or_b64 exec, exec, s[24:25]
	s_andn2_b64 s[6:7], s[6:7], exec
	s_and_b64 s[14:15], s[30:31], exec
	v_lshrrev_b32_e32 v53, 16, v11
	s_or_b64 s[6:7], s[6:7], s[14:15]
.LBB69_165:                             ;   in Loop: Header=BB69_16 Depth=1
	s_or_b64 exec, exec, s[0:1]
	s_mov_b64 s[0:1], 0
	s_mov_b64 s[24:25], -1
.LBB69_166:                             ;   in Loop: Header=BB69_16 Depth=1
	s_orn2_b64 s[6:7], s[6:7], exec
.LBB69_167:                             ;   in Loop: Header=BB69_16 Depth=1
	s_or_b64 exec, exec, s[26:27]
	s_mov_b64 s[14:15], 0
	s_and_saveexec_b64 s[26:27], s[6:7]
	s_cbranch_execz .LBB69_273
; %bb.168:                              ;   in Loop: Header=BB69_16 Depth=1
	s_xor_b64 s[28:29], s[28:29], -1
	v_mov_b32_e32 v2, 1
	v_mov_b64_e32 v[4:5], 1
	s_and_saveexec_b64 s[6:7], s[28:29]
	s_cbranch_execz .LBB69_178
; %bb.169:                              ;   in Loop: Header=BB69_16 Depth=1
	v_cmp_le_i64_e32 vcc, v[8:9], v[6:7]
	s_and_saveexec_b64 s[14:15], vcc
	s_xor_b64 s[14:15], exec, s[14:15]
	s_cbranch_execz .LBB69_175
; %bb.170:                              ;   in Loop: Header=BB69_16 Depth=1
	ds_read_b64 v[4:5], v3 offset:5120
	v_and_b32_e32 v2, s52, v48
	v_lshl_or_b32 v48, 1, s98, v2
	v_or_b32_e32 v52, s72, v52
	s_waitcnt lgkmcnt(0)
	v_cmp_ne_u64_e32 vcc, 0, v[4:5]
	s_cbranch_vccnz .LBB69_174
; %bb.171:                              ;   in Loop: Header=BB69_16 Depth=1
	s_mov_b64 s[28:29], exec
	v_readlane_b32 s30, v72, 12
	v_readlane_b32 s31, v72, 13
	s_and_b64 s[30:31], s[28:29], s[30:31]
	s_mov_b64 exec, s[30:31]
; %bb.172:                              ;   in Loop: Header=BB69_16 Depth=1
	ds_write_b64 v3, v[6:7] offset:5128
; %bb.173:                              ;   in Loop: Header=BB69_16 Depth=1
	s_or_b64 exec, exec, s[28:29]
	s_waitcnt lgkmcnt(0)
	s_barrier
.LBB69_174:                             ;   in Loop: Header=BB69_16 Depth=1
                                        ; implicit-def: $vgpr4_vgpr5_vgpr6_vgpr7
.LBB69_175:                             ;   in Loop: Header=BB69_16 Depth=1
	s_or_saveexec_b64 s[14:15], s[14:15]
	s_mov_b64 s[28:29], 0
	v_mov_b32_e32 v2, 8
	s_xor_b64 exec, exec, s[14:15]
; %bb.176:                              ;   in Loop: Header=BB69_16 Depth=1
	v_sub_co_u32_e32 v8, vcc, v8, v6
	s_mov_b64 s[28:29], exec
	s_nop 0
	v_subb_co_u32_e32 v9, vcc, v9, v7, vcc
	v_mov_b32_e32 v2, 0
; %bb.177:                              ;   in Loop: Header=BB69_16 Depth=1
	s_or_b64 exec, exec, s[14:15]
	s_and_b64 s[14:15], s[28:29], exec
	v_mov_b64_e32 v[4:5], v[8:9]
.LBB69_178:                             ;   in Loop: Header=BB69_16 Depth=1
	s_or_b64 exec, exec, s[6:7]
	s_mov_b64 s[6:7], -1
                                        ; implicit-def: $sgpr34_sgpr35
                                        ; implicit-def: $sgpr36_sgpr37
	s_and_saveexec_b64 s[28:29], s[14:15]
	s_cbranch_execz .LBB69_272
; %bb.179:                              ;   in Loop: Header=BB69_16 Depth=1
	s_cmp_eq_u64 s[22:23], 1
	s_cselect_b64 s[6:7], -1, 0
	v_cmp_eq_u64_e32 vcc, 1, v[4:5]
	s_and_b64 s[40:41], s[6:7], vcc
	s_mov_b64 s[6:7], -1
                                        ; implicit-def: $sgpr36_sgpr37
                                        ; implicit-def: $sgpr34_sgpr35
	s_and_saveexec_b64 s[38:39], s[40:41]
	s_cbranch_execz .LBB69_213
; %bb.180:                              ;   in Loop: Header=BB69_16 Depth=1
	ds_read_b64 v[6:7], v3 offset:5120
	s_waitcnt lgkmcnt(0)
	s_barrier
	v_readfirstlane_b32 s42, v6
	v_readfirstlane_b32 s43, v7
	s_mov_b64 s[6:7], exec
	v_readlane_b32 s14, v72, 28
	v_readlane_b32 s15, v72, 29
	s_and_b64 s[14:15], s[6:7], s[14:15]
	s_mov_b64 exec, s[14:15]
; %bb.181:                              ;   in Loop: Header=BB69_16 Depth=1
	ds_write_b16 v44, v3
; %bb.182:                              ;   in Loop: Header=BB69_16 Depth=1
	s_or_b64 exec, exec, s[6:7]
	v_and_b32_e32 v6, s52, v48
	v_cmp_gt_i64_e64 s[6:7], s[42:43], 0
	v_lshl_or_b32 v48, 2, s98, v6
	v_or_b32_e32 v52, s72, v52
	s_mov_b64 s[34:35], -1
	s_mov_b64 s[36:37], 0
	s_and_b64 vcc, exec, s[6:7]
	s_mov_b64 s[6:7], 0
	s_mov_b64 s[14:15], -1
	s_waitcnt lgkmcnt(0)
	s_barrier
                                        ; implicit-def: $vgpr53
	s_cbranch_vccnz .LBB69_198
; %bb.183:                              ;   in Loop: Header=BB69_16 Depth=1
	s_mov_b32 s90, s87
	s_mov_b64 s[10:11], s[50:51]
	s_cmp_lg_u64 s[90:91], 0
	s_cbranch_scc0 .LBB69_239
; %bb.184:                              ;   in Loop: Header=BB69_16 Depth=1
	s_add_u32 s6, s84, 0
	s_addc_u32 s7, 0, 0
	s_xor_b64 s[6:7], s[6:7], 0
	v_cvt_f32_u32_e32 v6, s6
	v_cvt_f32_u32_e32 v7, s7
	s_sub_u32 s30, 0, s6
	s_subb_u32 s31, 0, s7
	s_mov_b32 s12, s53
	v_fmac_f32_e32 v6, 0x4f800000, v7
	v_rcp_f32_e32 v6, v6
	s_nop 0
	v_mul_f32_e32 v6, 0x5f7ffffc, v6
	v_mul_f32_e32 v7, 0x2f800000, v6
	v_trunc_f32_e32 v7, v7
	v_fmac_f32_e32 v6, 0xcf800000, v7
	v_cvt_u32_f32_e32 v7, v7
	v_cvt_u32_f32_e32 v6, v6
	v_readfirstlane_b32 s44, v7
	v_readfirstlane_b32 s14, v6
	s_mul_i32 s15, s30, s44
	s_mul_hi_u32 s46, s30, s14
	s_mul_i32 s45, s31, s14
	s_add_i32 s15, s46, s15
	s_mul_i32 s47, s30, s14
	s_add_i32 s15, s15, s45
	s_mul_i32 s46, s14, s15
	s_mul_hi_u32 s48, s14, s47
	s_mul_hi_u32 s45, s14, s15
	s_add_u32 s46, s48, s46
	s_addc_u32 s45, 0, s45
	s_mul_hi_u32 s49, s44, s47
	s_mul_i32 s47, s44, s47
	s_add_u32 s46, s46, s47
	s_mul_hi_u32 s48, s44, s15
	s_addc_u32 s45, s45, s49
	s_addc_u32 s46, s48, 0
	s_mul_i32 s15, s44, s15
	s_add_u32 s15, s45, s15
	s_addc_u32 s45, 0, s46
	s_add_u32 s46, s14, s15
	s_cselect_b64 s[14:15], -1, 0
	s_cmp_lg_u64 s[14:15], 0
	s_addc_u32 s44, s44, s45
	s_mul_i32 s14, s30, s44
	s_mul_hi_u32 s15, s30, s46
	s_add_i32 s14, s15, s14
	s_mul_i32 s31, s31, s46
	s_add_i32 s14, s14, s31
	s_mul_i32 s30, s30, s46
	s_mul_hi_u32 s31, s44, s30
	s_mul_i32 s45, s44, s30
	s_mul_i32 s48, s46, s14
	s_mul_hi_u32 s30, s46, s30
	s_mul_hi_u32 s47, s46, s14
	s_add_u32 s30, s30, s48
	s_addc_u32 s47, 0, s47
	s_add_u32 s30, s30, s45
	s_mul_hi_u32 s15, s44, s14
	s_addc_u32 s30, s47, s31
	s_addc_u32 s15, s15, 0
	s_mul_i32 s14, s44, s14
	s_add_u32 s14, s30, s14
	s_addc_u32 s30, 0, s15
	s_add_u32 s45, s46, s14
	s_cselect_b64 s[14:15], -1, 0
	s_cmp_lg_u64 s[14:15], 0
	s_addc_u32 s44, s44, s30
	s_ashr_i32 s14, s91, 31
	s_add_u32 s30, s53, s14
	s_mov_b32 s15, s14
	s_addc_u32 s31, s91, s14
	s_xor_b64 s[30:31], s[30:31], s[14:15]
	s_mul_i32 s47, s30, s44
	s_mul_hi_u32 s48, s30, s45
	s_mul_hi_u32 s46, s30, s44
	s_add_u32 s47, s48, s47
	s_addc_u32 s46, 0, s46
	s_mul_hi_u32 s49, s31, s45
	s_mul_i32 s45, s31, s45
	s_add_u32 s45, s47, s45
	s_mul_hi_u32 s48, s31, s44
	s_addc_u32 s45, s46, s49
	s_addc_u32 s46, s48, 0
	s_mul_i32 s44, s31, s44
	s_add_u32 s44, s45, s44
	s_addc_u32 s45, 0, s46
	s_mul_i32 s45, s6, s45
	s_mul_hi_u32 s46, s6, s44
	s_add_i32 s45, s46, s45
	s_mul_i32 s46, s7, s44
	s_add_i32 s48, s45, s46
	s_sub_i32 s46, s31, s48
	s_mul_i32 s44, s6, s44
	s_sub_u32 s30, s30, s44
	s_cselect_b64 s[44:45], -1, 0
	s_cmp_lg_u64 s[44:45], 0
	s_subb_u32 s49, s46, s7
	s_sub_u32 s50, s30, s6
	s_cselect_b64 s[46:47], -1, 0
	s_cmp_lg_u64 s[46:47], 0
	s_subb_u32 s51, s49, 0
	s_cmp_ge_u32 s51, s7
	s_cselect_b32 s53, -1, 0
	s_cmp_ge_u32 s50, s6
	s_cselect_b32 s54, -1, 0
	s_cmp_eq_u32 s51, s7
	s_cselect_b32 s53, s54, s53
	s_cmp_lg_u64 s[46:47], 0
	s_subb_u32 s49, s49, s7
	s_sub_u32 s54, s50, s6
	s_cselect_b64 s[46:47], -1, 0
	s_cmp_lg_u64 s[46:47], 0
	s_subb_u32 s46, s49, 0
	s_cmp_lg_u32 s53, 0
	s_cselect_b32 s47, s54, s50
	s_cselect_b32 s46, s46, s51
	s_cmp_lg_u64 s[44:45], 0
	s_subb_u32 s31, s31, s48
	s_cmp_ge_u32 s31, s7
	s_cselect_b32 s44, -1, 0
	s_cmp_ge_u32 s30, s6
	s_cselect_b32 s6, -1, 0
	s_cmp_eq_u32 s31, s7
	s_cselect_b32 s6, s6, s44
	s_cmp_lg_u32 s6, 0
	s_cselect_b32 s7, s46, s31
	s_cselect_b32 s6, s47, s30
	s_xor_b64 s[6:7], s[6:7], s[14:15]
	s_sub_u32 s6, s6, s14
	s_mov_b32 s53, s12
	s_subb_u32 s7, s7, s14
	s_cbranch_execnz .LBB69_186
.LBB69_185:                             ;   in Loop: Header=BB69_16 Depth=1
	v_cvt_f32_u32_e32 v6, s84
	s_sub_i32 s6, 0, s84
	v_rcp_iflag_f32_e32 v6, v6
	s_nop 0
	v_mul_f32_e32 v6, 0x4f7ffffe, v6
	v_cvt_u32_f32_e32 v6, v6
	s_nop 0
	v_readfirstlane_b32 s7, v6
	s_mul_i32 s6, s6, s7
	s_mul_hi_u32 s6, s7, s6
	s_add_i32 s7, s7, s6
	s_mul_hi_u32 s6, s53, s7
	s_mul_i32 s6, s6, s84
	s_sub_i32 s6, s53, s6
	s_sub_i32 s7, s6, s84
	s_cmp_ge_u32 s6, s84
	s_cselect_b32 s6, s7, s6
	s_sub_i32 s7, s6, s84
	s_cmp_ge_u32 s6, s84
	s_cselect_b32 s86, s7, s6
	s_mov_b64 s[6:7], s[86:87]
.LBB69_186:                             ;   in Loop: Header=BB69_16 Depth=1
	s_sub_u32 s44, s53, s6
	s_subb_u32 s45, s91, s7
	v_cmp_gt_i64_e32 vcc, s[44:45], v[0:1]
	s_mov_b64 s[14:15], 0
	s_mov_b64 s[6:7], 0
                                        ; implicit-def: $vgpr53
	s_and_saveexec_b64 s[30:31], vcc
	v_readlane_b32 s54, v72, 52
	v_readlane_b32 s55, v72, 53
	s_cbranch_execz .LBB69_197
; %bb.187:                              ;   in Loop: Header=BB69_16 Depth=1
	v_mov_b64_e32 v[6:7], v[12:13]
	v_mov_b64_e32 v[8:9], v[0:1]
                                        ; implicit-def: $sgpr46_sgpr47
	s_branch .LBB69_190
.LBB69_188:                             ;   in Loop: Header=BB69_190 Depth=2
	s_or_b64 exec, exec, s[48:49]
	s_waitcnt lgkmcnt(0)
	s_barrier
	ds_read_b32 v10, v3 offset:3072
	s_mov_b64 s[48:49], -1
	s_mov_b64 s[50:51], -1
	s_waitcnt lgkmcnt(0)
	s_barrier
	v_and_b32_e32 v11, 0x7fff, v10
	v_cmp_ne_u32_e32 vcc, 0, v11
	s_cbranch_vccz .LBB69_193
.LBB69_189:                             ;   in Loop: Header=BB69_190 Depth=2
	s_and_b64 s[48:49], exec, s[48:49]
	s_or_b64 s[6:7], s[48:49], s[6:7]
	s_andn2_b64 s[46:47], s[46:47], exec
	s_and_b64 s[48:49], s[50:51], exec
	s_or_b64 s[46:47], s[46:47], s[48:49]
	s_andn2_b64 exec, exec, s[6:7]
	s_cbranch_execz .LBB69_196
.LBB69_190:                             ;   Parent Loop BB69_16 Depth=1
                                        ; =>  This Inner Loop Header: Depth=2
	v_cmp_gt_i64_e32 vcc, s[56:57], v[8:9]
	s_and_saveexec_b64 s[48:49], vcc
	s_cbranch_execz .LBB69_188
; %bb.191:                              ;   in Loop: Header=BB69_190 Depth=2
	global_load_ushort v10, v[6:7], off
	s_waitcnt vmcnt(0)
	v_cmp_lt_i16_e32 vcc, -1, v10
	v_lshlrev_b32_e32 v11, 16, v10
	s_nop 0
	v_cndmask_b32_e32 v36, v49, v50, vcc
	v_xor_b32_sdwa v36, v36, v10 dst_sel:DWORD dst_unused:UNUSED_PAD src0_sel:DWORD src1_sel:WORD_0
	v_cmp_o_f32_e32 vcc, v11, v11
	s_nop 1
	v_cndmask_b32_e32 v11, v49, v36, vcc
	v_and_b32_e32 v11, v11, v52
	v_cmp_eq_u32_e32 vcc, v11, v48
	s_and_b64 exec, exec, vcc
	s_cbranch_execz .LBB69_188
; %bb.192:                              ;   in Loop: Header=BB69_190 Depth=2
	v_perm_b32 v10, v10, s97, v51
	ds_write_b32 v3, v10 offset:3072
	s_branch .LBB69_188
.LBB69_193:                             ;   in Loop: Header=BB69_190 Depth=2
	v_lshl_add_u64 v[8:9], v[8:9], 0, s[84:85]
	v_cmp_le_i64_e32 vcc, s[44:45], v[8:9]
	v_lshl_add_u64 v[6:7], v[6:7], 0, s[92:93]
	s_mov_b64 s[50:51], 0
	s_orn2_b64 s[48:49], vcc, exec
	s_branch .LBB69_189
.LBB69_194:                             ;   in Loop: Header=BB69_16 Depth=1
                                        ; implicit-def: $sgpr6_sgpr7
	s_andn2_b64 vcc, exec, s[14:15]
	s_cbranch_vccz .LBB69_139
	s_branch .LBB69_140
.LBB69_195:                             ;   in Loop: Header=BB69_16 Depth=1
                                        ; implicit-def: $sgpr14_sgpr15
	s_branch .LBB69_155
.LBB69_196:                             ;   in Loop: Header=BB69_16 Depth=1
	s_or_b64 exec, exec, s[6:7]
	v_lshrrev_b32_e32 v53, 16, v10
	s_and_b64 s[6:7], s[46:47], exec
.LBB69_197:                             ;   in Loop: Header=BB69_16 Depth=1
	s_or_b64 exec, exec, s[30:31]
	s_mov_b64 s[50:51], s[10:11]
.LBB69_198:                             ;   in Loop: Header=BB69_16 Depth=1
	s_and_b64 vcc, exec, s[14:15]
	s_cbranch_vccz .LBB69_212
; %bb.199:                              ;   in Loop: Header=BB69_16 Depth=1
	v_readlane_b32 s14, v72, 36
	s_add_u32 s36, s42, s14
	v_readlane_b32 s14, v72, 37
	s_addc_u32 s15, s43, s14
	s_mov_b32 s14, s87
	s_mov_b32 s12, s53
	s_cmp_lg_u64 s[14:15], 0
	s_cbranch_scc0 .LBB69_240
; %bb.200:                              ;   in Loop: Header=BB69_16 Depth=1
	s_add_u32 s30, s84, 0
	s_addc_u32 s31, 0, 0
	s_xor_b64 s[30:31], s[30:31], 0
	v_cvt_f32_u32_e32 v6, s30
	v_cvt_f32_u32_e32 v7, s31
	s_sub_u32 s14, 0, s30
	s_subb_u32 s37, 0, s31
	s_mov_b64 s[10:11], s[50:51]
	v_fmac_f32_e32 v6, 0x4f800000, v7
	v_rcp_f32_e32 v6, v6
	s_nop 0
	v_mul_f32_e32 v6, 0x5f7ffffc, v6
	v_mul_f32_e32 v7, 0x2f800000, v6
	v_trunc_f32_e32 v7, v7
	v_fmac_f32_e32 v6, 0xcf800000, v7
	v_cvt_u32_f32_e32 v7, v7
	v_cvt_u32_f32_e32 v6, v6
	v_readfirstlane_b32 s44, v7
	v_readfirstlane_b32 s34, v6
	s_mul_i32 s35, s14, s44
	s_mul_hi_u32 s46, s14, s34
	s_mul_i32 s45, s37, s34
	s_add_i32 s35, s46, s35
	s_mul_i32 s47, s14, s34
	s_add_i32 s35, s35, s45
	s_mul_i32 s46, s34, s35
	s_mul_hi_u32 s48, s34, s47
	s_mul_hi_u32 s45, s34, s35
	s_add_u32 s46, s48, s46
	s_addc_u32 s45, 0, s45
	s_mul_hi_u32 s49, s44, s47
	s_mul_i32 s47, s44, s47
	s_add_u32 s46, s46, s47
	s_mul_hi_u32 s48, s44, s35
	s_addc_u32 s45, s45, s49
	s_addc_u32 s46, s48, 0
	s_mul_i32 s35, s44, s35
	s_add_u32 s35, s45, s35
	s_addc_u32 s45, 0, s46
	s_add_u32 s46, s34, s35
	s_cselect_b64 s[34:35], -1, 0
	s_cmp_lg_u64 s[34:35], 0
	s_addc_u32 s44, s44, s45
	s_mul_i32 s34, s14, s44
	s_mul_hi_u32 s35, s14, s46
	s_add_i32 s34, s35, s34
	s_mul_i32 s37, s37, s46
	s_add_i32 s34, s34, s37
	s_mul_i32 s14, s14, s46
	s_mul_hi_u32 s37, s44, s14
	s_mul_i32 s45, s44, s14
	s_mul_i32 s48, s46, s34
	s_mul_hi_u32 s14, s46, s14
	s_mul_hi_u32 s47, s46, s34
	s_add_u32 s14, s14, s48
	s_addc_u32 s47, 0, s47
	s_add_u32 s14, s14, s45
	s_mul_hi_u32 s35, s44, s34
	s_addc_u32 s14, s47, s37
	s_addc_u32 s35, s35, 0
	s_mul_i32 s34, s44, s34
	s_add_u32 s14, s14, s34
	s_addc_u32 s37, 0, s35
	s_add_u32 s14, s46, s14
	s_cselect_b64 s[34:35], -1, 0
	s_cmp_lg_u64 s[34:35], 0
	s_addc_u32 s37, s44, s37
	s_ashr_i32 s34, s15, 31
	s_add_u32 s44, s36, s34
	s_mov_b32 s35, s34
	s_addc_u32 s45, s15, s34
	s_xor_b64 s[44:45], s[44:45], s[34:35]
	s_mul_i32 s47, s44, s37
	s_mul_hi_u32 s48, s44, s14
	s_mul_hi_u32 s46, s44, s37
	s_add_u32 s47, s48, s47
	s_addc_u32 s46, 0, s46
	s_mul_hi_u32 s49, s45, s14
	s_mul_i32 s14, s45, s14
	s_add_u32 s14, s47, s14
	s_mul_hi_u32 s48, s45, s37
	s_addc_u32 s14, s46, s49
	s_addc_u32 s46, s48, 0
	s_mul_i32 s37, s45, s37
	s_add_u32 s14, s14, s37
	s_addc_u32 s37, 0, s46
	s_mul_i32 s37, s30, s37
	s_mul_hi_u32 s46, s30, s14
	s_add_i32 s37, s46, s37
	s_mul_i32 s46, s31, s14
	s_add_i32 s37, s37, s46
	s_sub_i32 s48, s45, s37
	s_mul_i32 s14, s30, s14
	s_sub_u32 s14, s44, s14
	s_cselect_b64 s[46:47], -1, 0
	s_cmp_lg_u64 s[46:47], 0
	s_subb_u32 s44, s48, s31
	s_sub_u32 s50, s14, s30
	s_cselect_b64 s[48:49], -1, 0
	s_cmp_lg_u64 s[48:49], 0
	s_subb_u32 s51, s44, 0
	s_cmp_ge_u32 s51, s31
	s_cselect_b32 s53, -1, 0
	s_cmp_ge_u32 s50, s30
	s_cselect_b32 s54, -1, 0
	s_cmp_eq_u32 s51, s31
	s_cselect_b32 s53, s54, s53
	s_cmp_lg_u64 s[48:49], 0
	s_subb_u32 s44, s44, s31
	s_sub_u32 s54, s50, s30
	s_cselect_b64 s[48:49], -1, 0
	s_cmp_lg_u64 s[48:49], 0
	s_subb_u32 s44, s44, 0
	s_cmp_lg_u32 s53, 0
	s_cselect_b32 s48, s54, s50
	s_cselect_b32 s44, s44, s51
	s_cmp_lg_u64 s[46:47], 0
	s_subb_u32 s37, s45, s37
	s_cmp_ge_u32 s37, s31
	s_cselect_b32 s45, -1, 0
	s_cmp_ge_u32 s14, s30
	s_cselect_b32 s30, -1, 0
	s_cmp_eq_u32 s37, s31
	s_cselect_b32 s30, s30, s45
	s_cmp_lg_u32 s30, 0
	s_cselect_b32 s31, s44, s37
	s_cselect_b32 s30, s48, s14
	s_xor_b64 s[30:31], s[30:31], s[34:35]
	v_readlane_b32 s54, v72, 52
	s_sub_u32 s30, s30, s34
	v_readlane_b32 s55, v72, 53
	s_mov_b64 s[50:51], s[10:11]
	s_subb_u32 s31, s31, s34
	s_cbranch_execnz .LBB69_202
.LBB69_201:                             ;   in Loop: Header=BB69_16 Depth=1
	v_cvt_f32_u32_e32 v6, s84
	s_sub_i32 s14, 0, s84
	v_rcp_iflag_f32_e32 v6, v6
	s_nop 0
	v_mul_f32_e32 v6, 0x4f7ffffe, v6
	v_cvt_u32_f32_e32 v6, v6
	s_nop 0
	v_readfirstlane_b32 s30, v6
	s_mul_i32 s14, s14, s30
	s_mul_hi_u32 s14, s30, s14
	s_add_i32 s30, s30, s14
	s_mul_hi_u32 s14, s36, s30
	s_mul_i32 s14, s14, s84
	s_sub_i32 s14, s36, s14
	s_sub_i32 s30, s14, s84
	s_cmp_ge_u32 s14, s84
	s_cselect_b32 s14, s30, s14
	s_sub_i32 s30, s14, s84
	s_cmp_ge_u32 s14, s84
	s_cselect_b32 s86, s30, s14
	s_mov_b64 s[30:31], s[86:87]
.LBB69_202:                             ;   in Loop: Header=BB69_16 Depth=1
	s_sub_u32 s30, s36, s30
	s_subb_u32 s31, s15, s31
	v_cmp_gt_i64_e32 vcc, s[30:31], v[0:1]
                                        ; implicit-def: $vgpr53
	s_and_saveexec_b64 s[14:15], vcc
	s_mov_b32 s53, s12
	s_cbranch_execz .LBB69_211
; %bb.203:                              ;   in Loop: Header=BB69_16 Depth=1
	s_mov_b64 s[34:35], 0
	v_mov_b32_e32 v8, v43
	v_mov_b64_e32 v[6:7], v[0:1]
                                        ; implicit-def: $sgpr36_sgpr37
	s_branch .LBB69_206
.LBB69_204:                             ;   in Loop: Header=BB69_206 Depth=2
	s_or_b64 exec, exec, s[44:45]
	s_waitcnt lgkmcnt(0)
	s_barrier
	ds_read_b32 v9, v3 offset:3072
	s_mov_b64 s[44:45], -1
	s_mov_b64 s[46:47], -1
	s_waitcnt lgkmcnt(0)
	s_barrier
	v_and_b32_e32 v10, 0x7fff, v9
	v_cmp_eq_u32_e32 vcc, 0, v10
	s_cbranch_vccnz .LBB69_209
.LBB69_205:                             ;   in Loop: Header=BB69_206 Depth=2
	s_and_b64 s[44:45], exec, s[44:45]
	s_or_b64 s[34:35], s[44:45], s[34:35]
	s_andn2_b64 s[36:37], s[36:37], exec
	s_and_b64 s[44:45], s[46:47], exec
	s_or_b64 s[36:37], s[36:37], s[44:45]
	s_andn2_b64 exec, exec, s[34:35]
	s_cbranch_execz .LBB69_210
.LBB69_206:                             ;   Parent Loop BB69_16 Depth=1
                                        ; =>  This Inner Loop Header: Depth=2
	v_cmp_gt_u64_e32 vcc, s[42:43], v[6:7]
	s_and_saveexec_b64 s[44:45], vcc
	s_cbranch_execz .LBB69_204
; %bb.207:                              ;   in Loop: Header=BB69_206 Depth=2
	ds_read_u16 v9, v8
	s_waitcnt lgkmcnt(0)
	v_cmp_lt_i16_e32 vcc, -1, v9
	v_lshlrev_b32_e32 v10, 16, v9
	s_nop 0
	v_cndmask_b32_e32 v11, v49, v50, vcc
	v_xor_b32_sdwa v11, v11, v9 dst_sel:DWORD dst_unused:UNUSED_PAD src0_sel:DWORD src1_sel:WORD_0
	v_cmp_o_f32_e32 vcc, v10, v10
	s_nop 1
	v_cndmask_b32_e32 v10, v49, v11, vcc
	v_and_b32_e32 v10, v10, v52
	v_cmp_eq_u32_e32 vcc, v10, v48
	s_and_b64 exec, exec, vcc
	s_cbranch_execz .LBB69_204
; %bb.208:                              ;   in Loop: Header=BB69_206 Depth=2
	v_perm_b32 v9, v9, s97, v51
	ds_write_b32 v3, v9 offset:3072
	s_branch .LBB69_204
.LBB69_209:                             ;   in Loop: Header=BB69_206 Depth=2
	v_lshl_add_u64 v[6:7], v[6:7], 0, s[84:85]
	v_cmp_le_i64_e32 vcc, s[30:31], v[6:7]
	v_add_u32_e32 v8, s96, v8
	s_mov_b64 s[46:47], 0
	s_orn2_b64 s[44:45], vcc, exec
	s_branch .LBB69_205
.LBB69_210:                             ;   in Loop: Header=BB69_16 Depth=1
	s_or_b64 exec, exec, s[34:35]
	s_andn2_b64 s[6:7], s[6:7], exec
	s_and_b64 s[30:31], s[36:37], exec
	v_lshrrev_b32_e32 v53, 16, v9
	s_or_b64 s[6:7], s[6:7], s[30:31]
.LBB69_211:                             ;   in Loop: Header=BB69_16 Depth=1
	s_or_b64 exec, exec, s[14:15]
	s_mov_b64 s[34:35], 0
	s_mov_b64 s[36:37], -1
.LBB69_212:                             ;   in Loop: Header=BB69_16 Depth=1
	s_orn2_b64 s[6:7], s[6:7], exec
.LBB69_213:                             ;   in Loop: Header=BB69_16 Depth=1
	s_or_b64 exec, exec, s[38:39]
	s_mov_b64 s[14:15], 0
	s_and_saveexec_b64 s[38:39], s[6:7]
	s_cbranch_execz .LBB69_271
; %bb.214:                              ;   in Loop: Header=BB69_16 Depth=1
	s_xor_b64 s[14:15], s[40:41], -1
	v_mov_b32_e32 v2, 1
	s_mov_b64 s[40:41], 0
	v_mov_b64_e32 v[6:7], 1
	s_and_saveexec_b64 s[6:7], s[14:15]
	s_cbranch_execz .LBB69_223
; %bb.215:                              ;   in Loop: Header=BB69_16 Depth=1
	v_cmp_ge_i64_e32 vcc, s[22:23], v[4:5]
	s_and_saveexec_b64 s[14:15], vcc
	s_xor_b64 s[14:15], exec, s[14:15]
	s_cbranch_execz .LBB69_220
; %bb.216:                              ;   in Loop: Header=BB69_16 Depth=1
	ds_read_b64 v[6:7], v3 offset:5120
	v_and_b32_e32 v2, s52, v48
	v_lshl_or_b32 v48, 2, s98, v2
	v_or_b32_e32 v52, s72, v52
	s_waitcnt lgkmcnt(0)
	v_cmp_ne_u64_e32 vcc, 0, v[6:7]
	s_cbranch_vccnz .LBB69_220
; %bb.217:                              ;   in Loop: Header=BB69_16 Depth=1
	s_mov_b64 s[30:31], exec
	v_readlane_b32 s40, v72, 12
	v_readlane_b32 s41, v72, 13
	s_and_b64 s[40:41], s[30:31], s[40:41]
	s_mov_b64 exec, s[40:41]
; %bb.218:                              ;   in Loop: Header=BB69_16 Depth=1
	v_mov_b64_e32 v[6:7], s[22:23]
	ds_write_b64 v3, v[6:7] offset:5128
; %bb.219:                              ;   in Loop: Header=BB69_16 Depth=1
	s_or_b64 exec, exec, s[30:31]
	s_waitcnt lgkmcnt(0)
	s_barrier
.LBB69_220:                             ;   in Loop: Header=BB69_16 Depth=1
	s_or_saveexec_b64 s[14:15], s[14:15]
	s_mov_b64 s[30:31], 0
	v_mov_b32_e32 v2, 8
	s_xor_b64 exec, exec, s[14:15]
; %bb.221:                              ;   in Loop: Header=BB69_16 Depth=1
	v_mov_b32_e32 v2, s23
	v_subrev_co_u32_e32 v4, vcc, s22, v4
	s_mov_b64 s[30:31], exec
	s_nop 0
	v_subb_co_u32_e32 v5, vcc, v5, v2, vcc
	v_mov_b32_e32 v2, 0
; %bb.222:                              ;   in Loop: Header=BB69_16 Depth=1
	s_or_b64 exec, exec, s[14:15]
	s_and_b64 s[40:41], s[30:31], exec
	v_mov_b64_e32 v[6:7], v[4:5]
.LBB69_223:                             ;   in Loop: Header=BB69_16 Depth=1
	s_or_b64 exec, exec, s[6:7]
	s_mov_b64 s[30:31], -1
                                        ; implicit-def: $sgpr14_sgpr15
                                        ; implicit-def: $sgpr6_sgpr7
	s_and_saveexec_b64 s[22:23], s[40:41]
	s_cbranch_execz .LBB69_270
; %bb.224:                              ;   in Loop: Header=BB69_16 Depth=1
	s_cmp_eq_u64 s[2:3], 1
	s_cselect_b64 s[6:7], -1, 0
	v_cmp_eq_u64_e32 vcc, 1, v[6:7]
	s_and_b64 s[40:41], s[6:7], vcc
	s_mov_b64 s[44:45], -1
                                        ; implicit-def: $sgpr14_sgpr15
                                        ; implicit-def: $sgpr6_sgpr7
	s_and_saveexec_b64 s[42:43], s[40:41]
	s_cbranch_execz .LBB69_258
; %bb.225:                              ;   in Loop: Header=BB69_16 Depth=1
	ds_read_b64 v[4:5], v3 offset:5120
	s_waitcnt lgkmcnt(0)
	s_barrier
	v_readfirstlane_b32 s44, v4
	v_readfirstlane_b32 s45, v5
	s_mov_b64 s[6:7], exec
	v_readlane_b32 s14, v72, 28
	v_readlane_b32 s15, v72, 29
	s_and_b64 s[14:15], s[6:7], s[14:15]
	s_mov_b64 exec, s[14:15]
; %bb.226:                              ;   in Loop: Header=BB69_16 Depth=1
	ds_write_b16 v44, v3
; %bb.227:                              ;   in Loop: Header=BB69_16 Depth=1
	s_or_b64 exec, exec, s[6:7]
	v_cmp_gt_i64_e64 s[30:31], s[44:45], 0
	v_or_b32_e32 v48, s72, v48
	v_or_b32_e32 v52, s72, v52
	s_mov_b64 s[6:7], -1
	s_mov_b64 s[14:15], 0
	s_and_b64 vcc, exec, s[30:31]
	s_mov_b64 s[30:31], 0
	s_mov_b64 s[46:47], -1
	s_waitcnt lgkmcnt(0)
	s_barrier
                                        ; implicit-def: $vgpr53
	s_cbranch_vccnz .LBB69_243
; %bb.228:                              ;   in Loop: Header=BB69_16 Depth=1
	s_mov_b32 s90, s87
	s_mov_b64 s[12:13], s[74:75]
	s_mov_b64 s[10:11], s[50:51]
	s_cmp_lg_u64 s[90:91], 0
	s_cbranch_scc0 .LBB69_277
; %bb.229:                              ;   in Loop: Header=BB69_16 Depth=1
	s_add_u32 s30, s84, 0
	s_addc_u32 s31, 0, 0
	s_xor_b64 s[30:31], s[30:31], 0
	v_cvt_f32_u32_e32 v4, s30
	v_cvt_f32_u32_e32 v5, s31
	s_sub_u32 s48, 0, s30
	s_subb_u32 s49, 0, s31
	s_mov_b32 s60, s53
	v_fmac_f32_e32 v4, 0x4f800000, v5
	v_rcp_f32_e32 v4, v4
	s_nop 0
	v_mul_f32_e32 v4, 0x5f7ffffc, v4
	v_mul_f32_e32 v5, 0x2f800000, v4
	v_trunc_f32_e32 v5, v5
	v_fmac_f32_e32 v4, 0xcf800000, v5
	v_cvt_u32_f32_e32 v5, v5
	v_cvt_u32_f32_e32 v4, v4
	v_readfirstlane_b32 s50, v5
	v_readfirstlane_b32 s46, v4
	s_mul_i32 s47, s48, s50
	s_mul_hi_u32 s52, s48, s46
	s_mul_i32 s51, s49, s46
	s_add_i32 s47, s52, s47
	s_mul_i32 s53, s48, s46
	s_add_i32 s47, s47, s51
	s_mul_i32 s52, s46, s47
	s_mul_hi_u32 s54, s46, s53
	s_mul_hi_u32 s51, s46, s47
	s_add_u32 s52, s54, s52
	s_addc_u32 s51, 0, s51
	s_mul_hi_u32 s55, s50, s53
	s_mul_i32 s53, s50, s53
	s_add_u32 s52, s52, s53
	s_mul_hi_u32 s54, s50, s47
	s_addc_u32 s51, s51, s55
	s_addc_u32 s52, s54, 0
	s_mul_i32 s47, s50, s47
	s_add_u32 s47, s51, s47
	s_addc_u32 s51, 0, s52
	s_add_u32 s52, s46, s47
	s_cselect_b64 s[46:47], -1, 0
	s_cmp_lg_u64 s[46:47], 0
	s_addc_u32 s50, s50, s51
	s_mul_i32 s46, s48, s50
	s_mul_hi_u32 s47, s48, s52
	s_add_i32 s46, s47, s46
	s_mul_i32 s49, s49, s52
	s_add_i32 s46, s46, s49
	s_mul_i32 s48, s48, s52
	s_mul_hi_u32 s49, s50, s48
	s_mul_i32 s51, s50, s48
	s_mul_i32 s54, s52, s46
	s_mul_hi_u32 s48, s52, s48
	s_mul_hi_u32 s53, s52, s46
	s_add_u32 s48, s48, s54
	s_addc_u32 s53, 0, s53
	s_add_u32 s48, s48, s51
	s_mul_hi_u32 s47, s50, s46
	s_addc_u32 s48, s53, s49
	s_addc_u32 s47, s47, 0
	s_mul_i32 s46, s50, s46
	s_add_u32 s46, s48, s46
	s_addc_u32 s48, 0, s47
	s_add_u32 s51, s52, s46
	s_cselect_b64 s[46:47], -1, 0
	s_cmp_lg_u64 s[46:47], 0
	s_addc_u32 s50, s50, s48
	s_ashr_i32 s46, s91, 31
	s_add_u32 s48, s60, s46
	s_mov_b32 s47, s46
	s_addc_u32 s49, s91, s46
	s_xor_b64 s[48:49], s[48:49], s[46:47]
	s_mul_i32 s53, s48, s50
	s_mul_hi_u32 s54, s48, s51
	s_mul_hi_u32 s52, s48, s50
	s_add_u32 s53, s54, s53
	s_addc_u32 s52, 0, s52
	s_mul_hi_u32 s55, s49, s51
	s_mul_i32 s51, s49, s51
	s_add_u32 s51, s53, s51
	s_mul_hi_u32 s54, s49, s50
	s_addc_u32 s51, s52, s55
	s_addc_u32 s52, s54, 0
	s_mul_i32 s50, s49, s50
	s_add_u32 s50, s51, s50
	s_addc_u32 s51, 0, s52
	s_mul_i32 s51, s30, s51
	s_mul_hi_u32 s52, s30, s50
	s_add_i32 s51, s52, s51
	s_mul_i32 s52, s31, s50
	s_add_i32 s54, s51, s52
	s_sub_i32 s52, s49, s54
	s_mul_i32 s50, s30, s50
	s_sub_u32 s48, s48, s50
	s_cselect_b64 s[50:51], -1, 0
	s_cmp_lg_u64 s[50:51], 0
	s_subb_u32 s55, s52, s31
	s_sub_u32 s64, s48, s30
	s_cselect_b64 s[52:53], -1, 0
	s_cmp_lg_u64 s[52:53], 0
	s_subb_u32 s65, s55, 0
	s_cmp_ge_u32 s65, s31
	s_cselect_b32 s73, -1, 0
	s_cmp_ge_u32 s64, s30
	s_cselect_b32 s74, -1, 0
	s_cmp_eq_u32 s65, s31
	s_cselect_b32 s73, s74, s73
	s_cmp_lg_u64 s[52:53], 0
	s_subb_u32 s55, s55, s31
	s_sub_u32 s74, s64, s30
	s_cselect_b64 s[52:53], -1, 0
	s_cmp_lg_u64 s[52:53], 0
	s_subb_u32 s52, s55, 0
	s_cmp_lg_u32 s73, 0
	s_cselect_b32 s53, s74, s64
	s_cselect_b32 s52, s52, s65
	s_cmp_lg_u64 s[50:51], 0
	s_subb_u32 s49, s49, s54
	s_cmp_ge_u32 s49, s31
	s_cselect_b32 s50, -1, 0
	s_cmp_ge_u32 s48, s30
	s_cselect_b32 s30, -1, 0
	s_cmp_eq_u32 s49, s31
	s_cselect_b32 s30, s30, s50
	s_cmp_lg_u32 s30, 0
	s_cselect_b32 s31, s52, s49
	s_cselect_b32 s30, s53, s48
	s_xor_b64 s[30:31], s[30:31], s[46:47]
	s_sub_u32 s30, s30, s46
	s_mov_b32 s53, s60
	s_subb_u32 s31, s31, s46
	s_cbranch_execnz .LBB69_231
.LBB69_230:                             ;   in Loop: Header=BB69_16 Depth=1
	v_cvt_f32_u32_e32 v4, s84
	s_sub_i32 s30, 0, s84
	v_rcp_iflag_f32_e32 v4, v4
	s_nop 0
	v_mul_f32_e32 v4, 0x4f7ffffe, v4
	v_cvt_u32_f32_e32 v4, v4
	s_nop 0
	v_readfirstlane_b32 s31, v4
	s_mul_i32 s30, s30, s31
	s_mul_hi_u32 s30, s31, s30
	s_add_i32 s31, s31, s30
	s_mul_hi_u32 s30, s53, s31
	s_mul_i32 s30, s30, s84
	s_sub_i32 s30, s53, s30
	s_sub_i32 s31, s30, s84
	s_cmp_ge_u32 s30, s84
	s_cselect_b32 s30, s31, s30
	s_sub_i32 s31, s30, s84
	s_cmp_ge_u32 s30, s84
	s_cselect_b32 s86, s31, s30
	s_mov_b64 s[30:31], s[86:87]
.LBB69_231:                             ;   in Loop: Header=BB69_16 Depth=1
	s_sub_u32 s50, s53, s30
	s_subb_u32 s51, s91, s31
	s_mov_b32 s60, s53
	v_cmp_gt_i64_e32 vcc, s[50:51], v[0:1]
	s_mov_b64 s[46:47], 0
	s_mov_b64 s[30:31], 0
                                        ; implicit-def: $vgpr53
	s_and_saveexec_b64 s[48:49], vcc
	s_mov_b64 s[74:75], s[12:13]
	s_cbranch_execz .LBB69_242
; %bb.232:                              ;   in Loop: Header=BB69_16 Depth=1
	v_mov_b64_e32 v[4:5], v[12:13]
	v_mov_b64_e32 v[8:9], v[0:1]
                                        ; implicit-def: $sgpr52_sgpr53
	s_branch .LBB69_235
.LBB69_233:                             ;   in Loop: Header=BB69_235 Depth=2
	s_or_b64 exec, exec, s[54:55]
	s_waitcnt lgkmcnt(0)
	s_barrier
	ds_read_b32 v10, v3 offset:3072
	s_mov_b64 s[54:55], -1
	s_mov_b64 s[64:65], -1
	s_waitcnt lgkmcnt(0)
	s_barrier
	v_and_b32_e32 v11, 0x7fff, v10
	v_cmp_ne_u32_e32 vcc, 0, v11
	s_cbranch_vccz .LBB69_238
.LBB69_234:                             ;   in Loop: Header=BB69_235 Depth=2
	s_and_b64 s[54:55], exec, s[54:55]
	s_or_b64 s[30:31], s[54:55], s[30:31]
	s_andn2_b64 s[52:53], s[52:53], exec
	s_and_b64 s[54:55], s[64:65], exec
	s_or_b64 s[52:53], s[52:53], s[54:55]
	s_andn2_b64 exec, exec, s[30:31]
	s_cbranch_execz .LBB69_241
.LBB69_235:                             ;   Parent Loop BB69_16 Depth=1
                                        ; =>  This Inner Loop Header: Depth=2
	v_cmp_gt_i64_e32 vcc, s[56:57], v[8:9]
	s_and_saveexec_b64 s[54:55], vcc
	s_cbranch_execz .LBB69_233
; %bb.236:                              ;   in Loop: Header=BB69_235 Depth=2
	global_load_ushort v10, v[4:5], off
	s_waitcnt vmcnt(0)
	v_cmp_lt_i16_e32 vcc, -1, v10
	v_lshlrev_b32_e32 v11, 16, v10
	s_nop 0
	v_cndmask_b32_e32 v36, v49, v50, vcc
	v_xor_b32_sdwa v36, v36, v10 dst_sel:DWORD dst_unused:UNUSED_PAD src0_sel:DWORD src1_sel:WORD_0
	v_cmp_o_f32_e32 vcc, v11, v11
	s_nop 1
	v_cndmask_b32_e32 v11, v49, v36, vcc
	v_and_b32_e32 v11, v11, v52
	v_cmp_eq_u32_e32 vcc, v11, v48
	s_and_b64 exec, exec, vcc
	s_cbranch_execz .LBB69_233
; %bb.237:                              ;   in Loop: Header=BB69_235 Depth=2
	v_perm_b32 v10, v10, s97, v51
	ds_write_b32 v3, v10 offset:3072
	s_branch .LBB69_233
.LBB69_238:                             ;   in Loop: Header=BB69_235 Depth=2
	v_lshl_add_u64 v[8:9], v[8:9], 0, s[84:85]
	v_cmp_le_i64_e32 vcc, s[50:51], v[8:9]
	v_lshl_add_u64 v[4:5], v[4:5], 0, s[92:93]
	s_mov_b64 s[64:65], 0
	s_orn2_b64 s[54:55], vcc, exec
	s_branch .LBB69_234
.LBB69_239:                             ;   in Loop: Header=BB69_16 Depth=1
                                        ; implicit-def: $sgpr6_sgpr7
	s_andn2_b64 vcc, exec, s[14:15]
	s_cbranch_vccz .LBB69_185
	s_branch .LBB69_186
.LBB69_240:                             ;   in Loop: Header=BB69_16 Depth=1
                                        ; implicit-def: $sgpr30_sgpr31
	s_branch .LBB69_201
.LBB69_241:                             ;   in Loop: Header=BB69_16 Depth=1
	s_or_b64 exec, exec, s[30:31]
	v_lshrrev_b32_e32 v53, 16, v10
	s_and_b64 s[30:31], s[52:53], exec
.LBB69_242:                             ;   in Loop: Header=BB69_16 Depth=1
	s_or_b64 exec, exec, s[48:49]
	v_readlane_b32 s54, v72, 52
	v_readlane_b32 s55, v72, 53
	s_mov_b64 s[50:51], s[10:11]
	s_mov_b32 s53, s60
.LBB69_243:                             ;   in Loop: Header=BB69_16 Depth=1
	s_and_b64 vcc, exec, s[46:47]
	s_cbranch_vccz .LBB69_257
; %bb.244:                              ;   in Loop: Header=BB69_16 Depth=1
	v_readlane_b32 s6, v72, 36
	s_add_u32 s48, s44, s6
	v_readlane_b32 s6, v72, 37
	s_addc_u32 s7, s45, s6
	s_mov_b32 s6, s87
	s_cmp_lg_u64 s[6:7], 0
	s_cbranch_scc0 .LBB69_278
; %bb.245:                              ;   in Loop: Header=BB69_16 Depth=1
	s_add_u32 s14, s84, 0
	s_addc_u32 s15, 0, 0
	s_xor_b64 s[14:15], s[14:15], 0
	v_cvt_f32_u32_e32 v4, s14
	v_cvt_f32_u32_e32 v5, s15
	s_sub_u32 s6, 0, s14
	s_mov_b64 s[10:11], s[50:51]
	s_subb_u32 s49, 0, s15
	v_fmac_f32_e32 v4, 0x4f800000, v5
	v_rcp_f32_e32 v4, v4
	s_mov_b32 s60, s53
	s_mov_b64 s[12:13], s[74:75]
	v_mul_f32_e32 v4, 0x5f7ffffc, v4
	v_mul_f32_e32 v5, 0x2f800000, v4
	v_trunc_f32_e32 v5, v5
	v_fmac_f32_e32 v4, 0xcf800000, v5
	v_cvt_u32_f32_e32 v5, v5
	v_cvt_u32_f32_e32 v4, v4
	v_readfirstlane_b32 s50, v5
	v_readfirstlane_b32 s46, v4
	s_mul_i32 s47, s6, s50
	s_mul_hi_u32 s52, s6, s46
	s_mul_i32 s51, s49, s46
	s_add_i32 s47, s52, s47
	s_mul_i32 s53, s6, s46
	s_add_i32 s47, s47, s51
	s_mul_i32 s52, s46, s47
	s_mul_hi_u32 s54, s46, s53
	s_mul_hi_u32 s51, s46, s47
	s_add_u32 s52, s54, s52
	s_addc_u32 s51, 0, s51
	s_mul_hi_u32 s55, s50, s53
	s_mul_i32 s53, s50, s53
	s_add_u32 s52, s52, s53
	s_mul_hi_u32 s54, s50, s47
	s_addc_u32 s51, s51, s55
	s_addc_u32 s52, s54, 0
	s_mul_i32 s47, s50, s47
	s_add_u32 s47, s51, s47
	s_addc_u32 s51, 0, s52
	s_add_u32 s52, s46, s47
	s_cselect_b64 s[46:47], -1, 0
	s_cmp_lg_u64 s[46:47], 0
	s_addc_u32 s50, s50, s51
	s_mul_i32 s46, s6, s50
	s_mul_hi_u32 s47, s6, s52
	s_add_i32 s46, s47, s46
	s_mul_i32 s49, s49, s52
	s_add_i32 s46, s46, s49
	s_mul_i32 s6, s6, s52
	s_mul_hi_u32 s49, s50, s6
	s_mul_i32 s51, s50, s6
	s_mul_i32 s54, s52, s46
	s_mul_hi_u32 s6, s52, s6
	s_mul_hi_u32 s53, s52, s46
	s_add_u32 s6, s6, s54
	s_addc_u32 s53, 0, s53
	s_add_u32 s6, s6, s51
	s_mul_hi_u32 s47, s50, s46
	s_addc_u32 s6, s53, s49
	s_addc_u32 s47, s47, 0
	s_mul_i32 s46, s50, s46
	s_add_u32 s6, s6, s46
	s_addc_u32 s49, 0, s47
	s_add_u32 s6, s52, s6
	s_cselect_b64 s[46:47], -1, 0
	s_cmp_lg_u64 s[46:47], 0
	s_addc_u32 s49, s50, s49
	s_ashr_i32 s46, s7, 31
	s_add_u32 s50, s48, s46
	s_mov_b32 s47, s46
	s_addc_u32 s51, s7, s46
	s_xor_b64 s[50:51], s[50:51], s[46:47]
	s_mul_i32 s53, s50, s49
	s_mul_hi_u32 s54, s50, s6
	s_mul_hi_u32 s52, s50, s49
	s_add_u32 s53, s54, s53
	s_addc_u32 s52, 0, s52
	s_mul_hi_u32 s55, s51, s6
	s_mul_i32 s6, s51, s6
	s_add_u32 s6, s53, s6
	s_mul_hi_u32 s54, s51, s49
	s_addc_u32 s6, s52, s55
	s_addc_u32 s52, s54, 0
	s_mul_i32 s49, s51, s49
	s_add_u32 s6, s6, s49
	s_addc_u32 s49, 0, s52
	s_mul_i32 s49, s14, s49
	s_mul_hi_u32 s52, s14, s6
	s_add_i32 s49, s52, s49
	s_mul_i32 s52, s15, s6
	s_add_i32 s49, s49, s52
	s_sub_i32 s54, s51, s49
	s_mul_i32 s6, s14, s6
	s_sub_u32 s6, s50, s6
	s_cselect_b64 s[52:53], -1, 0
	s_cmp_lg_u64 s[52:53], 0
	s_subb_u32 s50, s54, s15
	s_sub_u32 s64, s6, s14
	s_cselect_b64 s[54:55], -1, 0
	s_cmp_lg_u64 s[54:55], 0
	s_subb_u32 s65, s50, 0
	s_cmp_ge_u32 s65, s15
	s_cselect_b32 s73, -1, 0
	s_cmp_ge_u32 s64, s14
	s_cselect_b32 s74, -1, 0
	s_cmp_eq_u32 s65, s15
	s_cselect_b32 s73, s74, s73
	s_cmp_lg_u64 s[54:55], 0
	s_subb_u32 s50, s50, s15
	s_sub_u32 s74, s64, s14
	s_cselect_b64 s[54:55], -1, 0
	s_cmp_lg_u64 s[54:55], 0
	s_subb_u32 s50, s50, 0
	s_cmp_lg_u32 s73, 0
	s_cselect_b32 s54, s74, s64
	s_cselect_b32 s50, s50, s65
	s_cmp_lg_u64 s[52:53], 0
	s_subb_u32 s49, s51, s49
	s_cmp_ge_u32 s49, s15
	s_cselect_b32 s51, -1, 0
	s_cmp_ge_u32 s6, s14
	s_cselect_b32 s14, -1, 0
	s_cmp_eq_u32 s49, s15
	s_cselect_b32 s14, s14, s51
	s_cmp_lg_u32 s14, 0
	s_cselect_b32 s15, s50, s49
	s_cselect_b32 s14, s54, s6
	s_xor_b64 s[14:15], s[14:15], s[46:47]
	v_readlane_b32 s54, v72, 52
	s_sub_u32 s14, s14, s46
	s_mov_b64 s[74:75], s[12:13]
	s_mov_b32 s53, s60
	s_mov_b64 s[50:51], s[10:11]
	v_readlane_b32 s55, v72, 53
	s_subb_u32 s15, s15, s46
	s_cbranch_execnz .LBB69_247
.LBB69_246:                             ;   in Loop: Header=BB69_16 Depth=1
	v_cvt_f32_u32_e32 v4, s84
	s_sub_i32 s6, 0, s84
	v_rcp_iflag_f32_e32 v4, v4
	s_nop 0
	v_mul_f32_e32 v4, 0x4f7ffffe, v4
	v_cvt_u32_f32_e32 v4, v4
	s_nop 0
	v_readfirstlane_b32 s14, v4
	s_mul_i32 s6, s6, s14
	s_mul_hi_u32 s6, s14, s6
	s_add_i32 s14, s14, s6
	s_mul_hi_u32 s6, s48, s14
	s_mul_i32 s6, s6, s84
	s_sub_i32 s6, s48, s6
	s_sub_i32 s14, s6, s84
	s_cmp_ge_u32 s6, s84
	s_cselect_b32 s6, s14, s6
	s_sub_i32 s14, s6, s84
	s_cmp_ge_u32 s6, s84
	s_cselect_b32 s86, s14, s6
	s_mov_b64 s[14:15], s[86:87]
.LBB69_247:                             ;   in Loop: Header=BB69_16 Depth=1
	s_sub_u32 s14, s48, s14
	s_subb_u32 s15, s7, s15
	v_cmp_gt_i64_e32 vcc, s[14:15], v[0:1]
                                        ; implicit-def: $vgpr53
	s_and_saveexec_b64 s[6:7], vcc
	s_cbranch_execz .LBB69_256
; %bb.248:                              ;   in Loop: Header=BB69_16 Depth=1
	s_mov_b32 s12, s53
	s_mov_b64 s[10:11], s[50:51]
	s_mov_b64 s[46:47], 0
	v_mov_b32_e32 v8, v43
	v_mov_b64_e32 v[4:5], v[0:1]
                                        ; implicit-def: $sgpr48_sgpr49
	s_branch .LBB69_251
.LBB69_249:                             ;   in Loop: Header=BB69_251 Depth=2
	s_or_b64 exec, exec, s[50:51]
	s_waitcnt lgkmcnt(0)
	s_barrier
	ds_read_b32 v9, v3 offset:3072
	s_mov_b64 s[50:51], -1
	s_mov_b64 s[52:53], -1
	s_waitcnt lgkmcnt(0)
	s_barrier
	v_and_b32_e32 v10, 0x7fff, v9
	v_cmp_eq_u32_e32 vcc, 0, v10
	s_cbranch_vccnz .LBB69_254
.LBB69_250:                             ;   in Loop: Header=BB69_251 Depth=2
	s_and_b64 s[50:51], exec, s[50:51]
	s_or_b64 s[46:47], s[50:51], s[46:47]
	s_andn2_b64 s[48:49], s[48:49], exec
	s_and_b64 s[50:51], s[52:53], exec
	s_or_b64 s[48:49], s[48:49], s[50:51]
	s_andn2_b64 exec, exec, s[46:47]
	s_cbranch_execz .LBB69_255
.LBB69_251:                             ;   Parent Loop BB69_16 Depth=1
                                        ; =>  This Inner Loop Header: Depth=2
	v_cmp_gt_u64_e32 vcc, s[44:45], v[4:5]
	s_and_saveexec_b64 s[50:51], vcc
	s_cbranch_execz .LBB69_249
; %bb.252:                              ;   in Loop: Header=BB69_251 Depth=2
	ds_read_u16 v9, v8
	s_waitcnt lgkmcnt(0)
	v_cmp_lt_i16_e32 vcc, -1, v9
	v_lshlrev_b32_e32 v10, 16, v9
	s_nop 0
	v_cndmask_b32_e32 v11, v49, v50, vcc
	v_xor_b32_sdwa v11, v11, v9 dst_sel:DWORD dst_unused:UNUSED_PAD src0_sel:DWORD src1_sel:WORD_0
	v_cmp_o_f32_e32 vcc, v10, v10
	s_nop 1
	v_cndmask_b32_e32 v10, v49, v11, vcc
	v_and_b32_e32 v10, v10, v52
	v_cmp_eq_u32_e32 vcc, v10, v48
	s_and_b64 exec, exec, vcc
	s_cbranch_execz .LBB69_249
; %bb.253:                              ;   in Loop: Header=BB69_251 Depth=2
	v_perm_b32 v9, v9, s97, v51
	ds_write_b32 v3, v9 offset:3072
	s_branch .LBB69_249
.LBB69_254:                             ;   in Loop: Header=BB69_251 Depth=2
	v_lshl_add_u64 v[4:5], v[4:5], 0, s[84:85]
	v_cmp_le_i64_e32 vcc, s[14:15], v[4:5]
	v_add_u32_e32 v8, s96, v8
	s_mov_b64 s[52:53], 0
	s_orn2_b64 s[50:51], vcc, exec
	s_branch .LBB69_250
.LBB69_255:                             ;   in Loop: Header=BB69_16 Depth=1
	s_or_b64 exec, exec, s[46:47]
	s_andn2_b64 s[14:15], s[30:31], exec
	s_and_b64 s[30:31], s[48:49], exec
	v_lshrrev_b32_e32 v53, 16, v9
	s_or_b64 s[30:31], s[14:15], s[30:31]
	s_mov_b64 s[50:51], s[10:11]
	s_mov_b32 s53, s12
.LBB69_256:                             ;   in Loop: Header=BB69_16 Depth=1
	s_or_b64 exec, exec, s[6:7]
	s_mov_b64 s[6:7], 0
	s_mov_b64 s[14:15], -1
.LBB69_257:                             ;   in Loop: Header=BB69_16 Depth=1
	s_orn2_b64 s[44:45], s[30:31], exec
.LBB69_258:                             ;   in Loop: Header=BB69_16 Depth=1
	s_or_b64 exec, exec, s[42:43]
	s_mov_b64 s[42:43], 0
	s_and_saveexec_b64 s[30:31], s[44:45]
	s_cbranch_execz .LBB69_269
; %bb.259:                              ;   in Loop: Header=BB69_16 Depth=1
	s_xor_b64 s[42:43], s[40:41], -1
	v_mov_b64_e32 v[4:5], 1
	v_mov_b32_e32 v2, 1
	s_and_saveexec_b64 s[40:41], s[42:43]
	s_cbranch_execz .LBB69_268
; %bb.260:                              ;   in Loop: Header=BB69_16 Depth=1
	v_cmp_ge_i64_e32 vcc, s[2:3], v[6:7]
	s_and_saveexec_b64 s[42:43], vcc
	s_xor_b64 s[42:43], exec, s[42:43]
	s_cbranch_execz .LBB69_265
; %bb.261:                              ;   in Loop: Header=BB69_16 Depth=1
	ds_read_b64 v[4:5], v3 offset:5120
	v_or_b32_e32 v48, s72, v48
	v_or_b32_e32 v52, s72, v52
	s_waitcnt lgkmcnt(0)
	v_cmp_ne_u64_e32 vcc, 0, v[4:5]
	s_cbranch_vccnz .LBB69_265
; %bb.262:                              ;   in Loop: Header=BB69_16 Depth=1
	s_mov_b64 s[44:45], exec
	v_readlane_b32 s46, v72, 12
	v_readlane_b32 s47, v72, 13
	s_and_b64 s[46:47], s[44:45], s[46:47]
	s_mov_b64 exec, s[46:47]
; %bb.263:                              ;   in Loop: Header=BB69_16 Depth=1
	v_mov_b64_e32 v[4:5], s[2:3]
	ds_write_b64 v3, v[4:5] offset:5128
; %bb.264:                              ;   in Loop: Header=BB69_16 Depth=1
	s_or_b64 exec, exec, s[44:45]
	s_waitcnt lgkmcnt(0)
	s_barrier
.LBB69_265:                             ;   in Loop: Header=BB69_16 Depth=1
	s_andn2_saveexec_b64 s[42:43], s[42:43]
; %bb.266:                              ;   in Loop: Header=BB69_16 Depth=1
	v_mov_b32_e32 v2, s3
	v_subrev_co_u32_e32 v6, vcc, s2, v6
	s_nop 1
	v_subb_co_u32_e32 v7, vcc, v7, v2, vcc
; %bb.267:                              ;   in Loop: Header=BB69_16 Depth=1
	s_or_b64 exec, exec, s[42:43]
	v_mov_b32_e32 v2, 8
	v_mov_b64_e32 v[4:5], v[6:7]
.LBB69_268:                             ;   in Loop: Header=BB69_16 Depth=1
	s_or_b64 exec, exec, s[40:41]
	s_mov_b64 s[42:43], exec
	v_mov_b64_e32 v[6:7], v[4:5]
.LBB69_269:                             ;   in Loop: Header=BB69_16 Depth=1
	s_or_b64 exec, exec, s[30:31]
	s_orn2_b64 s[30:31], s[42:43], exec
.LBB69_270:                             ;   in Loop: Header=BB69_16 Depth=1
	s_or_b64 exec, exec, s[22:23]
	s_andn2_b64 s[2:3], s[36:37], exec
	s_and_b64 s[14:15], s[14:15], exec
	s_or_b64 s[36:37], s[2:3], s[14:15]
	s_andn2_b64 s[2:3], s[34:35], exec
	s_and_b64 s[6:7], s[6:7], exec
	s_or_b64 s[34:35], s[2:3], s[6:7]
	s_and_b64 s[14:15], s[30:31], exec
	v_mov_b64_e32 v[4:5], v[6:7]
.LBB69_271:                             ;   in Loop: Header=BB69_16 Depth=1
	s_or_b64 exec, exec, s[38:39]
	s_orn2_b64 s[6:7], s[14:15], exec
.LBB69_272:                             ;   in Loop: Header=BB69_16 Depth=1
	s_or_b64 exec, exec, s[28:29]
	s_andn2_b64 s[2:3], s[24:25], exec
	s_and_b64 s[14:15], s[36:37], exec
	s_or_b64 s[24:25], s[2:3], s[14:15]
	s_andn2_b64 s[0:1], s[0:1], exec
	s_and_b64 s[2:3], s[34:35], exec
	s_or_b64 s[0:1], s[0:1], s[2:3]
	s_and_b64 s[14:15], s[6:7], exec
	v_mov_b64_e32 v[8:9], v[4:5]
.LBB69_273:                             ;   in Loop: Header=BB69_16 Depth=1
	s_or_b64 exec, exec, s[26:27]
	s_orn2_b64 s[6:7], s[14:15], exec
.LBB69_274:                             ;   in Loop: Header=BB69_16 Depth=1
	s_or_b64 exec, exec, s[20:21]
	s_mov_b64 s[14:15], 0
	s_and_saveexec_b64 s[2:3], s[6:7]
	s_xor_b64 s[2:3], exec, s[2:3]
	s_cbranch_execz .LBB69_14
; %bb.275:                              ;   in Loop: Header=BB69_16 Depth=1
	v_and_b32_e32 v2, 7, v2
	v_cmp_eq_u32_e32 vcc, 0, v2
	s_mov_b64 s[6:7], -1
	s_mov_b64 s[14:15], -1
	s_and_saveexec_b64 s[18:19], vcc
	s_cbranch_execz .LBB69_13
; %bb.276:                              ;   in Loop: Header=BB69_16 Depth=1
	s_xor_b32 s66, s66, 1
	s_add_i32 s20, s98, -2
	s_cmp_eq_u32 s98, 0
	s_cselect_b64 s[6:7], -1, 0
	s_xor_b64 s[14:15], exec, -1
	s_orn2_b64 s[6:7], s[6:7], exec
	s_mov_b32 s98, s20
	s_branch .LBB69_13
.LBB69_277:                             ;   in Loop: Header=BB69_16 Depth=1
                                        ; implicit-def: $sgpr30_sgpr31
	s_andn2_b64 vcc, exec, s[46:47]
	s_cbranch_vccz .LBB69_230
	s_branch .LBB69_231
.LBB69_278:                             ;   in Loop: Header=BB69_16 Depth=1
                                        ; implicit-def: $sgpr14_sgpr15
	s_branch .LBB69_246
.LBB69_279:
	s_or_b64 exec, exec, s[70:71]
	s_xor_b64 s[4:5], s[82:83], -1
	s_xor_b64 s[2:3], s[50:51], -1
	;; [unrolled: 1-line block ×3, first 2 shown]
	s_mov_b64 s[0:1], 0
	s_and_saveexec_b64 s[8:9], s[2:3]
	s_xor_b64 s[2:3], exec, s[8:9]
	s_cbranch_execnz .LBB69_284
; %bb.280:
	s_andn2_saveexec_b64 s[2:3], s[2:3]
	s_cbranch_execnz .LBB69_309
.LBB69_281:
	s_or_b64 exec, exec, s[2:3]
	s_and_saveexec_b64 s[2:3], s[0:1]
.LBB69_282:
	; divergent unreachable
.LBB69_283:
	s_endpgm
.LBB69_284:
	s_and_saveexec_b64 s[0:1], s[4:5]
	s_xor_b64 s[4:5], exec, s[0:1]
	s_cbranch_execz .LBB69_307
; %bb.285:
	s_and_saveexec_b64 s[0:1], s[6:7]
	s_xor_b64 s[0:1], exec, s[0:1]
; %bb.286:
	v_and_b32_e32 v2, 0x8000, v48
	v_mov_b32_e32 v3, 0x8000
	v_mov_b32_e32 v4, 0xffff
	v_cmp_eq_u32_e32 vcc, 0, v2
	s_nop 1
	v_cndmask_b32_e32 v2, v3, v4, vcc
	v_xor_b32_e32 v53, v2, v48
; %bb.287:
	s_or_b64 exec, exec, s[0:1]
	s_mov_b64 s[0:1], exec
	v_readlane_b32 s6, v72, 12
	v_readlane_b32 s7, v72, 13
	;; [unrolled: 1-line block ×3, first 2 shown]
	s_and_b64 s[6:7], s[0:1], s[6:7]
	v_readlane_b32 s26, v72, 22
	v_readlane_b32 s29, v72, 7
	;; [unrolled: 1-line block ×3, first 2 shown]
	s_mov_b64 exec, s[6:7]
; %bb.288:
	v_mov_b32_e32 v2, 0
	v_mov_b32_e32 v3, s56
	ds_write_b32 v2, v3 offset:5140
; %bb.289:
	s_or_b64 exec, exec, s[0:1]
	s_waitcnt lgkmcnt(0)
	s_barrier
	s_mov_b64 s[6:7], exec
	v_readlane_b32 s0, v72, 32
	v_readlane_b32 s1, v72, 33
	s_and_b64 s[0:1], s[6:7], s[0:1]
	s_mov_b64 exec, s[0:1]
	s_cbranch_execz .LBB69_304
; %bb.290:
	v_mov_b32_e32 v2, 0
	ds_read_b32 v4, v2 offset:5140
	v_lshlrev_b32_e32 v6, 16, v53
	v_cmp_u_f32_e32 vcc, v6, v6
	s_mov_b64 s[8:9], 0
	s_xor_b64 s[10:11], vcc, -1
	s_waitcnt lgkmcnt(0)
	v_ashrrev_i32_e32 v5, 31, v4
                                        ; implicit-def: $sgpr12_sgpr13
                                        ; implicit-def: $sgpr14_sgpr15
                                        ; implicit-def: $sgpr16_sgpr17
	s_branch .LBB69_293
.LBB69_291:                             ;   in Loop: Header=BB69_293 Depth=1
	s_or_b64 exec, exec, s[22:23]
	s_andn2_b64 s[16:17], s[16:17], exec
	s_and_b64 s[0:1], s[0:1], exec
	s_or_b64 s[16:17], s[16:17], s[0:1]
	s_andn2_b64 s[0:1], s[14:15], exec
	s_and_b64 s[14:15], s[20:21], exec
	s_or_b64 s[14:15], s[0:1], s[14:15]
.LBB69_292:                             ;   in Loop: Header=BB69_293 Depth=1
	s_or_b64 exec, exec, s[18:19]
	s_and_b64 s[0:1], exec, s[14:15]
	s_or_b64 s[8:9], s[0:1], s[8:9]
	s_andn2_b64 s[0:1], s[12:13], exec
	s_and_b64 s[12:13], s[16:17], exec
	s_or_b64 s[12:13], s[0:1], s[12:13]
	s_andn2_b64 exec, exec, s[8:9]
	s_cbranch_execz .LBB69_299
.LBB69_293:                             ; =>This Inner Loop Header: Depth=1
	v_mov_b64_e32 v[2:3], v[0:1]
	v_cmp_lt_i64_e32 vcc, v[2:3], v[4:5]
	s_or_b64 s[16:17], s[16:17], exec
	s_or_b64 s[14:15], s[14:15], exec
                                        ; implicit-def: $vgpr0_vgpr1
	s_and_saveexec_b64 s[18:19], vcc
	s_cbranch_execz .LBB69_292
; %bb.294:                              ;   in Loop: Header=BB69_293 Depth=1
	global_load_ushort v0, v[12:13], off
	s_mov_b64 s[20:21], -1
	s_waitcnt vmcnt(0)
	v_lshlrev_b32_e32 v0, 16, v0
	v_cmp_o_f32_e64 s[0:1], v0, v0
	v_cmp_neq_f32_e32 vcc, v0, v6
	s_or_b64 s[0:1], s[10:11], s[0:1]
	s_and_b64 s[24:25], vcc, s[0:1]
	s_mov_b64 s[0:1], 0
                                        ; implicit-def: $vgpr0_vgpr1
	s_and_saveexec_b64 s[22:23], s[24:25]
	s_cbranch_execz .LBB69_291
; %bb.295:                              ;   in Loop: Header=BB69_293 Depth=1
	v_lshl_add_u64 v[0:1], v[2:3], 0, s[84:85]
	v_cmp_le_i64_e32 vcc, s[56:57], v[0:1]
	s_mov_b64 s[0:1], exec
	v_lshl_add_u64 v[12:13], v[12:13], 0, s[92:93]
	s_orn2_b64 s[20:21], vcc, exec
	s_branch .LBB69_291
.LBB69_296:
                                        ; implicit-def: $sgpr14_sgpr15
	s_branch .LBB69_3
.LBB69_297:
                                        ; implicit-def: $sgpr4_sgpr5
                                        ; kill: killed $sgpr4_sgpr5
	s_branch .LBB69_6
.LBB69_298:
                                        ; implicit-def: $sgpr6_sgpr7
                                        ; kill: killed $sgpr6_sgpr7
	s_load_dwordx2 s[16:17], s[0:1], 0x0
	s_branch .LBB69_9
.LBB69_299:
	s_or_b64 exec, exec, s[8:9]
	s_xor_b64 s[0:1], s[12:13], -1
	s_and_saveexec_b64 s[8:9], s[0:1]
	s_xor_b64 s[8:9], exec, s[8:9]
	s_cbranch_execz .LBB69_304
; %bb.300:
	s_mov_b64 s[0:1], exec
	s_brev_b32 s8, -2
.LBB69_301:                             ; =>This Inner Loop Header: Depth=1
	s_ff1_i32_b64 s9, s[0:1]
	v_readlane_b32 s12, v2, s9
	s_lshl_b64 s[10:11], 1, s9
	s_min_i32 s8, s8, s12
	s_andn2_b64 s[0:1], s[0:1], s[10:11]
	s_cmp_lg_u64 s[0:1], 0
	s_cbranch_scc1 .LBB69_301
; %bb.302:
	v_mbcnt_lo_u32_b32 v0, exec_lo, 0
	v_mbcnt_hi_u32_b32 v0, exec_hi, v0
	v_cmp_eq_u32_e32 vcc, 0, v0
	s_and_saveexec_b64 s[0:1], vcc
	s_xor_b64 s[0:1], exec, s[0:1]
; %bb.303:
	v_mov_b32_e32 v0, 0
	v_mov_b32_e32 v1, s8
	ds_min_i32 v0, v1 offset:5140
.LBB69_304:
	s_or_b64 exec, exec, s[6:7]
	s_waitcnt lgkmcnt(0)
	s_barrier
	s_mov_b64 s[0:1], exec
	v_readlane_b32 s6, v72, 12
	v_readlane_b32 s7, v72, 13
	s_and_b64 s[6:7], s[0:1], s[6:7]
	s_mov_b64 exec, s[6:7]
	s_cbranch_execz .LBB69_306
; %bb.305:
	v_readlane_b32 s8, v72, 0
	v_readlane_b32 s9, v72, 1
	v_readlane_b32 s10, v72, 2
	v_readlane_b32 s11, v72, 3
	s_mul_i32 s6, s10, s9
	s_mul_hi_u32 s7, s10, s8
	s_add_i32 s6, s7, s6
	s_mul_i32 s7, s11, s8
	s_add_i32 s6, s6, s7
	s_mul_i32 s7, s10, s8
	v_readlane_b32 s12, v72, 18
	s_sub_u32 s8, s26, s7
	v_readlane_b32 s14, v72, 20
	v_readlane_b32 s15, v72, 21
	s_subb_u32 s6, 0, s6
	s_mul_i32 s7, s8, s15
	s_mul_hi_u32 s9, s8, s14
	v_readlane_b32 s13, v72, 19
	s_add_i32 s7, s9, s7
	s_mul_i32 s6, s6, s14
	s_add_i32 s7, s7, s6
	s_mul_i32 s6, s8, s14
	s_mul_i32 s8, s10, s13
	s_mul_hi_u32 s9, s10, s12
	s_add_i32 s8, s9, s8
	s_mul_i32 s9, s11, s12
	v_readlane_b32 s14, v72, 4
	s_add_i32 s9, s8, s9
	s_mul_i32 s8, s10, s12
	v_readlane_b32 s15, v72, 5
	s_mul_i32 s10, s14, s29
	s_mul_hi_u32 s11, s14, s28
	s_add_i32 s10, s11, s10
	s_mul_i32 s11, s15, s28
	s_add_i32 s10, s10, s11
	s_mul_i32 s11, s14, s28
	v_readlane_b32 s16, v72, 14
	s_sub_u32 s12, s26, s11
	v_readlane_b32 s18, v72, 16
	v_readlane_b32 s19, v72, 17
	s_subb_u32 s10, 0, s10
	s_mul_i32 s11, s12, s19
	s_mul_hi_u32 s13, s12, s18
	v_readlane_b32 s17, v72, 15
	s_add_i32 s11, s13, s11
	s_mul_i32 s10, s10, s18
	s_add_i32 s11, s11, s10
	s_mul_i32 s10, s12, s18
	s_mul_i32 s12, s14, s17
	s_mul_hi_u32 s13, s14, s16
	s_add_i32 s12, s13, s12
	s_mul_i32 s13, s15, s16
	s_add_i32 s13, s12, s13
	s_mul_i32 s12, s14, s16
	s_lshl_b64 s[8:9], s[8:9], 1
	v_readlane_b32 s14, v72, 10
	v_readlane_b32 s15, v72, 11
	s_add_u32 s8, s14, s8
	s_addc_u32 s9, s15, s9
	s_lshl_b64 s[6:7], s[6:7], 1
	v_mov_b32_e32 v2, 0
	s_add_u32 s6, s8, s6
	ds_read_b32 v0, v2 offset:5140
	s_addc_u32 s7, s9, s7
	s_lshl_b64 s[8:9], s[12:13], 3
	v_readlane_b32 s12, v72, 8
	v_readlane_b32 s13, v72, 9
	s_add_u32 s12, s12, s8
	s_addc_u32 s13, s13, s9
	s_lshl_b64 s[8:9], s[10:11], 3
	s_add_u32 s8, s12, s8
	s_addc_u32 s9, s13, s9
	s_waitcnt lgkmcnt(0)
	v_ashrrev_i32_e32 v1, 31, v0
	global_store_dwordx2 v2, v[0:1], s[8:9]
	global_store_short v2, v53, s[6:7]
.LBB69_306:
	s_or_b64 exec, exec, s[0:1]
.LBB69_307:
	s_or_saveexec_b64 s[0:1], s[4:5]
	s_mov_b64 s[4:5], 0
	s_xor_b64 exec, exec, s[0:1]
	s_cbranch_execnz .LBB69_310
.LBB69_308:
	s_or_b64 exec, exec, s[0:1]
	s_and_b64 s[0:1], s[4:5], exec
	s_andn2_saveexec_b64 s[2:3], s[2:3]
	s_cbranch_execz .LBB69_281
.LBB69_309:
	s_or_b64 s[0:1], s[0:1], exec
	s_trap 2
	s_or_b64 exec, exec, s[2:3]
	s_and_saveexec_b64 s[2:3], s[0:1]
	s_cbranch_execnz .LBB69_282
	s_branch .LBB69_283
.LBB69_310:
	s_mov_b64 s[4:5], exec
	s_trap 2
	s_branch .LBB69_308
	.section	.rodata,"a",@progbits
	.p2align	6, 0x0
	.amdhsa_kernel _ZN2at6native12_GLOBAL__N_114gatherKthValueIN3c108BFloat16ElLi2EEEvNS_4cuda6detail10TensorInfoIKT_T0_EESA_SA_SA_SA_NS7_IS8_SA_EENS7_IlSA_EE
		.amdhsa_group_segment_fixed_size 5144
		.amdhsa_private_segment_fixed_size 0
		.amdhsa_kernarg_size 1536
		.amdhsa_user_sgpr_count 2
		.amdhsa_user_sgpr_dispatch_ptr 0
		.amdhsa_user_sgpr_queue_ptr 0
		.amdhsa_user_sgpr_kernarg_segment_ptr 1
		.amdhsa_user_sgpr_dispatch_id 0
		.amdhsa_user_sgpr_kernarg_preload_length 0
		.amdhsa_user_sgpr_kernarg_preload_offset 0
		.amdhsa_user_sgpr_private_segment_size 0
		.amdhsa_uses_dynamic_stack 0
		.amdhsa_enable_private_segment 0
		.amdhsa_system_sgpr_workgroup_id_x 1
		.amdhsa_system_sgpr_workgroup_id_y 1
		.amdhsa_system_sgpr_workgroup_id_z 1
		.amdhsa_system_sgpr_workgroup_info 0
		.amdhsa_system_vgpr_workitem_id 0
		.amdhsa_next_free_vgpr 73
		.amdhsa_next_free_sgpr 100
		.amdhsa_accum_offset 76
		.amdhsa_reserve_vcc 1
		.amdhsa_float_round_mode_32 0
		.amdhsa_float_round_mode_16_64 0
		.amdhsa_float_denorm_mode_32 3
		.amdhsa_float_denorm_mode_16_64 3
		.amdhsa_dx10_clamp 1
		.amdhsa_ieee_mode 1
		.amdhsa_fp16_overflow 0
		.amdhsa_tg_split 0
		.amdhsa_exception_fp_ieee_invalid_op 0
		.amdhsa_exception_fp_denorm_src 0
		.amdhsa_exception_fp_ieee_div_zero 0
		.amdhsa_exception_fp_ieee_overflow 0
		.amdhsa_exception_fp_ieee_underflow 0
		.amdhsa_exception_fp_ieee_inexact 0
		.amdhsa_exception_int_div_zero 0
	.end_amdhsa_kernel
	.section	.text._ZN2at6native12_GLOBAL__N_114gatherKthValueIN3c108BFloat16ElLi2EEEvNS_4cuda6detail10TensorInfoIKT_T0_EESA_SA_SA_SA_NS7_IS8_SA_EENS7_IlSA_EE,"axG",@progbits,_ZN2at6native12_GLOBAL__N_114gatherKthValueIN3c108BFloat16ElLi2EEEvNS_4cuda6detail10TensorInfoIKT_T0_EESA_SA_SA_SA_NS7_IS8_SA_EENS7_IlSA_EE,comdat
.Lfunc_end69:
	.size	_ZN2at6native12_GLOBAL__N_114gatherKthValueIN3c108BFloat16ElLi2EEEvNS_4cuda6detail10TensorInfoIKT_T0_EESA_SA_SA_SA_NS7_IS8_SA_EENS7_IlSA_EE, .Lfunc_end69-_ZN2at6native12_GLOBAL__N_114gatherKthValueIN3c108BFloat16ElLi2EEEvNS_4cuda6detail10TensorInfoIKT_T0_EESA_SA_SA_SA_NS7_IS8_SA_EENS7_IlSA_EE
                                        ; -- End function
	.set _ZN2at6native12_GLOBAL__N_114gatherKthValueIN3c108BFloat16ElLi2EEEvNS_4cuda6detail10TensorInfoIKT_T0_EESA_SA_SA_SA_NS7_IS8_SA_EENS7_IlSA_EE.num_vgpr, 73
	.set _ZN2at6native12_GLOBAL__N_114gatherKthValueIN3c108BFloat16ElLi2EEEvNS_4cuda6detail10TensorInfoIKT_T0_EESA_SA_SA_SA_NS7_IS8_SA_EENS7_IlSA_EE.num_agpr, 0
	.set _ZN2at6native12_GLOBAL__N_114gatherKthValueIN3c108BFloat16ElLi2EEEvNS_4cuda6detail10TensorInfoIKT_T0_EESA_SA_SA_SA_NS7_IS8_SA_EENS7_IlSA_EE.numbered_sgpr, 100
	.set _ZN2at6native12_GLOBAL__N_114gatherKthValueIN3c108BFloat16ElLi2EEEvNS_4cuda6detail10TensorInfoIKT_T0_EESA_SA_SA_SA_NS7_IS8_SA_EENS7_IlSA_EE.num_named_barrier, 0
	.set _ZN2at6native12_GLOBAL__N_114gatherKthValueIN3c108BFloat16ElLi2EEEvNS_4cuda6detail10TensorInfoIKT_T0_EESA_SA_SA_SA_NS7_IS8_SA_EENS7_IlSA_EE.private_seg_size, 0
	.set _ZN2at6native12_GLOBAL__N_114gatherKthValueIN3c108BFloat16ElLi2EEEvNS_4cuda6detail10TensorInfoIKT_T0_EESA_SA_SA_SA_NS7_IS8_SA_EENS7_IlSA_EE.uses_vcc, 1
	.set _ZN2at6native12_GLOBAL__N_114gatherKthValueIN3c108BFloat16ElLi2EEEvNS_4cuda6detail10TensorInfoIKT_T0_EESA_SA_SA_SA_NS7_IS8_SA_EENS7_IlSA_EE.uses_flat_scratch, 0
	.set _ZN2at6native12_GLOBAL__N_114gatherKthValueIN3c108BFloat16ElLi2EEEvNS_4cuda6detail10TensorInfoIKT_T0_EESA_SA_SA_SA_NS7_IS8_SA_EENS7_IlSA_EE.has_dyn_sized_stack, 0
	.set _ZN2at6native12_GLOBAL__N_114gatherKthValueIN3c108BFloat16ElLi2EEEvNS_4cuda6detail10TensorInfoIKT_T0_EESA_SA_SA_SA_NS7_IS8_SA_EENS7_IlSA_EE.has_recursion, 0
	.set _ZN2at6native12_GLOBAL__N_114gatherKthValueIN3c108BFloat16ElLi2EEEvNS_4cuda6detail10TensorInfoIKT_T0_EESA_SA_SA_SA_NS7_IS8_SA_EENS7_IlSA_EE.has_indirect_call, 0
	.section	.AMDGPU.csdata,"",@progbits
; Kernel info:
; codeLenInByte = 20028
; TotalNumSgprs: 106
; NumVgprs: 73
; NumAgprs: 0
; TotalNumVgprs: 73
; ScratchSize: 0
; MemoryBound: 0
; FloatMode: 240
; IeeeMode: 1
; LDSByteSize: 5144 bytes/workgroup (compile time only)
; SGPRBlocks: 13
; VGPRBlocks: 9
; NumSGPRsForWavesPerEU: 106
; NumVGPRsForWavesPerEU: 73
; AccumOffset: 76
; Occupancy: 6
; WaveLimiterHint : 1
; COMPUTE_PGM_RSRC2:SCRATCH_EN: 0
; COMPUTE_PGM_RSRC2:USER_SGPR: 2
; COMPUTE_PGM_RSRC2:TRAP_HANDLER: 0
; COMPUTE_PGM_RSRC2:TGID_X_EN: 1
; COMPUTE_PGM_RSRC2:TGID_Y_EN: 1
; COMPUTE_PGM_RSRC2:TGID_Z_EN: 1
; COMPUTE_PGM_RSRC2:TIDIG_COMP_CNT: 0
; COMPUTE_PGM_RSRC3_GFX90A:ACCUM_OFFSET: 18
; COMPUTE_PGM_RSRC3_GFX90A:TG_SPLIT: 0
	.section	.text._ZN2at6native12_GLOBAL__N_114gatherKthValueIN3c108BFloat16ElLi3EEEvNS_4cuda6detail10TensorInfoIKT_T0_EESA_SA_SA_SA_NS7_IS8_SA_EENS7_IlSA_EE,"axG",@progbits,_ZN2at6native12_GLOBAL__N_114gatherKthValueIN3c108BFloat16ElLi3EEEvNS_4cuda6detail10TensorInfoIKT_T0_EESA_SA_SA_SA_NS7_IS8_SA_EENS7_IlSA_EE,comdat
	.globl	_ZN2at6native12_GLOBAL__N_114gatherKthValueIN3c108BFloat16ElLi3EEEvNS_4cuda6detail10TensorInfoIKT_T0_EESA_SA_SA_SA_NS7_IS8_SA_EENS7_IlSA_EE ; -- Begin function _ZN2at6native12_GLOBAL__N_114gatherKthValueIN3c108BFloat16ElLi3EEEvNS_4cuda6detail10TensorInfoIKT_T0_EESA_SA_SA_SA_NS7_IS8_SA_EENS7_IlSA_EE
	.p2align	8
	.type	_ZN2at6native12_GLOBAL__N_114gatherKthValueIN3c108BFloat16ElLi3EEEvNS_4cuda6detail10TensorInfoIKT_T0_EESA_SA_SA_SA_NS7_IS8_SA_EENS7_IlSA_EE,@function
_ZN2at6native12_GLOBAL__N_114gatherKthValueIN3c108BFloat16ElLi3EEEvNS_4cuda6detail10TensorInfoIKT_T0_EESA_SA_SA_SA_NS7_IS8_SA_EENS7_IlSA_EE: ; @_ZN2at6native12_GLOBAL__N_114gatherKthValueIN3c108BFloat16ElLi3EEEvNS_4cuda6detail10TensorInfoIKT_T0_EESA_SA_SA_SA_NS7_IS8_SA_EENS7_IlSA_EE
; %bb.0:
	s_load_dwordx2 s[14:15], s[0:1], 0x500
	s_load_dwordx8 s[56:63], s[0:1], 0x1a0
	s_add_u32 s12, s0, 0x500
	s_addc_u32 s13, s1, 0
	s_mov_b32 s43, 0
	s_waitcnt lgkmcnt(0)
	s_mul_i32 s4, s15, s4
	s_add_i32 s3, s4, s3
	s_mul_i32 s3, s3, s14
	s_add_i32 s42, s3, s2
	v_mov_b64_e32 v[2:3], s[42:43]
	v_cmp_le_i64_e32 vcc, s[60:61], v[2:3]
	s_cbranch_vccnz .LBB70_299
; %bb.1:
	s_load_dwordx4 s[4:7], s[0:1], 0x10
	s_mov_b32 s8, s43
	s_waitcnt lgkmcnt(0)
	s_mov_b32 s9, s7
	s_cmp_lg_u64 s[8:9], 0
	s_cbranch_scc0 .LBB70_18
; %bb.2:
	s_ashr_i32 s8, s7, 31
	s_add_u32 s10, s6, s8
	s_mov_b32 s9, s8
	s_addc_u32 s11, s7, s8
	s_xor_b64 s[16:17], s[10:11], s[8:9]
	v_cvt_f32_u32_e32 v1, s16
	v_cvt_f32_u32_e32 v2, s17
	s_sub_u32 s3, 0, s16
	s_subb_u32 s15, 0, s17
	v_fmamk_f32 v1, v2, 0x4f800000, v1
	v_rcp_f32_e32 v1, v1
	s_nop 0
	v_mul_f32_e32 v1, 0x5f7ffffc, v1
	v_mul_f32_e32 v2, 0x2f800000, v1
	v_trunc_f32_e32 v2, v2
	v_fmamk_f32 v1, v2, 0xcf800000, v1
	v_cvt_u32_f32_e32 v2, v2
	v_cvt_u32_f32_e32 v1, v1
	v_readfirstlane_b32 s20, v2
	v_readfirstlane_b32 s18, v1
	s_mul_i32 s19, s3, s20
	s_mul_hi_u32 s22, s3, s18
	s_mul_i32 s21, s15, s18
	s_add_i32 s19, s22, s19
	s_add_i32 s19, s19, s21
	s_mul_i32 s23, s3, s18
	s_mul_i32 s22, s18, s19
	s_mul_hi_u32 s24, s18, s23
	s_mul_hi_u32 s21, s18, s19
	s_add_u32 s22, s24, s22
	s_addc_u32 s21, 0, s21
	s_mul_hi_u32 s25, s20, s23
	s_mul_i32 s23, s20, s23
	s_add_u32 s22, s22, s23
	s_mul_hi_u32 s24, s20, s19
	s_addc_u32 s21, s21, s25
	s_addc_u32 s22, s24, 0
	s_mul_i32 s19, s20, s19
	s_add_u32 s19, s21, s19
	s_addc_u32 s21, 0, s22
	s_add_u32 s22, s18, s19
	s_cselect_b64 s[18:19], -1, 0
	s_cmp_lg_u64 s[18:19], 0
	s_addc_u32 s20, s20, s21
	s_mul_i32 s18, s3, s20
	s_mul_hi_u32 s19, s3, s22
	s_add_i32 s18, s19, s18
	s_mul_i32 s15, s15, s22
	s_add_i32 s18, s18, s15
	s_mul_i32 s3, s3, s22
	s_mul_hi_u32 s19, s20, s3
	s_mul_i32 s21, s20, s3
	s_mul_i32 s24, s22, s18
	s_mul_hi_u32 s3, s22, s3
	s_mul_hi_u32 s23, s22, s18
	s_add_u32 s3, s3, s24
	s_addc_u32 s23, 0, s23
	s_add_u32 s3, s3, s21
	s_mul_hi_u32 s15, s20, s18
	s_addc_u32 s3, s23, s19
	s_addc_u32 s15, s15, 0
	s_mul_i32 s18, s20, s18
	s_add_u32 s3, s3, s18
	s_addc_u32 s15, 0, s15
	s_add_u32 s3, s22, s3
	s_cselect_b64 s[18:19], -1, 0
	s_cmp_lg_u64 s[18:19], 0
	s_addc_u32 s15, s20, s15
	s_add_u32 s18, s42, 0
	s_addc_u32 s19, 0, 0
	s_xor_b64 s[18:19], s[18:19], 0
	s_mul_i32 s21, s18, s15
	s_mul_hi_u32 s22, s18, s3
	s_mul_hi_u32 s20, s18, s15
	s_add_u32 s21, s22, s21
	s_addc_u32 s20, 0, s20
	s_mul_hi_u32 s23, s19, s3
	s_mul_i32 s3, s19, s3
	s_add_u32 s3, s21, s3
	s_mul_hi_u32 s22, s19, s15
	s_addc_u32 s3, s20, s23
	s_addc_u32 s20, s22, 0
	s_mul_i32 s15, s19, s15
	s_add_u32 s3, s3, s15
	s_addc_u32 s15, 0, s20
	s_mul_i32 s20, s16, s15
	s_mul_hi_u32 s21, s16, s3
	s_add_i32 s20, s21, s20
	s_mul_i32 s21, s17, s3
	s_add_i32 s24, s20, s21
	s_sub_i32 s22, s19, s24
	s_mul_i32 s20, s16, s3
	s_sub_u32 s18, s18, s20
	s_cselect_b64 s[20:21], -1, 0
	s_cmp_lg_u64 s[20:21], 0
	s_subb_u32 s25, s22, s17
	s_sub_u32 s26, s18, s16
	s_cselect_b64 s[22:23], -1, 0
	s_cmp_lg_u64 s[22:23], 0
	s_subb_u32 s22, s25, 0
	s_cmp_ge_u32 s22, s17
	s_cselect_b32 s23, -1, 0
	s_cmp_ge_u32 s26, s16
	s_cselect_b32 s25, -1, 0
	s_cmp_eq_u32 s22, s17
	s_cselect_b32 s22, s25, s23
	s_add_u32 s23, s3, 1
	s_addc_u32 s25, s15, 0
	s_add_u32 s26, s3, 2
	s_addc_u32 s27, s15, 0
	s_cmp_lg_u32 s22, 0
	s_cselect_b32 s22, s26, s23
	s_cselect_b32 s23, s27, s25
	s_cmp_lg_u64 s[20:21], 0
	s_subb_u32 s19, s19, s24
	s_cmp_ge_u32 s19, s17
	s_cselect_b32 s20, -1, 0
	s_cmp_ge_u32 s18, s16
	s_cselect_b32 s16, -1, 0
	s_cmp_eq_u32 s19, s17
	s_cselect_b32 s16, s16, s20
	s_cmp_lg_u32 s16, 0
	s_cselect_b32 s17, s23, s15
	s_cselect_b32 s16, s22, s3
	s_xor_b64 s[8:9], 0, s[8:9]
	s_xor_b64 s[16:17], s[16:17], s[8:9]
	s_sub_u32 s16, s16, s8
	s_subb_u32 s17, s17, s9
	s_cbranch_execnz .LBB70_4
.LBB70_3:
	v_cvt_f32_u32_e32 v1, s6
	s_sub_i32 s3, 0, s6
	s_mov_b32 s17, 0
	v_rcp_iflag_f32_e32 v1, v1
	s_nop 0
	v_mul_f32_e32 v1, 0x4f7ffffe, v1
	v_cvt_u32_f32_e32 v1, v1
	s_nop 0
	v_readfirstlane_b32 s8, v1
	s_mul_i32 s3, s3, s8
	s_mul_hi_u32 s3, s8, s3
	s_add_i32 s8, s8, s3
	s_mul_hi_u32 s3, s42, s8
	s_mul_i32 s9, s3, s6
	s_sub_i32 s9, s42, s9
	s_add_i32 s8, s3, 1
	s_sub_i32 s10, s9, s6
	s_cmp_ge_u32 s9, s6
	s_cselect_b32 s3, s8, s3
	s_cselect_b32 s9, s10, s9
	s_add_i32 s8, s3, 1
	s_cmp_ge_u32 s9, s6
	s_cselect_b32 s16, s8, s3
.LBB70_4:
	s_or_b64 s[8:9], s[16:17], s[4:5]
	s_mov_b32 s8, 0
	s_cmp_lg_u64 s[8:9], 0
	s_cbranch_scc0 .LBB70_19
; %bb.5:
	s_ashr_i32 s10, s5, 31
	s_add_u32 s8, s4, s10
	s_mov_b32 s11, s10
	s_addc_u32 s9, s5, s10
	s_xor_b64 s[18:19], s[8:9], s[10:11]
	v_cvt_f32_u32_e32 v1, s18
	v_cvt_f32_u32_e32 v2, s19
	s_sub_u32 s3, 0, s18
	s_subb_u32 s15, 0, s19
	v_fmamk_f32 v1, v2, 0x4f800000, v1
	v_rcp_f32_e32 v1, v1
	s_nop 0
	v_mul_f32_e32 v1, 0x5f7ffffc, v1
	v_mul_f32_e32 v2, 0x2f800000, v1
	v_trunc_f32_e32 v2, v2
	v_fmamk_f32 v1, v2, 0xcf800000, v1
	v_cvt_u32_f32_e32 v2, v2
	v_cvt_u32_f32_e32 v1, v1
	v_readfirstlane_b32 s22, v2
	v_readfirstlane_b32 s20, v1
	s_mul_i32 s21, s3, s22
	s_mul_hi_u32 s24, s3, s20
	s_mul_i32 s23, s15, s20
	s_add_i32 s21, s24, s21
	s_add_i32 s21, s21, s23
	s_mul_i32 s25, s3, s20
	s_mul_i32 s24, s20, s21
	s_mul_hi_u32 s26, s20, s25
	s_mul_hi_u32 s23, s20, s21
	s_add_u32 s24, s26, s24
	s_addc_u32 s23, 0, s23
	s_mul_hi_u32 s27, s22, s25
	s_mul_i32 s25, s22, s25
	s_add_u32 s24, s24, s25
	s_mul_hi_u32 s26, s22, s21
	s_addc_u32 s23, s23, s27
	s_addc_u32 s24, s26, 0
	s_mul_i32 s21, s22, s21
	s_add_u32 s21, s23, s21
	s_addc_u32 s23, 0, s24
	s_add_u32 s24, s20, s21
	s_cselect_b64 s[20:21], -1, 0
	s_cmp_lg_u64 s[20:21], 0
	s_addc_u32 s22, s22, s23
	s_mul_i32 s20, s3, s22
	s_mul_hi_u32 s21, s3, s24
	s_add_i32 s20, s21, s20
	s_mul_i32 s15, s15, s24
	s_add_i32 s20, s20, s15
	s_mul_i32 s3, s3, s24
	s_mul_hi_u32 s21, s22, s3
	s_mul_i32 s23, s22, s3
	s_mul_i32 s26, s24, s20
	s_mul_hi_u32 s3, s24, s3
	s_mul_hi_u32 s25, s24, s20
	s_add_u32 s3, s3, s26
	s_addc_u32 s25, 0, s25
	s_add_u32 s3, s3, s23
	s_mul_hi_u32 s15, s22, s20
	s_addc_u32 s3, s25, s21
	s_addc_u32 s15, s15, 0
	s_mul_i32 s20, s22, s20
	s_add_u32 s3, s3, s20
	s_addc_u32 s15, 0, s15
	s_add_u32 s3, s24, s3
	s_cselect_b64 s[20:21], -1, 0
	s_cmp_lg_u64 s[20:21], 0
	s_addc_u32 s15, s22, s15
	s_ashr_i32 s20, s17, 31
	s_add_u32 s22, s16, s20
	s_mov_b32 s21, s20
	s_addc_u32 s23, s17, s20
	s_xor_b64 s[22:23], s[22:23], s[20:21]
	s_mul_i32 s25, s22, s15
	s_mul_hi_u32 s26, s22, s3
	s_mul_hi_u32 s24, s22, s15
	s_add_u32 s25, s26, s25
	s_addc_u32 s24, 0, s24
	s_mul_hi_u32 s27, s23, s3
	s_mul_i32 s3, s23, s3
	s_add_u32 s3, s25, s3
	s_mul_hi_u32 s26, s23, s15
	s_addc_u32 s3, s24, s27
	s_addc_u32 s24, s26, 0
	s_mul_i32 s15, s23, s15
	s_add_u32 s3, s3, s15
	s_addc_u32 s15, 0, s24
	s_mul_i32 s24, s18, s15
	s_mul_hi_u32 s25, s18, s3
	s_add_i32 s24, s25, s24
	s_mul_i32 s25, s19, s3
	s_add_i32 s28, s24, s25
	s_sub_i32 s26, s23, s28
	s_mul_i32 s24, s18, s3
	s_sub_u32 s22, s22, s24
	s_cselect_b64 s[24:25], -1, 0
	s_cmp_lg_u64 s[24:25], 0
	s_subb_u32 s29, s26, s19
	s_sub_u32 s30, s22, s18
	s_cselect_b64 s[26:27], -1, 0
	s_cmp_lg_u64 s[26:27], 0
	s_subb_u32 s26, s29, 0
	s_cmp_ge_u32 s26, s19
	s_cselect_b32 s27, -1, 0
	s_cmp_ge_u32 s30, s18
	s_cselect_b32 s29, -1, 0
	s_cmp_eq_u32 s26, s19
	s_cselect_b32 s26, s29, s27
	s_add_u32 s27, s3, 1
	s_addc_u32 s29, s15, 0
	s_add_u32 s30, s3, 2
	s_addc_u32 s31, s15, 0
	s_cmp_lg_u32 s26, 0
	s_cselect_b32 s26, s30, s27
	s_cselect_b32 s27, s31, s29
	s_cmp_lg_u64 s[24:25], 0
	s_subb_u32 s23, s23, s28
	s_cmp_ge_u32 s23, s19
	s_cselect_b32 s24, -1, 0
	s_cmp_ge_u32 s22, s18
	s_cselect_b32 s18, -1, 0
	s_cmp_eq_u32 s23, s19
	s_cselect_b32 s18, s18, s24
	s_cmp_lg_u32 s18, 0
	s_cselect_b32 s19, s27, s15
	s_cselect_b32 s18, s26, s3
	s_xor_b64 s[10:11], s[20:21], s[10:11]
	s_xor_b64 s[18:19], s[18:19], s[10:11]
	s_sub_u32 s18, s18, s10
	s_subb_u32 s19, s19, s11
	s_load_dwordx4 s[24:27], s[0:1], 0x1d0
	s_cbranch_execnz .LBB70_7
.LBB70_6:
	v_cvt_f32_u32_e32 v1, s4
	s_sub_i32 s3, 0, s4
	s_mov_b32 s19, 0
	v_rcp_iflag_f32_e32 v1, v1
	s_nop 0
	v_mul_f32_e32 v1, 0x4f7ffffe, v1
	v_cvt_u32_f32_e32 v1, v1
	s_nop 0
	v_readfirstlane_b32 s8, v1
	s_mul_i32 s3, s3, s8
	s_mul_hi_u32 s3, s8, s3
	s_add_i32 s8, s8, s3
	s_mul_hi_u32 s3, s16, s8
	s_mul_i32 s9, s3, s4
	s_sub_i32 s9, s16, s9
	s_add_i32 s8, s3, 1
	s_sub_i32 s10, s9, s4
	s_cmp_ge_u32 s9, s4
	s_cselect_b32 s3, s8, s3
	s_cselect_b32 s9, s10, s9
	s_add_i32 s8, s3, 1
	s_cmp_ge_u32 s9, s4
	s_cselect_b32 s18, s8, s3
.LBB70_7:
                                        ; implicit-def: $vgpr73 : SGPR spill to VGPR lane
	s_waitcnt lgkmcnt(0)
	s_mov_b32 s9, s27
	v_writelane_b32 v73, s24, 0
	s_mov_b32 s8, 0
	s_cmp_lg_u64 s[8:9], 0
	v_writelane_b32 v73, s25, 1
	v_writelane_b32 v73, s26, 2
	;; [unrolled: 1-line block ×3, first 2 shown]
	s_cbranch_scc0 .LBB70_20
; %bb.8:
	s_ashr_i32 s8, s27, 31
	s_add_u32 s10, s26, s8
	s_mov_b32 s9, s8
	s_addc_u32 s11, s27, s8
	s_xor_b64 s[20:21], s[10:11], s[8:9]
	v_cvt_f32_u32_e32 v1, s20
	v_cvt_f32_u32_e32 v2, s21
	s_sub_u32 s3, 0, s20
	s_subb_u32 s15, 0, s21
	v_fmamk_f32 v1, v2, 0x4f800000, v1
	v_rcp_f32_e32 v1, v1
	s_nop 0
	v_mul_f32_e32 v1, 0x5f7ffffc, v1
	v_mul_f32_e32 v2, 0x2f800000, v1
	v_trunc_f32_e32 v2, v2
	v_fmamk_f32 v1, v2, 0xcf800000, v1
	v_cvt_u32_f32_e32 v2, v2
	v_cvt_u32_f32_e32 v1, v1
	v_readfirstlane_b32 s24, v2
	v_readfirstlane_b32 s22, v1
	s_mul_i32 s23, s3, s24
	s_mul_hi_u32 s26, s3, s22
	s_mul_i32 s25, s15, s22
	s_add_i32 s23, s26, s23
	s_add_i32 s23, s23, s25
	s_mul_i32 s27, s3, s22
	s_mul_i32 s26, s22, s23
	s_mul_hi_u32 s28, s22, s27
	s_mul_hi_u32 s25, s22, s23
	s_add_u32 s26, s28, s26
	s_addc_u32 s25, 0, s25
	s_mul_hi_u32 s29, s24, s27
	s_mul_i32 s27, s24, s27
	s_add_u32 s26, s26, s27
	s_mul_hi_u32 s28, s24, s23
	s_addc_u32 s25, s25, s29
	s_addc_u32 s26, s28, 0
	s_mul_i32 s23, s24, s23
	s_add_u32 s23, s25, s23
	s_addc_u32 s25, 0, s26
	s_add_u32 s26, s22, s23
	s_cselect_b64 s[22:23], -1, 0
	s_cmp_lg_u64 s[22:23], 0
	s_addc_u32 s24, s24, s25
	s_mul_i32 s22, s3, s24
	s_mul_hi_u32 s23, s3, s26
	s_add_i32 s22, s23, s22
	s_mul_i32 s15, s15, s26
	s_add_i32 s22, s22, s15
	s_mul_i32 s3, s3, s26
	s_mul_hi_u32 s23, s24, s3
	s_mul_i32 s25, s24, s3
	s_mul_i32 s28, s26, s22
	s_mul_hi_u32 s3, s26, s3
	s_mul_hi_u32 s27, s26, s22
	s_add_u32 s3, s3, s28
	s_addc_u32 s27, 0, s27
	s_add_u32 s3, s3, s25
	s_mul_hi_u32 s15, s24, s22
	s_addc_u32 s3, s27, s23
	s_addc_u32 s15, s15, 0
	s_mul_i32 s22, s24, s22
	s_add_u32 s3, s3, s22
	s_addc_u32 s15, 0, s15
	s_add_u32 s3, s26, s3
	s_cselect_b64 s[22:23], -1, 0
	s_cmp_lg_u64 s[22:23], 0
	s_addc_u32 s15, s24, s15
	s_add_u32 s22, s42, 0
	s_addc_u32 s23, 0, 0
	s_xor_b64 s[22:23], s[22:23], 0
	s_mul_i32 s25, s22, s15
	s_mul_hi_u32 s26, s22, s3
	s_mul_hi_u32 s24, s22, s15
	s_add_u32 s25, s26, s25
	s_addc_u32 s24, 0, s24
	s_mul_hi_u32 s27, s23, s3
	s_mul_i32 s3, s23, s3
	s_add_u32 s3, s25, s3
	s_mul_hi_u32 s26, s23, s15
	s_addc_u32 s3, s24, s27
	s_addc_u32 s24, s26, 0
	s_mul_i32 s15, s23, s15
	s_add_u32 s3, s3, s15
	s_addc_u32 s15, 0, s24
	s_mul_i32 s24, s20, s15
	s_mul_hi_u32 s25, s20, s3
	s_add_i32 s24, s25, s24
	s_mul_i32 s25, s21, s3
	s_add_i32 s28, s24, s25
	s_sub_i32 s26, s23, s28
	s_mul_i32 s24, s20, s3
	s_sub_u32 s22, s22, s24
	s_cselect_b64 s[24:25], -1, 0
	s_cmp_lg_u64 s[24:25], 0
	s_subb_u32 s29, s26, s21
	s_sub_u32 s30, s22, s20
	s_cselect_b64 s[26:27], -1, 0
	s_cmp_lg_u64 s[26:27], 0
	s_subb_u32 s26, s29, 0
	s_cmp_ge_u32 s26, s21
	s_cselect_b32 s27, -1, 0
	s_cmp_ge_u32 s30, s20
	s_cselect_b32 s29, -1, 0
	s_cmp_eq_u32 s26, s21
	s_cselect_b32 s26, s29, s27
	s_add_u32 s27, s3, 1
	s_addc_u32 s29, s15, 0
	s_add_u32 s30, s3, 2
	s_addc_u32 s31, s15, 0
	s_cmp_lg_u32 s26, 0
	s_cselect_b32 s26, s30, s27
	s_cselect_b32 s27, s31, s29
	s_cmp_lg_u64 s[24:25], 0
	s_subb_u32 s23, s23, s28
	s_cmp_ge_u32 s23, s21
	s_cselect_b32 s24, -1, 0
	s_cmp_ge_u32 s22, s20
	s_cselect_b32 s20, -1, 0
	s_cmp_eq_u32 s23, s21
	s_cselect_b32 s20, s20, s24
	s_cmp_lg_u32 s20, 0
	s_cselect_b32 s21, s27, s15
	s_cselect_b32 s20, s26, s3
	s_load_dwordx4 s[24:27], s[0:1], 0x1d0
	s_xor_b64 s[8:9], 0, s[8:9]
	s_xor_b64 s[20:21], s[20:21], s[8:9]
	s_sub_u32 s30, s20, s8
	s_subb_u32 s31, s21, s9
	s_cbranch_execnz .LBB70_10
.LBB70_9:
	s_waitcnt lgkmcnt(0)
	v_cvt_f32_u32_e32 v1, s26
	s_sub_i32 s3, 0, s26
	s_mov_b32 s31, 0
	v_rcp_iflag_f32_e32 v1, v1
	s_nop 0
	v_mul_f32_e32 v1, 0x4f7ffffe, v1
	v_cvt_u32_f32_e32 v1, v1
	s_nop 0
	v_readfirstlane_b32 s8, v1
	s_mul_i32 s3, s3, s8
	s_mul_hi_u32 s3, s8, s3
	s_add_i32 s8, s8, s3
	s_mul_hi_u32 s3, s42, s8
	s_mul_i32 s9, s3, s26
	s_sub_i32 s9, s42, s9
	s_add_i32 s8, s3, 1
	s_sub_i32 s10, s9, s26
	s_cmp_ge_u32 s9, s26
	s_cselect_b32 s3, s8, s3
	s_cselect_b32 s9, s10, s9
	s_add_i32 s8, s3, 1
	s_cmp_ge_u32 s9, s26
	s_cselect_b32 s30, s8, s3
.LBB70_10:
	s_waitcnt lgkmcnt(0)
	s_or_b64 s[8:9], s[30:31], s[24:25]
	s_mov_b32 s8, 0
	s_cmp_lg_u64 s[8:9], 0
	v_writelane_b32 v73, s30, 4
	s_nop 1
	v_writelane_b32 v73, s31, 5
	s_cbranch_scc0 .LBB70_21
; %bb.11:
	s_ashr_i32 s10, s25, 31
	s_add_u32 s8, s24, s10
	s_mov_b32 s11, s10
	s_addc_u32 s9, s25, s10
	s_xor_b64 s[20:21], s[8:9], s[10:11]
	v_cvt_f32_u32_e32 v1, s20
	v_cvt_f32_u32_e32 v2, s21
	s_sub_u32 s3, 0, s20
	s_subb_u32 s15, 0, s21
	v_fmamk_f32 v1, v2, 0x4f800000, v1
	v_rcp_f32_e32 v1, v1
	s_nop 0
	v_mul_f32_e32 v1, 0x5f7ffffc, v1
	v_mul_f32_e32 v2, 0x2f800000, v1
	v_trunc_f32_e32 v2, v2
	v_fmamk_f32 v1, v2, 0xcf800000, v1
	v_cvt_u32_f32_e32 v2, v2
	v_cvt_u32_f32_e32 v1, v1
	v_readfirstlane_b32 s24, v2
	v_readfirstlane_b32 s22, v1
	s_mul_i32 s23, s3, s24
	s_mul_hi_u32 s26, s3, s22
	s_mul_i32 s25, s15, s22
	s_add_i32 s23, s26, s23
	s_add_i32 s23, s23, s25
	s_mul_i32 s27, s3, s22
	s_mul_i32 s26, s22, s23
	s_mul_hi_u32 s28, s22, s27
	s_mul_hi_u32 s25, s22, s23
	s_add_u32 s26, s28, s26
	s_addc_u32 s25, 0, s25
	s_mul_hi_u32 s29, s24, s27
	s_mul_i32 s27, s24, s27
	s_add_u32 s26, s26, s27
	s_mul_hi_u32 s28, s24, s23
	s_addc_u32 s25, s25, s29
	s_addc_u32 s26, s28, 0
	s_mul_i32 s23, s24, s23
	s_add_u32 s23, s25, s23
	s_addc_u32 s25, 0, s26
	s_add_u32 s26, s22, s23
	s_cselect_b64 s[22:23], -1, 0
	s_cmp_lg_u64 s[22:23], 0
	s_addc_u32 s24, s24, s25
	s_mul_i32 s22, s3, s24
	s_mul_hi_u32 s23, s3, s26
	s_add_i32 s22, s23, s22
	s_mul_i32 s15, s15, s26
	s_add_i32 s22, s22, s15
	s_mul_i32 s3, s3, s26
	s_mul_hi_u32 s23, s24, s3
	s_mul_i32 s25, s24, s3
	s_mul_i32 s28, s26, s22
	s_mul_hi_u32 s3, s26, s3
	s_mul_hi_u32 s27, s26, s22
	s_add_u32 s3, s3, s28
	s_addc_u32 s27, 0, s27
	s_add_u32 s3, s3, s25
	s_mul_hi_u32 s15, s24, s22
	s_addc_u32 s3, s27, s23
	s_addc_u32 s15, s15, 0
	s_mul_i32 s22, s24, s22
	s_add_u32 s3, s3, s22
	s_addc_u32 s15, 0, s15
	s_add_u32 s3, s26, s3
	s_cselect_b64 s[22:23], -1, 0
	s_cmp_lg_u64 s[22:23], 0
	s_addc_u32 s15, s24, s15
	s_ashr_i32 s22, s31, 31
	s_add_u32 s24, s30, s22
	s_mov_b32 s23, s22
	s_addc_u32 s25, s31, s22
	s_xor_b64 s[24:25], s[24:25], s[22:23]
	s_mul_i32 s27, s24, s15
	s_mul_hi_u32 s28, s24, s3
	s_mul_hi_u32 s26, s24, s15
	s_add_u32 s27, s28, s27
	s_addc_u32 s26, 0, s26
	s_mul_hi_u32 s29, s25, s3
	s_mul_i32 s3, s25, s3
	s_add_u32 s3, s27, s3
	s_mul_hi_u32 s28, s25, s15
	s_addc_u32 s3, s26, s29
	s_addc_u32 s26, s28, 0
	s_mul_i32 s15, s25, s15
	s_add_u32 s3, s3, s15
	s_addc_u32 s15, 0, s26
	s_mul_i32 s26, s20, s15
	s_mul_hi_u32 s27, s20, s3
	s_add_i32 s26, s27, s26
	s_mul_i32 s27, s21, s3
	s_add_i32 s30, s26, s27
	s_sub_i32 s28, s25, s30
	s_mul_i32 s26, s20, s3
	s_sub_u32 s24, s24, s26
	s_cselect_b64 s[26:27], -1, 0
	s_cmp_lg_u64 s[26:27], 0
	s_subb_u32 s31, s28, s21
	s_sub_u32 s33, s24, s20
	s_cselect_b64 s[28:29], -1, 0
	s_cmp_lg_u64 s[28:29], 0
	s_subb_u32 s28, s31, 0
	s_cmp_ge_u32 s28, s21
	s_cselect_b32 s29, -1, 0
	s_cmp_ge_u32 s33, s20
	s_cselect_b32 s31, -1, 0
	s_cmp_eq_u32 s28, s21
	s_cselect_b32 s28, s31, s29
	s_add_u32 s29, s3, 1
	s_addc_u32 s31, s15, 0
	s_add_u32 s33, s3, 2
	s_addc_u32 s34, s15, 0
	s_cmp_lg_u32 s28, 0
	s_cselect_b32 s28, s33, s29
	s_cselect_b32 s29, s34, s31
	s_cmp_lg_u64 s[26:27], 0
	s_subb_u32 s25, s25, s30
	s_cmp_ge_u32 s25, s21
	s_cselect_b32 s26, -1, 0
	s_cmp_ge_u32 s24, s20
	s_cselect_b32 s20, -1, 0
	s_cmp_eq_u32 s25, s21
	s_cselect_b32 s20, s20, s26
	s_load_dwordx4 s[24:27], s[0:1], 0x1d0
	s_cmp_lg_u32 s20, 0
	s_cselect_b32 s21, s29, s15
	s_cselect_b32 s20, s28, s3
	s_xor_b64 s[10:11], s[22:23], s[10:11]
	s_xor_b64 s[20:21], s[20:21], s[10:11]
	s_sub_u32 s20, s20, s10
	s_subb_u32 s21, s21, s11
	s_load_dwordx4 s[44:47], s[0:1], 0x370
	s_cbranch_execnz .LBB70_13
.LBB70_12:
	s_waitcnt lgkmcnt(0)
	v_cvt_f32_u32_e32 v1, s24
	s_sub_i32 s3, 0, s24
	v_readlane_b32 s10, v73, 4
	s_mov_b32 s21, 0
	v_rcp_iflag_f32_e32 v1, v1
	v_readlane_b32 s11, v73, 5
	v_mul_f32_e32 v1, 0x4f7ffffe, v1
	v_cvt_u32_f32_e32 v1, v1
	s_nop 0
	v_readfirstlane_b32 s8, v1
	s_mul_i32 s3, s3, s8
	s_mul_hi_u32 s3, s8, s3
	s_add_i32 s8, s8, s3
	s_mul_hi_u32 s3, s10, s8
	s_mul_i32 s9, s3, s24
	s_sub_i32 s9, s10, s9
	s_add_i32 s8, s3, 1
	s_sub_i32 s10, s9, s24
	s_cmp_ge_u32 s9, s24
	s_cselect_b32 s3, s8, s3
	s_cselect_b32 s9, s10, s9
	s_add_i32 s8, s3, 1
	s_cmp_ge_u32 s9, s24
	s_cselect_b32 s20, s8, s3
.LBB70_13:
	s_mov_b32 s8, 0
	s_waitcnt lgkmcnt(0)
	s_mov_b32 s9, s47
	v_writelane_b32 v73, s20, 6
	s_cmp_lg_u64 s[8:9], 0
	s_nop 0
	v_writelane_b32 v73, s21, 7
	s_cbranch_scc0 .LBB70_22
; %bb.14:
	s_ashr_i32 s8, s47, 31
	s_add_u32 s10, s46, s8
	s_mov_b32 s9, s8
	s_addc_u32 s11, s47, s8
	s_xor_b64 s[20:21], s[10:11], s[8:9]
	v_cvt_f32_u32_e32 v1, s20
	v_cvt_f32_u32_e32 v2, s21
	s_sub_u32 s3, 0, s20
	s_subb_u32 s15, 0, s21
	v_fmamk_f32 v1, v2, 0x4f800000, v1
	v_rcp_f32_e32 v1, v1
	s_nop 0
	v_mul_f32_e32 v1, 0x5f7ffffc, v1
	v_mul_f32_e32 v2, 0x2f800000, v1
	v_trunc_f32_e32 v2, v2
	v_fmamk_f32 v1, v2, 0xcf800000, v1
	v_cvt_u32_f32_e32 v2, v2
	v_cvt_u32_f32_e32 v1, v1
	v_readfirstlane_b32 s24, v2
	v_readfirstlane_b32 s22, v1
	s_mul_i32 s23, s3, s24
	s_mul_hi_u32 s26, s3, s22
	s_mul_i32 s25, s15, s22
	s_add_i32 s23, s26, s23
	s_add_i32 s23, s23, s25
	s_mul_i32 s27, s3, s22
	s_mul_i32 s26, s22, s23
	s_mul_hi_u32 s28, s22, s27
	s_mul_hi_u32 s25, s22, s23
	s_add_u32 s26, s28, s26
	s_addc_u32 s25, 0, s25
	s_mul_hi_u32 s29, s24, s27
	s_mul_i32 s27, s24, s27
	s_add_u32 s26, s26, s27
	s_mul_hi_u32 s28, s24, s23
	s_addc_u32 s25, s25, s29
	s_addc_u32 s26, s28, 0
	s_mul_i32 s23, s24, s23
	s_add_u32 s23, s25, s23
	s_addc_u32 s25, 0, s26
	s_add_u32 s26, s22, s23
	s_cselect_b64 s[22:23], -1, 0
	s_cmp_lg_u64 s[22:23], 0
	s_addc_u32 s24, s24, s25
	s_mul_i32 s22, s3, s24
	s_mul_hi_u32 s23, s3, s26
	s_add_i32 s22, s23, s22
	s_mul_i32 s15, s15, s26
	s_add_i32 s22, s22, s15
	s_mul_i32 s3, s3, s26
	s_mul_hi_u32 s23, s24, s3
	s_mul_i32 s25, s24, s3
	s_mul_i32 s28, s26, s22
	s_mul_hi_u32 s3, s26, s3
	s_mul_hi_u32 s27, s26, s22
	s_add_u32 s3, s3, s28
	s_addc_u32 s27, 0, s27
	s_add_u32 s3, s3, s25
	s_mul_hi_u32 s15, s24, s22
	s_addc_u32 s3, s27, s23
	s_addc_u32 s15, s15, 0
	s_mul_i32 s22, s24, s22
	s_add_u32 s3, s3, s22
	s_addc_u32 s15, 0, s15
	s_add_u32 s3, s26, s3
	s_cselect_b64 s[22:23], -1, 0
	s_cmp_lg_u64 s[22:23], 0
	s_addc_u32 s15, s24, s15
	s_add_u32 s22, s42, 0
	s_addc_u32 s23, 0, 0
	s_xor_b64 s[22:23], s[22:23], 0
	s_mul_i32 s25, s22, s15
	s_mul_hi_u32 s26, s22, s3
	s_mul_hi_u32 s24, s22, s15
	s_add_u32 s25, s26, s25
	s_addc_u32 s24, 0, s24
	s_mul_hi_u32 s27, s23, s3
	s_mul_i32 s3, s23, s3
	s_add_u32 s3, s25, s3
	s_mul_hi_u32 s26, s23, s15
	s_addc_u32 s3, s24, s27
	s_addc_u32 s24, s26, 0
	s_mul_i32 s15, s23, s15
	s_add_u32 s3, s3, s15
	s_addc_u32 s15, 0, s24
	s_mul_i32 s24, s20, s15
	s_mul_hi_u32 s25, s20, s3
	s_add_i32 s24, s25, s24
	s_mul_i32 s25, s21, s3
	s_add_i32 s28, s24, s25
	s_sub_i32 s26, s23, s28
	s_mul_i32 s24, s20, s3
	s_sub_u32 s22, s22, s24
	s_cselect_b64 s[24:25], -1, 0
	s_cmp_lg_u64 s[24:25], 0
	s_subb_u32 s29, s26, s21
	s_sub_u32 s30, s22, s20
	s_cselect_b64 s[26:27], -1, 0
	s_cmp_lg_u64 s[26:27], 0
	s_subb_u32 s26, s29, 0
	s_cmp_ge_u32 s26, s21
	s_cselect_b32 s27, -1, 0
	s_cmp_ge_u32 s30, s20
	s_cselect_b32 s29, -1, 0
	s_cmp_eq_u32 s26, s21
	s_cselect_b32 s26, s29, s27
	s_add_u32 s27, s3, 1
	s_addc_u32 s29, s15, 0
	s_add_u32 s30, s3, 2
	s_addc_u32 s31, s15, 0
	s_cmp_lg_u32 s26, 0
	s_cselect_b32 s26, s30, s27
	s_cselect_b32 s27, s31, s29
	s_cmp_lg_u64 s[24:25], 0
	s_subb_u32 s23, s23, s28
	s_cmp_ge_u32 s23, s21
	s_cselect_b32 s24, -1, 0
	s_cmp_ge_u32 s22, s20
	s_cselect_b32 s20, -1, 0
	s_cmp_eq_u32 s23, s21
	s_cselect_b32 s20, s20, s24
	s_cmp_lg_u32 s20, 0
	s_cselect_b32 s21, s27, s15
	s_cselect_b32 s20, s26, s3
	s_xor_b64 s[8:9], 0, s[8:9]
	s_xor_b64 s[20:21], s[20:21], s[8:9]
	s_sub_u32 s48, s20, s8
	s_subb_u32 s49, s21, s9
	s_cbranch_execnz .LBB70_16
.LBB70_15:
	v_cvt_f32_u32_e32 v1, s46
	s_sub_i32 s3, 0, s46
	s_mov_b32 s49, 0
	v_rcp_iflag_f32_e32 v1, v1
	s_nop 0
	v_mul_f32_e32 v1, 0x4f7ffffe, v1
	v_cvt_u32_f32_e32 v1, v1
	s_nop 0
	v_readfirstlane_b32 s8, v1
	s_mul_i32 s3, s3, s8
	s_mul_hi_u32 s3, s8, s3
	s_add_i32 s8, s8, s3
	s_mul_hi_u32 s3, s42, s8
	s_mul_i32 s9, s3, s46
	s_sub_i32 s9, s42, s9
	s_add_i32 s8, s3, 1
	s_sub_i32 s10, s9, s46
	s_cmp_ge_u32 s9, s46
	s_cselect_b32 s3, s8, s3
	s_cselect_b32 s9, s10, s9
	s_add_i32 s8, s3, 1
	s_cmp_ge_u32 s9, s46
	s_cselect_b32 s48, s8, s3
.LBB70_16:
	s_load_dwordx2 s[20:21], s[0:1], 0xe0
	s_load_dwordx4 s[8:11], s[0:1], 0xd0
	s_or_b64 s[22:23], s[48:49], s[44:45]
	s_mov_b32 s22, 0
	s_cmp_lg_u64 s[22:23], 0
	s_cbranch_scc0 .LBB70_23
; %bb.17:
	s_ashr_i32 s22, s45, 31
	s_add_u32 s24, s44, s22
	s_mov_b32 s23, s22
	s_addc_u32 s25, s45, s22
	s_xor_b64 s[26:27], s[24:25], s[22:23]
	v_cvt_f32_u32_e32 v1, s26
	v_cvt_f32_u32_e32 v2, s27
	s_sub_u32 s3, 0, s26
	s_subb_u32 s15, 0, s27
	s_mov_b64 s[24:25], 0
	v_fmamk_f32 v1, v2, 0x4f800000, v1
	v_rcp_f32_e32 v1, v1
	s_nop 0
	v_mul_f32_e32 v1, 0x5f7ffffc, v1
	v_mul_f32_e32 v2, 0x2f800000, v1
	v_trunc_f32_e32 v2, v2
	v_fmamk_f32 v1, v2, 0xcf800000, v1
	v_cvt_u32_f32_e32 v2, v2
	v_cvt_u32_f32_e32 v1, v1
	v_readfirstlane_b32 s30, v2
	v_readfirstlane_b32 s28, v1
	s_mul_i32 s29, s3, s30
	s_mul_hi_u32 s33, s3, s28
	s_mul_i32 s31, s15, s28
	s_add_i32 s29, s33, s29
	s_add_i32 s29, s29, s31
	s_mul_i32 s34, s3, s28
	s_mul_i32 s33, s28, s29
	s_mul_hi_u32 s35, s28, s34
	s_mul_hi_u32 s31, s28, s29
	s_add_u32 s33, s35, s33
	s_addc_u32 s31, 0, s31
	s_mul_hi_u32 s36, s30, s34
	s_mul_i32 s34, s30, s34
	s_add_u32 s33, s33, s34
	s_mul_hi_u32 s35, s30, s29
	s_addc_u32 s31, s31, s36
	s_addc_u32 s33, s35, 0
	s_mul_i32 s29, s30, s29
	s_add_u32 s29, s31, s29
	s_addc_u32 s31, 0, s33
	s_add_u32 s33, s28, s29
	s_cselect_b64 s[28:29], -1, 0
	s_cmp_lg_u64 s[28:29], 0
	s_addc_u32 s30, s30, s31
	s_mul_i32 s28, s3, s30
	s_mul_hi_u32 s29, s3, s33
	s_add_i32 s28, s29, s28
	s_mul_i32 s15, s15, s33
	s_add_i32 s28, s28, s15
	s_mul_i32 s3, s3, s33
	s_mul_hi_u32 s29, s30, s3
	s_mul_i32 s31, s30, s3
	s_mul_i32 s35, s33, s28
	s_mul_hi_u32 s3, s33, s3
	s_mul_hi_u32 s34, s33, s28
	s_add_u32 s3, s3, s35
	s_addc_u32 s34, 0, s34
	s_add_u32 s3, s3, s31
	s_mul_hi_u32 s15, s30, s28
	s_addc_u32 s3, s34, s29
	s_addc_u32 s15, s15, 0
	s_mul_i32 s28, s30, s28
	s_add_u32 s3, s3, s28
	s_addc_u32 s15, 0, s15
	s_add_u32 s3, s33, s3
	s_cselect_b64 s[28:29], -1, 0
	s_cmp_lg_u64 s[28:29], 0
	s_addc_u32 s15, s30, s15
	s_ashr_i32 s28, s49, 31
	s_add_u32 s30, s48, s28
	s_mov_b32 s29, s28
	s_addc_u32 s31, s49, s28
	s_xor_b64 s[30:31], s[30:31], s[28:29]
	s_mul_i32 s34, s30, s15
	s_mul_hi_u32 s35, s30, s3
	s_mul_hi_u32 s33, s30, s15
	s_add_u32 s34, s35, s34
	s_addc_u32 s33, 0, s33
	s_mul_hi_u32 s36, s31, s3
	s_mul_i32 s3, s31, s3
	s_add_u32 s3, s34, s3
	s_mul_hi_u32 s35, s31, s15
	s_addc_u32 s3, s33, s36
	s_addc_u32 s33, s35, 0
	s_mul_i32 s15, s31, s15
	s_add_u32 s3, s3, s15
	s_addc_u32 s15, 0, s33
	s_mul_i32 s33, s26, s15
	s_mul_hi_u32 s34, s26, s3
	s_add_i32 s33, s34, s33
	s_mul_i32 s34, s27, s3
	s_add_i32 s33, s33, s34
	s_sub_i32 s36, s31, s33
	s_mul_i32 s34, s26, s3
	s_sub_u32 s30, s30, s34
	s_cselect_b64 s[34:35], -1, 0
	s_cmp_lg_u64 s[34:35], 0
	s_subb_u32 s38, s36, s27
	s_sub_u32 s39, s30, s26
	s_cselect_b64 s[36:37], -1, 0
	s_cmp_lg_u64 s[36:37], 0
	s_subb_u32 s36, s38, 0
	s_cmp_ge_u32 s36, s27
	s_cselect_b32 s37, -1, 0
	s_cmp_ge_u32 s39, s26
	s_cselect_b32 s38, -1, 0
	s_cmp_eq_u32 s36, s27
	s_cselect_b32 s36, s38, s37
	s_add_u32 s37, s3, 1
	s_addc_u32 s38, s15, 0
	s_add_u32 s39, s3, 2
	s_addc_u32 s40, s15, 0
	s_cmp_lg_u32 s36, 0
	s_cselect_b32 s36, s39, s37
	s_cselect_b32 s37, s40, s38
	s_cmp_lg_u64 s[34:35], 0
	s_subb_u32 s31, s31, s33
	s_cmp_ge_u32 s31, s27
	s_cselect_b32 s33, -1, 0
	s_cmp_ge_u32 s30, s26
	s_cselect_b32 s26, -1, 0
	s_cmp_eq_u32 s31, s27
	s_cselect_b32 s26, s26, s33
	s_cmp_lg_u32 s26, 0
	s_cselect_b32 s27, s37, s15
	s_cselect_b32 s26, s36, s3
	s_xor_b64 s[22:23], s[28:29], s[22:23]
	s_xor_b64 s[26:27], s[26:27], s[22:23]
	s_sub_u32 s22, s26, s22
	s_subb_u32 s23, s27, s23
	v_writelane_b32 v73, s22, 20
	s_nop 1
	v_writelane_b32 v73, s23, 21
	s_branch .LBB70_24
.LBB70_18:
                                        ; implicit-def: $sgpr16_sgpr17
	s_branch .LBB70_3
.LBB70_19:
                                        ; implicit-def: $sgpr18_sgpr19
	s_load_dwordx4 s[24:27], s[0:1], 0x1d0
	s_branch .LBB70_6
.LBB70_20:
                                        ; implicit-def: $sgpr30_sgpr31
	s_branch .LBB70_9
.LBB70_21:
                                        ; implicit-def: $sgpr20_sgpr21
	s_load_dwordx4 s[44:47], s[0:1], 0x370
	s_branch .LBB70_12
.LBB70_22:
                                        ; implicit-def: $sgpr48_sgpr49
	s_branch .LBB70_15
.LBB70_23:
	s_mov_b64 s[24:25], -1
                                        ; implicit-def: $sgpr22_sgpr23
                                        ; kill: killed $sgpr22_sgpr23
.LBB70_24:
	s_load_dwordx2 s[22:23], s[0:1], 0x440
	s_load_dwordx4 s[28:31], s[0:1], 0x430
	s_andn2_b64 vcc, exec, s[24:25]
	s_waitcnt lgkmcnt(0)
	v_writelane_b32 v73, s22, 8
	s_nop 1
	v_writelane_b32 v73, s23, 9
	s_load_dwordx2 s[22:23], s[0:1], 0x2a0
	v_writelane_b32 v73, s28, 10
	s_nop 1
	v_writelane_b32 v73, s29, 11
	v_writelane_b32 v73, s30, 12
	;; [unrolled: 1-line block ×3, first 2 shown]
	s_load_dwordx4 s[28:31], s[0:1], 0x290
	s_waitcnt lgkmcnt(0)
	v_writelane_b32 v73, s22, 14
	s_nop 1
	v_writelane_b32 v73, s23, 15
	s_load_dwordx2 s[22:23], s[0:1], 0x0
	v_writelane_b32 v73, s28, 16
	s_nop 1
	v_writelane_b32 v73, s29, 17
	v_writelane_b32 v73, s30, 18
	;; [unrolled: 1-line block ×3, first 2 shown]
	s_cbranch_vccnz .LBB70_26
; %bb.25:
	v_cvt_f32_u32_e32 v1, s44
	s_sub_i32 s3, 0, s44
	s_mov_b32 s27, 0
	v_rcp_iflag_f32_e32 v1, v1
	s_nop 0
	v_mul_f32_e32 v1, 0x4f7ffffe, v1
	v_cvt_u32_f32_e32 v1, v1
	s_nop 0
	v_readfirstlane_b32 s15, v1
	s_mul_i32 s3, s3, s15
	s_mul_hi_u32 s3, s15, s3
	s_add_i32 s15, s15, s3
	s_mul_hi_u32 s3, s48, s15
	s_mul_i32 s24, s3, s44
	s_sub_i32 s24, s48, s24
	s_add_i32 s15, s3, 1
	s_sub_i32 s25, s24, s44
	s_cmp_ge_u32 s24, s44
	s_cselect_b32 s3, s15, s3
	s_cselect_b32 s24, s25, s24
	s_add_i32 s15, s3, 1
	s_cmp_ge_u32 s24, s44
	s_cselect_b32 s26, s15, s3
	v_writelane_b32 v73, s26, 20
	s_nop 1
	v_writelane_b32 v73, s27, 21
.LBB70_26:
	v_writelane_b32 v73, s48, 22
	s_load_dwordx2 s[24:25], s[0:1], 0x360
	s_mov_b32 s99, 0
	v_writelane_b32 v73, s49, 23
	v_writelane_b32 v73, s44, 24
	s_load_dwordx2 s[0:1], s[0:1], 0x1c0
	s_nop 0
	v_writelane_b32 v73, s45, 25
	v_writelane_b32 v73, s46, 26
	;; [unrolled: 1-line block ×3, first 2 shown]
	s_waitcnt lgkmcnt(0)
	v_writelane_b32 v73, s24, 28
	s_nop 1
	v_writelane_b32 v73, s25, 29
	v_writelane_b32 v73, s0, 30
	v_cmp_eq_u32_e64 s[24:25], 0, v0
	s_nop 0
	v_writelane_b32 v73, s1, 31
	s_mov_b64 s[0:1], exec
	v_writelane_b32 v73, s24, 32
	s_nop 1
	v_writelane_b32 v73, s25, 33
	s_and_b64 s[24:25], s[0:1], s[24:25]
	s_mov_b64 exec, s[24:25]
	s_cbranch_execz .LBB70_28
; %bb.27:
	v_mov_b32_e32 v2, 0
	v_mov_b32_e32 v4, s56
	;; [unrolled: 1-line block ×4, first 2 shown]
	ds_write_b32 v2, v2 offset:5136
	ds_write_b128 v2, v[2:5] offset:5120
.LBB70_28:
	s_or_b64 exec, exec, s[0:1]
	s_mul_i32 s0, s18, s5
	s_mul_hi_u32 s1, s18, s4
	s_add_i32 s0, s1, s0
	s_mul_i32 s1, s19, s4
	s_add_i32 s0, s0, s1
	s_mul_i32 s1, s18, s4
	s_sub_u32 s1, s16, s1
	s_subb_u32 s0, s17, s0
	s_mul_i32 s3, s1, s11
	s_mul_hi_u32 s4, s1, s10
	s_add_i32 s3, s4, s3
	s_mul_i32 s0, s0, s10
	s_add_i32 s5, s3, s0
	s_mul_i32 s4, s1, s10
	s_mul_i32 s0, s18, s9
	s_mul_hi_u32 s1, s18, s8
	s_mul_i32 s3, s16, s7
	s_mul_hi_u32 s7, s16, s6
	s_add_i32 s0, s1, s0
	s_mul_i32 s1, s19, s8
	s_add_i32 s3, s7, s3
	s_mul_i32 s7, s17, s6
	s_add_i32 s1, s0, s1
	s_mul_i32 s0, s18, s8
	s_add_i32 s3, s3, s7
	s_mul_i32 s6, s16, s6
	s_mov_b32 s8, s42
	v_writelane_b32 v73, s8, 34
	s_sub_u32 s6, s42, s6
	s_subb_u32 s3, 0, s3
	v_writelane_b32 v73, s9, 35
	s_mul_i32 s7, s6, s21
	s_mul_hi_u32 s8, s6, s20
	s_add_i32 s7, s8, s7
	s_mul_i32 s3, s3, s20
	s_add_i32 s7, s7, s3
	s_lshl_b64 s[0:1], s[0:1], 1
	s_add_u32 s3, s22, s0
	s_addc_u32 s8, s23, s1
	s_lshl_b64 s[10:11], s[4:5], 1
	s_mul_i32 s6, s6, s20
	s_add_u32 s3, s3, s10
	v_mbcnt_lo_u32_b32 v1, -1, 0
	s_addc_u32 s4, s8, s11
	s_lshl_b64 s[16:17], s[6:7], 1
	v_mbcnt_hi_u32_b32 v42, -1, v1
	s_add_u32 s8, s3, s16
	v_cmp_gt_u32_e32 vcc, 64, v0
	v_cmp_gt_i32_e64 s[6:7], 4, v42
	s_addc_u32 s9, s4, s17
	s_and_b64 s[6:7], vcc, s[6:7]
	v_writelane_b32 v73, s6, 36
	v_mov_b64_e32 v[4:5], 0x600
	s_waitcnt lgkmcnt(0)
	v_writelane_b32 v73, s7, 37
	v_cmp_gt_u32_e64 s[6:7], 2, v0
	s_barrier
	s_nop 0
	v_writelane_b32 v73, s6, 38
	s_load_dword s3, s[12:13], 0xc
	v_mov_b32_e32 v3, 0
	v_writelane_b32 v73, s7, 39
	v_cmp_gt_i64_e64 s[6:7], s[56:57], v[4:5]
	v_mov_b32_e32 v1, v3
	s_waitcnt lgkmcnt(0)
	s_and_b32 s96, s3, 0xffff
	v_writelane_b32 v73, s6, 40
	s_bfe_u32 s3, s3, 0xa0006
	s_cmp_gt_u32 s96, 63
	v_writelane_b32 v73, s7, 41
	v_mad_u64_u32 v[4:5], s[6:7], s62, v0, 0
	v_mov_b32_e32 v2, v5
	v_mad_u64_u32 v[6:7], s[6:7], s63, v0, v[2:3]
	v_cmp_gt_i64_e64 s[6:7], s[56:57], v[0:1]
	v_lshlrev_b32_e32 v2, 2, v42
	v_and_b32_e32 v45, 0x100, v2
	v_writelane_b32 v73, s6, 42
	v_lshrrev_b32_e32 v2, 1, v0
	v_and_b32_e32 v2, 0x1e0, v2
	v_writelane_b32 v73, s7, 43
	s_cselect_b64 s[6:7], -1, 0
	v_lshlrev_b64 v[8:9], v42, -1
	v_writelane_b32 v73, s6, 44
	v_or_b32_e32 v46, 0xc00, v2
	v_add_u32_e32 v2, 2, v0
	v_not_b32_e32 v18, v8
	v_writelane_b32 v73, s7, 45
	s_add_u32 s6, s96, -1
	v_mov_b32_e32 v8, s57
	v_cmp_gt_i64_e32 vcc, s[56:57], v[2:3]
	v_not_b32_e32 v19, v9
	s_addc_u32 s7, 0, -1
	v_cndmask_b32_e32 v9, 0, v8, vcc
	v_mov_b32_e32 v8, s56
	s_add_u32 s75, s6, s56
	v_cndmask_b32_e32 v8, v2, v8, vcc
	v_mov_b32_e32 v21, -1
	v_not_b32_e32 v20, v0
	v_writelane_b32 v73, s6, 46
	s_addc_u32 s77, s7, s57
	v_lshl_add_u64 v[8:9], v[8:9], 0, v[20:21]
	v_writelane_b32 v73, s7, 47
	s_cmp_lt_u32 s2, s14
	v_cmp_lt_u64_e64 s[6:7], 3, v[8:9]
	s_cselect_b32 s2, 12, 18
	s_add_u32 s94, s12, s2
	v_writelane_b32 v73, s6, 48
	s_mov_b32 s2, s62
	v_and_b32_e32 v22, -4, v8
	v_writelane_b32 v73, s7, 49
	v_mov_b32_e32 v23, v9
	v_writelane_b32 v73, s2, 50
	s_mov_b32 s2, s63
	v_writelane_b32 v73, s2, 51
	v_cmp_ne_u64_e64 s[6:7], v[8:9], v[22:23]
	s_addc_u32 s95, s13, 0
	s_add_i32 s2, s3, -1
	v_writelane_b32 v73, s6, 52
	s_and_b32 s2, s2, 0xffff
	v_lshlrev_b32_e32 v20, 3, v0
	v_writelane_b32 v73, s7, 53
	s_bfe_u32 s6, s96, 0x30006
	s_cmp_gt_u32 s2, 6
	s_cselect_b64 s[12:13], -1, 0
	s_and_b32 s90, s3, 0x3f8
	s_cmp_lg_u32 s6, 0
	v_writelane_b32 v73, s12, 54
	s_cselect_b64 s[2:3], -1, 0
	s_add_u32 s0, s0, s16
	v_writelane_b32 v73, s13, 55
	s_addc_u32 s1, s1, s17
	v_writelane_b32 v73, s6, 56
	s_add_u32 s0, s0, s10
	v_writelane_b32 v73, s2, 57
	s_addc_u32 s1, s1, s11
	v_or_b32_e32 v8, 6, v20
	v_writelane_b32 v73, s3, 58
	s_add_u32 s2, s22, s0
	s_addc_u32 s3, s23, s1
	s_lshl_b64 s[0:1], s[62:63], 1
	v_writelane_b32 v73, s0, 59
                                        ; implicit-def: $vgpr72 : SGPR spill to VGPR lane
	s_mov_b32 s88, s62
	s_mov_b32 s89, s63
	v_writelane_b32 v73, s1, 60
	v_mad_u64_u32 v[26:27], s[0:1], s62, v8, 0
	v_mov_b32_e32 v2, v27
	v_mad_u64_u32 v[8:9], s[0:1], s63, v8, v[2:3]
	v_mov_b32_e32 v27, v8
	v_or_b32_e32 v8, 4, v20
	v_mad_u64_u32 v[28:29], s[0:1], s62, v8, 0
	v_mov_b32_e32 v2, v29
	v_writelane_b32 v73, s2, 61
	v_mad_u64_u32 v[8:9], s[0:1], s63, v8, v[2:3]
	s_nop 0
	v_writelane_b32 v73, s3, 62
	v_mov_b32_e32 v29, v8
	v_or_b32_e32 v8, 2, v20
	v_writelane_b32 v73, s94, 63
	v_mad_u64_u32 v[30:31], s[0:1], s62, v8, 0
	s_nop 0
	v_writelane_b32 v72, s95, 0
	v_writelane_b32 v72, s88, 1
	s_mov_b32 s55, s62
	v_mov_b32_e32 v2, v31
	v_writelane_b32 v72, s89, 2
	s_mov_b32 s54, s63
	v_mad_u64_u32 v[8:9], s[0:1], s63, v8, v[2:3]
	v_writelane_b32 v72, s55, 3
	v_mov_b32_e32 v5, v6
	s_mov_b32 s49, s62
	s_mul_i32 s0, s63, s96
	s_mul_hi_u32 s1, s62, s96
	v_writelane_b32 v72, s54, 4
	v_lshlrev_b32_e32 v43, 1, v0
	v_lshlrev_b64 v[6:7], 1, v[4:5]
	s_mov_b32 s50, s63
	v_mov_b32_e32 v2, 0xc00
	s_add_i32 s1, s1, s0
	s_mul_i32 s0, s62, s96
	v_writelane_b32 v72, s49, 5
	v_cmp_eq_u32_e64 s[4:5], 0, v42
	v_add_u32_e32 v44, 0xc00, v43
	v_lshl_add_u64 v[14:15], s[8:9], 0, v[6:7]
	v_lshlrev_b32_e32 v16, 2, v0
	v_mov_b32_e32 v17, v3
	s_mov_b32 s33, 0xffff
	s_mov_b32 s97, s99
	v_lshl_add_u64 v[24:25], v[22:23], 0, v[0:1]
	s_lshl_b64 s[82:83], s[62:63], 3
	v_mov_b32_e32 v31, v8
	v_lshlrev_b64 v[32:33], 3, v[4:5]
	v_lshl_add_u64 v[34:35], s[56:57], 0, v[0:1]
	v_lshl_or_b32 v47, v42, 3, v2
	v_lshl_add_u64 v[12:13], s[2:3], 0, v[6:7]
	s_lshl_b64 s[92:93], s[0:1], 1
	s_lshl_b32 s51, s96, 1
	s_mov_b32 s74, 14
	s_mov_b64 s[86:87], 0
	v_mov_b64_e32 v[36:37], s[58:59]
	s_mov_b32 s69, 0x5040100
	v_mov_b64_e32 v[56:57], s[56:57]
	s_movk_i32 s70, 0x3f80
	v_mov_b32_e32 v49, 0xffff
	v_mov_b32_e32 v50, 0x8000
	;; [unrolled: 1-line block ×6, first 2 shown]
	s_mov_b32 s71, 0
	v_writelane_b32 v72, s50, 6
                                        ; implicit-def: $sgpr58_sgpr59
                                        ; implicit-def: $sgpr84_sgpr85
                                        ; implicit-def: $sgpr60_sgpr61
                                        ; implicit-def: $sgpr30_sgpr31
                                        ; implicit-def: $sgpr72_sgpr73
                                        ; implicit-def: $sgpr78_sgpr79
	v_writelane_b32 v72, s51, 7
	s_branch .LBB70_32
.LBB70_29:                              ;   in Loop: Header=BB70_32 Depth=1
	s_or_b64 exec, exec, s[14:15]
	s_and_b64 s[6:7], s[6:7], exec
	s_andn2_b64 s[24:25], s[24:25], exec
	s_andn2_b64 s[2:3], s[2:3], exec
	s_orn2_b64 s[18:19], s[12:13], exec
.LBB70_30:                              ;   in Loop: Header=BB70_32 Depth=1
	s_or_b64 exec, exec, s[0:1]
	s_andn2_b64 s[0:1], s[78:79], exec
	s_and_b64 s[6:7], s[6:7], exec
	s_or_b64 s[78:79], s[0:1], s[6:7]
	s_andn2_b64 s[0:1], s[64:65], exec
	s_and_b64 s[6:7], s[24:25], exec
	s_or_b64 s[64:65], s[0:1], s[6:7]
	;; [unrolled: 3-line block ×3, first 2 shown]
	s_orn2_b64 s[2:3], s[18:19], exec
.LBB70_31:                              ;   in Loop: Header=BB70_32 Depth=1
	s_or_b64 exec, exec, s[16:17]
	s_and_b64 s[0:1], exec, s[2:3]
	s_or_b64 s[86:87], s[0:1], s[86:87]
	s_andn2_b64 s[0:1], s[60:61], exec
	s_and_b64 s[2:3], s[78:79], exec
	s_or_b64 s[60:61], s[0:1], s[2:3]
	s_andn2_b64 s[0:1], s[84:85], exec
	s_and_b64 s[2:3], s[64:65], exec
	;; [unrolled: 3-line block ×3, first 2 shown]
	s_mov_b64 s[72:73], s[64:65]
	s_or_b64 s[58:59], s[0:1], s[2:3]
	v_mov_b64_e32 v[36:37], v[8:9]
	s_andn2_b64 exec, exec, s[86:87]
	s_cbranch_execz .LBB70_295
.LBB70_32:                              ; =>This Loop Header: Depth=1
                                        ;     Child Loop BB70_37 Depth 2
                                        ;     Child Loop BB70_51 Depth 2
	;; [unrolled: 1-line block ×17, first 2 shown]
	ds_read_b128 v[4:7], v3 offset:5120
	s_waitcnt lgkmcnt(0)
	v_readfirstlane_b32 s65, v5
	v_readfirstlane_b32 s64, v4
	s_nop 1
	v_cmp_gt_i64_e64 s[0:1], s[64:65], 0
	s_and_b64 vcc, exec, s[0:1]
	s_cbranch_vccnz .LBB70_64
; %bb.33:                               ;   in Loop: Header=BB70_32 Depth=1
	v_readlane_b32 s0, v73, 40
	v_readlane_b32 s1, v73, 41
	s_and_b64 vcc, exec, s[0:1]
	s_cbranch_vccz .LBB70_45
; %bb.34:                               ;   in Loop: Header=BB70_32 Depth=1
	s_mov_b64 s[0:1], 0x601
	v_cmp_gt_i64_e32 vcc, s[0:1], v[6:7]
	s_mov_b64 s[0:1], 0
	s_mov_b64 s[2:3], 0
	s_cbranch_vccz .LBB70_46
; %bb.35:                               ;   in Loop: Header=BB70_32 Depth=1
	global_load_ushort v6, v3, s[94:95]
	global_load_ushort v8, v[14:15], off
	v_readlane_b32 s2, v73, 61
	v_readlane_b32 s3, v73, 62
	;; [unrolled: 1-line block ×4, first 2 shown]
	v_mov_b64_e32 v[4:5], s[2:3]
	s_mov_b64 s[6:7], 0
	s_waitcnt vmcnt(1)
	v_and_b32_e32 v2, 0xffff, v6
	v_readfirstlane_b32 s2, v6
	v_lshl_add_u64 v[6:7], v[0:1], 0, v[2:3]
	s_and_b32 s12, 0xffff, s2
	v_mad_u64_u32 v[4:5], s[2:3], s10, v6, v[4:5]
	v_mul_lo_u32 v7, s10, v7
	v_mul_lo_u32 v9, s11, v6
	s_mul_i32 s2, s11, s12
	s_mul_hi_u32 s3, s10, s12
	s_mul_i32 s12, s10, s12
	v_add3_u32 v5, v9, v5, v7
	s_add_i32 s13, s3, s2
	v_mov_b64_e32 v[6:7], v[0:1]
	s_branch .LBB70_37
.LBB70_36:                              ;   in Loop: Header=BB70_37 Depth=2
	s_or_b64 exec, exec, s[2:3]
	v_lshl_add_u64 v[4:5], v[4:5], 0, s[12:13]
	v_mov_b32_e32 v8, v9
	s_andn2_b64 exec, exec, s[6:7]
	s_cbranch_execz .LBB70_98
.LBB70_37:                              ;   Parent Loop BB70_32 Depth=1
                                        ; =>  This Inner Loop Header: Depth=2
	v_lshl_add_u64 v[6:7], v[6:7], 0, v[2:3]
	v_cmp_gt_i64_e64 s[2:3], s[56:57], v[6:7]
	v_cmp_le_i64_e32 vcc, s[56:57], v[6:7]
	s_waitcnt lgkmcnt(0)
	v_mov_b32_e32 v10, 0
	v_mov_b32_e32 v9, 0
	s_and_saveexec_b64 s[14:15], s[2:3]
	s_cbranch_execz .LBB70_39
; %bb.38:                               ;   in Loop: Header=BB70_37 Depth=2
	global_load_ushort v9, v[4:5], off
.LBB70_39:                              ;   in Loop: Header=BB70_37 Depth=2
	s_or_b64 exec, exec, s[14:15]
	s_waitcnt vmcnt(0)
	v_cmp_lt_i16_e64 s[2:3], -1, v8
	v_lshlrev_b32_e32 v38, 16, v8
	s_nop 0
	v_cndmask_b32_e64 v11, v49, v50, s[2:3]
	v_xor_b32_sdwa v11, v11, v8 dst_sel:DWORD dst_unused:UNUSED_PAD src0_sel:DWORD src1_sel:WORD_0
	v_cmp_o_f32_e64 s[2:3], v38, v38
	s_nop 1
	v_cndmask_b32_e64 v11, v49, v11, s[2:3]
	v_and_b32_e32 v11, v11, v52
	v_cmp_eq_u32_e64 s[14:15], v11, v48
	s_cmp_lg_u64 s[14:15], 0
	s_cselect_b64 s[2:3], -1, 0
	s_and_b64 s[2:3], s[4:5], s[2:3]
	s_and_saveexec_b64 s[16:17], s[2:3]
	s_cbranch_execz .LBB70_43
; %bb.40:                               ;   in Loop: Header=BB70_37 Depth=2
	s_mov_b64 s[20:21], exec
	v_mbcnt_lo_u32_b32 v10, s20, 0
	v_mbcnt_hi_u32_b32 v10, s21, v10
	s_bcnt1_i32_b64 s22, s[14:15]
	v_cmp_eq_u32_e64 s[2:3], 0, v10
                                        ; implicit-def: $vgpr11
	s_and_saveexec_b64 s[18:19], s[2:3]
; %bb.41:                               ;   in Loop: Header=BB70_37 Depth=2
	s_bcnt1_i32_b64 s2, s[20:21]
	s_mul_i32 s2, s22, s2
	v_mov_b32_e32 v11, s2
	ds_add_rtn_u32 v11, v3, v11 offset:5136
; %bb.42:                               ;   in Loop: Header=BB70_37 Depth=2
	s_or_b64 exec, exec, s[18:19]
	s_waitcnt lgkmcnt(0)
	v_readfirstlane_b32 s2, v11
	s_nop 1
	v_mov_b32_e32 v11, s2
	v_mad_u32_u24 v10, s22, v10, v11
.LBB70_43:                              ;   in Loop: Header=BB70_37 Depth=2
	s_or_b64 exec, exec, s[16:17]
	ds_bpermute_b32 v10, v45, v10
	s_and_b64 s[2:3], exec, vcc
	s_or_b64 s[6:7], s[2:3], s[6:7]
	s_and_saveexec_b64 s[2:3], s[14:15]
	s_cbranch_execz .LBB70_36
; %bb.44:                               ;   in Loop: Header=BB70_37 Depth=2
	v_and_b32_e32 v38, s14, v18
	v_and_b32_e32 v11, s15, v19
	v_bcnt_u32_b32 v38, v38, 0
	v_bcnt_u32_b32 v11, v11, v38
	v_lshlrev_b32_e32 v11, 1, v11
	s_waitcnt lgkmcnt(0)
	v_lshl_add_u32 v10, v10, 1, v11
	ds_write_b16 v10, v8
	s_branch .LBB70_36
.LBB70_45:                              ;   in Loop: Header=BB70_32 Depth=1
	s_mov_b64 s[0:1], -1
	s_mov_b64 s[2:3], 0
.LBB70_46:                              ;   in Loop: Header=BB70_32 Depth=1
	s_and_b64 vcc, exec, s[0:1]
	s_cbranch_vccz .LBB70_62
.LBB70_47:                              ;   in Loop: Header=BB70_32 Depth=1
	s_mov_b64 s[0:1], exec
	v_readlane_b32 s2, v73, 42
	v_readlane_b32 s3, v73, 43
	s_and_b64 s[2:3], s[0:1], s[2:3]
	s_mov_b64 exec, s[2:3]
	s_cbranch_execz .LBB70_59
; %bb.48:                               ;   in Loop: Header=BB70_32 Depth=1
	global_load_ushort v2, v3, s[94:95]
	global_load_ushort v40, v[14:15], off
	v_mov_b32_e32 v8, v0
	s_waitcnt vmcnt(1)
	v_readfirstlane_b32 s6, v2
	v_add_u32_sdwa v2, v2, v0 dst_sel:DWORD dst_unused:UNUSED_PAD src0_sel:WORD_0 src1_sel:DWORD
	v_cmp_gt_i64_e32 vcc, s[56:57], v[2:3]
	s_and_saveexec_b64 s[2:3], vcc
	s_cbranch_execz .LBB70_58
; %bb.49:                               ;   in Loop: Header=BB70_32 Depth=1
	s_and_b32 s98, s6, 0xffff
	s_cmp_eq_u32 s98, 1
	v_readlane_b32 s10, v73, 48
	s_cselect_b64 s[6:7], -1, 0
	v_readlane_b32 s11, v73, 49
	s_and_b64 s[14:15], s[10:11], s[6:7]
	s_mov_b64 s[12:13], -1
	v_mov_b64_e32 v[6:7], v[0:1]
	v_mov_b64_e32 v[4:5], v[2:3]
                                        ; implicit-def: $vgpr8_vgpr9
	s_and_saveexec_b64 s[6:7], s[14:15]
	v_readlane_b32 s10, v73, 50
	v_readlane_b32 s11, v73, 51
	s_cbranch_execz .LBB70_53
; %bb.50:                               ;   in Loop: Header=BB70_32 Depth=1
	v_lshl_add_u64 v[8:9], v[2:3], 0, 3
	v_lshl_add_u64 v[6:7], v[2:3], 0, 2
	;; [unrolled: 1-line block ×3, first 2 shown]
	v_mov_b64_e32 v[10:11], v[8:9]
	s_waitcnt vmcnt(0)
	v_lshlrev_b32_e32 v54, 16, v40
	s_mov_b64 s[12:13], 0
	v_mov_b64_e32 v[38:39], v[22:23]
	v_mov_b32_e32 v41, v43
	v_mov_b64_e32 v[8:9], v[6:7]
	v_mov_b64_e32 v[6:7], v[4:5]
	;; [unrolled: 1-line block ×3, first 2 shown]
.LBB70_51:                              ;   Parent Loop BB70_32 Depth=1
                                        ; =>  This Inner Loop Header: Depth=2
	v_mul_lo_u32 v40, v11, s49
	v_mul_lo_u32 v55, v10, s50
	v_mad_u64_u32 v[58:59], s[14:15], v10, s49, 0
	v_mul_lo_u32 v66, v9, s55
	v_mul_lo_u32 v67, v8, s54
	v_mad_u64_u32 v[60:61], s[14:15], v8, s55, 0
	;; [unrolled: 3-line block ×4, first 2 shown]
	v_add3_u32 v59, v59, v55, v40
	v_add3_u32 v61, v61, v67, v66
	v_add3_u32 v63, v63, v69, v68
	v_add3_u32 v65, v65, v71, v70
	v_lshl_add_u64 v[60:61], v[60:61], 1, s[8:9]
	v_lshl_add_u64 v[58:59], v[58:59], 1, s[8:9]
	;; [unrolled: 1-line block ×4, first 2 shown]
	global_load_ushort v55, v[60:61], off
	global_load_ushort v40, v[58:59], off
	s_nop 0
	global_load_ushort v58, v[62:63], off
	global_load_ushort v59, v[64:65], off
	v_lshl_add_u64 v[38:39], v[38:39], 0, -4
	v_cmp_eq_u64_e32 vcc, 0, v[38:39]
	v_lshl_add_u64 v[10:11], v[10:11], 0, 4
	v_lshl_add_u64 v[8:9], v[8:9], 0, 4
	;; [unrolled: 1-line block ×4, first 2 shown]
	s_or_b64 s[12:13], vcc, s[12:13]
	s_waitcnt vmcnt(2)
	v_perm_b32 v60, v40, v55, s69
	s_waitcnt vmcnt(1)
	v_perm_b32 v55, v55, v58, s69
	s_waitcnt vmcnt(0)
	v_alignbit_b32 v54, v59, v54, 16
	ds_write_b64 v41, v[54:55]
	v_add_u32_e32 v41, 8, v41
	v_mov_b32_e32 v54, v60
	s_andn2_b64 exec, exec, s[12:13]
	s_cbranch_execnz .LBB70_51
; %bb.52:                               ;   in Loop: Header=BB70_32 Depth=1
	s_or_b64 exec, exec, s[12:13]
	v_readlane_b32 s10, v73, 52
	v_lshl_add_u64 v[4:5], v[2:3], 0, v[22:23]
	v_readlane_b32 s11, v73, 53
	v_lshl_add_u64 v[8:9], v[4:5], 0, -1
	s_orn2_b64 s[12:13], s[10:11], exec
	v_mov_b64_e32 v[6:7], v[24:25]
.LBB70_53:                              ;   in Loop: Header=BB70_32 Depth=1
	s_or_b64 exec, exec, s[6:7]
	s_and_saveexec_b64 s[6:7], s[12:13]
	s_cbranch_execz .LBB70_57
; %bb.54:                               ;   in Loop: Header=BB70_32 Depth=1
	v_readlane_b32 s10, v73, 61
	v_readlane_b32 s11, v73, 62
	s_sub_u32 s12, 0, s98
	s_mov_b64 s[14:15], 0
	v_mov_b64_e32 v[8:9], s[10:11]
	v_readlane_b32 s10, v73, 59
	v_readlane_b32 s11, v73, 60
	s_subb_u32 s13, 0, 0
	v_mad_u64_u32 v[8:9], s[16:17], s10, v4, v[8:9]
	v_mul_lo_u32 v2, s10, v5
	v_mul_lo_u32 v7, s11, v4
	s_mul_i32 s16, s11, s98
	s_mul_hi_u32 s17, s10, s98
	v_add3_u32 v9, v7, v9, v2
	s_add_i32 s17, s17, s16
	s_mul_i32 s16, s10, s98
.LBB70_55:                              ;   Parent Loop BB70_32 Depth=1
                                        ; =>  This Inner Loop Header: Depth=2
	s_waitcnt vmcnt(0)
	v_mov_b32_e32 v2, v40
	global_load_ushort v40, v[8:9], off
	v_mov_b64_e32 v[10:11], v[4:5]
	v_lshlrev_b32_e32 v4, 1, v6
	ds_write_b16 v4, v2
	v_lshl_add_u64 v[4:5], v[10:11], 0, s[98:99]
	v_cmp_le_i64_e32 vcc, s[56:57], v[4:5]
	v_lshl_add_u64 v[8:9], v[8:9], 0, s[16:17]
	s_or_b64 s[14:15], vcc, s[14:15]
	v_mov_b64_e32 v[6:7], v[10:11]
	s_andn2_b64 exec, exec, s[14:15]
	s_cbranch_execnz .LBB70_55
; %bb.56:                               ;   in Loop: Header=BB70_32 Depth=1
	s_or_b64 exec, exec, s[14:15]
	v_lshl_add_u64 v[8:9], s[12:13], 0, v[4:5]
.LBB70_57:                              ;   in Loop: Header=BB70_32 Depth=1
	s_or_b64 exec, exec, s[6:7]
.LBB70_58:                              ;   in Loop: Header=BB70_32 Depth=1
	s_or_b64 exec, exec, s[2:3]
	v_lshlrev_b32_e32 v2, 1, v8
	s_waitcnt vmcnt(0)
	ds_write_b16 v2, v40
.LBB70_59:                              ;   in Loop: Header=BB70_32 Depth=1
	s_or_b64 exec, exec, s[0:1]
	s_waitcnt lgkmcnt(0)
	s_barrier
	s_mov_b64 s[0:1], exec
	v_readlane_b32 s2, v73, 32
	v_readlane_b32 s3, v73, 33
	s_and_b64 s[2:3], s[0:1], s[2:3]
	s_mov_b64 exec, s[2:3]
; %bb.60:                               ;   in Loop: Header=BB70_32 Depth=1
	ds_write_b64 v3, v[56:57] offset:5120
; %bb.61:                               ;   in Loop: Header=BB70_32 Depth=1
	s_or_b64 exec, exec, s[0:1]
	s_mov_b64 s[2:3], -1
	s_waitcnt lgkmcnt(0)
	s_barrier
.LBB70_62:                              ;   in Loop: Header=BB70_32 Depth=1
	s_and_b64 vcc, exec, s[2:3]
	s_cbranch_vccz .LBB70_64
; %bb.63:                               ;   in Loop: Header=BB70_32 Depth=1
	ds_read_b64 v[4:5], v3 offset:5120
	s_waitcnt lgkmcnt(0)
	v_readfirstlane_b32 s64, v4
.LBB70_64:                              ;   in Loop: Header=BB70_32 Depth=1
	s_cmp_lt_i32 s64, 1
	s_mov_b64 s[0:1], -1
                                        ; implicit-def: $vgpr4_vgpr5
                                        ; implicit-def: $vgpr8_vgpr9
	s_cbranch_scc1 .LBB70_74
; %bb.65:                               ;   in Loop: Header=BB70_32 Depth=1
	s_and_b64 vcc, exec, s[0:1]
	s_cbranch_vccnz .LBB70_88
.LBB70_66:                              ;   in Loop: Header=BB70_32 Depth=1
	s_lshl_b32 s2, s71, 6
	s_and_saveexec_b64 s[0:1], s[4:5]
	s_cbranch_execz .LBB70_68
.LBB70_67:                              ;   in Loop: Header=BB70_32 Depth=1
	v_lshl_add_u32 v2, s2, 3, v46
	ds_write_b128 v2, v[4:7]
	ds_write_b128 v2, v[8:11] offset:16
.LBB70_68:                              ;   in Loop: Header=BB70_32 Depth=1
	s_or_b64 exec, exec, s[0:1]
	s_waitcnt lgkmcnt(0)
	s_barrier
	s_mov_b64 s[0:1], exec
	v_readlane_b32 s6, v73, 36
	v_readlane_b32 s7, v73, 37
	s_and_b64 s[6:7], s[0:1], s[6:7]
	s_mov_b64 exec, s[6:7]
	s_cbranch_execz .LBB70_106
; %bb.69:                               ;   in Loop: Header=BB70_32 Depth=1
	v_readlane_b32 s6, v73, 44
	v_readlane_b32 s7, v73, 45
	s_andn2_b64 vcc, exec, s[6:7]
	v_mov_b64_e32 v[4:5], 0
	s_cbranch_vccnz .LBB70_105
; %bb.70:                               ;   in Loop: Header=BB70_32 Depth=1
	v_readlane_b32 s6, v73, 54
	v_readlane_b32 s7, v73, 55
	s_andn2_b64 vcc, exec, s[6:7]
	s_cbranch_vccnz .LBB70_101
; %bb.71:                               ;   in Loop: Header=BB70_32 Depth=1
	v_lshl_add_u32 v2, s71, 9, v47
	v_mov_b64_e32 v[4:5], 0
	s_mov_b32 s3, 0
.LBB70_72:                              ;   Parent Loop BB70_32 Depth=1
                                        ; =>  This Inner Loop Header: Depth=2
	ds_read2_b64 v[6:9], v2 offset1:4
	ds_read2_b64 v[38:41], v2 offset0:8 offset1:12
	ds_read2_b64 v[58:61], v2 offset0:16 offset1:20
	;; [unrolled: 1-line block ×3, first 2 shown]
	s_add_i32 s3, s3, 8
	s_waitcnt lgkmcnt(3)
	v_lshl_add_u64 v[4:5], v[6:7], 0, v[4:5]
	v_lshl_add_u64 v[4:5], v[8:9], 0, v[4:5]
	s_waitcnt lgkmcnt(2)
	v_lshl_add_u64 v[4:5], v[38:39], 0, v[4:5]
	v_lshl_add_u64 v[4:5], v[40:41], 0, v[4:5]
	;; [unrolled: 3-line block ×3, first 2 shown]
	s_waitcnt lgkmcnt(0)
	v_lshl_add_u64 v[4:5], v[62:63], 0, v[4:5]
	v_add_u32_e32 v2, 0x100, v2
	s_cmp_eq_u32 s90, s3
	v_lshl_add_u64 v[4:5], v[64:65], 0, v[4:5]
	s_cbranch_scc0 .LBB70_72
; %bb.73:                               ;   in Loop: Header=BB70_32 Depth=1
	s_mov_b32 s3, s90
	s_branch .LBB70_102
.LBB70_74:                              ;   in Loop: Header=BB70_32 Depth=1
	global_load_ushort v2, v3, s[94:95]
	s_mov_b32 s0, s99
	s_mov_b32 s10, s90
	s_mov_b64 s[90:91], s[60:61]
	s_mov_b64 s[60:61], s[58:59]
	;; [unrolled: 1-line block ×4, first 2 shown]
	s_waitcnt vmcnt(0)
	v_readfirstlane_b32 s1, v2
	s_and_b32 s66, s1, 0xffff
	s_lshl_b32 s98, s66, 2
	s_mov_b32 s1, s57
	s_cmp_lg_u64 s[0:1], 0
	s_cbranch_scc0 .LBB70_97
; %bb.75:                               ;   in Loop: Header=BB70_32 Depth=1
	s_add_u32 s0, s98, 0
	s_addc_u32 s1, 0, 0
	s_xor_b64 s[0:1], s[0:1], 0
	v_cvt_f32_u32_e32 v2, s0
	v_cvt_f32_u32_e32 v4, s1
	s_sub_u32 s6, 0, s0
	s_subb_u32 s7, 0, s1
	v_fmac_f32_e32 v2, 0x4f800000, v4
	v_rcp_f32_e32 v2, v2
	s_nop 0
	v_mul_f32_e32 v2, 0x5f7ffffc, v2
	v_mul_f32_e32 v4, 0x2f800000, v2
	v_trunc_f32_e32 v4, v4
	v_fmac_f32_e32 v2, 0xcf800000, v4
	v_cvt_u32_f32_e32 v4, v4
	v_cvt_u32_f32_e32 v2, v2
	v_readfirstlane_b32 s12, v4
	v_readfirstlane_b32 s2, v2
	s_mul_i32 s3, s6, s12
	s_mul_hi_u32 s14, s6, s2
	s_mul_i32 s13, s7, s2
	s_add_i32 s3, s14, s3
	s_mul_i32 s15, s6, s2
	s_add_i32 s3, s3, s13
	s_mul_i32 s14, s2, s3
	s_mul_hi_u32 s16, s2, s15
	s_mul_hi_u32 s13, s2, s3
	s_add_u32 s14, s16, s14
	s_addc_u32 s13, 0, s13
	s_mul_hi_u32 s17, s12, s15
	s_mul_i32 s15, s12, s15
	s_add_u32 s14, s14, s15
	s_mul_hi_u32 s16, s12, s3
	s_addc_u32 s13, s13, s17
	s_addc_u32 s14, s16, 0
	s_mul_i32 s3, s12, s3
	s_add_u32 s3, s13, s3
	s_addc_u32 s13, 0, s14
	s_add_u32 s14, s2, s3
	s_cselect_b64 s[2:3], -1, 0
	s_cmp_lg_u64 s[2:3], 0
	s_addc_u32 s12, s12, s13
	s_mul_i32 s2, s6, s12
	s_mul_hi_u32 s3, s6, s14
	s_add_i32 s2, s3, s2
	s_mul_i32 s7, s7, s14
	s_add_i32 s2, s2, s7
	s_mul_i32 s6, s6, s14
	s_mul_hi_u32 s7, s12, s6
	s_mul_i32 s13, s12, s6
	s_mul_i32 s16, s14, s2
	s_mul_hi_u32 s6, s14, s6
	s_mul_hi_u32 s15, s14, s2
	s_add_u32 s6, s6, s16
	s_addc_u32 s15, 0, s15
	s_add_u32 s6, s6, s13
	s_mul_hi_u32 s3, s12, s2
	s_addc_u32 s6, s15, s7
	s_addc_u32 s3, s3, 0
	s_mul_i32 s2, s12, s2
	s_add_u32 s2, s6, s2
	s_addc_u32 s6, 0, s3
	s_add_u32 s13, s14, s2
	s_cselect_b64 s[2:3], -1, 0
	s_cmp_lg_u64 s[2:3], 0
	s_addc_u32 s12, s12, s6
	s_ashr_i32 s2, s57, 31
	s_add_u32 s6, s56, s2
	s_mov_b32 s3, s2
	s_addc_u32 s7, s57, s2
	s_xor_b64 s[6:7], s[6:7], s[2:3]
	s_mul_i32 s15, s6, s12
	s_mul_hi_u32 s16, s6, s13
	s_mul_hi_u32 s14, s6, s12
	s_add_u32 s15, s16, s15
	s_addc_u32 s14, 0, s14
	s_mul_hi_u32 s17, s7, s13
	s_mul_i32 s13, s7, s13
	s_add_u32 s13, s15, s13
	s_mul_hi_u32 s16, s7, s12
	s_addc_u32 s13, s14, s17
	s_addc_u32 s14, s16, 0
	s_mul_i32 s12, s7, s12
	s_add_u32 s12, s13, s12
	s_addc_u32 s13, 0, s14
	s_mul_i32 s13, s0, s13
	s_mul_hi_u32 s14, s0, s12
	s_add_i32 s13, s14, s13
	s_mul_i32 s14, s1, s12
	s_add_i32 s16, s13, s14
	s_sub_i32 s14, s7, s16
	s_mul_i32 s12, s0, s12
	s_sub_u32 s6, s6, s12
	s_cselect_b64 s[12:13], -1, 0
	s_cmp_lg_u64 s[12:13], 0
	s_subb_u32 s17, s14, s1
	s_sub_u32 s18, s6, s0
	s_cselect_b64 s[14:15], -1, 0
	s_cmp_lg_u64 s[14:15], 0
	s_subb_u32 s19, s17, 0
	s_cmp_ge_u32 s19, s1
	s_cselect_b32 s20, -1, 0
	s_cmp_ge_u32 s18, s0
	s_cselect_b32 s21, -1, 0
	s_cmp_eq_u32 s19, s1
	s_cselect_b32 s20, s21, s20
	s_cmp_lg_u64 s[14:15], 0
	s_subb_u32 s17, s17, s1
	s_sub_u32 s21, s18, s0
	s_cselect_b64 s[14:15], -1, 0
	s_cmp_lg_u64 s[14:15], 0
	s_subb_u32 s14, s17, 0
	s_cmp_lg_u32 s20, 0
	s_cselect_b32 s15, s21, s18
	s_cselect_b32 s14, s14, s19
	s_cmp_lg_u64 s[12:13], 0
	s_subb_u32 s7, s7, s16
	s_cmp_ge_u32 s7, s1
	s_cselect_b32 s12, -1, 0
	s_cmp_ge_u32 s6, s0
	s_cselect_b32 s0, -1, 0
	s_cmp_eq_u32 s7, s1
	s_cselect_b32 s0, s0, s12
	s_cmp_lg_u32 s0, 0
	s_cselect_b32 s1, s14, s7
	s_cselect_b32 s0, s15, s6
	s_xor_b64 s[0:1], s[0:1], s[2:3]
	s_sub_u32 s68, s0, s2
	s_subb_u32 s69, s1, s2
	s_mov_b32 s78, s71
	s_cbranch_execnz .LBB70_77
.LBB70_76:                              ;   in Loop: Header=BB70_32 Depth=1
	v_cvt_f32_u32_e32 v2, s98
	s_sub_i32 s0, 0, s98
	s_mov_b32 s69, s99
	v_rcp_iflag_f32_e32 v2, v2
	s_nop 0
	v_mul_f32_e32 v2, 0x4f7ffffe, v2
	v_cvt_u32_f32_e32 v2, v2
	s_nop 0
	v_readfirstlane_b32 s1, v2
	s_mul_i32 s0, s0, s1
	s_mul_hi_u32 s0, s1, s0
	s_add_i32 s1, s1, s0
	s_mul_hi_u32 s0, s56, s1
	s_mul_i32 s0, s0, s98
	s_sub_i32 s0, s56, s0
	s_sub_i32 s1, s0, s98
	s_cmp_ge_u32 s0, s98
	s_cselect_b32 s0, s1, s0
	s_sub_i32 s1, s0, s98
	s_cmp_ge_u32 s0, s98
	s_cselect_b32 s68, s1, s0
.LBB70_77:                              ;   in Loop: Header=BB70_32 Depth=1
	s_sub_u32 s70, s56, s68
	s_subb_u32 s71, s57, s69
	s_mov_b32 s67, s99
	v_cmp_gt_i64_e32 vcc, s[70:71], v[16:17]
	v_mov_b64_e32 v[4:5], 0
	v_mov_b64_e32 v[6:7], 0
	;; [unrolled: 1-line block ×4, first 2 shown]
	s_and_saveexec_b64 s[80:81], vcc
	s_cbranch_execz .LBB70_81
; %bb.78:                               ;   in Loop: Header=BB70_32 Depth=1
	v_writelane_b32 v72, s76, 8
	s_mul_i32 s0, s83, s66
	s_mul_hi_u32 s1, s82, s66
	v_writelane_b32 v72, s77, 9
	s_mov_b32 s79, s75
	s_mov_b64 s[76:77], s[92:93]
	s_add_i32 s65, s1, s0
	s_mov_b64 s[0:1], 0
	s_mov_b64 s[92:93], s[8:9]
	;; [unrolled: 1-line block ×6, first 2 shown]
	v_mov_b64_e32 v[38:39], v[16:17]
.LBB70_79:                              ;   Parent Loop BB70_32 Depth=1
                                        ; =>  This Inner Loop Header: Depth=2
	v_lshl_add_u64 v[4:5], s[92:93], 0, v[32:33]
	v_lshl_add_u64 v[6:7], s[92:93], 0, v[30:31]
	;; [unrolled: 1-line block ×4, first 2 shown]
	global_load_ushort v2, v[4:5], off
	s_nop 0
	global_load_ushort v4, v[6:7], off
	global_load_ushort v5, v[8:9], off
	s_nop 0
	global_load_ushort v6, v[10:11], off
	s_mul_i32 s75, s82, s66
	v_lshl_add_u64 v[38:39], v[38:39], 0, s[98:99]
	v_cmp_le_i64_e32 vcc, s[70:71], v[38:39]
	s_waitcnt vmcnt(3)
	v_cmp_lt_i16_e64 s[2:3], -1, v2
	s_nop 1
	v_cndmask_b32_e64 v11, v49, v50, s[2:3]
	s_waitcnt vmcnt(2)
	v_cmp_lt_i16_e64 s[2:3], -1, v4
	v_lshlrev_b32_e32 v7, 16, v2
	v_lshlrev_b32_e32 v8, 16, v4
	v_cndmask_b32_e64 v40, v49, v50, s[2:3]
	s_waitcnt vmcnt(1)
	v_cmp_lt_i16_e64 s[2:3], -1, v5
	v_xor_b32_sdwa v2, v11, v2 dst_sel:DWORD dst_unused:UNUSED_PAD src0_sel:DWORD src1_sel:WORD_0
	v_cmp_o_f32_e64 s[18:19], v7, v7
	v_cndmask_b32_e64 v41, v49, v50, s[2:3]
	s_waitcnt vmcnt(0)
	v_cmp_lt_i16_e64 s[2:3], -1, v6
	v_lshlrev_b32_e32 v9, 16, v5
	v_xor_b32_sdwa v4, v40, v4 dst_sel:DWORD dst_unused:UNUSED_PAD src0_sel:DWORD src1_sel:WORD_0
	v_cndmask_b32_e64 v54, v49, v50, s[2:3]
	v_cmp_o_f32_e64 s[2:3], v8, v8
	v_cndmask_b32_e64 v2, v49, v2, s[18:19]
	v_lshlrev_b32_e32 v10, 16, v6
	v_xor_b32_sdwa v5, v41, v5 dst_sel:DWORD dst_unused:UNUSED_PAD src0_sel:DWORD src1_sel:WORD_0
	v_cmp_o_f32_e64 s[14:15], v9, v9
	v_cndmask_b32_e64 v4, v49, v4, s[2:3]
	v_and_b32_e32 v7, v2, v52
	v_bfe_u32 v2, v2, s74, 2
	v_xor_b32_sdwa v6, v54, v6 dst_sel:DWORD dst_unused:UNUSED_PAD src0_sel:DWORD src1_sel:WORD_0
	v_cmp_o_f32_e64 s[16:17], v10, v10
	v_cndmask_b32_e64 v5, v49, v5, s[14:15]
	v_and_b32_e32 v8, v4, v52
	v_bfe_u32 v4, v4, s74, 2
	v_cmp_eq_u32_e64 s[2:3], v7, v48
	v_cmp_eq_u32_e64 s[20:21], 0, v2
	v_cndmask_b32_e64 v6, v49, v6, s[16:17]
	v_and_b32_e32 v9, v5, v52
	v_bfe_u32 v5, v5, s74, 2
	v_cmp_eq_u32_e64 s[14:15], v8, v48
	v_cmp_eq_u32_e64 s[22:23], 0, v4
	s_and_b64 s[20:21], s[2:3], s[20:21]
	v_and_b32_e32 v10, v6, v52
	v_bfe_u32 v6, v6, s74, 2
	v_cmp_eq_u32_e64 s[16:17], v9, v48
	v_cmp_eq_u32_e64 s[24:25], 0, v5
	;; [unrolled: 1-line block ×5, first 2 shown]
	v_cndmask_b32_e64 v2, 0, 1, s[20:21]
	s_and_b64 s[20:21], s[14:15], s[22:23]
	v_cmp_eq_u32_e64 s[18:19], v10, v48
	v_cmp_eq_u32_e64 s[26:27], 0, v6
	;; [unrolled: 1-line block ×5, first 2 shown]
	v_cndmask_b32_e64 v4, 0, 1, s[20:21]
	s_and_b64 s[20:21], s[16:17], s[24:25]
	v_cmp_eq_u32_e64 s[36:37], 1, v5
	v_cmp_eq_u32_e64 s[44:45], 2, v5
	;; [unrolled: 1-line block ×3, first 2 shown]
	v_cndmask_b32_e64 v5, 0, 1, s[20:21]
	s_and_b64 s[20:21], s[18:19], s[26:27]
	v_cmp_eq_u32_e64 s[38:39], 1, v6
	v_cmp_eq_u32_e64 s[46:47], 2, v6
	;; [unrolled: 1-line block ×3, first 2 shown]
	v_cndmask_b32_e64 v6, 0, 1, s[20:21]
	v_cmp_ne_u32_e64 s[20:21], 0, v2
	v_cmp_ne_u32_e64 s[22:23], 0, v4
	v_cmp_ne_u32_e64 s[24:25], 0, v5
	v_cmp_ne_u32_e64 s[26:27], 0, v6
	s_bcnt1_i32_b64 s20, s[20:21]
	s_bcnt1_i32_b64 s21, s[22:23]
	s_bcnt1_i32_b64 s22, s[24:25]
	s_bcnt1_i32_b64 s23, s[26:27]
	s_add_u32 s20, s20, s88
	s_addc_u32 s24, 0, s89
	s_add_u32 s20, s20, s21
	s_addc_u32 s21, s24, 0
	s_add_u32 s20, s20, s22
	s_addc_u32 s21, s21, 0
	s_add_u32 s88, s20, s23
	s_addc_u32 s89, s21, 0
	s_and_b64 s[20:21], s[2:3], s[28:29]
	v_cndmask_b32_e64 v2, 0, 1, s[20:21]
	s_and_b64 s[20:21], s[14:15], s[34:35]
	v_cndmask_b32_e64 v6, 0, 1, s[20:21]
	s_and_b64 s[20:21], s[16:17], s[36:37]
	v_cndmask_b32_e64 v7, 0, 1, s[20:21]
	s_and_b64 s[20:21], s[18:19], s[38:39]
	v_cndmask_b32_e64 v8, 0, 1, s[20:21]
	v_cmp_ne_u32_e64 s[20:21], 0, v2
	v_cmp_ne_u32_e64 s[22:23], 0, v6
	v_cmp_ne_u32_e64 s[24:25], 0, v7
	v_cmp_ne_u32_e64 s[26:27], 0, v8
	s_bcnt1_i32_b64 s20, s[20:21]
	s_bcnt1_i32_b64 s21, s[22:23]
	s_bcnt1_i32_b64 s22, s[24:25]
	s_bcnt1_i32_b64 s23, s[26:27]
	s_add_u32 s6, s20, s6
	s_addc_u32 s7, 0, s7
	s_add_u32 s6, s6, s21
	s_addc_u32 s7, s7, 0
	s_add_u32 s6, s6, s22
	s_addc_u32 s7, s7, 0
	s_add_u32 s6, s6, s23
	s_addc_u32 s7, s7, 0
	s_and_b64 s[20:21], s[2:3], s[40:41]
	v_cndmask_b32_e64 v2, 0, 1, s[20:21]
	s_and_b64 s[20:21], s[14:15], s[42:43]
	v_cndmask_b32_e64 v8, 0, 1, s[20:21]
	s_and_b64 s[20:21], s[16:17], s[44:45]
	v_cndmask_b32_e64 v9, 0, 1, s[20:21]
	s_and_b64 s[20:21], s[18:19], s[46:47]
	;; [unrolled: 24-line block ×3, first 2 shown]
	v_cndmask_b32_e64 v40, 0, 1, s[2:3]
	v_cmp_ne_u32_e64 s[2:3], 0, v2
	v_cmp_ne_u32_e64 s[14:15], 0, v10
	;; [unrolled: 1-line block ×4, first 2 shown]
	s_bcnt1_i32_b64 s2, s[2:3]
	s_bcnt1_i32_b64 s3, s[14:15]
	s_bcnt1_i32_b64 s14, s[16:17]
	s_bcnt1_i32_b64 s15, s[18:19]
	s_add_u32 s2, s2, s94
	s_addc_u32 s16, 0, s95
	s_add_u32 s2, s2, s3
	s_addc_u32 s3, s16, 0
	;; [unrolled: 2-line block ×5, first 2 shown]
	v_mov_b64_e32 v[4:5], s[88:89]
	v_mov_b64_e32 v[6:7], s[6:7]
	;; [unrolled: 1-line block ×3, first 2 shown]
	s_or_b64 s[0:1], vcc, s[0:1]
	v_mov_b64_e32 v[10:11], s[94:95]
	s_andn2_b64 exec, exec, s[0:1]
	s_cbranch_execnz .LBB70_79
; %bb.80:                               ;   in Loop: Header=BB70_32 Depth=1
	s_or_b64 exec, exec, s[0:1]
	s_mov_b64 s[92:93], s[76:77]
	v_readlane_b32 s76, v72, 8
	v_readlane_b32 s94, v73, 63
	s_mov_b32 s75, s79
	v_readlane_b32 s77, v72, 9
	v_readlane_b32 s95, v72, 0
	;; [unrolled: 1-line block ×9, first 2 shown]
.LBB70_81:                              ;   in Loop: Header=BB70_32 Depth=1
	s_or_b64 exec, exec, s[80:81]
	v_lshl_add_u64 v[38:39], s[70:71], 0, v[0:1]
	v_cmp_gt_i64_e32 vcc, s[56:57], v[38:39]
	s_and_saveexec_b64 s[0:1], vcc
	s_movk_i32 s70, 0x3f80
	s_mov_b32 s71, s78
	s_mov_b64 s[78:79], s[30:31]
	s_mov_b64 s[30:31], s[58:59]
	;; [unrolled: 1-line block ×4, first 2 shown]
	s_mov_b32 s90, s10
	s_cbranch_execz .LBB70_87
; %bb.82:                               ;   in Loop: Header=BB70_32 Depth=1
	v_mul_lo_u32 v2, v39, s62
	v_mul_lo_u32 v54, v38, s63
	v_mad_u64_u32 v[40:41], s[2:3], v38, s62, 0
	v_add3_u32 v41, v41, v54, v2
	v_lshl_add_u64 v[40:41], v[40:41], 1, s[8:9]
	global_load_ushort v2, v[40:41], off
	v_lshl_add_u64 v[40:41], v[34:35], 0, s[66:67]
	v_mov_b32_e32 v54, s69
	v_subrev_co_u32_e32 v55, vcc, s68, v40
	v_readlane_b32 s2, v73, 61
	s_nop 0
	v_subb_co_u32_e32 v40, vcc, v41, v54, vcc
	v_readlane_b32 s6, v73, 59
	v_readlane_b32 s3, v73, 62
	v_readlane_b32 s7, v73, 60
	v_mul_lo_u32 v54, s6, v40
	v_mov_b64_e32 v[40:41], s[2:3]
	v_mad_u64_u32 v[40:41], s[2:3], s6, v55, v[40:41]
	v_mul_lo_u32 v58, s7, v55
	s_mul_i32 s2, s7, s66
	s_mul_hi_u32 s3, s6, s66
	v_add3_u32 v41, v58, v41, v54
	s_add_i32 s7, s3, s2
	s_mul_i32 s6, s6, s66
	s_mov_b64 s[12:13], 0
	s_branch .LBB70_84
.LBB70_83:                              ;   in Loop: Header=BB70_84 Depth=2
	s_or_b64 exec, exec, s[14:15]
	s_and_b64 s[2:3], exec, vcc
	s_waitcnt vmcnt(0)
	v_cmp_lt_i16_e32 vcc, -1, v2
	v_lshlrev_b32_e32 v58, 16, v2
	s_or_b64 s[12:13], s[2:3], s[12:13]
	v_cndmask_b32_e32 v55, v49, v50, vcc
	v_xor_b32_sdwa v2, v55, v2 dst_sel:DWORD dst_unused:UNUSED_PAD src0_sel:DWORD src1_sel:WORD_0
	v_cmp_o_f32_e32 vcc, v58, v58
	v_lshl_add_u64 v[40:41], v[40:41], 0, s[6:7]
	s_nop 0
	v_cndmask_b32_e32 v2, v49, v2, vcc
	v_and_b32_e32 v55, v2, v52
	v_bfe_u32 v2, v2, s74, 2
	v_cmp_eq_u32_e32 vcc, v55, v48
	v_cmp_eq_u32_e64 s[2:3], 0, v2
	s_and_b64 s[2:3], vcc, s[2:3]
	s_nop 0
	v_cndmask_b32_e64 v55, 0, 1, s[2:3]
	v_cmp_ne_u32_e64 s[2:3], 0, v55
	s_bcnt1_i32_b64 s98, s[2:3]
	v_cmp_eq_u32_e64 s[2:3], 1, v2
	s_and_b64 s[2:3], vcc, s[2:3]
	v_lshl_add_u64 v[4:5], s[98:99], 0, v[4:5]
	v_cndmask_b32_e64 v55, 0, 1, s[2:3]
	v_cmp_ne_u32_e64 s[2:3], 0, v55
	s_bcnt1_i32_b64 s98, s[2:3]
	v_cmp_eq_u32_e64 s[2:3], 2, v2
	s_and_b64 s[2:3], vcc, s[2:3]
	v_lshl_add_u64 v[6:7], s[98:99], 0, v[6:7]
	;; [unrolled: 6-line block ×3, first 2 shown]
	v_cndmask_b32_e64 v2, 0, 1, s[2:3]
	v_cmp_ne_u32_e32 vcc, 0, v2
	s_bcnt1_i32_b64 s98, vcc
	v_lshl_add_u64 v[10:11], s[98:99], 0, v[10:11]
	v_mov_b32_e32 v2, v54
	s_andn2_b64 exec, exec, s[12:13]
	s_cbranch_execz .LBB70_86
.LBB70_84:                              ;   Parent Loop BB70_32 Depth=1
                                        ; =>  This Inner Loop Header: Depth=2
	v_lshl_add_u64 v[38:39], v[38:39], 0, s[66:67]
	v_cmp_gt_i64_e64 s[2:3], s[56:57], v[38:39]
	v_cmp_le_i64_e32 vcc, s[56:57], v[38:39]
	v_mov_b32_e32 v54, 0
	s_and_saveexec_b64 s[14:15], s[2:3]
	s_cbranch_execz .LBB70_83
; %bb.85:                               ;   in Loop: Header=BB70_84 Depth=2
	global_load_ushort v54, v[40:41], off
	s_branch .LBB70_83
.LBB70_86:                              ;   in Loop: Header=BB70_32 Depth=1
	s_or_b64 exec, exec, s[12:13]
.LBB70_87:                              ;   in Loop: Header=BB70_32 Depth=1
	s_or_b64 exec, exec, s[0:1]
	s_mov_b32 s69, 0x5040100
	s_branch .LBB70_66
.LBB70_88:                              ;   in Loop: Header=BB70_32 Depth=1
	global_load_ushort v2, v3, s[94:95]
	v_mov_b64_e32 v[8:9], 0
	s_waitcnt vmcnt(0)
	v_readfirstlane_b32 s0, v2
	s_and_b32 s65, 0xffff, s0
	s_lshl_b32 s98, s65, 2
	v_cvt_f32_u32_e32 v4, s98
	s_sub_i32 s0, 0, s98
	v_rcp_iflag_f32_e32 v6, v4
	v_mov_b64_e32 v[4:5], 0
	v_mul_f32_e32 v6, 0x4f7ffffe, v6
	v_cvt_u32_f32_e32 v10, v6
	v_mov_b64_e32 v[6:7], 0
	v_readfirstlane_b32 s1, v10
	s_mul_i32 s0, s0, s1
	s_mul_hi_u32 s0, s1, s0
	s_add_i32 s1, s1, s0
	s_mul_hi_u32 s0, s64, s1
	s_mul_i32 s1, s0, s98
	s_sub_i32 s1, s64, s1
	s_add_i32 s2, s0, 1
	s_sub_i32 s3, s1, s98
	s_cmp_ge_u32 s1, s98
	s_cselect_b32 s0, s2, s0
	s_cselect_b32 s1, s3, s1
	s_add_i32 s2, s0, 1
	s_cmp_ge_u32 s1, s98
	s_cselect_b32 s0, s2, s0
	s_mul_hi_u32 s1, s65, s0
	s_mul_i32 s0, s65, s0
	s_lshl_b64 s[6:7], s[0:1], 2
	v_cmp_gt_u64_e32 vcc, s[6:7], v[16:17]
	v_mov_b64_e32 v[10:11], 0
	s_and_saveexec_b64 s[12:13], vcc
	s_cbranch_execz .LBB70_92
; %bb.89:                               ;   in Loop: Header=BB70_32 Depth=1
	s_mov_b32 s10, s71
	s_lshl_b32 s1, s65, 3
	s_mov_b64 s[66:67], 0
	v_mov_b32_e32 v40, v20
	s_mov_b64 s[68:69], 0
	s_mov_b64 s[70:71], 0
	;; [unrolled: 1-line block ×4, first 2 shown]
	v_mov_b64_e32 v[38:39], v[16:17]
.LBB70_90:                              ;   Parent Loop BB70_32 Depth=1
                                        ; =>  This Inner Loop Header: Depth=2
	ds_read_b64 v[4:5], v40
	v_lshl_add_u64 v[38:39], v[38:39], 0, s[98:99]
	v_cmp_le_u64_e32 vcc, s[6:7], v[38:39]
	v_add_u32_e32 v40, s1, v40
	s_waitcnt lgkmcnt(0)
	v_cmp_lt_i16_e64 s[2:3], -1, v4
	v_lshlrev_b32_e32 v6, 16, v4
	s_nop 0
	v_cndmask_b32_e64 v10, v49, v50, s[2:3]
	v_cmp_gt_i16_sdwa s[2:3], v4, v21 src0_sel:WORD_1 src1_sel:DWORD
	v_and_b32_e32 v7, 0xffff0000, v4
	v_cmp_o_f32_e64 s[18:19], v6, v6
	v_cndmask_b32_e64 v11, v49, v50, s[2:3]
	v_cmp_lt_i16_e64 s[2:3], -1, v5
	v_xor_b32_sdwa v11, v11, v4 dst_sel:DWORD dst_unused:UNUSED_PAD src0_sel:DWORD src1_sel:WORD_1
	v_bitop3_b32 v4, v10, v4, s33 bitop3:0x78
	v_cndmask_b32_e64 v41, v49, v50, s[2:3]
	v_cmp_gt_i16_sdwa s[2:3], v5, v21 src0_sel:WORD_1 src1_sel:DWORD
	v_lshlrev_b32_e32 v8, 16, v5
	v_cndmask_b32_e64 v4, v49, v4, s[18:19]
	v_cndmask_b32_e64 v54, v49, v50, s[2:3]
	v_cmp_o_f32_e64 s[2:3], v7, v7
	v_and_b32_e32 v9, 0xffff0000, v5
	v_bitop3_b32 v7, v41, v5, s33 bitop3:0x78
	v_cmp_o_f32_e64 s[14:15], v8, v8
	v_cndmask_b32_e64 v6, v49, v11, s[2:3]
	v_and_b32_e32 v8, v4, v52
	v_bfe_u32 v4, v4, s74, 2
	v_xor_b32_sdwa v5, v54, v5 dst_sel:DWORD dst_unused:UNUSED_PAD src0_sel:DWORD src1_sel:WORD_1
	v_cmp_o_f32_e64 s[16:17], v9, v9
	v_cndmask_b32_e64 v7, v49, v7, s[14:15]
	v_and_b32_e32 v9, v6, v52
	v_bfe_u32 v6, v6, s74, 2
	v_cmp_eq_u32_e64 s[20:21], v8, v48
	v_cmp_eq_u32_e64 s[2:3], 0, v4
	v_cndmask_b32_e64 v5, v49, v5, s[16:17]
	v_and_b32_e32 v10, v7, v52
	v_bfe_u32 v7, v7, s74, 2
	v_cmp_eq_u32_e64 s[18:19], v9, v48
	v_cmp_eq_u32_e64 s[34:35], 0, v6
	s_and_b64 s[2:3], s[20:21], s[2:3]
	v_and_b32_e32 v11, v5, v52
	v_bfe_u32 v5, v5, s74, 2
	v_cmp_eq_u32_e64 s[16:17], v10, v48
	v_cmp_eq_u32_e64 s[36:37], 0, v7
	;; [unrolled: 1-line block ×5, first 2 shown]
	v_cndmask_b32_e64 v4, 0, 1, s[2:3]
	s_and_b64 s[2:3], s[18:19], s[34:35]
	v_cmp_eq_u32_e64 s[14:15], v11, v48
	v_cmp_eq_u32_e64 s[38:39], 0, v5
	;; [unrolled: 1-line block ×5, first 2 shown]
	v_cndmask_b32_e64 v5, 0, 1, s[2:3]
	s_and_b64 s[2:3], s[16:17], s[36:37]
	v_cmp_eq_u32_e64 s[42:43], 1, v6
	v_cmp_eq_u32_e64 s[50:51], 2, v6
	;; [unrolled: 1-line block ×3, first 2 shown]
	v_cndmask_b32_e64 v6, 0, 1, s[2:3]
	s_and_b64 s[2:3], s[14:15], s[38:39]
	v_cmp_eq_u32_e64 s[44:45], 1, v7
	v_cmp_eq_u32_e64 s[52:53], 2, v7
	;; [unrolled: 1-line block ×3, first 2 shown]
	v_cndmask_b32_e64 v7, 0, 1, s[2:3]
	v_cmp_ne_u32_e64 s[2:3], 0, v4
	v_cmp_ne_u32_e64 s[34:35], 0, v5
	v_cmp_ne_u32_e64 s[36:37], 0, v6
	v_cmp_ne_u32_e64 s[38:39], 0, v7
	s_bcnt1_i32_b64 s2, s[2:3]
	s_bcnt1_i32_b64 s3, s[34:35]
	s_bcnt1_i32_b64 s34, s[36:37]
	s_bcnt1_i32_b64 s35, s[38:39]
	s_add_u32 s2, s2, s88
	s_addc_u32 s36, 0, s89
	s_add_u32 s2, s2, s3
	s_addc_u32 s3, s36, 0
	s_add_u32 s2, s2, s34
	s_addc_u32 s3, s3, 0
	s_add_u32 s88, s2, s35
	s_addc_u32 s89, s3, 0
	s_and_b64 s[2:3], s[20:21], s[40:41]
	v_cndmask_b32_e64 v6, 0, 1, s[2:3]
	s_and_b64 s[2:3], s[18:19], s[42:43]
	v_cndmask_b32_e64 v7, 0, 1, s[2:3]
	s_and_b64 s[2:3], s[16:17], s[44:45]
	v_cndmask_b32_e64 v8, 0, 1, s[2:3]
	s_and_b64 s[2:3], s[14:15], s[46:47]
	v_cndmask_b32_e64 v9, 0, 1, s[2:3]
	v_cmp_ne_u32_e64 s[2:3], 0, v6
	v_cmp_ne_u32_e64 s[34:35], 0, v7
	v_cmp_ne_u32_e64 s[36:37], 0, v8
	v_cmp_ne_u32_e64 s[38:39], 0, v9
	s_bcnt1_i32_b64 s2, s[2:3]
	s_bcnt1_i32_b64 s3, s[34:35]
	s_bcnt1_i32_b64 s34, s[36:37]
	s_bcnt1_i32_b64 s35, s[38:39]
	s_add_u32 s2, s2, s80
	s_addc_u32 s36, 0, s81
	s_add_u32 s2, s2, s3
	s_addc_u32 s3, s36, 0
	s_add_u32 s2, s2, s34
	s_addc_u32 s3, s3, 0
	s_add_u32 s80, s2, s35
	s_addc_u32 s81, s3, 0
	s_and_b64 s[2:3], s[20:21], s[48:49]
	v_cndmask_b32_e64 v8, 0, 1, s[2:3]
	s_and_b64 s[2:3], s[18:19], s[50:51]
	v_cndmask_b32_e64 v9, 0, 1, s[2:3]
	s_and_b64 s[2:3], s[16:17], s[52:53]
	v_cndmask_b32_e64 v10, 0, 1, s[2:3]
	s_and_b64 s[2:3], s[14:15], s[54:55]
	;; [unrolled: 24-line block ×3, first 2 shown]
	v_cndmask_b32_e64 v54, 0, 1, s[2:3]
	v_cmp_ne_u32_e64 s[2:3], 0, v10
	v_cmp_ne_u32_e64 s[14:15], 0, v11
	;; [unrolled: 1-line block ×4, first 2 shown]
	s_bcnt1_i32_b64 s2, s[2:3]
	s_bcnt1_i32_b64 s3, s[14:15]
	;; [unrolled: 1-line block ×4, first 2 shown]
	s_add_u32 s2, s2, s68
	s_addc_u32 s16, 0, s69
	s_add_u32 s2, s2, s3
	s_addc_u32 s3, s16, 0
	;; [unrolled: 2-line block ×4, first 2 shown]
	v_mov_b64_e32 v[4:5], s[88:89]
	v_mov_b64_e32 v[6:7], s[80:81]
	;; [unrolled: 1-line block ×3, first 2 shown]
	s_or_b64 s[66:67], vcc, s[66:67]
	v_mov_b64_e32 v[10:11], s[68:69]
	s_andn2_b64 exec, exec, s[66:67]
	s_cbranch_execnz .LBB70_90
; %bb.91:                               ;   in Loop: Header=BB70_32 Depth=1
	s_or_b64 exec, exec, s[66:67]
	v_readlane_b32 s94, v73, 63
	v_readlane_b32 s95, v72, 0
	v_readlane_b32 s88, v72, 1
	v_readlane_b32 s89, v72, 2
	v_readlane_b32 s55, v72, 3
	v_readlane_b32 s54, v72, 4
	v_readlane_b32 s49, v72, 5
	v_readlane_b32 s50, v72, 6
	v_readlane_b32 s51, v72, 7
	s_mov_b32 s69, 0x5040100
	s_movk_i32 s70, 0x3f80
	s_mov_b32 s71, s10
.LBB70_92:                              ;   in Loop: Header=BB70_32 Depth=1
	s_or_b64 exec, exec, s[12:13]
	s_and_b32 s12, s64, 0x7fffffff
	s_mov_b32 s13, s99
	v_lshl_add_u64 v[38:39], s[6:7], 0, v[0:1]
	v_and_b32_e32 v2, 0xffff, v2
	v_cmp_gt_u64_e32 vcc, s[12:13], v[38:39]
	s_and_saveexec_b64 s[6:7], vcc
	s_cbranch_execz .LBB70_96
; %bb.93:                               ;   in Loop: Header=BB70_32 Depth=1
	v_lshl_add_u32 v40, s0, 3, v43
	s_lshl_b32 s22, s65, 1
	s_mov_b64 s[0:1], 0
.LBB70_94:                              ;   Parent Loop BB70_32 Depth=1
                                        ; =>  This Inner Loop Header: Depth=2
	ds_read_u16 v41, v40
	v_lshl_add_u64 v[38:39], v[38:39], 0, v[2:3]
	v_cmp_le_u64_e32 vcc, s[12:13], v[38:39]
	v_add_u32_e32 v40, s22, v40
	s_waitcnt lgkmcnt(0)
	v_cmp_lt_i16_e64 s[2:3], -1, v41
	v_lshlrev_b32_e32 v54, 16, v41
	s_nop 0
	v_cndmask_b32_e64 v55, v49, v50, s[2:3]
	v_xor_b32_sdwa v41, v55, v41 dst_sel:DWORD dst_unused:UNUSED_PAD src0_sel:DWORD src1_sel:WORD_0
	v_cmp_o_f32_e64 s[2:3], v54, v54
	s_nop 1
	v_cndmask_b32_e64 v41, v49, v41, s[2:3]
	v_and_b32_e32 v54, v41, v52
	v_bfe_u32 v41, v41, s74, 2
	v_cmp_eq_u32_e64 s[2:3], v54, v48
	v_cmp_eq_u32_e64 s[14:15], 0, v41
	;; [unrolled: 1-line block ×3, first 2 shown]
	s_and_b64 s[14:15], s[2:3], s[14:15]
	v_cmp_eq_u32_e64 s[18:19], 2, v41
	v_cmp_eq_u32_e64 s[20:21], 3, v41
	v_cndmask_b32_e64 v41, 0, 1, s[14:15]
	s_and_b64 s[14:15], s[2:3], s[16:17]
	v_cndmask_b32_e64 v54, 0, 1, s[14:15]
	s_and_b64 s[14:15], s[2:3], s[18:19]
	s_and_b64 s[2:3], s[2:3], s[20:21]
	v_cndmask_b32_e64 v58, 0, 1, s[2:3]
	v_cmp_ne_u32_e64 s[2:3], 0, v41
	v_cndmask_b32_e64 v55, 0, 1, s[14:15]
	v_cmp_ne_u32_e64 s[14:15], 0, v54
	s_bcnt1_i32_b64 s98, s[2:3]
	v_cmp_ne_u32_e64 s[16:17], 0, v55
	v_lshl_add_u64 v[4:5], s[98:99], 0, v[4:5]
	s_bcnt1_i32_b64 s98, s[14:15]
	v_cmp_ne_u32_e64 s[18:19], 0, v58
	v_lshl_add_u64 v[6:7], s[98:99], 0, v[6:7]
	s_bcnt1_i32_b64 s98, s[16:17]
	v_lshl_add_u64 v[8:9], s[98:99], 0, v[8:9]
	s_bcnt1_i32_b64 s98, s[18:19]
	s_or_b64 s[0:1], vcc, s[0:1]
	v_lshl_add_u64 v[10:11], s[98:99], 0, v[10:11]
	s_andn2_b64 exec, exec, s[0:1]
	s_cbranch_execnz .LBB70_94
; %bb.95:                               ;   in Loop: Header=BB70_32 Depth=1
	s_or_b64 exec, exec, s[0:1]
.LBB70_96:                              ;   in Loop: Header=BB70_32 Depth=1
	s_or_b64 exec, exec, s[6:7]
	s_lshl_b32 s2, s71, 6
	s_and_saveexec_b64 s[0:1], s[4:5]
	s_cbranch_execnz .LBB70_67
	s_branch .LBB70_68
.LBB70_97:                              ;   in Loop: Header=BB70_32 Depth=1
                                        ; implicit-def: $sgpr68_sgpr69
	s_mov_b32 s78, s71
	s_branch .LBB70_76
.LBB70_98:                              ;   in Loop: Header=BB70_32 Depth=1
	s_or_b64 exec, exec, s[6:7]
	s_waitcnt lgkmcnt(0)
	s_barrier
	s_mov_b64 s[2:3], exec
	v_readlane_b32 s6, v73, 32
	v_readlane_b32 s7, v73, 33
	s_and_b64 s[6:7], s[2:3], s[6:7]
	s_mov_b64 exec, s[6:7]
	s_cbranch_execz .LBB70_100
; %bb.99:                               ;   in Loop: Header=BB70_32 Depth=1
	ds_read_b32 v4, v3 offset:5136
	s_waitcnt lgkmcnt(0)
	v_ashrrev_i32_e32 v5, 31, v4
	ds_write_b64 v3, v[4:5] offset:5120
.LBB70_100:                             ;   in Loop: Header=BB70_32 Depth=1
	s_or_b64 exec, exec, s[2:3]
	s_waitcnt lgkmcnt(0)
	s_barrier
	s_mov_b64 s[2:3], -1
	s_and_b64 vcc, exec, s[0:1]
	s_cbranch_vccnz .LBB70_47
	s_branch .LBB70_62
.LBB70_101:                             ;   in Loop: Header=BB70_32 Depth=1
	s_mov_b32 s3, 0
	v_mov_b64_e32 v[4:5], 0
.LBB70_102:                             ;   in Loop: Header=BB70_32 Depth=1
	v_readlane_b32 s6, v73, 57
	v_readlane_b32 s7, v73, 58
	s_andn2_b64 vcc, exec, s[6:7]
	s_cbranch_vccnz .LBB70_105
; %bb.103:                              ;   in Loop: Header=BB70_32 Depth=1
	s_lshl_b32 s6, s71, 9
	s_lshl_b32 s3, s3, 5
	s_add_i32 s6, s6, s3
	v_add_u32_e32 v2, s6, v47
	v_readlane_b32 s3, v73, 56
.LBB70_104:                             ;   Parent Loop BB70_32 Depth=1
                                        ; =>  This Inner Loop Header: Depth=2
	ds_read_b64 v[6:7], v2
	s_add_i32 s3, s3, -1
	v_add_u32_e32 v2, 32, v2
	s_cmp_lg_u32 s3, 0
	s_waitcnt lgkmcnt(0)
	v_lshl_add_u64 v[4:5], v[6:7], 0, v[4:5]
	s_cbranch_scc1 .LBB70_104
.LBB70_105:                             ;   in Loop: Header=BB70_32 Depth=1
	v_add_lshl_u32 v2, s2, v42, 3
	ds_write_b64 v2, v[4:5] offset:3072
.LBB70_106:                             ;   in Loop: Header=BB70_32 Depth=1
	s_or_b64 exec, exec, s[0:1]
	s_lshl_b32 s0, s2, 3
	v_mov_b32_e32 v2, s0
	s_waitcnt lgkmcnt(0)
	s_barrier
	ds_read_b128 v[8:11], v2 offset:3088
	ds_read_b128 v[4:7], v2 offset:3072
	s_lshl_b32 s66, 3, s74
	v_cmp_eq_u64_e64 s[2:3], 1, v[36:37]
	s_not_b32 s52, s66
	s_waitcnt lgkmcnt(1)
	v_readfirstlane_b32 s22, v8
	s_waitcnt lgkmcnt(0)
	v_cmp_eq_u64_e32 vcc, 1, v[4:5]
	v_readfirstlane_b32 s23, v9
	v_readfirstlane_b32 s14, v10
	;; [unrolled: 1-line block ×3, first 2 shown]
	s_and_b64 s[18:19], vcc, s[2:3]
	s_mov_b64 s[2:3], -1
	s_mov_b64 s[12:13], -1
                                        ; implicit-def: $sgpr6_sgpr7
                                        ; implicit-def: $sgpr0_sgpr1
	s_and_saveexec_b64 s[16:17], s[18:19]
	s_cbranch_execz .LBB70_138
; %bb.107:                              ;   in Loop: Header=BB70_32 Depth=1
	ds_read_b64 v[8:9], v3 offset:5120
	s_waitcnt lgkmcnt(0)
	s_barrier
	v_readfirstlane_b32 s20, v8
	v_readfirstlane_b32 s21, v9
	s_mov_b64 s[0:1], exec
	v_readlane_b32 s6, v73, 38
	v_readlane_b32 s7, v73, 39
	s_and_b64 s[6:7], s[0:1], s[6:7]
	s_mov_b64 exec, s[6:7]
; %bb.108:                              ;   in Loop: Header=BB70_32 Depth=1
	ds_write_b16 v44, v3
; %bb.109:                              ;   in Loop: Header=BB70_32 Depth=1
	s_or_b64 exec, exec, s[0:1]
	v_cmp_lt_i64_e64 s[12:13], s[20:21], 1
	v_and_b32_e32 v48, s52, v48
	v_or_b32_e32 v52, s66, v52
	s_mov_b64 s[0:1], -1
	s_mov_b64 s[6:7], 0
	s_and_b64 vcc, exec, s[12:13]
	s_mov_b64 s[12:13], 0
	s_mov_b64 s[24:25], -1
	s_waitcnt lgkmcnt(0)
	s_barrier
                                        ; implicit-def: $vgpr53
	s_cbranch_vccz .LBB70_123
; %bb.110:                              ;   in Loop: Header=BB70_32 Depth=1
	s_mov_b32 s76, s99
	s_cmp_lg_u64 s[76:77], 0
	s_cbranch_scc0 .LBB70_164
; %bb.111:                              ;   in Loop: Header=BB70_32 Depth=1
	s_add_u32 s12, s96, 0
	s_addc_u32 s13, 0, 0
	s_xor_b64 s[12:13], s[12:13], 0
	v_cvt_f32_u32_e32 v2, s12
	v_cvt_f32_u32_e32 v8, s13
	s_sub_u32 s26, 0, s12
	s_subb_u32 s27, 0, s13
	v_fmac_f32_e32 v2, 0x4f800000, v8
	v_rcp_f32_e32 v2, v2
	s_nop 0
	v_mul_f32_e32 v2, 0x5f7ffffc, v2
	v_mul_f32_e32 v8, 0x2f800000, v2
	v_trunc_f32_e32 v8, v8
	v_fmac_f32_e32 v2, 0xcf800000, v8
	v_cvt_u32_f32_e32 v8, v8
	v_cvt_u32_f32_e32 v2, v2
	v_readfirstlane_b32 s28, v8
	v_readfirstlane_b32 s24, v2
	s_mul_i32 s25, s26, s28
	s_mul_hi_u32 s34, s26, s24
	s_mul_i32 s29, s27, s24
	s_add_i32 s25, s34, s25
	s_mul_i32 s35, s26, s24
	s_add_i32 s25, s25, s29
	s_mul_i32 s34, s24, s25
	s_mul_hi_u32 s36, s24, s35
	s_mul_hi_u32 s29, s24, s25
	s_add_u32 s34, s36, s34
	s_addc_u32 s29, 0, s29
	s_mul_hi_u32 s37, s28, s35
	s_mul_i32 s35, s28, s35
	s_add_u32 s34, s34, s35
	s_mul_hi_u32 s36, s28, s25
	s_addc_u32 s29, s29, s37
	s_addc_u32 s34, s36, 0
	s_mul_i32 s25, s28, s25
	s_add_u32 s25, s29, s25
	s_addc_u32 s29, 0, s34
	s_add_u32 s34, s24, s25
	s_cselect_b64 s[24:25], -1, 0
	s_cmp_lg_u64 s[24:25], 0
	s_addc_u32 s28, s28, s29
	s_mul_i32 s24, s26, s28
	s_mul_hi_u32 s25, s26, s34
	s_add_i32 s24, s25, s24
	s_mul_i32 s27, s27, s34
	s_add_i32 s24, s24, s27
	s_mul_i32 s26, s26, s34
	s_mul_hi_u32 s27, s28, s26
	s_mul_i32 s29, s28, s26
	s_mul_i32 s36, s34, s24
	s_mul_hi_u32 s26, s34, s26
	s_mul_hi_u32 s35, s34, s24
	s_add_u32 s26, s26, s36
	s_addc_u32 s35, 0, s35
	s_add_u32 s26, s26, s29
	s_mul_hi_u32 s25, s28, s24
	s_addc_u32 s26, s35, s27
	s_addc_u32 s25, s25, 0
	s_mul_i32 s24, s28, s24
	s_add_u32 s24, s26, s24
	s_addc_u32 s26, 0, s25
	s_add_u32 s29, s34, s24
	s_cselect_b64 s[24:25], -1, 0
	s_cmp_lg_u64 s[24:25], 0
	s_addc_u32 s28, s28, s26
	s_ashr_i32 s24, s77, 31
	s_add_u32 s26, s75, s24
	s_mov_b32 s25, s24
	s_addc_u32 s27, s77, s24
	s_xor_b64 s[26:27], s[26:27], s[24:25]
	s_mul_i32 s35, s26, s28
	s_mul_hi_u32 s36, s26, s29
	s_mul_hi_u32 s34, s26, s28
	s_add_u32 s35, s36, s35
	s_addc_u32 s34, 0, s34
	s_mul_hi_u32 s37, s27, s29
	s_mul_i32 s29, s27, s29
	s_add_u32 s29, s35, s29
	s_mul_hi_u32 s36, s27, s28
	s_addc_u32 s29, s34, s37
	s_addc_u32 s34, s36, 0
	s_mul_i32 s28, s27, s28
	s_add_u32 s28, s29, s28
	s_addc_u32 s29, 0, s34
	s_mul_i32 s29, s12, s29
	s_mul_hi_u32 s34, s12, s28
	s_add_i32 s29, s34, s29
	s_mul_i32 s34, s13, s28
	s_add_i32 s36, s29, s34
	s_sub_i32 s34, s27, s36
	s_mul_i32 s28, s12, s28
	s_sub_u32 s26, s26, s28
	s_cselect_b64 s[28:29], -1, 0
	s_cmp_lg_u64 s[28:29], 0
	s_subb_u32 s37, s34, s13
	s_sub_u32 s38, s26, s12
	s_cselect_b64 s[34:35], -1, 0
	s_cmp_lg_u64 s[34:35], 0
	s_subb_u32 s39, s37, 0
	s_cmp_ge_u32 s39, s13
	s_cselect_b32 s40, -1, 0
	s_cmp_ge_u32 s38, s12
	s_cselect_b32 s41, -1, 0
	s_cmp_eq_u32 s39, s13
	s_cselect_b32 s40, s41, s40
	s_cmp_lg_u64 s[34:35], 0
	s_subb_u32 s37, s37, s13
	s_sub_u32 s41, s38, s12
	s_cselect_b64 s[34:35], -1, 0
	s_cmp_lg_u64 s[34:35], 0
	s_subb_u32 s34, s37, 0
	s_cmp_lg_u32 s40, 0
	s_cselect_b32 s35, s41, s38
	s_cselect_b32 s34, s34, s39
	s_cmp_lg_u64 s[28:29], 0
	s_subb_u32 s27, s27, s36
	s_cmp_ge_u32 s27, s13
	s_cselect_b32 s28, -1, 0
	s_cmp_ge_u32 s26, s12
	s_cselect_b32 s12, -1, 0
	s_cmp_eq_u32 s27, s13
	s_cselect_b32 s12, s12, s28
	s_cmp_lg_u32 s12, 0
	s_cselect_b32 s13, s34, s27
	s_cselect_b32 s12, s35, s26
	s_xor_b64 s[12:13], s[12:13], s[24:25]
	s_sub_u32 s12, s12, s24
	s_subb_u32 s13, s13, s24
	s_cbranch_execnz .LBB70_113
.LBB70_112:                             ;   in Loop: Header=BB70_32 Depth=1
	v_cvt_f32_u32_e32 v2, s96
	s_sub_i32 s12, 0, s96
	v_rcp_iflag_f32_e32 v2, v2
	s_nop 0
	v_mul_f32_e32 v2, 0x4f7ffffe, v2
	v_cvt_u32_f32_e32 v2, v2
	s_nop 0
	v_readfirstlane_b32 s13, v2
	s_mul_i32 s12, s12, s13
	s_mul_hi_u32 s12, s13, s12
	s_add_i32 s13, s13, s12
	s_mul_hi_u32 s12, s75, s13
	s_mul_i32 s12, s12, s96
	s_sub_i32 s12, s75, s12
	s_sub_i32 s13, s12, s96
	s_cmp_ge_u32 s12, s96
	s_cselect_b32 s12, s13, s12
	s_sub_i32 s13, s12, s96
	s_cmp_ge_u32 s12, s96
	s_cselect_b32 s98, s13, s12
	s_mov_b64 s[12:13], s[98:99]
.LBB70_113:                             ;   in Loop: Header=BB70_32 Depth=1
	s_sub_u32 s28, s75, s12
	s_subb_u32 s29, s77, s13
	v_cmp_gt_i64_e32 vcc, s[28:29], v[0:1]
	s_mov_b64 s[24:25], 0
	s_mov_b64 s[12:13], 0
                                        ; implicit-def: $vgpr53
	s_and_saveexec_b64 s[26:27], vcc
	s_cbranch_execz .LBB70_122
; %bb.114:                              ;   in Loop: Header=BB70_32 Depth=1
	v_mov_b64_e32 v[8:9], v[12:13]
	v_mov_b64_e32 v[10:11], v[0:1]
                                        ; implicit-def: $sgpr34_sgpr35
	s_branch .LBB70_117
.LBB70_115:                             ;   in Loop: Header=BB70_117 Depth=2
	s_or_b64 exec, exec, s[36:37]
	s_waitcnt lgkmcnt(0)
	s_barrier
	ds_read_b32 v2, v3 offset:3072
	s_mov_b64 s[36:37], -1
	s_mov_b64 s[38:39], -1
	s_waitcnt lgkmcnt(0)
	s_barrier
	v_and_b32_e32 v38, 0x7fff, v2
	v_cmp_ne_u32_e32 vcc, 0, v38
	s_cbranch_vccz .LBB70_120
.LBB70_116:                             ;   in Loop: Header=BB70_117 Depth=2
	s_and_b64 s[36:37], exec, s[36:37]
	s_or_b64 s[12:13], s[36:37], s[12:13]
	s_andn2_b64 s[34:35], s[34:35], exec
	s_and_b64 s[36:37], s[38:39], exec
	s_or_b64 s[34:35], s[34:35], s[36:37]
	s_andn2_b64 exec, exec, s[12:13]
	s_cbranch_execz .LBB70_121
.LBB70_117:                             ;   Parent Loop BB70_32 Depth=1
                                        ; =>  This Inner Loop Header: Depth=2
	v_cmp_gt_i64_e32 vcc, s[56:57], v[10:11]
	s_and_saveexec_b64 s[36:37], vcc
	s_cbranch_execz .LBB70_115
; %bb.118:                              ;   in Loop: Header=BB70_117 Depth=2
	global_load_ushort v2, v[8:9], off
	s_waitcnt vmcnt(0)
	v_cmp_lt_i16_e32 vcc, -1, v2
	v_lshlrev_b32_e32 v38, 16, v2
	s_nop 0
	v_cndmask_b32_e32 v39, v49, v50, vcc
	v_xor_b32_sdwa v39, v39, v2 dst_sel:DWORD dst_unused:UNUSED_PAD src0_sel:DWORD src1_sel:WORD_0
	v_cmp_o_f32_e32 vcc, v38, v38
	s_nop 1
	v_cndmask_b32_e32 v38, v49, v39, vcc
	v_and_b32_e32 v38, v38, v52
	v_cmp_eq_u32_e32 vcc, v38, v48
	s_and_b64 exec, exec, vcc
	s_cbranch_execz .LBB70_115
; %bb.119:                              ;   in Loop: Header=BB70_117 Depth=2
	v_perm_b32 v2, v2, s70, v51
	ds_write_b32 v3, v2 offset:3072
	s_branch .LBB70_115
.LBB70_120:                             ;   in Loop: Header=BB70_117 Depth=2
	v_lshl_add_u64 v[10:11], v[10:11], 0, s[96:97]
	v_cmp_le_i64_e32 vcc, s[28:29], v[10:11]
	v_lshl_add_u64 v[8:9], v[8:9], 0, s[92:93]
	s_mov_b64 s[38:39], 0
	s_orn2_b64 s[36:37], vcc, exec
	s_branch .LBB70_116
.LBB70_121:                             ;   in Loop: Header=BB70_32 Depth=1
	s_or_b64 exec, exec, s[12:13]
	v_lshrrev_b32_e32 v53, 16, v2
	s_and_b64 s[12:13], s[34:35], exec
.LBB70_122:                             ;   in Loop: Header=BB70_32 Depth=1
	s_or_b64 exec, exec, s[26:27]
.LBB70_123:                             ;   in Loop: Header=BB70_32 Depth=1
	s_and_b64 vcc, exec, s[24:25]
	s_cbranch_vccz .LBB70_137
; %bb.124:                              ;   in Loop: Header=BB70_32 Depth=1
	v_readlane_b32 s0, v73, 46
	s_add_u32 s26, s20, s0
	v_readlane_b32 s0, v73, 47
	s_addc_u32 s1, s21, s0
	s_mov_b32 s0, s99
	s_cmp_lg_u64 s[0:1], 0
	s_cbranch_scc0 .LBB70_165
; %bb.125:                              ;   in Loop: Header=BB70_32 Depth=1
	s_add_u32 s6, s96, 0
	s_addc_u32 s7, 0, 0
	s_xor_b64 s[6:7], s[6:7], 0
	v_cvt_f32_u32_e32 v2, s6
	v_cvt_f32_u32_e32 v8, s7
	s_sub_u32 s0, 0, s6
	s_subb_u32 s27, 0, s7
	v_fmac_f32_e32 v2, 0x4f800000, v8
	v_rcp_f32_e32 v2, v2
	s_nop 0
	v_mul_f32_e32 v2, 0x5f7ffffc, v2
	v_mul_f32_e32 v8, 0x2f800000, v2
	v_trunc_f32_e32 v8, v8
	v_fmac_f32_e32 v2, 0xcf800000, v8
	v_cvt_u32_f32_e32 v8, v8
	v_cvt_u32_f32_e32 v2, v2
	v_readfirstlane_b32 s28, v8
	v_readfirstlane_b32 s24, v2
	s_mul_i32 s25, s0, s28
	s_mul_hi_u32 s34, s0, s24
	s_mul_i32 s29, s27, s24
	s_add_i32 s25, s34, s25
	s_mul_i32 s35, s0, s24
	s_add_i32 s25, s25, s29
	s_mul_i32 s34, s24, s25
	s_mul_hi_u32 s36, s24, s35
	s_mul_hi_u32 s29, s24, s25
	s_add_u32 s34, s36, s34
	s_addc_u32 s29, 0, s29
	s_mul_hi_u32 s37, s28, s35
	s_mul_i32 s35, s28, s35
	s_add_u32 s34, s34, s35
	s_mul_hi_u32 s36, s28, s25
	s_addc_u32 s29, s29, s37
	s_addc_u32 s34, s36, 0
	s_mul_i32 s25, s28, s25
	s_add_u32 s25, s29, s25
	s_addc_u32 s29, 0, s34
	s_add_u32 s34, s24, s25
	s_cselect_b64 s[24:25], -1, 0
	s_cmp_lg_u64 s[24:25], 0
	s_addc_u32 s28, s28, s29
	s_mul_i32 s24, s0, s28
	s_mul_hi_u32 s25, s0, s34
	s_add_i32 s24, s25, s24
	s_mul_i32 s27, s27, s34
	s_add_i32 s24, s24, s27
	s_mul_i32 s0, s0, s34
	s_mul_hi_u32 s27, s28, s0
	s_mul_i32 s29, s28, s0
	s_mul_i32 s36, s34, s24
	s_mul_hi_u32 s0, s34, s0
	s_mul_hi_u32 s35, s34, s24
	s_add_u32 s0, s0, s36
	s_addc_u32 s35, 0, s35
	s_add_u32 s0, s0, s29
	s_mul_hi_u32 s25, s28, s24
	s_addc_u32 s0, s35, s27
	s_addc_u32 s25, s25, 0
	s_mul_i32 s24, s28, s24
	s_add_u32 s0, s0, s24
	s_addc_u32 s27, 0, s25
	s_add_u32 s0, s34, s0
	s_cselect_b64 s[24:25], -1, 0
	s_cmp_lg_u64 s[24:25], 0
	s_addc_u32 s27, s28, s27
	s_ashr_i32 s24, s1, 31
	s_add_u32 s28, s26, s24
	s_mov_b32 s25, s24
	s_addc_u32 s29, s1, s24
	s_xor_b64 s[28:29], s[28:29], s[24:25]
	s_mul_i32 s35, s28, s27
	s_mul_hi_u32 s36, s28, s0
	s_mul_hi_u32 s34, s28, s27
	s_add_u32 s35, s36, s35
	s_addc_u32 s34, 0, s34
	s_mul_hi_u32 s37, s29, s0
	s_mul_i32 s0, s29, s0
	s_add_u32 s0, s35, s0
	s_mul_hi_u32 s36, s29, s27
	s_addc_u32 s0, s34, s37
	s_addc_u32 s34, s36, 0
	s_mul_i32 s27, s29, s27
	s_add_u32 s0, s0, s27
	s_addc_u32 s27, 0, s34
	s_mul_i32 s27, s6, s27
	s_mul_hi_u32 s34, s6, s0
	s_add_i32 s27, s34, s27
	s_mul_i32 s34, s7, s0
	s_add_i32 s27, s27, s34
	s_sub_i32 s36, s29, s27
	s_mul_i32 s0, s6, s0
	s_sub_u32 s0, s28, s0
	s_cselect_b64 s[34:35], -1, 0
	s_cmp_lg_u64 s[34:35], 0
	s_subb_u32 s28, s36, s7
	s_sub_u32 s38, s0, s6
	s_cselect_b64 s[36:37], -1, 0
	s_cmp_lg_u64 s[36:37], 0
	s_subb_u32 s39, s28, 0
	s_cmp_ge_u32 s39, s7
	s_cselect_b32 s40, -1, 0
	s_cmp_ge_u32 s38, s6
	s_cselect_b32 s41, -1, 0
	s_cmp_eq_u32 s39, s7
	s_cselect_b32 s40, s41, s40
	s_cmp_lg_u64 s[36:37], 0
	s_subb_u32 s28, s28, s7
	s_sub_u32 s41, s38, s6
	s_cselect_b64 s[36:37], -1, 0
	s_cmp_lg_u64 s[36:37], 0
	s_subb_u32 s28, s28, 0
	s_cmp_lg_u32 s40, 0
	s_cselect_b32 s36, s41, s38
	s_cselect_b32 s28, s28, s39
	s_cmp_lg_u64 s[34:35], 0
	s_subb_u32 s27, s29, s27
	s_cmp_ge_u32 s27, s7
	s_cselect_b32 s29, -1, 0
	s_cmp_ge_u32 s0, s6
	s_cselect_b32 s6, -1, 0
	s_cmp_eq_u32 s27, s7
	s_cselect_b32 s6, s6, s29
	s_cmp_lg_u32 s6, 0
	s_cselect_b32 s7, s28, s27
	s_cselect_b32 s6, s36, s0
	s_xor_b64 s[6:7], s[6:7], s[24:25]
	s_sub_u32 s6, s6, s24
	s_subb_u32 s7, s7, s24
	s_cbranch_execnz .LBB70_127
.LBB70_126:                             ;   in Loop: Header=BB70_32 Depth=1
	v_cvt_f32_u32_e32 v2, s96
	s_sub_i32 s0, 0, s96
	v_rcp_iflag_f32_e32 v2, v2
	s_nop 0
	v_mul_f32_e32 v2, 0x4f7ffffe, v2
	v_cvt_u32_f32_e32 v2, v2
	s_nop 0
	v_readfirstlane_b32 s6, v2
	s_mul_i32 s0, s0, s6
	s_mul_hi_u32 s0, s6, s0
	s_add_i32 s6, s6, s0
	s_mul_hi_u32 s0, s26, s6
	s_mul_i32 s0, s0, s96
	s_sub_i32 s0, s26, s0
	s_sub_i32 s6, s0, s96
	s_cmp_ge_u32 s0, s96
	s_cselect_b32 s0, s6, s0
	s_sub_i32 s6, s0, s96
	s_cmp_ge_u32 s0, s96
	s_cselect_b32 s98, s6, s0
	s_mov_b64 s[6:7], s[98:99]
.LBB70_127:                             ;   in Loop: Header=BB70_32 Depth=1
	s_sub_u32 s6, s26, s6
	s_subb_u32 s7, s1, s7
	v_cmp_gt_i64_e32 vcc, s[6:7], v[0:1]
                                        ; implicit-def: $vgpr53
	s_and_saveexec_b64 s[0:1], vcc
	s_cbranch_execz .LBB70_136
; %bb.128:                              ;   in Loop: Header=BB70_32 Depth=1
	s_mov_b64 s[24:25], 0
	v_mov_b32_e32 v2, v43
	v_mov_b64_e32 v[8:9], v[0:1]
                                        ; implicit-def: $sgpr26_sgpr27
	s_branch .LBB70_131
.LBB70_129:                             ;   in Loop: Header=BB70_131 Depth=2
	s_or_b64 exec, exec, s[28:29]
	s_waitcnt lgkmcnt(0)
	s_barrier
	ds_read_b32 v10, v3 offset:3072
	s_mov_b64 s[28:29], -1
	s_mov_b64 s[34:35], -1
	s_waitcnt lgkmcnt(0)
	s_barrier
	v_and_b32_e32 v11, 0x7fff, v10
	v_cmp_ne_u32_e32 vcc, 0, v11
	s_cbranch_vccz .LBB70_134
.LBB70_130:                             ;   in Loop: Header=BB70_131 Depth=2
	s_and_b64 s[28:29], exec, s[28:29]
	s_or_b64 s[24:25], s[28:29], s[24:25]
	s_andn2_b64 s[26:27], s[26:27], exec
	s_and_b64 s[28:29], s[34:35], exec
	s_or_b64 s[26:27], s[26:27], s[28:29]
	s_andn2_b64 exec, exec, s[24:25]
	s_cbranch_execz .LBB70_135
.LBB70_131:                             ;   Parent Loop BB70_32 Depth=1
                                        ; =>  This Inner Loop Header: Depth=2
	v_cmp_gt_u64_e32 vcc, s[20:21], v[8:9]
	s_and_saveexec_b64 s[28:29], vcc
	s_cbranch_execz .LBB70_129
; %bb.132:                              ;   in Loop: Header=BB70_131 Depth=2
	ds_read_u16 v10, v2
	s_waitcnt lgkmcnt(0)
	v_cmp_lt_i16_e32 vcc, -1, v10
	v_lshlrev_b32_e32 v11, 16, v10
	s_nop 0
	v_cndmask_b32_e32 v38, v49, v50, vcc
	v_xor_b32_sdwa v38, v38, v10 dst_sel:DWORD dst_unused:UNUSED_PAD src0_sel:DWORD src1_sel:WORD_0
	v_cmp_o_f32_e32 vcc, v11, v11
	s_nop 1
	v_cndmask_b32_e32 v11, v49, v38, vcc
	v_and_b32_e32 v11, v11, v52
	v_cmp_eq_u32_e32 vcc, v11, v48
	s_and_b64 exec, exec, vcc
	s_cbranch_execz .LBB70_129
; %bb.133:                              ;   in Loop: Header=BB70_131 Depth=2
	v_perm_b32 v10, v10, s70, v51
	ds_write_b32 v3, v10 offset:3072
	s_branch .LBB70_129
.LBB70_134:                             ;   in Loop: Header=BB70_131 Depth=2
	v_lshl_add_u64 v[8:9], v[8:9], 0, s[96:97]
	v_cmp_le_i64_e32 vcc, s[6:7], v[8:9]
	v_add_u32_e32 v2, s51, v2
	s_mov_b64 s[34:35], 0
	s_orn2_b64 s[28:29], vcc, exec
	s_branch .LBB70_130
.LBB70_135:                             ;   in Loop: Header=BB70_32 Depth=1
	s_or_b64 exec, exec, s[24:25]
	s_andn2_b64 s[6:7], s[12:13], exec
	s_and_b64 s[12:13], s[26:27], exec
	v_lshrrev_b32_e32 v53, 16, v10
	s_or_b64 s[12:13], s[6:7], s[12:13]
.LBB70_136:                             ;   in Loop: Header=BB70_32 Depth=1
	s_or_b64 exec, exec, s[0:1]
	s_mov_b64 s[0:1], 0
	s_mov_b64 s[6:7], -1
.LBB70_137:                             ;   in Loop: Header=BB70_32 Depth=1
	s_orn2_b64 s[12:13], s[12:13], exec
.LBB70_138:                             ;   in Loop: Header=BB70_32 Depth=1
	s_or_b64 exec, exec, s[16:17]
	s_andn2_b64 s[16:17], s[72:73], exec
	s_and_b64 s[6:7], s[6:7], exec
	s_or_b64 s[64:65], s[16:17], s[6:7]
	s_andn2_b64 s[6:7], s[30:31], exec
	s_and_b64 s[0:1], s[0:1], exec
	s_andn2_b64 s[78:79], s[78:79], exec
	s_or_b64 s[30:31], s[6:7], s[0:1]
                                        ; implicit-def: $vgpr8_vgpr9
	s_and_saveexec_b64 s[16:17], s[12:13]
	s_cbranch_execz .LBB70_31
; %bb.139:                              ;   in Loop: Header=BB70_32 Depth=1
	s_xor_b64 s[2:3], s[18:19], -1
	v_mov_b32_e32 v2, 1
	s_mov_b64 s[6:7], 0
	v_mov_b64_e32 v[8:9], 1
	s_and_saveexec_b64 s[0:1], s[2:3]
	s_cbranch_execz .LBB70_148
; %bb.140:                              ;   in Loop: Header=BB70_32 Depth=1
	v_cmp_le_i64_e32 vcc, v[36:37], v[4:5]
	s_and_saveexec_b64 s[2:3], vcc
	s_xor_b64 s[2:3], exec, s[2:3]
	s_cbranch_execz .LBB70_145
; %bb.141:                              ;   in Loop: Header=BB70_32 Depth=1
	ds_read_b64 v[8:9], v3 offset:5120
	v_and_b32_e32 v48, s52, v48
	v_or_b32_e32 v52, s66, v52
	s_waitcnt lgkmcnt(0)
	v_cmp_ne_u64_e32 vcc, 0, v[8:9]
	s_cbranch_vccnz .LBB70_145
; %bb.142:                              ;   in Loop: Header=BB70_32 Depth=1
	s_mov_b64 s[6:7], exec
	v_readlane_b32 s12, v73, 32
	v_readlane_b32 s13, v73, 33
	s_and_b64 s[12:13], s[6:7], s[12:13]
	s_mov_b64 exec, s[12:13]
; %bb.143:                              ;   in Loop: Header=BB70_32 Depth=1
	ds_write_b64 v3, v[4:5] offset:5128
; %bb.144:                              ;   in Loop: Header=BB70_32 Depth=1
	s_or_b64 exec, exec, s[6:7]
	s_waitcnt lgkmcnt(0)
	s_barrier
.LBB70_145:                             ;   in Loop: Header=BB70_32 Depth=1
	s_or_saveexec_b64 s[2:3], s[2:3]
	s_mov_b64 s[6:7], 0
	v_mov_b32_e32 v2, 8
	s_xor_b64 exec, exec, s[2:3]
; %bb.146:                              ;   in Loop: Header=BB70_32 Depth=1
	v_sub_co_u32_e32 v36, vcc, v36, v4
	s_mov_b64 s[6:7], exec
	s_nop 0
	v_subb_co_u32_e32 v37, vcc, v37, v5, vcc
	v_mov_b32_e32 v2, 0
; %bb.147:                              ;   in Loop: Header=BB70_32 Depth=1
	s_or_b64 exec, exec, s[2:3]
	s_and_b64 s[6:7], s[6:7], exec
	v_mov_b64_e32 v[8:9], v[36:37]
.LBB70_148:                             ;   in Loop: Header=BB70_32 Depth=1
	s_or_b64 exec, exec, s[0:1]
	s_mov_b64 s[18:19], -1
	s_mov_b64 s[0:1], -1
                                        ; implicit-def: $sgpr2_sgpr3
                                        ; implicit-def: $sgpr24_sgpr25
	s_and_saveexec_b64 s[12:13], s[6:7]
	s_xor_b64 s[20:21], exec, s[12:13]
	s_cbranch_execz .LBB70_290
; %bb.149:                              ;   in Loop: Header=BB70_32 Depth=1
	v_cmp_eq_u64_e32 vcc, 1, v[6:7]
	v_cmp_eq_u64_e64 s[2:3], 1, v[8:9]
	s_and_b64 s[28:29], vcc, s[2:3]
                                        ; implicit-def: $sgpr24_sgpr25
                                        ; implicit-def: $sgpr2_sgpr3
	s_and_saveexec_b64 s[26:27], s[28:29]
	s_cbranch_execz .LBB70_183
; %bb.150:                              ;   in Loop: Header=BB70_32 Depth=1
	ds_read_b64 v[4:5], v3 offset:5120
	s_waitcnt lgkmcnt(0)
	s_barrier
	v_readfirstlane_b32 s34, v4
	v_readfirstlane_b32 s35, v5
	s_mov_b64 s[0:1], exec
	v_readlane_b32 s2, v73, 38
	v_readlane_b32 s3, v73, 39
	s_and_b64 s[2:3], s[0:1], s[2:3]
	s_mov_b64 exec, s[2:3]
; %bb.151:                              ;   in Loop: Header=BB70_32 Depth=1
	ds_write_b16 v44, v3
; %bb.152:                              ;   in Loop: Header=BB70_32 Depth=1
	s_or_b64 exec, exec, s[0:1]
	v_and_b32_e32 v4, s52, v48
	v_cmp_gt_i64_e64 s[0:1], s[34:35], 0
	v_lshl_or_b32 v48, 1, s74, v4
	v_or_b32_e32 v52, s66, v52
	s_mov_b64 s[2:3], -1
	s_mov_b64 s[24:25], 0
	s_and_b64 vcc, exec, s[0:1]
	s_mov_b64 s[0:1], 0
	s_mov_b64 s[6:7], -1
	s_waitcnt lgkmcnt(0)
	s_barrier
                                        ; implicit-def: $vgpr53
	s_cbranch_vccnz .LBB70_168
; %bb.153:                              ;   in Loop: Header=BB70_32 Depth=1
	s_mov_b32 s76, s99
	s_cmp_lg_u64 s[76:77], 0
	s_cbranch_scc0 .LBB70_210
; %bb.154:                              ;   in Loop: Header=BB70_32 Depth=1
	s_add_u32 s0, s96, 0
	s_addc_u32 s1, 0, 0
	s_xor_b64 s[0:1], s[0:1], 0
	v_cvt_f32_u32_e32 v4, s0
	v_cvt_f32_u32_e32 v5, s1
	s_sub_u32 s12, 0, s0
	s_subb_u32 s13, 0, s1
	v_fmac_f32_e32 v4, 0x4f800000, v5
	v_rcp_f32_e32 v4, v4
	s_nop 0
	v_mul_f32_e32 v4, 0x5f7ffffc, v4
	v_mul_f32_e32 v5, 0x2f800000, v4
	v_trunc_f32_e32 v5, v5
	v_fmac_f32_e32 v4, 0xcf800000, v5
	v_cvt_u32_f32_e32 v5, v5
	v_cvt_u32_f32_e32 v4, v4
	v_readfirstlane_b32 s36, v5
	v_readfirstlane_b32 s6, v4
	s_mul_i32 s7, s12, s36
	s_mul_hi_u32 s38, s12, s6
	s_mul_i32 s37, s13, s6
	s_add_i32 s7, s38, s7
	s_mul_i32 s39, s12, s6
	s_add_i32 s7, s7, s37
	s_mul_i32 s38, s6, s7
	s_mul_hi_u32 s40, s6, s39
	s_mul_hi_u32 s37, s6, s7
	s_add_u32 s38, s40, s38
	s_addc_u32 s37, 0, s37
	s_mul_hi_u32 s41, s36, s39
	s_mul_i32 s39, s36, s39
	s_add_u32 s38, s38, s39
	s_mul_hi_u32 s40, s36, s7
	s_addc_u32 s37, s37, s41
	s_addc_u32 s38, s40, 0
	s_mul_i32 s7, s36, s7
	s_add_u32 s7, s37, s7
	s_addc_u32 s37, 0, s38
	s_add_u32 s38, s6, s7
	s_cselect_b64 s[6:7], -1, 0
	s_cmp_lg_u64 s[6:7], 0
	s_addc_u32 s36, s36, s37
	s_mul_i32 s6, s12, s36
	s_mul_hi_u32 s7, s12, s38
	s_add_i32 s6, s7, s6
	s_mul_i32 s13, s13, s38
	s_add_i32 s6, s6, s13
	s_mul_i32 s12, s12, s38
	s_mul_hi_u32 s13, s36, s12
	s_mul_i32 s37, s36, s12
	s_mul_i32 s40, s38, s6
	s_mul_hi_u32 s12, s38, s12
	s_mul_hi_u32 s39, s38, s6
	s_add_u32 s12, s12, s40
	s_addc_u32 s39, 0, s39
	s_add_u32 s12, s12, s37
	s_mul_hi_u32 s7, s36, s6
	s_addc_u32 s12, s39, s13
	s_addc_u32 s7, s7, 0
	s_mul_i32 s6, s36, s6
	s_add_u32 s6, s12, s6
	s_addc_u32 s12, 0, s7
	s_add_u32 s37, s38, s6
	s_cselect_b64 s[6:7], -1, 0
	s_cmp_lg_u64 s[6:7], 0
	s_addc_u32 s36, s36, s12
	s_ashr_i32 s6, s77, 31
	s_add_u32 s12, s75, s6
	s_mov_b32 s7, s6
	s_addc_u32 s13, s77, s6
	s_xor_b64 s[12:13], s[12:13], s[6:7]
	s_mul_i32 s39, s12, s36
	s_mul_hi_u32 s40, s12, s37
	s_mul_hi_u32 s38, s12, s36
	s_add_u32 s39, s40, s39
	s_addc_u32 s38, 0, s38
	s_mul_hi_u32 s41, s13, s37
	s_mul_i32 s37, s13, s37
	s_add_u32 s37, s39, s37
	s_mul_hi_u32 s40, s13, s36
	s_addc_u32 s37, s38, s41
	s_addc_u32 s38, s40, 0
	s_mul_i32 s36, s13, s36
	s_add_u32 s36, s37, s36
	s_addc_u32 s37, 0, s38
	s_mul_i32 s37, s0, s37
	s_mul_hi_u32 s38, s0, s36
	s_add_i32 s37, s38, s37
	s_mul_i32 s38, s1, s36
	s_add_i32 s40, s37, s38
	s_sub_i32 s38, s13, s40
	s_mul_i32 s36, s0, s36
	s_sub_u32 s12, s12, s36
	s_cselect_b64 s[36:37], -1, 0
	s_cmp_lg_u64 s[36:37], 0
	s_subb_u32 s41, s38, s1
	s_sub_u32 s42, s12, s0
	s_cselect_b64 s[38:39], -1, 0
	s_cmp_lg_u64 s[38:39], 0
	s_subb_u32 s43, s41, 0
	s_cmp_ge_u32 s43, s1
	s_cselect_b32 s44, -1, 0
	s_cmp_ge_u32 s42, s0
	s_cselect_b32 s45, -1, 0
	s_cmp_eq_u32 s43, s1
	s_cselect_b32 s44, s45, s44
	s_cmp_lg_u64 s[38:39], 0
	s_subb_u32 s41, s41, s1
	s_sub_u32 s45, s42, s0
	s_cselect_b64 s[38:39], -1, 0
	s_cmp_lg_u64 s[38:39], 0
	s_subb_u32 s38, s41, 0
	s_cmp_lg_u32 s44, 0
	s_cselect_b32 s39, s45, s42
	s_cselect_b32 s38, s38, s43
	s_cmp_lg_u64 s[36:37], 0
	s_subb_u32 s13, s13, s40
	s_cmp_ge_u32 s13, s1
	s_cselect_b32 s36, -1, 0
	s_cmp_ge_u32 s12, s0
	s_cselect_b32 s0, -1, 0
	s_cmp_eq_u32 s13, s1
	s_cselect_b32 s0, s0, s36
	s_cmp_lg_u32 s0, 0
	s_cselect_b32 s1, s38, s13
	s_cselect_b32 s0, s39, s12
	s_xor_b64 s[0:1], s[0:1], s[6:7]
	s_sub_u32 s0, s0, s6
	s_subb_u32 s1, s1, s6
	s_cbranch_execnz .LBB70_156
.LBB70_155:                             ;   in Loop: Header=BB70_32 Depth=1
	v_cvt_f32_u32_e32 v4, s96
	s_sub_i32 s0, 0, s96
	v_rcp_iflag_f32_e32 v4, v4
	s_nop 0
	v_mul_f32_e32 v4, 0x4f7ffffe, v4
	v_cvt_u32_f32_e32 v4, v4
	s_nop 0
	v_readfirstlane_b32 s1, v4
	s_mul_i32 s0, s0, s1
	s_mul_hi_u32 s0, s1, s0
	s_add_i32 s1, s1, s0
	s_mul_hi_u32 s0, s75, s1
	s_mul_i32 s0, s0, s96
	s_sub_i32 s0, s75, s0
	s_sub_i32 s1, s0, s96
	s_cmp_ge_u32 s0, s96
	s_cselect_b32 s0, s1, s0
	s_sub_i32 s1, s0, s96
	s_cmp_ge_u32 s0, s96
	s_cselect_b32 s98, s1, s0
	s_mov_b64 s[0:1], s[98:99]
.LBB70_156:                             ;   in Loop: Header=BB70_32 Depth=1
	s_sub_u32 s36, s75, s0
	s_subb_u32 s37, s77, s1
	v_cmp_gt_i64_e32 vcc, s[36:37], v[0:1]
	s_mov_b64 s[6:7], 0
	s_mov_b64 s[0:1], 0
                                        ; implicit-def: $vgpr53
	s_and_saveexec_b64 s[12:13], vcc
	s_cbranch_execz .LBB70_167
; %bb.157:                              ;   in Loop: Header=BB70_32 Depth=1
	v_mov_b64_e32 v[4:5], v[12:13]
	v_mov_b64_e32 v[10:11], v[0:1]
                                        ; implicit-def: $sgpr38_sgpr39
	s_branch .LBB70_160
.LBB70_158:                             ;   in Loop: Header=BB70_160 Depth=2
	s_or_b64 exec, exec, s[40:41]
	s_waitcnt lgkmcnt(0)
	s_barrier
	ds_read_b32 v36, v3 offset:3072
	s_mov_b64 s[40:41], -1
	s_mov_b64 s[42:43], -1
	s_waitcnt lgkmcnt(0)
	s_barrier
	v_and_b32_e32 v37, 0x7fff, v36
	v_cmp_ne_u32_e32 vcc, 0, v37
	s_cbranch_vccz .LBB70_163
.LBB70_159:                             ;   in Loop: Header=BB70_160 Depth=2
	s_and_b64 s[40:41], exec, s[40:41]
	s_or_b64 s[0:1], s[40:41], s[0:1]
	s_andn2_b64 s[38:39], s[38:39], exec
	s_and_b64 s[40:41], s[42:43], exec
	s_or_b64 s[38:39], s[38:39], s[40:41]
	s_andn2_b64 exec, exec, s[0:1]
	s_cbranch_execz .LBB70_166
.LBB70_160:                             ;   Parent Loop BB70_32 Depth=1
                                        ; =>  This Inner Loop Header: Depth=2
	v_cmp_gt_i64_e32 vcc, s[56:57], v[10:11]
	s_and_saveexec_b64 s[40:41], vcc
	s_cbranch_execz .LBB70_158
; %bb.161:                              ;   in Loop: Header=BB70_160 Depth=2
	global_load_ushort v36, v[4:5], off
	s_waitcnt vmcnt(0)
	v_cmp_lt_i16_e32 vcc, -1, v36
	v_lshlrev_b32_e32 v37, 16, v36
	s_nop 0
	v_cndmask_b32_e32 v38, v49, v50, vcc
	v_xor_b32_sdwa v38, v38, v36 dst_sel:DWORD dst_unused:UNUSED_PAD src0_sel:DWORD src1_sel:WORD_0
	v_cmp_o_f32_e32 vcc, v37, v37
	s_nop 1
	v_cndmask_b32_e32 v37, v49, v38, vcc
	v_and_b32_e32 v37, v37, v52
	v_cmp_eq_u32_e32 vcc, v37, v48
	s_and_b64 exec, exec, vcc
	s_cbranch_execz .LBB70_158
; %bb.162:                              ;   in Loop: Header=BB70_160 Depth=2
	v_perm_b32 v36, v36, s70, v51
	ds_write_b32 v3, v36 offset:3072
	s_branch .LBB70_158
.LBB70_163:                             ;   in Loop: Header=BB70_160 Depth=2
	v_lshl_add_u64 v[10:11], v[10:11], 0, s[96:97]
	v_cmp_le_i64_e32 vcc, s[36:37], v[10:11]
	v_lshl_add_u64 v[4:5], v[4:5], 0, s[92:93]
	s_mov_b64 s[42:43], 0
	s_orn2_b64 s[40:41], vcc, exec
	s_branch .LBB70_159
.LBB70_164:                             ;   in Loop: Header=BB70_32 Depth=1
                                        ; implicit-def: $sgpr12_sgpr13
	s_andn2_b64 vcc, exec, s[24:25]
	s_cbranch_vccz .LBB70_112
	s_branch .LBB70_113
.LBB70_165:                             ;   in Loop: Header=BB70_32 Depth=1
                                        ; implicit-def: $sgpr6_sgpr7
	s_branch .LBB70_126
.LBB70_166:                             ;   in Loop: Header=BB70_32 Depth=1
	s_or_b64 exec, exec, s[0:1]
	v_lshrrev_b32_e32 v53, 16, v36
	s_and_b64 s[0:1], s[38:39], exec
.LBB70_167:                             ;   in Loop: Header=BB70_32 Depth=1
	s_or_b64 exec, exec, s[12:13]
.LBB70_168:                             ;   in Loop: Header=BB70_32 Depth=1
	s_and_b64 vcc, exec, s[6:7]
	s_cbranch_vccz .LBB70_182
; %bb.169:                              ;   in Loop: Header=BB70_32 Depth=1
	v_readlane_b32 s2, v73, 46
	s_add_u32 s24, s34, s2
	v_readlane_b32 s2, v73, 47
	s_addc_u32 s3, s35, s2
	s_mov_b32 s2, s99
	s_cmp_lg_u64 s[2:3], 0
	s_cbranch_scc0 .LBB70_211
; %bb.170:                              ;   in Loop: Header=BB70_32 Depth=1
	s_add_u32 s6, s96, 0
	s_addc_u32 s7, 0, 0
	s_xor_b64 s[6:7], s[6:7], 0
	v_cvt_f32_u32_e32 v4, s6
	v_cvt_f32_u32_e32 v5, s7
	s_sub_u32 s2, 0, s6
	s_subb_u32 s25, 0, s7
	v_fmac_f32_e32 v4, 0x4f800000, v5
	v_rcp_f32_e32 v4, v4
	s_nop 0
	v_mul_f32_e32 v4, 0x5f7ffffc, v4
	v_mul_f32_e32 v5, 0x2f800000, v4
	v_trunc_f32_e32 v5, v5
	v_fmac_f32_e32 v4, 0xcf800000, v5
	v_cvt_u32_f32_e32 v5, v5
	v_cvt_u32_f32_e32 v4, v4
	v_readfirstlane_b32 s36, v5
	v_readfirstlane_b32 s12, v4
	s_mul_i32 s13, s2, s36
	s_mul_hi_u32 s38, s2, s12
	s_mul_i32 s37, s25, s12
	s_add_i32 s13, s38, s13
	s_mul_i32 s39, s2, s12
	s_add_i32 s13, s13, s37
	s_mul_i32 s38, s12, s13
	s_mul_hi_u32 s40, s12, s39
	s_mul_hi_u32 s37, s12, s13
	s_add_u32 s38, s40, s38
	s_addc_u32 s37, 0, s37
	s_mul_hi_u32 s41, s36, s39
	s_mul_i32 s39, s36, s39
	s_add_u32 s38, s38, s39
	s_mul_hi_u32 s40, s36, s13
	s_addc_u32 s37, s37, s41
	s_addc_u32 s38, s40, 0
	s_mul_i32 s13, s36, s13
	s_add_u32 s13, s37, s13
	s_addc_u32 s37, 0, s38
	s_add_u32 s38, s12, s13
	s_cselect_b64 s[12:13], -1, 0
	s_cmp_lg_u64 s[12:13], 0
	s_addc_u32 s36, s36, s37
	s_mul_i32 s12, s2, s36
	s_mul_hi_u32 s13, s2, s38
	s_add_i32 s12, s13, s12
	s_mul_i32 s25, s25, s38
	s_add_i32 s12, s12, s25
	s_mul_i32 s2, s2, s38
	s_mul_hi_u32 s25, s36, s2
	s_mul_i32 s37, s36, s2
	s_mul_i32 s40, s38, s12
	s_mul_hi_u32 s2, s38, s2
	s_mul_hi_u32 s39, s38, s12
	s_add_u32 s2, s2, s40
	s_addc_u32 s39, 0, s39
	s_add_u32 s2, s2, s37
	s_mul_hi_u32 s13, s36, s12
	s_addc_u32 s2, s39, s25
	s_addc_u32 s13, s13, 0
	s_mul_i32 s12, s36, s12
	s_add_u32 s2, s2, s12
	s_addc_u32 s25, 0, s13
	s_add_u32 s2, s38, s2
	s_cselect_b64 s[12:13], -1, 0
	s_cmp_lg_u64 s[12:13], 0
	s_addc_u32 s25, s36, s25
	s_ashr_i32 s12, s3, 31
	s_add_u32 s36, s24, s12
	s_mov_b32 s13, s12
	s_addc_u32 s37, s3, s12
	s_xor_b64 s[36:37], s[36:37], s[12:13]
	s_mul_i32 s39, s36, s25
	s_mul_hi_u32 s40, s36, s2
	s_mul_hi_u32 s38, s36, s25
	s_add_u32 s39, s40, s39
	s_addc_u32 s38, 0, s38
	s_mul_hi_u32 s41, s37, s2
	s_mul_i32 s2, s37, s2
	s_add_u32 s2, s39, s2
	s_mul_hi_u32 s40, s37, s25
	s_addc_u32 s2, s38, s41
	s_addc_u32 s38, s40, 0
	s_mul_i32 s25, s37, s25
	s_add_u32 s2, s2, s25
	s_addc_u32 s25, 0, s38
	s_mul_i32 s25, s6, s25
	s_mul_hi_u32 s38, s6, s2
	s_add_i32 s25, s38, s25
	s_mul_i32 s38, s7, s2
	s_add_i32 s25, s25, s38
	s_sub_i32 s40, s37, s25
	s_mul_i32 s2, s6, s2
	s_sub_u32 s2, s36, s2
	s_cselect_b64 s[38:39], -1, 0
	s_cmp_lg_u64 s[38:39], 0
	s_subb_u32 s36, s40, s7
	s_sub_u32 s42, s2, s6
	s_cselect_b64 s[40:41], -1, 0
	s_cmp_lg_u64 s[40:41], 0
	s_subb_u32 s43, s36, 0
	s_cmp_ge_u32 s43, s7
	s_cselect_b32 s44, -1, 0
	s_cmp_ge_u32 s42, s6
	s_cselect_b32 s45, -1, 0
	s_cmp_eq_u32 s43, s7
	s_cselect_b32 s44, s45, s44
	s_cmp_lg_u64 s[40:41], 0
	s_subb_u32 s36, s36, s7
	s_sub_u32 s45, s42, s6
	s_cselect_b64 s[40:41], -1, 0
	s_cmp_lg_u64 s[40:41], 0
	s_subb_u32 s36, s36, 0
	s_cmp_lg_u32 s44, 0
	s_cselect_b32 s40, s45, s42
	s_cselect_b32 s36, s36, s43
	s_cmp_lg_u64 s[38:39], 0
	s_subb_u32 s25, s37, s25
	s_cmp_ge_u32 s25, s7
	s_cselect_b32 s37, -1, 0
	s_cmp_ge_u32 s2, s6
	s_cselect_b32 s6, -1, 0
	s_cmp_eq_u32 s25, s7
	s_cselect_b32 s6, s6, s37
	s_cmp_lg_u32 s6, 0
	s_cselect_b32 s7, s36, s25
	s_cselect_b32 s6, s40, s2
	s_xor_b64 s[6:7], s[6:7], s[12:13]
	s_sub_u32 s6, s6, s12
	s_subb_u32 s7, s7, s12
	s_cbranch_execnz .LBB70_172
.LBB70_171:                             ;   in Loop: Header=BB70_32 Depth=1
	v_cvt_f32_u32_e32 v4, s96
	s_sub_i32 s2, 0, s96
	v_rcp_iflag_f32_e32 v4, v4
	s_nop 0
	v_mul_f32_e32 v4, 0x4f7ffffe, v4
	v_cvt_u32_f32_e32 v4, v4
	s_nop 0
	v_readfirstlane_b32 s6, v4
	s_mul_i32 s2, s2, s6
	s_mul_hi_u32 s2, s6, s2
	s_add_i32 s6, s6, s2
	s_mul_hi_u32 s2, s24, s6
	s_mul_i32 s2, s2, s96
	s_sub_i32 s2, s24, s2
	s_sub_i32 s6, s2, s96
	s_cmp_ge_u32 s2, s96
	s_cselect_b32 s2, s6, s2
	s_sub_i32 s6, s2, s96
	s_cmp_ge_u32 s2, s96
	s_cselect_b32 s98, s6, s2
	s_mov_b64 s[6:7], s[98:99]
.LBB70_172:                             ;   in Loop: Header=BB70_32 Depth=1
	s_sub_u32 s6, s24, s6
	s_subb_u32 s7, s3, s7
	v_cmp_gt_i64_e32 vcc, s[6:7], v[0:1]
                                        ; implicit-def: $vgpr53
	s_and_saveexec_b64 s[2:3], vcc
	s_cbranch_execz .LBB70_181
; %bb.173:                              ;   in Loop: Header=BB70_32 Depth=1
	s_mov_b64 s[12:13], 0
	v_mov_b32_e32 v10, v43
	v_mov_b64_e32 v[4:5], v[0:1]
                                        ; implicit-def: $sgpr24_sgpr25
	s_branch .LBB70_176
.LBB70_174:                             ;   in Loop: Header=BB70_176 Depth=2
	s_or_b64 exec, exec, s[36:37]
	s_waitcnt lgkmcnt(0)
	s_barrier
	ds_read_b32 v11, v3 offset:3072
	s_mov_b64 s[36:37], -1
	s_mov_b64 s[38:39], -1
	s_waitcnt lgkmcnt(0)
	s_barrier
	v_and_b32_e32 v36, 0x7fff, v11
	v_cmp_eq_u32_e32 vcc, 0, v36
	s_cbranch_vccnz .LBB70_179
.LBB70_175:                             ;   in Loop: Header=BB70_176 Depth=2
	s_and_b64 s[36:37], exec, s[36:37]
	s_or_b64 s[12:13], s[36:37], s[12:13]
	s_andn2_b64 s[24:25], s[24:25], exec
	s_and_b64 s[36:37], s[38:39], exec
	s_or_b64 s[24:25], s[24:25], s[36:37]
	s_andn2_b64 exec, exec, s[12:13]
	s_cbranch_execz .LBB70_180
.LBB70_176:                             ;   Parent Loop BB70_32 Depth=1
                                        ; =>  This Inner Loop Header: Depth=2
	v_cmp_gt_u64_e32 vcc, s[34:35], v[4:5]
	s_and_saveexec_b64 s[36:37], vcc
	s_cbranch_execz .LBB70_174
; %bb.177:                              ;   in Loop: Header=BB70_176 Depth=2
	ds_read_u16 v11, v10
	s_waitcnt lgkmcnt(0)
	v_cmp_lt_i16_e32 vcc, -1, v11
	v_lshlrev_b32_e32 v36, 16, v11
	s_nop 0
	v_cndmask_b32_e32 v37, v49, v50, vcc
	v_xor_b32_sdwa v37, v37, v11 dst_sel:DWORD dst_unused:UNUSED_PAD src0_sel:DWORD src1_sel:WORD_0
	v_cmp_o_f32_e32 vcc, v36, v36
	s_nop 1
	v_cndmask_b32_e32 v36, v49, v37, vcc
	v_and_b32_e32 v36, v36, v52
	v_cmp_eq_u32_e32 vcc, v36, v48
	s_and_b64 exec, exec, vcc
	s_cbranch_execz .LBB70_174
; %bb.178:                              ;   in Loop: Header=BB70_176 Depth=2
	v_perm_b32 v11, v11, s70, v51
	ds_write_b32 v3, v11 offset:3072
	s_branch .LBB70_174
.LBB70_179:                             ;   in Loop: Header=BB70_176 Depth=2
	v_lshl_add_u64 v[4:5], v[4:5], 0, s[96:97]
	v_cmp_le_i64_e32 vcc, s[6:7], v[4:5]
	v_add_u32_e32 v10, s51, v10
	s_mov_b64 s[38:39], 0
	s_orn2_b64 s[36:37], vcc, exec
	s_branch .LBB70_175
.LBB70_180:                             ;   in Loop: Header=BB70_32 Depth=1
	s_or_b64 exec, exec, s[12:13]
	s_andn2_b64 s[0:1], s[0:1], exec
	s_and_b64 s[6:7], s[24:25], exec
	v_lshrrev_b32_e32 v53, 16, v11
	s_or_b64 s[0:1], s[0:1], s[6:7]
.LBB70_181:                             ;   in Loop: Header=BB70_32 Depth=1
	s_or_b64 exec, exec, s[2:3]
	s_mov_b64 s[2:3], 0
	s_mov_b64 s[24:25], -1
.LBB70_182:                             ;   in Loop: Header=BB70_32 Depth=1
	s_orn2_b64 s[0:1], s[0:1], exec
.LBB70_183:                             ;   in Loop: Header=BB70_32 Depth=1
	s_or_b64 exec, exec, s[26:27]
	s_mov_b64 s[6:7], 0
	s_and_saveexec_b64 s[26:27], s[0:1]
	s_cbranch_execz .LBB70_289
; %bb.184:                              ;   in Loop: Header=BB70_32 Depth=1
	s_xor_b64 s[12:13], s[28:29], -1
	v_mov_b32_e32 v2, 1
	v_mov_b64_e32 v[4:5], 1
	s_and_saveexec_b64 s[0:1], s[12:13]
	s_cbranch_execz .LBB70_194
; %bb.185:                              ;   in Loop: Header=BB70_32 Depth=1
	v_cmp_le_i64_e32 vcc, v[8:9], v[6:7]
	s_and_saveexec_b64 s[6:7], vcc
	s_xor_b64 s[6:7], exec, s[6:7]
	s_cbranch_execz .LBB70_191
; %bb.186:                              ;   in Loop: Header=BB70_32 Depth=1
	ds_read_b64 v[4:5], v3 offset:5120
	v_and_b32_e32 v2, s52, v48
	v_lshl_or_b32 v48, 1, s74, v2
	v_or_b32_e32 v52, s66, v52
	s_waitcnt lgkmcnt(0)
	v_cmp_ne_u64_e32 vcc, 0, v[4:5]
	s_cbranch_vccnz .LBB70_190
; %bb.187:                              ;   in Loop: Header=BB70_32 Depth=1
	s_mov_b64 s[12:13], exec
	v_readlane_b32 s28, v73, 32
	v_readlane_b32 s29, v73, 33
	s_and_b64 s[28:29], s[12:13], s[28:29]
	s_mov_b64 exec, s[28:29]
; %bb.188:                              ;   in Loop: Header=BB70_32 Depth=1
	ds_write_b64 v3, v[6:7] offset:5128
; %bb.189:                              ;   in Loop: Header=BB70_32 Depth=1
	s_or_b64 exec, exec, s[12:13]
	s_waitcnt lgkmcnt(0)
	s_barrier
.LBB70_190:                             ;   in Loop: Header=BB70_32 Depth=1
                                        ; implicit-def: $vgpr4_vgpr5_vgpr6_vgpr7
.LBB70_191:                             ;   in Loop: Header=BB70_32 Depth=1
	s_or_saveexec_b64 s[6:7], s[6:7]
	s_mov_b64 s[12:13], 0
	v_mov_b32_e32 v2, 8
	s_xor_b64 exec, exec, s[6:7]
; %bb.192:                              ;   in Loop: Header=BB70_32 Depth=1
	v_sub_co_u32_e32 v8, vcc, v8, v6
	s_mov_b64 s[12:13], exec
	s_nop 0
	v_subb_co_u32_e32 v9, vcc, v9, v7, vcc
	v_mov_b32_e32 v2, 0
; %bb.193:                              ;   in Loop: Header=BB70_32 Depth=1
	s_or_b64 exec, exec, s[6:7]
	s_and_b64 s[6:7], s[12:13], exec
	v_mov_b64_e32 v[4:5], v[8:9]
.LBB70_194:                             ;   in Loop: Header=BB70_32 Depth=1
	s_or_b64 exec, exec, s[0:1]
	s_mov_b64 s[0:1], -1
                                        ; implicit-def: $sgpr34_sgpr35
                                        ; implicit-def: $sgpr36_sgpr37
	s_and_saveexec_b64 s[28:29], s[6:7]
	s_cbranch_execz .LBB70_288
; %bb.195:                              ;   in Loop: Header=BB70_32 Depth=1
	s_cmp_eq_u64 s[22:23], 1
	s_cselect_b64 s[0:1], -1, 0
	v_cmp_eq_u64_e32 vcc, 1, v[4:5]
	s_and_b64 s[40:41], s[0:1], vcc
	s_mov_b64 s[0:1], -1
                                        ; implicit-def: $sgpr36_sgpr37
                                        ; implicit-def: $sgpr34_sgpr35
	s_and_saveexec_b64 s[38:39], s[40:41]
	s_cbranch_execz .LBB70_229
; %bb.196:                              ;   in Loop: Header=BB70_32 Depth=1
	ds_read_b64 v[6:7], v3 offset:5120
	s_waitcnt lgkmcnt(0)
	s_barrier
	v_readfirstlane_b32 s42, v6
	v_readfirstlane_b32 s43, v7
	s_mov_b64 s[0:1], exec
	v_readlane_b32 s6, v73, 38
	v_readlane_b32 s7, v73, 39
	s_and_b64 s[6:7], s[0:1], s[6:7]
	s_mov_b64 exec, s[6:7]
; %bb.197:                              ;   in Loop: Header=BB70_32 Depth=1
	ds_write_b16 v44, v3
; %bb.198:                              ;   in Loop: Header=BB70_32 Depth=1
	s_or_b64 exec, exec, s[0:1]
	v_and_b32_e32 v6, s52, v48
	v_cmp_gt_i64_e64 s[0:1], s[42:43], 0
	v_lshl_or_b32 v48, 2, s74, v6
	v_or_b32_e32 v52, s66, v52
	s_mov_b64 s[34:35], -1
	s_mov_b64 s[36:37], 0
	s_and_b64 vcc, exec, s[0:1]
	s_mov_b64 s[0:1], 0
	s_mov_b64 s[6:7], -1
	s_waitcnt lgkmcnt(0)
	s_barrier
                                        ; implicit-def: $vgpr53
	s_cbranch_vccnz .LBB70_214
; %bb.199:                              ;   in Loop: Header=BB70_32 Depth=1
	s_mov_b32 s76, s99
	s_cmp_lg_u64 s[76:77], 0
	s_cbranch_scc0 .LBB70_255
; %bb.200:                              ;   in Loop: Header=BB70_32 Depth=1
	s_add_u32 s0, s96, 0
	s_addc_u32 s1, 0, 0
	s_xor_b64 s[0:1], s[0:1], 0
	v_cvt_f32_u32_e32 v6, s0
	v_cvt_f32_u32_e32 v7, s1
	s_sub_u32 s12, 0, s0
	s_subb_u32 s13, 0, s1
	v_fmac_f32_e32 v6, 0x4f800000, v7
	v_rcp_f32_e32 v6, v6
	s_nop 0
	v_mul_f32_e32 v6, 0x5f7ffffc, v6
	v_mul_f32_e32 v7, 0x2f800000, v6
	v_trunc_f32_e32 v7, v7
	v_fmac_f32_e32 v6, 0xcf800000, v7
	v_cvt_u32_f32_e32 v7, v7
	v_cvt_u32_f32_e32 v6, v6
	v_readfirstlane_b32 s44, v7
	v_readfirstlane_b32 s6, v6
	s_mul_i32 s7, s12, s44
	s_mul_hi_u32 s46, s12, s6
	s_mul_i32 s45, s13, s6
	s_add_i32 s7, s46, s7
	s_mul_i32 s47, s12, s6
	s_add_i32 s7, s7, s45
	s_mul_i32 s46, s6, s7
	s_mul_hi_u32 s48, s6, s47
	s_mul_hi_u32 s45, s6, s7
	s_add_u32 s46, s48, s46
	s_addc_u32 s45, 0, s45
	s_mul_hi_u32 s49, s44, s47
	s_mul_i32 s47, s44, s47
	s_add_u32 s46, s46, s47
	s_mul_hi_u32 s48, s44, s7
	s_addc_u32 s45, s45, s49
	s_addc_u32 s46, s48, 0
	s_mul_i32 s7, s44, s7
	s_add_u32 s7, s45, s7
	s_addc_u32 s45, 0, s46
	s_add_u32 s46, s6, s7
	s_cselect_b64 s[6:7], -1, 0
	s_cmp_lg_u64 s[6:7], 0
	s_addc_u32 s44, s44, s45
	s_mul_i32 s6, s12, s44
	s_mul_hi_u32 s7, s12, s46
	s_add_i32 s6, s7, s6
	s_mul_i32 s13, s13, s46
	s_add_i32 s6, s6, s13
	s_mul_i32 s12, s12, s46
	s_mul_hi_u32 s13, s44, s12
	s_mul_i32 s45, s44, s12
	s_mul_i32 s48, s46, s6
	s_mul_hi_u32 s12, s46, s12
	s_mul_hi_u32 s47, s46, s6
	s_add_u32 s12, s12, s48
	s_addc_u32 s47, 0, s47
	s_add_u32 s12, s12, s45
	s_mul_hi_u32 s7, s44, s6
	s_addc_u32 s12, s47, s13
	s_addc_u32 s7, s7, 0
	s_mul_i32 s6, s44, s6
	s_add_u32 s6, s12, s6
	s_addc_u32 s12, 0, s7
	s_add_u32 s45, s46, s6
	s_cselect_b64 s[6:7], -1, 0
	s_cmp_lg_u64 s[6:7], 0
	s_addc_u32 s44, s44, s12
	s_ashr_i32 s6, s77, 31
	s_add_u32 s12, s75, s6
	s_mov_b32 s7, s6
	s_addc_u32 s13, s77, s6
	s_xor_b64 s[12:13], s[12:13], s[6:7]
	s_mul_i32 s47, s12, s44
	s_mul_hi_u32 s48, s12, s45
	s_mul_hi_u32 s46, s12, s44
	s_add_u32 s47, s48, s47
	s_addc_u32 s46, 0, s46
	s_mul_hi_u32 s49, s13, s45
	s_mul_i32 s45, s13, s45
	s_add_u32 s45, s47, s45
	s_mul_hi_u32 s48, s13, s44
	s_addc_u32 s45, s46, s49
	s_addc_u32 s46, s48, 0
	s_mul_i32 s44, s13, s44
	s_add_u32 s44, s45, s44
	s_addc_u32 s45, 0, s46
	s_mul_i32 s45, s0, s45
	s_mul_hi_u32 s46, s0, s44
	s_add_i32 s45, s46, s45
	s_mul_i32 s46, s1, s44
	s_add_i32 s48, s45, s46
	s_sub_i32 s46, s13, s48
	s_mul_i32 s44, s0, s44
	s_sub_u32 s12, s12, s44
	s_cselect_b64 s[44:45], -1, 0
	s_cmp_lg_u64 s[44:45], 0
	s_subb_u32 s49, s46, s1
	s_sub_u32 s50, s12, s0
	s_cselect_b64 s[46:47], -1, 0
	s_cmp_lg_u64 s[46:47], 0
	s_subb_u32 s51, s49, 0
	s_cmp_ge_u32 s51, s1
	s_cselect_b32 s53, -1, 0
	s_cmp_ge_u32 s50, s0
	s_cselect_b32 s54, -1, 0
	s_cmp_eq_u32 s51, s1
	s_cselect_b32 s53, s54, s53
	s_cmp_lg_u64 s[46:47], 0
	s_subb_u32 s49, s49, s1
	s_sub_u32 s54, s50, s0
	s_cselect_b64 s[46:47], -1, 0
	s_cmp_lg_u64 s[46:47], 0
	s_subb_u32 s46, s49, 0
	s_cmp_lg_u32 s53, 0
	s_cselect_b32 s47, s54, s50
	s_cselect_b32 s46, s46, s51
	s_cmp_lg_u64 s[44:45], 0
	s_subb_u32 s13, s13, s48
	s_cmp_ge_u32 s13, s1
	s_cselect_b32 s44, -1, 0
	s_cmp_ge_u32 s12, s0
	s_cselect_b32 s0, -1, 0
	s_cmp_eq_u32 s13, s1
	s_cselect_b32 s0, s0, s44
	s_cmp_lg_u32 s0, 0
	s_cselect_b32 s1, s46, s13
	s_cselect_b32 s0, s47, s12
	s_xor_b64 s[0:1], s[0:1], s[6:7]
	s_sub_u32 s0, s0, s6
	s_subb_u32 s1, s1, s6
	s_cbranch_execnz .LBB70_202
.LBB70_201:                             ;   in Loop: Header=BB70_32 Depth=1
	v_cvt_f32_u32_e32 v6, s96
	s_sub_i32 s0, 0, s96
	v_rcp_iflag_f32_e32 v6, v6
	s_nop 0
	v_mul_f32_e32 v6, 0x4f7ffffe, v6
	v_cvt_u32_f32_e32 v6, v6
	s_nop 0
	v_readfirstlane_b32 s1, v6
	s_mul_i32 s0, s0, s1
	s_mul_hi_u32 s0, s1, s0
	s_add_i32 s1, s1, s0
	s_mul_hi_u32 s0, s75, s1
	s_mul_i32 s0, s0, s96
	s_sub_i32 s0, s75, s0
	s_sub_i32 s1, s0, s96
	s_cmp_ge_u32 s0, s96
	s_cselect_b32 s0, s1, s0
	s_sub_i32 s1, s0, s96
	s_cmp_ge_u32 s0, s96
	s_cselect_b32 s98, s1, s0
	s_mov_b64 s[0:1], s[98:99]
.LBB70_202:                             ;   in Loop: Header=BB70_32 Depth=1
	s_sub_u32 s44, s75, s0
	s_subb_u32 s45, s77, s1
	v_cmp_gt_i64_e32 vcc, s[44:45], v[0:1]
	s_mov_b64 s[6:7], 0
	s_mov_b64 s[0:1], 0
                                        ; implicit-def: $vgpr53
	s_and_saveexec_b64 s[12:13], vcc
	v_readlane_b32 s54, v72, 4
	s_cbranch_execz .LBB70_213
; %bb.203:                              ;   in Loop: Header=BB70_32 Depth=1
	v_mov_b64_e32 v[6:7], v[12:13]
	v_mov_b64_e32 v[8:9], v[0:1]
                                        ; implicit-def: $sgpr46_sgpr47
	s_branch .LBB70_206
.LBB70_204:                             ;   in Loop: Header=BB70_206 Depth=2
	s_or_b64 exec, exec, s[48:49]
	s_waitcnt lgkmcnt(0)
	s_barrier
	ds_read_b32 v10, v3 offset:3072
	s_mov_b64 s[48:49], -1
	s_mov_b64 s[50:51], -1
	s_waitcnt lgkmcnt(0)
	s_barrier
	v_and_b32_e32 v11, 0x7fff, v10
	v_cmp_ne_u32_e32 vcc, 0, v11
	s_cbranch_vccz .LBB70_209
.LBB70_205:                             ;   in Loop: Header=BB70_206 Depth=2
	s_and_b64 s[48:49], exec, s[48:49]
	s_or_b64 s[0:1], s[48:49], s[0:1]
	s_andn2_b64 s[46:47], s[46:47], exec
	s_and_b64 s[48:49], s[50:51], exec
	s_or_b64 s[46:47], s[46:47], s[48:49]
	s_andn2_b64 exec, exec, s[0:1]
	s_cbranch_execz .LBB70_212
.LBB70_206:                             ;   Parent Loop BB70_32 Depth=1
                                        ; =>  This Inner Loop Header: Depth=2
	v_cmp_gt_i64_e32 vcc, s[56:57], v[8:9]
	s_and_saveexec_b64 s[48:49], vcc
	s_cbranch_execz .LBB70_204
; %bb.207:                              ;   in Loop: Header=BB70_206 Depth=2
	global_load_ushort v10, v[6:7], off
	s_waitcnt vmcnt(0)
	v_cmp_lt_i16_e32 vcc, -1, v10
	v_lshlrev_b32_e32 v11, 16, v10
	s_nop 0
	v_cndmask_b32_e32 v36, v49, v50, vcc
	v_xor_b32_sdwa v36, v36, v10 dst_sel:DWORD dst_unused:UNUSED_PAD src0_sel:DWORD src1_sel:WORD_0
	v_cmp_o_f32_e32 vcc, v11, v11
	s_nop 1
	v_cndmask_b32_e32 v11, v49, v36, vcc
	v_and_b32_e32 v11, v11, v52
	v_cmp_eq_u32_e32 vcc, v11, v48
	s_and_b64 exec, exec, vcc
	s_cbranch_execz .LBB70_204
; %bb.208:                              ;   in Loop: Header=BB70_206 Depth=2
	v_perm_b32 v10, v10, s70, v51
	ds_write_b32 v3, v10 offset:3072
	s_branch .LBB70_204
.LBB70_209:                             ;   in Loop: Header=BB70_206 Depth=2
	v_lshl_add_u64 v[8:9], v[8:9], 0, s[96:97]
	v_cmp_le_i64_e32 vcc, s[44:45], v[8:9]
	v_lshl_add_u64 v[6:7], v[6:7], 0, s[92:93]
	s_mov_b64 s[50:51], 0
	s_orn2_b64 s[48:49], vcc, exec
	s_branch .LBB70_205
.LBB70_210:                             ;   in Loop: Header=BB70_32 Depth=1
                                        ; implicit-def: $sgpr0_sgpr1
	s_andn2_b64 vcc, exec, s[6:7]
	s_cbranch_vccz .LBB70_155
	s_branch .LBB70_156
.LBB70_211:                             ;   in Loop: Header=BB70_32 Depth=1
                                        ; implicit-def: $sgpr6_sgpr7
	s_branch .LBB70_171
.LBB70_212:                             ;   in Loop: Header=BB70_32 Depth=1
	s_or_b64 exec, exec, s[0:1]
	v_lshrrev_b32_e32 v53, 16, v10
	s_and_b64 s[0:1], s[46:47], exec
.LBB70_213:                             ;   in Loop: Header=BB70_32 Depth=1
	s_or_b64 exec, exec, s[12:13]
	v_readlane_b32 s49, v72, 5
	v_readlane_b32 s50, v72, 6
	;; [unrolled: 1-line block ×3, first 2 shown]
.LBB70_214:                             ;   in Loop: Header=BB70_32 Depth=1
	s_and_b64 vcc, exec, s[6:7]
	s_cbranch_vccz .LBB70_228
; %bb.215:                              ;   in Loop: Header=BB70_32 Depth=1
	v_readlane_b32 s6, v73, 46
	s_add_u32 s36, s42, s6
	v_readlane_b32 s6, v73, 47
	s_addc_u32 s7, s43, s6
	s_mov_b32 s6, s99
	s_cmp_lg_u64 s[6:7], 0
	s_cbranch_scc0 .LBB70_256
; %bb.216:                              ;   in Loop: Header=BB70_32 Depth=1
	s_add_u32 s12, s96, 0
	s_addc_u32 s13, 0, 0
	s_xor_b64 s[12:13], s[12:13], 0
	v_cvt_f32_u32_e32 v6, s12
	v_cvt_f32_u32_e32 v7, s13
	s_sub_u32 s6, 0, s12
	s_subb_u32 s37, 0, s13
	v_fmac_f32_e32 v6, 0x4f800000, v7
	v_rcp_f32_e32 v6, v6
	s_nop 0
	v_mul_f32_e32 v6, 0x5f7ffffc, v6
	v_mul_f32_e32 v7, 0x2f800000, v6
	v_trunc_f32_e32 v7, v7
	v_fmac_f32_e32 v6, 0xcf800000, v7
	v_cvt_u32_f32_e32 v7, v7
	v_cvt_u32_f32_e32 v6, v6
	v_readfirstlane_b32 s44, v7
	v_readfirstlane_b32 s34, v6
	s_mul_i32 s35, s6, s44
	s_mul_hi_u32 s46, s6, s34
	s_mul_i32 s45, s37, s34
	s_add_i32 s35, s46, s35
	s_mul_i32 s47, s6, s34
	s_add_i32 s35, s35, s45
	s_mul_i32 s46, s34, s35
	s_mul_hi_u32 s48, s34, s47
	s_mul_hi_u32 s45, s34, s35
	s_add_u32 s46, s48, s46
	s_addc_u32 s45, 0, s45
	s_mul_hi_u32 s49, s44, s47
	s_mul_i32 s47, s44, s47
	s_add_u32 s46, s46, s47
	s_mul_hi_u32 s48, s44, s35
	s_addc_u32 s45, s45, s49
	s_addc_u32 s46, s48, 0
	s_mul_i32 s35, s44, s35
	s_add_u32 s35, s45, s35
	s_addc_u32 s45, 0, s46
	s_add_u32 s46, s34, s35
	s_cselect_b64 s[34:35], -1, 0
	s_cmp_lg_u64 s[34:35], 0
	s_addc_u32 s44, s44, s45
	s_mul_i32 s34, s6, s44
	s_mul_hi_u32 s35, s6, s46
	s_add_i32 s34, s35, s34
	s_mul_i32 s37, s37, s46
	s_add_i32 s34, s34, s37
	s_mul_i32 s6, s6, s46
	s_mul_hi_u32 s37, s44, s6
	s_mul_i32 s45, s44, s6
	s_mul_i32 s48, s46, s34
	s_mul_hi_u32 s6, s46, s6
	s_mul_hi_u32 s47, s46, s34
	s_add_u32 s6, s6, s48
	s_addc_u32 s47, 0, s47
	s_add_u32 s6, s6, s45
	s_mul_hi_u32 s35, s44, s34
	s_addc_u32 s6, s47, s37
	s_addc_u32 s35, s35, 0
	s_mul_i32 s34, s44, s34
	s_add_u32 s6, s6, s34
	s_addc_u32 s37, 0, s35
	s_add_u32 s6, s46, s6
	s_cselect_b64 s[34:35], -1, 0
	s_cmp_lg_u64 s[34:35], 0
	s_addc_u32 s37, s44, s37
	s_ashr_i32 s34, s7, 31
	s_add_u32 s44, s36, s34
	s_mov_b32 s35, s34
	s_addc_u32 s45, s7, s34
	s_xor_b64 s[44:45], s[44:45], s[34:35]
	s_mul_i32 s47, s44, s37
	s_mul_hi_u32 s48, s44, s6
	s_mul_hi_u32 s46, s44, s37
	s_add_u32 s47, s48, s47
	s_addc_u32 s46, 0, s46
	s_mul_hi_u32 s49, s45, s6
	s_mul_i32 s6, s45, s6
	s_add_u32 s6, s47, s6
	s_mul_hi_u32 s48, s45, s37
	s_addc_u32 s6, s46, s49
	s_addc_u32 s46, s48, 0
	s_mul_i32 s37, s45, s37
	s_add_u32 s6, s6, s37
	s_addc_u32 s37, 0, s46
	s_mul_i32 s37, s12, s37
	s_mul_hi_u32 s46, s12, s6
	s_add_i32 s37, s46, s37
	s_mul_i32 s46, s13, s6
	s_add_i32 s37, s37, s46
	s_sub_i32 s48, s45, s37
	s_mul_i32 s6, s12, s6
	s_sub_u32 s6, s44, s6
	s_cselect_b64 s[46:47], -1, 0
	s_cmp_lg_u64 s[46:47], 0
	s_subb_u32 s44, s48, s13
	s_sub_u32 s50, s6, s12
	s_cselect_b64 s[48:49], -1, 0
	s_cmp_lg_u64 s[48:49], 0
	s_subb_u32 s51, s44, 0
	s_cmp_ge_u32 s51, s13
	s_cselect_b32 s53, -1, 0
	s_cmp_ge_u32 s50, s12
	s_cselect_b32 s54, -1, 0
	s_cmp_eq_u32 s51, s13
	s_cselect_b32 s53, s54, s53
	s_cmp_lg_u64 s[48:49], 0
	s_subb_u32 s44, s44, s13
	s_sub_u32 s54, s50, s12
	s_cselect_b64 s[48:49], -1, 0
	s_cmp_lg_u64 s[48:49], 0
	s_subb_u32 s44, s44, 0
	s_cmp_lg_u32 s53, 0
	s_cselect_b32 s48, s54, s50
	s_cselect_b32 s44, s44, s51
	s_cmp_lg_u64 s[46:47], 0
	s_subb_u32 s37, s45, s37
	s_cmp_ge_u32 s37, s13
	s_cselect_b32 s45, -1, 0
	s_cmp_ge_u32 s6, s12
	s_cselect_b32 s12, -1, 0
	s_cmp_eq_u32 s37, s13
	s_cselect_b32 s12, s12, s45
	s_cmp_lg_u32 s12, 0
	s_cselect_b32 s13, s44, s37
	s_cselect_b32 s12, s48, s6
	s_xor_b64 s[12:13], s[12:13], s[34:35]
	s_sub_u32 s12, s12, s34
	v_readlane_b32 s50, v72, 6
	v_readlane_b32 s49, v72, 5
	;; [unrolled: 1-line block ×4, first 2 shown]
	s_subb_u32 s13, s13, s34
	s_cbranch_execnz .LBB70_218
.LBB70_217:                             ;   in Loop: Header=BB70_32 Depth=1
	v_cvt_f32_u32_e32 v6, s96
	s_sub_i32 s6, 0, s96
	v_rcp_iflag_f32_e32 v6, v6
	s_nop 0
	v_mul_f32_e32 v6, 0x4f7ffffe, v6
	v_cvt_u32_f32_e32 v6, v6
	s_nop 0
	v_readfirstlane_b32 s12, v6
	s_mul_i32 s6, s6, s12
	s_mul_hi_u32 s6, s12, s6
	s_add_i32 s12, s12, s6
	s_mul_hi_u32 s6, s36, s12
	s_mul_i32 s6, s6, s96
	s_sub_i32 s6, s36, s6
	s_sub_i32 s12, s6, s96
	s_cmp_ge_u32 s6, s96
	s_cselect_b32 s6, s12, s6
	s_sub_i32 s12, s6, s96
	s_cmp_ge_u32 s6, s96
	s_cselect_b32 s98, s12, s6
	s_mov_b64 s[12:13], s[98:99]
.LBB70_218:                             ;   in Loop: Header=BB70_32 Depth=1
	s_sub_u32 s12, s36, s12
	s_subb_u32 s13, s7, s13
	v_cmp_gt_i64_e32 vcc, s[12:13], v[0:1]
                                        ; implicit-def: $vgpr53
	s_and_saveexec_b64 s[6:7], vcc
	s_cbranch_execz .LBB70_227
; %bb.219:                              ;   in Loop: Header=BB70_32 Depth=1
	s_mov_b64 s[34:35], 0
	v_mov_b32_e32 v8, v43
	v_mov_b64_e32 v[6:7], v[0:1]
                                        ; implicit-def: $sgpr36_sgpr37
	s_branch .LBB70_222
.LBB70_220:                             ;   in Loop: Header=BB70_222 Depth=2
	s_or_b64 exec, exec, s[44:45]
	s_waitcnt lgkmcnt(0)
	s_barrier
	ds_read_b32 v9, v3 offset:3072
	s_mov_b64 s[44:45], -1
	s_mov_b64 s[46:47], -1
	s_waitcnt lgkmcnt(0)
	s_barrier
	v_and_b32_e32 v10, 0x7fff, v9
	v_cmp_eq_u32_e32 vcc, 0, v10
	s_cbranch_vccnz .LBB70_225
.LBB70_221:                             ;   in Loop: Header=BB70_222 Depth=2
	s_and_b64 s[44:45], exec, s[44:45]
	s_or_b64 s[34:35], s[44:45], s[34:35]
	s_andn2_b64 s[36:37], s[36:37], exec
	s_and_b64 s[44:45], s[46:47], exec
	s_or_b64 s[36:37], s[36:37], s[44:45]
	s_andn2_b64 exec, exec, s[34:35]
	s_cbranch_execz .LBB70_226
.LBB70_222:                             ;   Parent Loop BB70_32 Depth=1
                                        ; =>  This Inner Loop Header: Depth=2
	v_cmp_gt_u64_e32 vcc, s[42:43], v[6:7]
	s_and_saveexec_b64 s[44:45], vcc
	s_cbranch_execz .LBB70_220
; %bb.223:                              ;   in Loop: Header=BB70_222 Depth=2
	ds_read_u16 v9, v8
	s_waitcnt lgkmcnt(0)
	v_cmp_lt_i16_e32 vcc, -1, v9
	v_lshlrev_b32_e32 v10, 16, v9
	s_nop 0
	v_cndmask_b32_e32 v11, v49, v50, vcc
	v_xor_b32_sdwa v11, v11, v9 dst_sel:DWORD dst_unused:UNUSED_PAD src0_sel:DWORD src1_sel:WORD_0
	v_cmp_o_f32_e32 vcc, v10, v10
	s_nop 1
	v_cndmask_b32_e32 v10, v49, v11, vcc
	v_and_b32_e32 v10, v10, v52
	v_cmp_eq_u32_e32 vcc, v10, v48
	s_and_b64 exec, exec, vcc
	s_cbranch_execz .LBB70_220
; %bb.224:                              ;   in Loop: Header=BB70_222 Depth=2
	v_perm_b32 v9, v9, s70, v51
	ds_write_b32 v3, v9 offset:3072
	s_branch .LBB70_220
.LBB70_225:                             ;   in Loop: Header=BB70_222 Depth=2
	v_lshl_add_u64 v[6:7], v[6:7], 0, s[96:97]
	v_cmp_le_i64_e32 vcc, s[12:13], v[6:7]
	v_add_u32_e32 v8, s51, v8
	s_mov_b64 s[46:47], 0
	s_orn2_b64 s[44:45], vcc, exec
	s_branch .LBB70_221
.LBB70_226:                             ;   in Loop: Header=BB70_32 Depth=1
	s_or_b64 exec, exec, s[34:35]
	s_andn2_b64 s[0:1], s[0:1], exec
	s_and_b64 s[12:13], s[36:37], exec
	v_lshrrev_b32_e32 v53, 16, v9
	s_or_b64 s[0:1], s[0:1], s[12:13]
.LBB70_227:                             ;   in Loop: Header=BB70_32 Depth=1
	s_or_b64 exec, exec, s[6:7]
	s_mov_b64 s[34:35], 0
	s_mov_b64 s[36:37], -1
.LBB70_228:                             ;   in Loop: Header=BB70_32 Depth=1
	s_orn2_b64 s[0:1], s[0:1], exec
.LBB70_229:                             ;   in Loop: Header=BB70_32 Depth=1
	s_or_b64 exec, exec, s[38:39]
	s_mov_b64 s[6:7], 0
	s_and_saveexec_b64 s[38:39], s[0:1]
	s_cbranch_execz .LBB70_287
; %bb.230:                              ;   in Loop: Header=BB70_32 Depth=1
	s_xor_b64 s[6:7], s[40:41], -1
	v_mov_b32_e32 v2, 1
	s_mov_b64 s[40:41], 0
	v_mov_b64_e32 v[6:7], 1
	s_and_saveexec_b64 s[0:1], s[6:7]
	s_cbranch_execz .LBB70_239
; %bb.231:                              ;   in Loop: Header=BB70_32 Depth=1
	v_cmp_ge_i64_e32 vcc, s[22:23], v[4:5]
	s_and_saveexec_b64 s[6:7], vcc
	s_xor_b64 s[6:7], exec, s[6:7]
	s_cbranch_execz .LBB70_236
; %bb.232:                              ;   in Loop: Header=BB70_32 Depth=1
	ds_read_b64 v[6:7], v3 offset:5120
	v_and_b32_e32 v2, s52, v48
	v_lshl_or_b32 v48, 2, s74, v2
	v_or_b32_e32 v52, s66, v52
	s_waitcnt lgkmcnt(0)
	v_cmp_ne_u64_e32 vcc, 0, v[6:7]
	s_cbranch_vccnz .LBB70_236
; %bb.233:                              ;   in Loop: Header=BB70_32 Depth=1
	s_mov_b64 s[12:13], exec
	v_readlane_b32 s40, v73, 32
	v_readlane_b32 s41, v73, 33
	s_and_b64 s[40:41], s[12:13], s[40:41]
	s_mov_b64 exec, s[40:41]
; %bb.234:                              ;   in Loop: Header=BB70_32 Depth=1
	v_mov_b64_e32 v[6:7], s[22:23]
	ds_write_b64 v3, v[6:7] offset:5128
; %bb.235:                              ;   in Loop: Header=BB70_32 Depth=1
	s_or_b64 exec, exec, s[12:13]
	s_waitcnt lgkmcnt(0)
	s_barrier
.LBB70_236:                             ;   in Loop: Header=BB70_32 Depth=1
	s_or_saveexec_b64 s[6:7], s[6:7]
	s_mov_b64 s[12:13], 0
	v_mov_b32_e32 v2, 8
	s_xor_b64 exec, exec, s[6:7]
; %bb.237:                              ;   in Loop: Header=BB70_32 Depth=1
	v_mov_b32_e32 v2, s23
	v_subrev_co_u32_e32 v4, vcc, s22, v4
	s_mov_b64 s[12:13], exec
	s_nop 0
	v_subb_co_u32_e32 v5, vcc, v5, v2, vcc
	v_mov_b32_e32 v2, 0
; %bb.238:                              ;   in Loop: Header=BB70_32 Depth=1
	s_or_b64 exec, exec, s[6:7]
	s_and_b64 s[40:41], s[12:13], exec
	v_mov_b64_e32 v[6:7], v[4:5]
.LBB70_239:                             ;   in Loop: Header=BB70_32 Depth=1
	s_or_b64 exec, exec, s[0:1]
	s_mov_b64 s[12:13], -1
                                        ; implicit-def: $sgpr6_sgpr7
                                        ; implicit-def: $sgpr0_sgpr1
	s_and_saveexec_b64 s[22:23], s[40:41]
	s_cbranch_execz .LBB70_286
; %bb.240:                              ;   in Loop: Header=BB70_32 Depth=1
	s_cmp_eq_u64 s[14:15], 1
	s_cselect_b64 s[0:1], -1, 0
	v_cmp_eq_u64_e32 vcc, 1, v[6:7]
	s_and_b64 s[40:41], s[0:1], vcc
	s_mov_b64 s[44:45], -1
                                        ; implicit-def: $sgpr6_sgpr7
                                        ; implicit-def: $sgpr0_sgpr1
	s_and_saveexec_b64 s[42:43], s[40:41]
	s_cbranch_execz .LBB70_274
; %bb.241:                              ;   in Loop: Header=BB70_32 Depth=1
	ds_read_b64 v[4:5], v3 offset:5120
	s_waitcnt lgkmcnt(0)
	s_barrier
	v_readfirstlane_b32 s44, v4
	v_readfirstlane_b32 s45, v5
	s_mov_b64 s[0:1], exec
	v_readlane_b32 s6, v73, 38
	v_readlane_b32 s7, v73, 39
	s_and_b64 s[6:7], s[0:1], s[6:7]
	s_mov_b64 exec, s[6:7]
; %bb.242:                              ;   in Loop: Header=BB70_32 Depth=1
	ds_write_b16 v44, v3
; %bb.243:                              ;   in Loop: Header=BB70_32 Depth=1
	s_or_b64 exec, exec, s[0:1]
	v_cmp_gt_i64_e64 s[12:13], s[44:45], 0
	v_or_b32_e32 v48, s66, v48
	v_or_b32_e32 v52, s66, v52
	s_mov_b64 s[0:1], -1
	s_mov_b64 s[6:7], 0
	s_and_b64 vcc, exec, s[12:13]
	s_mov_b64 s[12:13], 0
	s_mov_b64 s[46:47], -1
	s_waitcnt lgkmcnt(0)
	s_barrier
                                        ; implicit-def: $vgpr53
	s_cbranch_vccnz .LBB70_259
; %bb.244:                              ;   in Loop: Header=BB70_32 Depth=1
	s_mov_b32 s76, s99
	s_mov_b64 s[10:11], s[64:65]
	s_cmp_lg_u64 s[76:77], 0
	s_cbranch_scc0 .LBB70_293
; %bb.245:                              ;   in Loop: Header=BB70_32 Depth=1
	s_add_u32 s12, s96, 0
	s_addc_u32 s13, 0, 0
	s_xor_b64 s[12:13], s[12:13], 0
	v_cvt_f32_u32_e32 v4, s12
	v_cvt_f32_u32_e32 v5, s13
	s_sub_u32 s48, 0, s12
	s_subb_u32 s49, 0, s13
	v_fmac_f32_e32 v4, 0x4f800000, v5
	v_rcp_f32_e32 v4, v4
	s_nop 0
	v_mul_f32_e32 v4, 0x5f7ffffc, v4
	v_mul_f32_e32 v5, 0x2f800000, v4
	v_trunc_f32_e32 v5, v5
	v_fmac_f32_e32 v4, 0xcf800000, v5
	v_cvt_u32_f32_e32 v5, v5
	v_cvt_u32_f32_e32 v4, v4
	v_readfirstlane_b32 s50, v5
	v_readfirstlane_b32 s46, v4
	s_mul_i32 s47, s48, s50
	s_mul_hi_u32 s52, s48, s46
	s_mul_i32 s51, s49, s46
	s_add_i32 s47, s52, s47
	s_mul_i32 s53, s48, s46
	s_add_i32 s47, s47, s51
	s_mul_i32 s52, s46, s47
	s_mul_hi_u32 s54, s46, s53
	s_mul_hi_u32 s51, s46, s47
	s_add_u32 s52, s54, s52
	s_addc_u32 s51, 0, s51
	s_mul_hi_u32 s55, s50, s53
	s_mul_i32 s53, s50, s53
	s_add_u32 s52, s52, s53
	s_mul_hi_u32 s54, s50, s47
	s_addc_u32 s51, s51, s55
	s_addc_u32 s52, s54, 0
	s_mul_i32 s47, s50, s47
	s_add_u32 s47, s51, s47
	s_addc_u32 s51, 0, s52
	s_add_u32 s52, s46, s47
	s_cselect_b64 s[46:47], -1, 0
	s_cmp_lg_u64 s[46:47], 0
	s_addc_u32 s50, s50, s51
	s_mul_i32 s46, s48, s50
	s_mul_hi_u32 s47, s48, s52
	s_add_i32 s46, s47, s46
	s_mul_i32 s49, s49, s52
	s_add_i32 s46, s46, s49
	s_mul_i32 s48, s48, s52
	s_mul_hi_u32 s49, s50, s48
	s_mul_i32 s51, s50, s48
	s_mul_i32 s54, s52, s46
	s_mul_hi_u32 s48, s52, s48
	s_mul_hi_u32 s53, s52, s46
	s_add_u32 s48, s48, s54
	s_addc_u32 s53, 0, s53
	s_add_u32 s48, s48, s51
	s_mul_hi_u32 s47, s50, s46
	s_addc_u32 s48, s53, s49
	s_addc_u32 s47, s47, 0
	s_mul_i32 s46, s50, s46
	s_add_u32 s46, s48, s46
	s_addc_u32 s48, 0, s47
	s_add_u32 s51, s52, s46
	s_cselect_b64 s[46:47], -1, 0
	s_cmp_lg_u64 s[46:47], 0
	s_addc_u32 s50, s50, s48
	s_ashr_i32 s46, s77, 31
	s_add_u32 s48, s75, s46
	s_mov_b32 s47, s46
	s_addc_u32 s49, s77, s46
	s_xor_b64 s[48:49], s[48:49], s[46:47]
	s_mul_i32 s53, s48, s50
	s_mul_hi_u32 s54, s48, s51
	s_mul_hi_u32 s52, s48, s50
	s_add_u32 s53, s54, s53
	s_addc_u32 s52, 0, s52
	s_mul_hi_u32 s55, s49, s51
	s_mul_i32 s51, s49, s51
	s_add_u32 s51, s53, s51
	s_mul_hi_u32 s54, s49, s50
	s_addc_u32 s51, s52, s55
	s_addc_u32 s52, s54, 0
	s_mul_i32 s50, s49, s50
	s_add_u32 s50, s51, s50
	s_addc_u32 s51, 0, s52
	s_mul_i32 s51, s12, s51
	s_mul_hi_u32 s52, s12, s50
	s_add_i32 s51, s52, s51
	s_mul_i32 s52, s13, s50
	s_add_i32 s54, s51, s52
	s_sub_i32 s52, s49, s54
	s_mul_i32 s50, s12, s50
	s_sub_u32 s48, s48, s50
	s_cselect_b64 s[50:51], -1, 0
	s_cmp_lg_u64 s[50:51], 0
	s_subb_u32 s55, s52, s13
	s_sub_u32 s64, s48, s12
	s_cselect_b64 s[52:53], -1, 0
	s_cmp_lg_u64 s[52:53], 0
	s_subb_u32 s65, s55, 0
	s_cmp_ge_u32 s65, s13
	s_cselect_b32 s67, -1, 0
	s_cmp_ge_u32 s64, s12
	s_cselect_b32 s68, -1, 0
	s_cmp_eq_u32 s65, s13
	s_cselect_b32 s67, s68, s67
	s_cmp_lg_u64 s[52:53], 0
	s_subb_u32 s55, s55, s13
	s_sub_u32 s68, s64, s12
	s_cselect_b64 s[52:53], -1, 0
	s_cmp_lg_u64 s[52:53], 0
	s_subb_u32 s52, s55, 0
	s_cmp_lg_u32 s67, 0
	s_cselect_b32 s53, s68, s64
	s_cselect_b32 s52, s52, s65
	s_cmp_lg_u64 s[50:51], 0
	s_subb_u32 s49, s49, s54
	s_cmp_ge_u32 s49, s13
	s_cselect_b32 s50, -1, 0
	s_cmp_ge_u32 s48, s12
	s_cselect_b32 s12, -1, 0
	s_cmp_eq_u32 s49, s13
	s_cselect_b32 s12, s12, s50
	s_cmp_lg_u32 s12, 0
	s_cselect_b32 s13, s52, s49
	s_cselect_b32 s12, s53, s48
	s_xor_b64 s[12:13], s[12:13], s[46:47]
	s_sub_u32 s12, s12, s46
	s_subb_u32 s13, s13, s46
	s_cbranch_execnz .LBB70_247
.LBB70_246:                             ;   in Loop: Header=BB70_32 Depth=1
	v_cvt_f32_u32_e32 v4, s96
	s_sub_i32 s12, 0, s96
	v_rcp_iflag_f32_e32 v4, v4
	s_nop 0
	v_mul_f32_e32 v4, 0x4f7ffffe, v4
	v_cvt_u32_f32_e32 v4, v4
	s_nop 0
	v_readfirstlane_b32 s13, v4
	s_mul_i32 s12, s12, s13
	s_mul_hi_u32 s12, s13, s12
	s_add_i32 s13, s13, s12
	s_mul_hi_u32 s12, s75, s13
	s_mul_i32 s12, s12, s96
	s_sub_i32 s12, s75, s12
	s_sub_i32 s13, s12, s96
	s_cmp_ge_u32 s12, s96
	s_cselect_b32 s12, s13, s12
	s_sub_i32 s13, s12, s96
	s_cmp_ge_u32 s12, s96
	s_cselect_b32 s98, s13, s12
	s_mov_b64 s[12:13], s[98:99]
.LBB70_247:                             ;   in Loop: Header=BB70_32 Depth=1
	s_sub_u32 s50, s75, s12
	s_subb_u32 s51, s77, s13
	v_cmp_gt_i64_e32 vcc, s[50:51], v[0:1]
	s_mov_b64 s[46:47], 0
	s_mov_b64 s[12:13], 0
                                        ; implicit-def: $vgpr53
	s_and_saveexec_b64 s[48:49], vcc
	s_cbranch_execz .LBB70_258
; %bb.248:                              ;   in Loop: Header=BB70_32 Depth=1
	v_mov_b64_e32 v[4:5], v[12:13]
	v_mov_b64_e32 v[8:9], v[0:1]
                                        ; implicit-def: $sgpr52_sgpr53
	s_branch .LBB70_251
.LBB70_249:                             ;   in Loop: Header=BB70_251 Depth=2
	s_or_b64 exec, exec, s[54:55]
	s_waitcnt lgkmcnt(0)
	s_barrier
	ds_read_b32 v10, v3 offset:3072
	s_mov_b64 s[54:55], -1
	s_mov_b64 s[64:65], -1
	s_waitcnt lgkmcnt(0)
	s_barrier
	v_and_b32_e32 v11, 0x7fff, v10
	v_cmp_ne_u32_e32 vcc, 0, v11
	s_cbranch_vccz .LBB70_254
.LBB70_250:                             ;   in Loop: Header=BB70_251 Depth=2
	s_and_b64 s[54:55], exec, s[54:55]
	s_or_b64 s[12:13], s[54:55], s[12:13]
	s_andn2_b64 s[52:53], s[52:53], exec
	s_and_b64 s[54:55], s[64:65], exec
	s_or_b64 s[52:53], s[52:53], s[54:55]
	s_andn2_b64 exec, exec, s[12:13]
	s_cbranch_execz .LBB70_257
.LBB70_251:                             ;   Parent Loop BB70_32 Depth=1
                                        ; =>  This Inner Loop Header: Depth=2
	v_cmp_gt_i64_e32 vcc, s[56:57], v[8:9]
	s_and_saveexec_b64 s[54:55], vcc
	s_cbranch_execz .LBB70_249
; %bb.252:                              ;   in Loop: Header=BB70_251 Depth=2
	global_load_ushort v10, v[4:5], off
	s_waitcnt vmcnt(0)
	v_cmp_lt_i16_e32 vcc, -1, v10
	v_lshlrev_b32_e32 v11, 16, v10
	s_nop 0
	v_cndmask_b32_e32 v36, v49, v50, vcc
	v_xor_b32_sdwa v36, v36, v10 dst_sel:DWORD dst_unused:UNUSED_PAD src0_sel:DWORD src1_sel:WORD_0
	v_cmp_o_f32_e32 vcc, v11, v11
	s_nop 1
	v_cndmask_b32_e32 v11, v49, v36, vcc
	v_and_b32_e32 v11, v11, v52
	v_cmp_eq_u32_e32 vcc, v11, v48
	s_and_b64 exec, exec, vcc
	s_cbranch_execz .LBB70_249
; %bb.253:                              ;   in Loop: Header=BB70_251 Depth=2
	v_perm_b32 v10, v10, s70, v51
	ds_write_b32 v3, v10 offset:3072
	s_branch .LBB70_249
.LBB70_254:                             ;   in Loop: Header=BB70_251 Depth=2
	v_lshl_add_u64 v[8:9], v[8:9], 0, s[96:97]
	v_cmp_le_i64_e32 vcc, s[50:51], v[8:9]
	v_lshl_add_u64 v[4:5], v[4:5], 0, s[92:93]
	s_mov_b64 s[64:65], 0
	s_orn2_b64 s[54:55], vcc, exec
	s_branch .LBB70_250
.LBB70_255:                             ;   in Loop: Header=BB70_32 Depth=1
                                        ; implicit-def: $sgpr0_sgpr1
	s_andn2_b64 vcc, exec, s[6:7]
	s_cbranch_vccz .LBB70_201
	s_branch .LBB70_202
.LBB70_256:                             ;   in Loop: Header=BB70_32 Depth=1
                                        ; implicit-def: $sgpr12_sgpr13
	s_branch .LBB70_217
.LBB70_257:                             ;   in Loop: Header=BB70_32 Depth=1
	s_or_b64 exec, exec, s[12:13]
	v_lshrrev_b32_e32 v53, 16, v10
	s_and_b64 s[12:13], s[52:53], exec
.LBB70_258:                             ;   in Loop: Header=BB70_32 Depth=1
	s_or_b64 exec, exec, s[48:49]
	v_readlane_b32 s55, v72, 3
	v_readlane_b32 s54, v72, 4
	;; [unrolled: 1-line block ×5, first 2 shown]
	s_mov_b64 s[64:65], s[10:11]
.LBB70_259:                             ;   in Loop: Header=BB70_32 Depth=1
	s_and_b64 vcc, exec, s[46:47]
	s_cbranch_vccz .LBB70_273
; %bb.260:                              ;   in Loop: Header=BB70_32 Depth=1
	v_readlane_b32 s0, v73, 46
	s_add_u32 s48, s44, s0
	v_readlane_b32 s0, v73, 47
	s_addc_u32 s1, s45, s0
	s_mov_b32 s0, s99
	s_cmp_lg_u64 s[0:1], 0
	s_cbranch_scc0 .LBB70_294
; %bb.261:                              ;   in Loop: Header=BB70_32 Depth=1
	s_add_u32 s6, s96, 0
	s_addc_u32 s7, 0, 0
	s_xor_b64 s[6:7], s[6:7], 0
	v_cvt_f32_u32_e32 v4, s6
	v_cvt_f32_u32_e32 v5, s7
	s_sub_u32 s0, 0, s6
	s_subb_u32 s49, 0, s7
	s_mov_b64 s[10:11], s[64:65]
	v_fmac_f32_e32 v4, 0x4f800000, v5
	v_rcp_f32_e32 v4, v4
	s_nop 0
	v_mul_f32_e32 v4, 0x5f7ffffc, v4
	v_mul_f32_e32 v5, 0x2f800000, v4
	v_trunc_f32_e32 v5, v5
	v_fmac_f32_e32 v4, 0xcf800000, v5
	v_cvt_u32_f32_e32 v5, v5
	v_cvt_u32_f32_e32 v4, v4
	v_readfirstlane_b32 s50, v5
	v_readfirstlane_b32 s46, v4
	s_mul_i32 s47, s0, s50
	s_mul_hi_u32 s52, s0, s46
	s_mul_i32 s51, s49, s46
	s_add_i32 s47, s52, s47
	s_mul_i32 s53, s0, s46
	s_add_i32 s47, s47, s51
	s_mul_i32 s52, s46, s47
	s_mul_hi_u32 s54, s46, s53
	s_mul_hi_u32 s51, s46, s47
	s_add_u32 s52, s54, s52
	s_addc_u32 s51, 0, s51
	s_mul_hi_u32 s55, s50, s53
	s_mul_i32 s53, s50, s53
	s_add_u32 s52, s52, s53
	s_mul_hi_u32 s54, s50, s47
	s_addc_u32 s51, s51, s55
	s_addc_u32 s52, s54, 0
	s_mul_i32 s47, s50, s47
	s_add_u32 s47, s51, s47
	s_addc_u32 s51, 0, s52
	s_add_u32 s52, s46, s47
	s_cselect_b64 s[46:47], -1, 0
	s_cmp_lg_u64 s[46:47], 0
	s_addc_u32 s50, s50, s51
	s_mul_i32 s46, s0, s50
	s_mul_hi_u32 s47, s0, s52
	s_add_i32 s46, s47, s46
	s_mul_i32 s49, s49, s52
	s_add_i32 s46, s46, s49
	s_mul_i32 s0, s0, s52
	s_mul_hi_u32 s49, s50, s0
	s_mul_i32 s51, s50, s0
	s_mul_i32 s54, s52, s46
	s_mul_hi_u32 s0, s52, s0
	s_mul_hi_u32 s53, s52, s46
	s_add_u32 s0, s0, s54
	s_addc_u32 s53, 0, s53
	s_add_u32 s0, s0, s51
	s_mul_hi_u32 s47, s50, s46
	s_addc_u32 s0, s53, s49
	s_addc_u32 s47, s47, 0
	s_mul_i32 s46, s50, s46
	s_add_u32 s0, s0, s46
	s_addc_u32 s49, 0, s47
	s_add_u32 s0, s52, s0
	s_cselect_b64 s[46:47], -1, 0
	s_cmp_lg_u64 s[46:47], 0
	s_addc_u32 s49, s50, s49
	s_ashr_i32 s46, s1, 31
	s_add_u32 s50, s48, s46
	s_mov_b32 s47, s46
	s_addc_u32 s51, s1, s46
	s_xor_b64 s[50:51], s[50:51], s[46:47]
	s_mul_i32 s53, s50, s49
	s_mul_hi_u32 s54, s50, s0
	s_mul_hi_u32 s52, s50, s49
	s_add_u32 s53, s54, s53
	s_addc_u32 s52, 0, s52
	s_mul_hi_u32 s55, s51, s0
	s_mul_i32 s0, s51, s0
	s_add_u32 s0, s53, s0
	s_mul_hi_u32 s54, s51, s49
	s_addc_u32 s0, s52, s55
	s_addc_u32 s52, s54, 0
	s_mul_i32 s49, s51, s49
	s_add_u32 s0, s0, s49
	s_addc_u32 s49, 0, s52
	s_mul_i32 s49, s6, s49
	s_mul_hi_u32 s52, s6, s0
	s_add_i32 s49, s52, s49
	s_mul_i32 s52, s7, s0
	s_add_i32 s49, s49, s52
	s_sub_i32 s54, s51, s49
	s_mul_i32 s0, s6, s0
	s_sub_u32 s0, s50, s0
	s_cselect_b64 s[52:53], -1, 0
	s_cmp_lg_u64 s[52:53], 0
	s_subb_u32 s50, s54, s7
	s_sub_u32 s64, s0, s6
	s_cselect_b64 s[54:55], -1, 0
	s_cmp_lg_u64 s[54:55], 0
	s_subb_u32 s65, s50, 0
	s_cmp_ge_u32 s65, s7
	s_cselect_b32 s67, -1, 0
	s_cmp_ge_u32 s64, s6
	s_cselect_b32 s68, -1, 0
	s_cmp_eq_u32 s65, s7
	s_cselect_b32 s67, s68, s67
	s_cmp_lg_u64 s[54:55], 0
	s_subb_u32 s50, s50, s7
	s_sub_u32 s68, s64, s6
	s_cselect_b64 s[54:55], -1, 0
	s_cmp_lg_u64 s[54:55], 0
	s_subb_u32 s50, s50, 0
	s_cmp_lg_u32 s67, 0
	s_cselect_b32 s54, s68, s64
	s_cselect_b32 s50, s50, s65
	s_cmp_lg_u64 s[52:53], 0
	s_subb_u32 s49, s51, s49
	s_cmp_ge_u32 s49, s7
	s_cselect_b32 s51, -1, 0
	s_cmp_ge_u32 s0, s6
	s_cselect_b32 s6, -1, 0
	s_cmp_eq_u32 s49, s7
	s_cselect_b32 s6, s6, s51
	s_cmp_lg_u32 s6, 0
	s_cselect_b32 s7, s50, s49
	s_cselect_b32 s6, s54, s0
	s_xor_b64 s[6:7], s[6:7], s[46:47]
	s_sub_u32 s6, s6, s46
	v_readlane_b32 s55, v72, 3
	s_mov_b64 s[64:65], s[10:11]
	v_readlane_b32 s51, v72, 7
	v_readlane_b32 s50, v72, 6
	;; [unrolled: 1-line block ×4, first 2 shown]
	s_subb_u32 s7, s7, s46
	s_cbranch_execnz .LBB70_263
.LBB70_262:                             ;   in Loop: Header=BB70_32 Depth=1
	v_cvt_f32_u32_e32 v4, s96
	s_sub_i32 s0, 0, s96
	v_rcp_iflag_f32_e32 v4, v4
	s_nop 0
	v_mul_f32_e32 v4, 0x4f7ffffe, v4
	v_cvt_u32_f32_e32 v4, v4
	s_nop 0
	v_readfirstlane_b32 s6, v4
	s_mul_i32 s0, s0, s6
	s_mul_hi_u32 s0, s6, s0
	s_add_i32 s6, s6, s0
	s_mul_hi_u32 s0, s48, s6
	s_mul_i32 s0, s0, s96
	s_sub_i32 s0, s48, s0
	s_sub_i32 s6, s0, s96
	s_cmp_ge_u32 s0, s96
	s_cselect_b32 s0, s6, s0
	s_sub_i32 s6, s0, s96
	s_cmp_ge_u32 s0, s96
	s_cselect_b32 s98, s6, s0
	s_mov_b64 s[6:7], s[98:99]
.LBB70_263:                             ;   in Loop: Header=BB70_32 Depth=1
	s_sub_u32 s6, s48, s6
	s_subb_u32 s7, s1, s7
	v_cmp_gt_i64_e32 vcc, s[6:7], v[0:1]
                                        ; implicit-def: $vgpr53
	s_and_saveexec_b64 s[0:1], vcc
	s_cbranch_execz .LBB70_272
; %bb.264:                              ;   in Loop: Header=BB70_32 Depth=1
	s_mov_b64 s[46:47], 0
	v_mov_b32_e32 v8, v43
	v_mov_b64_e32 v[4:5], v[0:1]
                                        ; implicit-def: $sgpr48_sgpr49
	s_branch .LBB70_267
.LBB70_265:                             ;   in Loop: Header=BB70_267 Depth=2
	s_or_b64 exec, exec, s[50:51]
	s_waitcnt lgkmcnt(0)
	s_barrier
	ds_read_b32 v9, v3 offset:3072
	s_mov_b64 s[50:51], -1
	s_mov_b64 s[52:53], -1
	s_waitcnt lgkmcnt(0)
	s_barrier
	v_and_b32_e32 v10, 0x7fff, v9
	v_cmp_eq_u32_e32 vcc, 0, v10
	s_cbranch_vccnz .LBB70_270
.LBB70_266:                             ;   in Loop: Header=BB70_267 Depth=2
	s_and_b64 s[50:51], exec, s[50:51]
	s_or_b64 s[46:47], s[50:51], s[46:47]
	s_andn2_b64 s[48:49], s[48:49], exec
	s_and_b64 s[50:51], s[52:53], exec
	s_or_b64 s[48:49], s[48:49], s[50:51]
	s_andn2_b64 exec, exec, s[46:47]
	s_cbranch_execz .LBB70_271
.LBB70_267:                             ;   Parent Loop BB70_32 Depth=1
                                        ; =>  This Inner Loop Header: Depth=2
	v_cmp_gt_u64_e32 vcc, s[44:45], v[4:5]
	s_and_saveexec_b64 s[50:51], vcc
	s_cbranch_execz .LBB70_265
; %bb.268:                              ;   in Loop: Header=BB70_267 Depth=2
	ds_read_u16 v9, v8
	s_waitcnt lgkmcnt(0)
	v_cmp_lt_i16_e32 vcc, -1, v9
	v_lshlrev_b32_e32 v10, 16, v9
	s_nop 0
	v_cndmask_b32_e32 v11, v49, v50, vcc
	v_xor_b32_sdwa v11, v11, v9 dst_sel:DWORD dst_unused:UNUSED_PAD src0_sel:DWORD src1_sel:WORD_0
	v_cmp_o_f32_e32 vcc, v10, v10
	s_nop 1
	v_cndmask_b32_e32 v10, v49, v11, vcc
	v_and_b32_e32 v10, v10, v52
	v_cmp_eq_u32_e32 vcc, v10, v48
	s_and_b64 exec, exec, vcc
	s_cbranch_execz .LBB70_265
; %bb.269:                              ;   in Loop: Header=BB70_267 Depth=2
	v_perm_b32 v9, v9, s70, v51
	ds_write_b32 v3, v9 offset:3072
	s_branch .LBB70_265
.LBB70_270:                             ;   in Loop: Header=BB70_267 Depth=2
	v_lshl_add_u64 v[4:5], v[4:5], 0, s[96:97]
	v_readlane_b32 s10, v72, 7
	v_cmp_le_i64_e32 vcc, s[6:7], v[4:5]
	s_mov_b64 s[52:53], 0
	v_add_u32_e32 v8, s10, v8
	s_orn2_b64 s[50:51], vcc, exec
	s_branch .LBB70_266
.LBB70_271:                             ;   in Loop: Header=BB70_32 Depth=1
	s_or_b64 exec, exec, s[46:47]
	s_andn2_b64 s[6:7], s[12:13], exec
	s_and_b64 s[12:13], s[48:49], exec
	v_lshrrev_b32_e32 v53, 16, v9
	s_or_b64 s[12:13], s[6:7], s[12:13]
	v_readlane_b32 s49, v72, 5
	v_readlane_b32 s50, v72, 6
	;; [unrolled: 1-line block ×3, first 2 shown]
.LBB70_272:                             ;   in Loop: Header=BB70_32 Depth=1
	s_or_b64 exec, exec, s[0:1]
	s_mov_b64 s[0:1], 0
	s_mov_b64 s[6:7], -1
.LBB70_273:                             ;   in Loop: Header=BB70_32 Depth=1
	s_orn2_b64 s[44:45], s[12:13], exec
.LBB70_274:                             ;   in Loop: Header=BB70_32 Depth=1
	s_or_b64 exec, exec, s[42:43]
	s_mov_b64 s[42:43], 0
	s_and_saveexec_b64 s[12:13], s[44:45]
	s_cbranch_execz .LBB70_285
; %bb.275:                              ;   in Loop: Header=BB70_32 Depth=1
	s_xor_b64 s[42:43], s[40:41], -1
	v_mov_b64_e32 v[4:5], 1
	v_mov_b32_e32 v2, 1
	s_and_saveexec_b64 s[40:41], s[42:43]
	s_cbranch_execz .LBB70_284
; %bb.276:                              ;   in Loop: Header=BB70_32 Depth=1
	v_cmp_ge_i64_e32 vcc, s[14:15], v[6:7]
	s_and_saveexec_b64 s[42:43], vcc
	s_xor_b64 s[42:43], exec, s[42:43]
	s_cbranch_execz .LBB70_281
; %bb.277:                              ;   in Loop: Header=BB70_32 Depth=1
	ds_read_b64 v[4:5], v3 offset:5120
	v_or_b32_e32 v48, s66, v48
	v_or_b32_e32 v52, s66, v52
	s_waitcnt lgkmcnt(0)
	v_cmp_ne_u64_e32 vcc, 0, v[4:5]
	s_cbranch_vccnz .LBB70_281
; %bb.278:                              ;   in Loop: Header=BB70_32 Depth=1
	s_mov_b64 s[44:45], exec
	v_readlane_b32 s46, v73, 32
	v_readlane_b32 s47, v73, 33
	s_and_b64 s[46:47], s[44:45], s[46:47]
	s_mov_b64 exec, s[46:47]
; %bb.279:                              ;   in Loop: Header=BB70_32 Depth=1
	v_mov_b64_e32 v[4:5], s[14:15]
	ds_write_b64 v3, v[4:5] offset:5128
; %bb.280:                              ;   in Loop: Header=BB70_32 Depth=1
	s_or_b64 exec, exec, s[44:45]
	s_waitcnt lgkmcnt(0)
	s_barrier
.LBB70_281:                             ;   in Loop: Header=BB70_32 Depth=1
	s_andn2_saveexec_b64 s[42:43], s[42:43]
; %bb.282:                              ;   in Loop: Header=BB70_32 Depth=1
	v_mov_b32_e32 v2, s15
	v_subrev_co_u32_e32 v6, vcc, s14, v6
	s_nop 1
	v_subb_co_u32_e32 v7, vcc, v7, v2, vcc
; %bb.283:                              ;   in Loop: Header=BB70_32 Depth=1
	s_or_b64 exec, exec, s[42:43]
	v_mov_b32_e32 v2, 8
	v_mov_b64_e32 v[4:5], v[6:7]
.LBB70_284:                             ;   in Loop: Header=BB70_32 Depth=1
	s_or_b64 exec, exec, s[40:41]
	s_mov_b64 s[42:43], exec
	v_mov_b64_e32 v[6:7], v[4:5]
.LBB70_285:                             ;   in Loop: Header=BB70_32 Depth=1
	s_or_b64 exec, exec, s[12:13]
	s_orn2_b64 s[12:13], s[42:43], exec
.LBB70_286:                             ;   in Loop: Header=BB70_32 Depth=1
	s_or_b64 exec, exec, s[22:23]
	s_andn2_b64 s[14:15], s[36:37], exec
	s_and_b64 s[6:7], s[6:7], exec
	s_or_b64 s[36:37], s[14:15], s[6:7]
	s_andn2_b64 s[6:7], s[34:35], exec
	s_and_b64 s[0:1], s[0:1], exec
	s_or_b64 s[34:35], s[6:7], s[0:1]
	s_and_b64 s[6:7], s[12:13], exec
	v_mov_b64_e32 v[4:5], v[6:7]
.LBB70_287:                             ;   in Loop: Header=BB70_32 Depth=1
	s_or_b64 exec, exec, s[38:39]
	s_orn2_b64 s[0:1], s[6:7], exec
.LBB70_288:                             ;   in Loop: Header=BB70_32 Depth=1
	s_or_b64 exec, exec, s[28:29]
	s_andn2_b64 s[6:7], s[24:25], exec
	s_and_b64 s[12:13], s[36:37], exec
	s_or_b64 s[24:25], s[6:7], s[12:13]
	s_andn2_b64 s[2:3], s[2:3], exec
	s_and_b64 s[6:7], s[34:35], exec
	s_or_b64 s[2:3], s[2:3], s[6:7]
	s_and_b64 s[6:7], s[0:1], exec
	v_mov_b64_e32 v[8:9], v[4:5]
.LBB70_289:                             ;   in Loop: Header=BB70_32 Depth=1
	s_or_b64 exec, exec, s[26:27]
	s_orn2_b64 s[0:1], s[6:7], exec
.LBB70_290:                             ;   in Loop: Header=BB70_32 Depth=1
	s_or_b64 exec, exec, s[20:21]
	s_mov_b64 s[6:7], 0
	s_and_saveexec_b64 s[12:13], s[0:1]
	s_xor_b64 s[0:1], exec, s[12:13]
	s_cbranch_execz .LBB70_30
; %bb.291:                              ;   in Loop: Header=BB70_32 Depth=1
	v_and_b32_e32 v2, 7, v2
	v_cmp_eq_u32_e32 vcc, 0, v2
	s_mov_b64 s[12:13], -1
	s_mov_b64 s[6:7], -1
	s_and_saveexec_b64 s[14:15], vcc
	s_cbranch_execz .LBB70_29
; %bb.292:                              ;   in Loop: Header=BB70_32 Depth=1
	s_xor_b32 s71, s71, 1
	s_add_i32 s18, s74, -2
	s_cmp_eq_u32 s74, 0
	s_cselect_b64 s[12:13], -1, 0
	s_xor_b64 s[6:7], exec, -1
	s_orn2_b64 s[12:13], s[12:13], exec
	s_mov_b32 s74, s18
	s_branch .LBB70_29
.LBB70_293:                             ;   in Loop: Header=BB70_32 Depth=1
                                        ; implicit-def: $sgpr12_sgpr13
	s_andn2_b64 vcc, exec, s[46:47]
	s_cbranch_vccz .LBB70_246
	s_branch .LBB70_247
.LBB70_294:                             ;   in Loop: Header=BB70_32 Depth=1
                                        ; implicit-def: $sgpr6_sgpr7
	s_branch .LBB70_262
.LBB70_295:
	s_or_b64 exec, exec, s[86:87]
	s_xor_b64 s[4:5], s[84:85], -1
	s_xor_b64 s[0:1], s[58:59], -1
	;; [unrolled: 1-line block ×3, first 2 shown]
	s_mov_b64 s[2:3], 0
	s_and_saveexec_b64 s[8:9], s[0:1]
	s_xor_b64 s[0:1], exec, s[8:9]
	s_cbranch_execnz .LBB70_300
; %bb.296:
	s_andn2_saveexec_b64 s[0:1], s[0:1]
	s_cbranch_execnz .LBB70_322
.LBB70_297:
	s_or_b64 exec, exec, s[0:1]
	s_and_saveexec_b64 s[0:1], s[2:3]
.LBB70_298:
	; divergent unreachable
.LBB70_299:
	s_endpgm
.LBB70_300:
	s_and_saveexec_b64 s[2:3], s[4:5]
	s_xor_b64 s[4:5], exec, s[2:3]
	s_cbranch_execz .LBB70_320
; %bb.301:
	s_and_saveexec_b64 s[2:3], s[6:7]
	s_xor_b64 s[2:3], exec, s[2:3]
; %bb.302:
	v_and_b32_e32 v2, 0x8000, v48
	v_mov_b32_e32 v3, 0x8000
	v_mov_b32_e32 v4, 0xffff
	v_cmp_eq_u32_e32 vcc, 0, v2
	s_nop 1
	v_cndmask_b32_e32 v2, v3, v4, vcc
	v_xor_b32_e32 v53, v2, v48
; %bb.303:
	s_or_b64 exec, exec, s[2:3]
	s_mov_b64 s[2:3], exec
	v_readlane_b32 s6, v73, 32
	v_readlane_b32 s7, v73, 33
	v_readlane_b32 s28, v73, 24
	v_readlane_b32 s34, v73, 22
	s_and_b64 s[6:7], s[2:3], s[6:7]
	v_readlane_b32 s26, v73, 34
	v_readlane_b32 s29, v73, 25
	;; [unrolled: 1-line block ×6, first 2 shown]
	s_mov_b64 exec, s[6:7]
; %bb.304:
	v_mov_b32_e32 v2, 0
	v_mov_b32_e32 v3, s56
	ds_write_b32 v2, v3 offset:5140
; %bb.305:
	s_or_b64 exec, exec, s[2:3]
	s_waitcnt lgkmcnt(0)
	s_barrier
	s_mov_b64 s[6:7], exec
	v_readlane_b32 s2, v73, 42
	v_readlane_b32 s3, v73, 43
	s_and_b64 s[2:3], s[6:7], s[2:3]
	s_mov_b64 exec, s[2:3]
	s_cbranch_execz .LBB70_317
; %bb.306:
	v_mov_b32_e32 v2, 0
	ds_read_b32 v4, v2 offset:5140
	v_lshlrev_b32_e32 v6, 16, v53
	v_cmp_u_f32_e32 vcc, v6, v6
	s_mov_b64 s[8:9], 0
	s_xor_b64 s[10:11], vcc, -1
	s_waitcnt lgkmcnt(0)
	v_ashrrev_i32_e32 v5, 31, v4
                                        ; implicit-def: $sgpr12_sgpr13
                                        ; implicit-def: $sgpr14_sgpr15
                                        ; implicit-def: $sgpr16_sgpr17
	s_branch .LBB70_309
.LBB70_307:                             ;   in Loop: Header=BB70_309 Depth=1
	s_or_b64 exec, exec, s[22:23]
	s_andn2_b64 s[16:17], s[16:17], exec
	s_and_b64 s[2:3], s[2:3], exec
	s_or_b64 s[16:17], s[16:17], s[2:3]
	s_andn2_b64 s[2:3], s[14:15], exec
	s_and_b64 s[14:15], s[20:21], exec
	s_or_b64 s[14:15], s[2:3], s[14:15]
.LBB70_308:                             ;   in Loop: Header=BB70_309 Depth=1
	s_or_b64 exec, exec, s[18:19]
	s_and_b64 s[2:3], exec, s[14:15]
	s_or_b64 s[8:9], s[2:3], s[8:9]
	s_andn2_b64 s[2:3], s[12:13], exec
	s_and_b64 s[12:13], s[16:17], exec
	s_or_b64 s[12:13], s[2:3], s[12:13]
	s_andn2_b64 exec, exec, s[8:9]
	s_cbranch_execz .LBB70_312
.LBB70_309:                             ; =>This Inner Loop Header: Depth=1
	v_mov_b64_e32 v[2:3], v[0:1]
	v_cmp_lt_i64_e32 vcc, v[2:3], v[4:5]
	s_or_b64 s[16:17], s[16:17], exec
	s_or_b64 s[14:15], s[14:15], exec
                                        ; implicit-def: $vgpr0_vgpr1
	s_and_saveexec_b64 s[18:19], vcc
	s_cbranch_execz .LBB70_308
; %bb.310:                              ;   in Loop: Header=BB70_309 Depth=1
	global_load_ushort v0, v[12:13], off
	s_mov_b64 s[20:21], -1
	s_waitcnt vmcnt(0)
	v_lshlrev_b32_e32 v0, 16, v0
	v_cmp_o_f32_e64 s[2:3], v0, v0
	v_cmp_neq_f32_e32 vcc, v0, v6
	s_or_b64 s[2:3], s[10:11], s[2:3]
	s_and_b64 s[24:25], vcc, s[2:3]
	s_mov_b64 s[2:3], 0
                                        ; implicit-def: $vgpr0_vgpr1
	s_and_saveexec_b64 s[22:23], s[24:25]
	s_cbranch_execz .LBB70_307
; %bb.311:                              ;   in Loop: Header=BB70_309 Depth=1
	v_lshl_add_u64 v[0:1], v[2:3], 0, s[96:97]
	v_cmp_le_i64_e32 vcc, s[56:57], v[0:1]
	s_mov_b64 s[2:3], exec
	v_lshl_add_u64 v[12:13], v[12:13], 0, s[92:93]
	s_orn2_b64 s[20:21], vcc, exec
	s_branch .LBB70_307
.LBB70_312:
	s_or_b64 exec, exec, s[8:9]
	s_xor_b64 s[2:3], s[12:13], -1
	s_and_saveexec_b64 s[8:9], s[2:3]
	s_xor_b64 s[8:9], exec, s[8:9]
	s_cbranch_execz .LBB70_317
; %bb.313:
	s_mov_b64 s[2:3], exec
	s_brev_b32 s8, -2
.LBB70_314:                             ; =>This Inner Loop Header: Depth=1
	s_ff1_i32_b64 s9, s[2:3]
	v_readlane_b32 s12, v2, s9
	s_lshl_b64 s[10:11], 1, s9
	s_min_i32 s8, s8, s12
	s_andn2_b64 s[2:3], s[2:3], s[10:11]
	s_cmp_lg_u64 s[2:3], 0
	s_cbranch_scc1 .LBB70_314
; %bb.315:
	v_mbcnt_lo_u32_b32 v0, exec_lo, 0
	v_mbcnt_hi_u32_b32 v0, exec_hi, v0
	v_cmp_eq_u32_e32 vcc, 0, v0
	s_and_saveexec_b64 s[2:3], vcc
	s_xor_b64 s[2:3], exec, s[2:3]
; %bb.316:
	v_mov_b32_e32 v0, 0
	v_mov_b32_e32 v1, s8
	ds_min_i32 v0, v1 offset:5140
.LBB70_317:
	s_or_b64 exec, exec, s[6:7]
	s_waitcnt lgkmcnt(0)
	s_barrier
	s_mov_b64 s[2:3], exec
	v_readlane_b32 s6, v73, 32
	v_readlane_b32 s7, v73, 33
	s_and_b64 s[6:7], s[2:3], s[6:7]
	s_mov_b64 exec, s[6:7]
	s_cbranch_execz .LBB70_319
; %bb.318:
	s_mul_i32 s6, s34, s31
	s_mul_hi_u32 s7, s34, s30
	s_add_i32 s6, s7, s6
	s_mul_i32 s7, s35, s30
	s_add_i32 s6, s6, s7
	s_mul_i32 s7, s34, s30
	v_readlane_b32 s10, v73, 8
	s_sub_u32 s8, s26, s7
	v_readlane_b32 s11, v73, 9
	s_subb_u32 s6, 0, s6
	s_mul_i32 s7, s8, s11
	s_mul_hi_u32 s9, s8, s10
	v_readlane_b32 s12, v73, 0
	s_add_i32 s7, s9, s7
	s_mul_i32 s6, s6, s10
	v_readlane_b32 s13, v73, 1
	v_readlane_b32 s18, v73, 6
	s_add_i32 s7, s7, s6
	s_mul_i32 s6, s8, s10
	v_readlane_b32 s19, v73, 7
	s_mul_i32 s8, s18, s13
	s_mul_hi_u32 s9, s18, s12
	s_add_i32 s8, s9, s8
	s_mul_i32 s9, s19, s12
	s_add_i32 s8, s8, s9
	s_mul_i32 s9, s18, s12
	v_readlane_b32 s16, v73, 4
	v_readlane_b32 s20, v73, 16
	;; [unrolled: 1-line block ×3, first 2 shown]
	s_sub_u32 s10, s16, s9
	v_readlane_b32 s22, v73, 18
	v_readlane_b32 s23, v73, 19
	s_subb_u32 s8, s17, s8
	s_mul_i32 s9, s10, s23
	s_mul_hi_u32 s11, s10, s22
	v_readlane_b32 s14, v73, 2
	v_readlane_b32 s15, v73, 3
	;; [unrolled: 1-line block ×3, first 2 shown]
	s_add_i32 s9, s11, s9
	s_mul_i32 s8, s8, s22
	s_add_i32 s9, s9, s8
	s_mul_i32 s8, s10, s22
	s_mul_i32 s10, s18, s21
	s_mul_hi_u32 s11, s18, s20
	s_mul_i32 s12, s16, s15
	s_mul_hi_u32 s13, s16, s14
	s_add_i32 s10, s11, s10
	s_mul_i32 s11, s19, s20
	s_add_i32 s12, s13, s12
	s_mul_i32 s13, s17, s14
	s_add_i32 s11, s10, s11
	s_add_i32 s12, s12, s13
	s_mul_i32 s13, s16, s14
	v_readlane_b32 s16, v73, 14
	s_sub_u32 s14, s26, s13
	v_readlane_b32 s17, v73, 15
	s_subb_u32 s12, 0, s12
	s_mul_i32 s13, s14, s17
	s_mul_hi_u32 s15, s14, s16
	s_mul_i32 s10, s18, s20
	s_add_i32 s13, s15, s13
	s_mul_i32 s12, s12, s16
	v_readlane_b32 s18, v73, 20
	s_add_i32 s13, s13, s12
	s_mul_i32 s12, s14, s16
	v_readlane_b32 s19, v73, 21
	s_mul_i32 s14, s18, s29
	s_mul_hi_u32 s15, s18, s28
	s_add_i32 s14, s15, s14
	s_mul_i32 s15, s19, s28
	s_add_i32 s14, s14, s15
	s_mul_i32 s15, s18, s28
	v_readlane_b32 s20, v73, 10
	s_sub_u32 s16, s34, s15
	v_readlane_b32 s22, v73, 12
	v_readlane_b32 s23, v73, 13
	s_subb_u32 s14, s35, s14
	s_mul_i32 s15, s16, s23
	s_mul_hi_u32 s17, s16, s22
	v_readlane_b32 s21, v73, 11
	s_add_i32 s15, s17, s15
	s_mul_i32 s14, s14, s22
	s_add_i32 s15, s15, s14
	s_mul_i32 s14, s16, s22
	s_mul_i32 s16, s18, s21
	s_mul_hi_u32 s17, s18, s20
	s_add_i32 s16, s17, s16
	s_mul_i32 s17, s19, s20
	s_add_i32 s17, s16, s17
	s_mul_i32 s16, s18, s20
	s_lshl_b64 s[10:11], s[10:11], 1
	v_readlane_b32 s18, v73, 30
	v_readlane_b32 s19, v73, 31
	s_add_u32 s10, s18, s10
	s_addc_u32 s11, s19, s11
	s_lshl_b64 s[8:9], s[8:9], 1
	s_add_u32 s10, s10, s8
	s_addc_u32 s11, s11, s9
	s_lshl_b64 s[8:9], s[12:13], 1
	;; [unrolled: 3-line block ×3, first 2 shown]
	v_readlane_b32 s12, v73, 28
	v_mov_b32_e32 v2, 0
	v_readlane_b32 s13, v73, 29
	s_add_u32 s12, s12, s10
	ds_read_b32 v0, v2 offset:5140
	s_addc_u32 s13, s13, s11
	s_lshl_b64 s[10:11], s[14:15], 3
	s_add_u32 s10, s12, s10
	s_addc_u32 s11, s13, s11
	s_lshl_b64 s[6:7], s[6:7], 3
	s_add_u32 s6, s10, s6
	s_addc_u32 s7, s11, s7
	s_waitcnt lgkmcnt(0)
	v_ashrrev_i32_e32 v1, 31, v0
	global_store_dwordx2 v2, v[0:1], s[6:7]
	global_store_short v2, v53, s[8:9]
.LBB70_319:
	s_or_b64 exec, exec, s[2:3]
.LBB70_320:
	s_or_saveexec_b64 s[2:3], s[4:5]
	s_mov_b64 s[4:5], 0
	s_xor_b64 exec, exec, s[2:3]
	s_cbranch_execnz .LBB70_323
.LBB70_321:
	s_or_b64 exec, exec, s[2:3]
	s_and_b64 s[2:3], s[4:5], exec
	s_andn2_saveexec_b64 s[0:1], s[0:1]
	s_cbranch_execz .LBB70_297
.LBB70_322:
	s_or_b64 s[2:3], s[2:3], exec
	s_trap 2
	s_or_b64 exec, exec, s[0:1]
	s_and_saveexec_b64 s[0:1], s[2:3]
	s_cbranch_execnz .LBB70_298
	s_branch .LBB70_299
.LBB70_323:
	s_mov_b64 s[4:5], exec
	s_trap 2
	s_branch .LBB70_321
	.section	.rodata,"a",@progbits
	.p2align	6, 0x0
	.amdhsa_kernel _ZN2at6native12_GLOBAL__N_114gatherKthValueIN3c108BFloat16ElLi3EEEvNS_4cuda6detail10TensorInfoIKT_T0_EESA_SA_SA_SA_NS7_IS8_SA_EENS7_IlSA_EE
		.amdhsa_group_segment_fixed_size 5144
		.amdhsa_private_segment_fixed_size 0
		.amdhsa_kernarg_size 1536
		.amdhsa_user_sgpr_count 2
		.amdhsa_user_sgpr_dispatch_ptr 0
		.amdhsa_user_sgpr_queue_ptr 0
		.amdhsa_user_sgpr_kernarg_segment_ptr 1
		.amdhsa_user_sgpr_dispatch_id 0
		.amdhsa_user_sgpr_kernarg_preload_length 0
		.amdhsa_user_sgpr_kernarg_preload_offset 0
		.amdhsa_user_sgpr_private_segment_size 0
		.amdhsa_uses_dynamic_stack 0
		.amdhsa_enable_private_segment 0
		.amdhsa_system_sgpr_workgroup_id_x 1
		.amdhsa_system_sgpr_workgroup_id_y 1
		.amdhsa_system_sgpr_workgroup_id_z 1
		.amdhsa_system_sgpr_workgroup_info 0
		.amdhsa_system_vgpr_workitem_id 0
		.amdhsa_next_free_vgpr 74
		.amdhsa_next_free_sgpr 100
		.amdhsa_accum_offset 76
		.amdhsa_reserve_vcc 1
		.amdhsa_float_round_mode_32 0
		.amdhsa_float_round_mode_16_64 0
		.amdhsa_float_denorm_mode_32 3
		.amdhsa_float_denorm_mode_16_64 3
		.amdhsa_dx10_clamp 1
		.amdhsa_ieee_mode 1
		.amdhsa_fp16_overflow 0
		.amdhsa_tg_split 0
		.amdhsa_exception_fp_ieee_invalid_op 0
		.amdhsa_exception_fp_denorm_src 0
		.amdhsa_exception_fp_ieee_div_zero 0
		.amdhsa_exception_fp_ieee_overflow 0
		.amdhsa_exception_fp_ieee_underflow 0
		.amdhsa_exception_fp_ieee_inexact 0
		.amdhsa_exception_int_div_zero 0
	.end_amdhsa_kernel
	.section	.text._ZN2at6native12_GLOBAL__N_114gatherKthValueIN3c108BFloat16ElLi3EEEvNS_4cuda6detail10TensorInfoIKT_T0_EESA_SA_SA_SA_NS7_IS8_SA_EENS7_IlSA_EE,"axG",@progbits,_ZN2at6native12_GLOBAL__N_114gatherKthValueIN3c108BFloat16ElLi3EEEvNS_4cuda6detail10TensorInfoIKT_T0_EESA_SA_SA_SA_NS7_IS8_SA_EENS7_IlSA_EE,comdat
.Lfunc_end70:
	.size	_ZN2at6native12_GLOBAL__N_114gatherKthValueIN3c108BFloat16ElLi3EEEvNS_4cuda6detail10TensorInfoIKT_T0_EESA_SA_SA_SA_NS7_IS8_SA_EENS7_IlSA_EE, .Lfunc_end70-_ZN2at6native12_GLOBAL__N_114gatherKthValueIN3c108BFloat16ElLi3EEEvNS_4cuda6detail10TensorInfoIKT_T0_EESA_SA_SA_SA_NS7_IS8_SA_EENS7_IlSA_EE
                                        ; -- End function
	.set _ZN2at6native12_GLOBAL__N_114gatherKthValueIN3c108BFloat16ElLi3EEEvNS_4cuda6detail10TensorInfoIKT_T0_EESA_SA_SA_SA_NS7_IS8_SA_EENS7_IlSA_EE.num_vgpr, 74
	.set _ZN2at6native12_GLOBAL__N_114gatherKthValueIN3c108BFloat16ElLi3EEEvNS_4cuda6detail10TensorInfoIKT_T0_EESA_SA_SA_SA_NS7_IS8_SA_EENS7_IlSA_EE.num_agpr, 0
	.set _ZN2at6native12_GLOBAL__N_114gatherKthValueIN3c108BFloat16ElLi3EEEvNS_4cuda6detail10TensorInfoIKT_T0_EESA_SA_SA_SA_NS7_IS8_SA_EENS7_IlSA_EE.numbered_sgpr, 100
	.set _ZN2at6native12_GLOBAL__N_114gatherKthValueIN3c108BFloat16ElLi3EEEvNS_4cuda6detail10TensorInfoIKT_T0_EESA_SA_SA_SA_NS7_IS8_SA_EENS7_IlSA_EE.num_named_barrier, 0
	.set _ZN2at6native12_GLOBAL__N_114gatherKthValueIN3c108BFloat16ElLi3EEEvNS_4cuda6detail10TensorInfoIKT_T0_EESA_SA_SA_SA_NS7_IS8_SA_EENS7_IlSA_EE.private_seg_size, 0
	.set _ZN2at6native12_GLOBAL__N_114gatherKthValueIN3c108BFloat16ElLi3EEEvNS_4cuda6detail10TensorInfoIKT_T0_EESA_SA_SA_SA_NS7_IS8_SA_EENS7_IlSA_EE.uses_vcc, 1
	.set _ZN2at6native12_GLOBAL__N_114gatherKthValueIN3c108BFloat16ElLi3EEEvNS_4cuda6detail10TensorInfoIKT_T0_EESA_SA_SA_SA_NS7_IS8_SA_EENS7_IlSA_EE.uses_flat_scratch, 0
	.set _ZN2at6native12_GLOBAL__N_114gatherKthValueIN3c108BFloat16ElLi3EEEvNS_4cuda6detail10TensorInfoIKT_T0_EESA_SA_SA_SA_NS7_IS8_SA_EENS7_IlSA_EE.has_dyn_sized_stack, 0
	.set _ZN2at6native12_GLOBAL__N_114gatherKthValueIN3c108BFloat16ElLi3EEEvNS_4cuda6detail10TensorInfoIKT_T0_EESA_SA_SA_SA_NS7_IS8_SA_EENS7_IlSA_EE.has_recursion, 0
	.set _ZN2at6native12_GLOBAL__N_114gatherKthValueIN3c108BFloat16ElLi3EEEvNS_4cuda6detail10TensorInfoIKT_T0_EESA_SA_SA_SA_NS7_IS8_SA_EENS7_IlSA_EE.has_indirect_call, 0
	.section	.AMDGPU.csdata,"",@progbits
; Kernel info:
; codeLenInByte = 22428
; TotalNumSgprs: 106
; NumVgprs: 74
; NumAgprs: 0
; TotalNumVgprs: 74
; ScratchSize: 0
; MemoryBound: 0
; FloatMode: 240
; IeeeMode: 1
; LDSByteSize: 5144 bytes/workgroup (compile time only)
; SGPRBlocks: 13
; VGPRBlocks: 9
; NumSGPRsForWavesPerEU: 106
; NumVGPRsForWavesPerEU: 74
; AccumOffset: 76
; Occupancy: 6
; WaveLimiterHint : 1
; COMPUTE_PGM_RSRC2:SCRATCH_EN: 0
; COMPUTE_PGM_RSRC2:USER_SGPR: 2
; COMPUTE_PGM_RSRC2:TRAP_HANDLER: 0
; COMPUTE_PGM_RSRC2:TGID_X_EN: 1
; COMPUTE_PGM_RSRC2:TGID_Y_EN: 1
; COMPUTE_PGM_RSRC2:TGID_Z_EN: 1
; COMPUTE_PGM_RSRC2:TIDIG_COMP_CNT: 0
; COMPUTE_PGM_RSRC3_GFX90A:ACCUM_OFFSET: 18
; COMPUTE_PGM_RSRC3_GFX90A:TG_SPLIT: 0
	.section	.text._ZN2at6native12_GLOBAL__N_114gatherKthValueIN3c108BFloat16ElLin1EEEvNS_4cuda6detail10TensorInfoIKT_T0_EESA_SA_SA_SA_NS7_IS8_SA_EENS7_IlSA_EE,"axG",@progbits,_ZN2at6native12_GLOBAL__N_114gatherKthValueIN3c108BFloat16ElLin1EEEvNS_4cuda6detail10TensorInfoIKT_T0_EESA_SA_SA_SA_NS7_IS8_SA_EENS7_IlSA_EE,comdat
	.globl	_ZN2at6native12_GLOBAL__N_114gatherKthValueIN3c108BFloat16ElLin1EEEvNS_4cuda6detail10TensorInfoIKT_T0_EESA_SA_SA_SA_NS7_IS8_SA_EENS7_IlSA_EE ; -- Begin function _ZN2at6native12_GLOBAL__N_114gatherKthValueIN3c108BFloat16ElLin1EEEvNS_4cuda6detail10TensorInfoIKT_T0_EESA_SA_SA_SA_NS7_IS8_SA_EENS7_IlSA_EE
	.p2align	8
	.type	_ZN2at6native12_GLOBAL__N_114gatherKthValueIN3c108BFloat16ElLin1EEEvNS_4cuda6detail10TensorInfoIKT_T0_EESA_SA_SA_SA_NS7_IS8_SA_EENS7_IlSA_EE,@function
_ZN2at6native12_GLOBAL__N_114gatherKthValueIN3c108BFloat16ElLin1EEEvNS_4cuda6detail10TensorInfoIKT_T0_EESA_SA_SA_SA_NS7_IS8_SA_EENS7_IlSA_EE: ; @_ZN2at6native12_GLOBAL__N_114gatherKthValueIN3c108BFloat16ElLin1EEEvNS_4cuda6detail10TensorInfoIKT_T0_EESA_SA_SA_SA_NS7_IS8_SA_EENS7_IlSA_EE
; %bb.0:
	s_load_dwordx2 s[12:13], s[0:1], 0x500
	s_load_dwordx8 s[56:63], s[0:1], 0x1a0
	s_add_u32 s10, s0, 0x500
	s_addc_u32 s11, s1, 0
	s_mov_b32 s7, 0
	s_waitcnt lgkmcnt(0)
	s_mul_i32 s4, s13, s4
	s_add_i32 s3, s4, s3
	s_mul_i32 s3, s3, s12
	s_add_i32 s6, s3, s2
	v_mov_b64_e32 v[2:3], s[6:7]
	v_cmp_le_i64_e32 vcc, s[60:61], v[2:3]
	s_cbranch_vccnz .LBB71_299
; %bb.1:
	s_load_dword s13, s[0:1], 0x198
	s_mov_b64 s[4:5], 0
	s_mov_b64 s[8:9], s[6:7]
	s_waitcnt lgkmcnt(0)
	s_cmp_lt_i32 s13, 2
	s_cbranch_scc1 .LBB71_9
; %bb.2:
	s_mov_b32 s14, 0
	s_add_i32 s4, s13, -1
	s_mov_b32 s5, s14
	s_add_i32 s3, s13, 1
	s_lshl_b64 s[4:5], s[4:5], 3
	s_add_u32 s4, s0, s4
	s_addc_u32 s5, s1, s5
	s_add_u32 s16, s4, 8
	s_addc_u32 s17, s5, 0
	s_mov_b64 s[4:5], 0
	s_mov_b64 s[18:19], s[6:7]
.LBB71_3:                               ; =>This Inner Loop Header: Depth=1
	s_load_dwordx2 s[20:21], s[16:17], 0x0
	s_waitcnt lgkmcnt(0)
	s_or_b64 s[8:9], s[18:19], s[20:21]
	s_mov_b32 s15, s9
	s_cmp_lg_u64 s[14:15], 0
	s_cbranch_scc0 .LBB71_8
; %bb.4:                                ;   in Loop: Header=BB71_3 Depth=1
	s_ashr_i32 s8, s21, 31
	s_add_u32 s22, s20, s8
	s_mov_b32 s9, s8
	s_addc_u32 s23, s21, s8
	s_xor_b64 s[22:23], s[22:23], s[8:9]
	v_cvt_f32_u32_e32 v1, s22
	v_cvt_f32_u32_e32 v2, s23
	s_sub_u32 s13, 0, s22
	s_subb_u32 s15, 0, s23
	v_fmac_f32_e32 v1, 0x4f800000, v2
	v_rcp_f32_e32 v1, v1
	s_nop 0
	v_mul_f32_e32 v1, 0x5f7ffffc, v1
	v_mul_f32_e32 v2, 0x2f800000, v1
	v_trunc_f32_e32 v2, v2
	v_fmac_f32_e32 v1, 0xcf800000, v2
	v_cvt_u32_f32_e32 v2, v2
	v_cvt_u32_f32_e32 v1, v1
	v_readfirstlane_b32 s26, v2
	v_readfirstlane_b32 s24, v1
	s_mul_i32 s25, s13, s26
	s_mul_hi_u32 s28, s13, s24
	s_mul_i32 s27, s15, s24
	s_add_i32 s25, s28, s25
	s_add_i32 s25, s25, s27
	s_mul_i32 s29, s13, s24
	s_mul_i32 s28, s24, s25
	s_mul_hi_u32 s30, s24, s29
	s_mul_hi_u32 s27, s24, s25
	s_add_u32 s28, s30, s28
	s_addc_u32 s27, 0, s27
	s_mul_hi_u32 s31, s26, s29
	s_mul_i32 s29, s26, s29
	s_add_u32 s28, s28, s29
	s_mul_hi_u32 s30, s26, s25
	s_addc_u32 s27, s27, s31
	s_addc_u32 s28, s30, 0
	s_mul_i32 s25, s26, s25
	s_add_u32 s25, s27, s25
	s_addc_u32 s27, 0, s28
	s_add_u32 s28, s24, s25
	s_cselect_b64 s[24:25], -1, 0
	s_cmp_lg_u64 s[24:25], 0
	s_addc_u32 s26, s26, s27
	s_mul_i32 s24, s13, s26
	s_mul_hi_u32 s25, s13, s28
	s_add_i32 s24, s25, s24
	s_mul_i32 s15, s15, s28
	s_add_i32 s24, s24, s15
	s_mul_i32 s13, s13, s28
	s_mul_hi_u32 s25, s26, s13
	s_mul_i32 s27, s26, s13
	s_mul_i32 s30, s28, s24
	s_mul_hi_u32 s13, s28, s13
	s_mul_hi_u32 s29, s28, s24
	s_add_u32 s13, s13, s30
	s_addc_u32 s29, 0, s29
	s_add_u32 s13, s13, s27
	s_mul_hi_u32 s15, s26, s24
	s_addc_u32 s13, s29, s25
	s_addc_u32 s15, s15, 0
	s_mul_i32 s24, s26, s24
	s_add_u32 s13, s13, s24
	s_addc_u32 s15, 0, s15
	s_add_u32 s13, s28, s13
	s_cselect_b64 s[24:25], -1, 0
	s_cmp_lg_u64 s[24:25], 0
	s_addc_u32 s15, s26, s15
	s_ashr_i32 s24, s19, 31
	s_add_u32 s26, s18, s24
	s_mov_b32 s25, s24
	s_addc_u32 s27, s19, s24
	s_xor_b64 s[26:27], s[26:27], s[24:25]
	s_mul_i32 s29, s26, s15
	s_mul_hi_u32 s30, s26, s13
	s_mul_hi_u32 s28, s26, s15
	s_add_u32 s29, s30, s29
	s_addc_u32 s28, 0, s28
	s_mul_hi_u32 s31, s27, s13
	s_mul_i32 s13, s27, s13
	s_add_u32 s13, s29, s13
	s_mul_hi_u32 s30, s27, s15
	s_addc_u32 s13, s28, s31
	s_addc_u32 s28, s30, 0
	s_mul_i32 s15, s27, s15
	s_add_u32 s13, s13, s15
	s_addc_u32 s15, 0, s28
	s_mul_i32 s28, s22, s15
	s_mul_hi_u32 s29, s22, s13
	s_add_i32 s28, s29, s28
	s_mul_i32 s29, s23, s13
	s_add_i32 s33, s28, s29
	s_sub_i32 s30, s27, s33
	s_mul_i32 s28, s22, s13
	s_sub_u32 s26, s26, s28
	s_cselect_b64 s[28:29], -1, 0
	s_cmp_lg_u64 s[28:29], 0
	s_subb_u32 s34, s30, s23
	s_sub_u32 s35, s26, s22
	s_cselect_b64 s[30:31], -1, 0
	s_cmp_lg_u64 s[30:31], 0
	s_subb_u32 s30, s34, 0
	s_cmp_ge_u32 s30, s23
	s_cselect_b32 s31, -1, 0
	s_cmp_ge_u32 s35, s22
	s_cselect_b32 s34, -1, 0
	s_cmp_eq_u32 s30, s23
	s_cselect_b32 s30, s34, s31
	s_add_u32 s31, s13, 1
	s_addc_u32 s34, s15, 0
	s_add_u32 s35, s13, 2
	s_addc_u32 s36, s15, 0
	s_cmp_lg_u32 s30, 0
	s_cselect_b32 s30, s35, s31
	s_cselect_b32 s31, s36, s34
	s_cmp_lg_u64 s[28:29], 0
	s_subb_u32 s27, s27, s33
	s_cmp_ge_u32 s27, s23
	s_cselect_b32 s28, -1, 0
	s_cmp_ge_u32 s26, s22
	s_cselect_b32 s22, -1, 0
	s_cmp_eq_u32 s27, s23
	s_cselect_b32 s22, s22, s28
	s_cmp_lg_u32 s22, 0
	s_cselect_b32 s23, s31, s15
	s_cselect_b32 s22, s30, s13
	s_xor_b64 s[8:9], s[24:25], s[8:9]
	s_xor_b64 s[22:23], s[22:23], s[8:9]
	s_sub_u32 s8, s22, s8
	s_subb_u32 s9, s23, s9
	s_cbranch_execnz .LBB71_6
.LBB71_5:                               ;   in Loop: Header=BB71_3 Depth=1
	v_cvt_f32_u32_e32 v1, s20
	s_sub_i32 s8, 0, s20
	v_rcp_iflag_f32_e32 v1, v1
	s_nop 0
	v_mul_f32_e32 v1, 0x4f7ffffe, v1
	v_cvt_u32_f32_e32 v1, v1
	s_nop 0
	v_readfirstlane_b32 s9, v1
	s_mul_i32 s8, s8, s9
	s_mul_hi_u32 s8, s9, s8
	s_add_i32 s9, s9, s8
	s_mul_hi_u32 s8, s18, s9
	s_mul_i32 s13, s8, s20
	s_sub_i32 s13, s18, s13
	s_add_i32 s9, s8, 1
	s_sub_i32 s15, s13, s20
	s_cmp_ge_u32 s13, s20
	s_cselect_b32 s8, s9, s8
	s_cselect_b32 s13, s15, s13
	s_add_i32 s9, s8, 1
	s_cmp_ge_u32 s13, s20
	s_cselect_b32 s8, s9, s8
	s_mov_b32 s9, s14
.LBB71_6:                               ;   in Loop: Header=BB71_3 Depth=1
	s_mul_i32 s13, s8, s21
	s_mul_hi_u32 s15, s8, s20
	s_load_dwordx2 s[22:23], s[16:17], 0xc8
	s_add_i32 s13, s15, s13
	s_mul_i32 s15, s9, s20
	s_add_i32 s13, s13, s15
	s_mul_i32 s15, s8, s20
	s_sub_u32 s15, s18, s15
	s_subb_u32 s13, s19, s13
	s_waitcnt lgkmcnt(0)
	s_mul_i32 s13, s22, s13
	s_mul_hi_u32 s18, s22, s15
	s_add_i32 s13, s18, s13
	s_mul_i32 s18, s23, s15
	s_add_i32 s13, s13, s18
	s_mul_i32 s15, s22, s15
	s_add_u32 s4, s15, s4
	s_addc_u32 s5, s13, s5
	s_add_i32 s3, s3, -1
	s_add_u32 s16, s16, -8
	s_addc_u32 s17, s17, -1
	s_cmp_gt_u32 s3, 2
	s_cbranch_scc0 .LBB71_9
; %bb.7:                                ;   in Loop: Header=BB71_3 Depth=1
	s_mov_b64 s[18:19], s[8:9]
	s_branch .LBB71_3
.LBB71_8:                               ;   in Loop: Header=BB71_3 Depth=1
                                        ; implicit-def: $sgpr8_sgpr9
	s_branch .LBB71_5
.LBB71_9:
	s_load_dword s13, s[0:1], 0x358
	s_load_dwordx2 s[14:15], s[0:1], 0xd0
	s_add_u32 s16, s0, 0x1c0
	s_addc_u32 s17, s1, 0
	s_mov_b64 s[60:61], 0
	s_waitcnt lgkmcnt(0)
	s_cmp_lt_i32 s13, 2
	s_mov_b64 s[28:29], s[6:7]
	s_cbranch_scc1 .LBB71_17
; %bb.10:
	s_mov_b32 s18, 0
	s_add_i32 s20, s13, -1
	s_mov_b32 s21, s18
	s_add_i32 s3, s13, 1
	s_lshl_b64 s[20:21], s[20:21], 3
	s_add_u32 s13, s16, s20
	s_addc_u32 s19, s17, s21
	s_add_u32 s20, s13, 8
	s_addc_u32 s21, s19, 0
	s_mov_b64 s[22:23], s[6:7]
.LBB71_11:                              ; =>This Inner Loop Header: Depth=1
	s_load_dwordx2 s[24:25], s[20:21], 0x0
	s_waitcnt lgkmcnt(0)
	s_or_b64 s[26:27], s[22:23], s[24:25]
	s_mov_b32 s19, s27
	s_cmp_lg_u64 s[18:19], 0
	s_cbranch_scc0 .LBB71_16
; %bb.12:                               ;   in Loop: Header=BB71_11 Depth=1
	s_ashr_i32 s26, s25, 31
	s_add_u32 s28, s24, s26
	s_mov_b32 s27, s26
	s_addc_u32 s29, s25, s26
	s_xor_b64 s[28:29], s[28:29], s[26:27]
	v_cvt_f32_u32_e32 v1, s28
	v_cvt_f32_u32_e32 v2, s29
	s_sub_u32 s13, 0, s28
	s_subb_u32 s19, 0, s29
	v_fmac_f32_e32 v1, 0x4f800000, v2
	v_rcp_f32_e32 v1, v1
	s_nop 0
	v_mul_f32_e32 v1, 0x5f7ffffc, v1
	v_mul_f32_e32 v2, 0x2f800000, v1
	v_trunc_f32_e32 v2, v2
	v_fmac_f32_e32 v1, 0xcf800000, v2
	v_cvt_u32_f32_e32 v2, v2
	v_cvt_u32_f32_e32 v1, v1
	v_readfirstlane_b32 s33, v2
	v_readfirstlane_b32 s30, v1
	s_mul_i32 s31, s13, s33
	s_mul_hi_u32 s35, s13, s30
	s_mul_i32 s34, s19, s30
	s_add_i32 s31, s35, s31
	s_add_i32 s31, s31, s34
	s_mul_i32 s36, s13, s30
	s_mul_i32 s35, s30, s31
	s_mul_hi_u32 s37, s30, s36
	s_mul_hi_u32 s34, s30, s31
	s_add_u32 s35, s37, s35
	s_addc_u32 s34, 0, s34
	s_mul_hi_u32 s38, s33, s36
	s_mul_i32 s36, s33, s36
	s_add_u32 s35, s35, s36
	s_mul_hi_u32 s37, s33, s31
	s_addc_u32 s34, s34, s38
	s_addc_u32 s35, s37, 0
	s_mul_i32 s31, s33, s31
	s_add_u32 s31, s34, s31
	s_addc_u32 s34, 0, s35
	s_add_u32 s35, s30, s31
	s_cselect_b64 s[30:31], -1, 0
	s_cmp_lg_u64 s[30:31], 0
	s_addc_u32 s33, s33, s34
	s_mul_i32 s30, s13, s33
	s_mul_hi_u32 s31, s13, s35
	s_add_i32 s30, s31, s30
	s_mul_i32 s19, s19, s35
	s_add_i32 s30, s30, s19
	s_mul_i32 s13, s13, s35
	s_mul_hi_u32 s31, s33, s13
	s_mul_i32 s34, s33, s13
	s_mul_i32 s37, s35, s30
	s_mul_hi_u32 s13, s35, s13
	s_mul_hi_u32 s36, s35, s30
	s_add_u32 s13, s13, s37
	s_addc_u32 s36, 0, s36
	s_add_u32 s13, s13, s34
	s_mul_hi_u32 s19, s33, s30
	s_addc_u32 s13, s36, s31
	s_addc_u32 s19, s19, 0
	s_mul_i32 s30, s33, s30
	s_add_u32 s13, s13, s30
	s_addc_u32 s19, 0, s19
	s_add_u32 s13, s35, s13
	s_cselect_b64 s[30:31], -1, 0
	s_cmp_lg_u64 s[30:31], 0
	s_addc_u32 s19, s33, s19
	s_ashr_i32 s30, s23, 31
	s_add_u32 s34, s22, s30
	s_mov_b32 s31, s30
	s_addc_u32 s35, s23, s30
	s_xor_b64 s[34:35], s[34:35], s[30:31]
	s_mul_i32 s36, s34, s19
	s_mul_hi_u32 s37, s34, s13
	s_mul_hi_u32 s33, s34, s19
	s_add_u32 s36, s37, s36
	s_addc_u32 s33, 0, s33
	s_mul_hi_u32 s38, s35, s13
	s_mul_i32 s13, s35, s13
	s_add_u32 s13, s36, s13
	s_mul_hi_u32 s37, s35, s19
	s_addc_u32 s13, s33, s38
	s_addc_u32 s33, s37, 0
	s_mul_i32 s19, s35, s19
	s_add_u32 s13, s13, s19
	s_addc_u32 s19, 0, s33
	s_mul_i32 s33, s28, s19
	s_mul_hi_u32 s36, s28, s13
	s_add_i32 s33, s36, s33
	s_mul_i32 s36, s29, s13
	s_add_i32 s33, s33, s36
	s_sub_i32 s38, s35, s33
	s_mul_i32 s36, s28, s13
	s_sub_u32 s34, s34, s36
	s_cselect_b64 s[36:37], -1, 0
	s_cmp_lg_u64 s[36:37], 0
	s_subb_u32 s40, s38, s29
	s_sub_u32 s41, s34, s28
	s_cselect_b64 s[38:39], -1, 0
	s_cmp_lg_u64 s[38:39], 0
	s_subb_u32 s38, s40, 0
	s_cmp_ge_u32 s38, s29
	s_cselect_b32 s39, -1, 0
	s_cmp_ge_u32 s41, s28
	s_cselect_b32 s40, -1, 0
	s_cmp_eq_u32 s38, s29
	s_cselect_b32 s38, s40, s39
	s_add_u32 s39, s13, 1
	s_addc_u32 s40, s19, 0
	s_add_u32 s41, s13, 2
	s_addc_u32 s42, s19, 0
	s_cmp_lg_u32 s38, 0
	s_cselect_b32 s38, s41, s39
	s_cselect_b32 s39, s42, s40
	s_cmp_lg_u64 s[36:37], 0
	s_subb_u32 s33, s35, s33
	s_cmp_ge_u32 s33, s29
	s_cselect_b32 s35, -1, 0
	s_cmp_ge_u32 s34, s28
	s_cselect_b32 s28, -1, 0
	s_cmp_eq_u32 s33, s29
	s_cselect_b32 s28, s28, s35
	s_cmp_lg_u32 s28, 0
	s_cselect_b32 s29, s39, s19
	s_cselect_b32 s28, s38, s13
	s_xor_b64 s[26:27], s[30:31], s[26:27]
	s_xor_b64 s[28:29], s[28:29], s[26:27]
	s_sub_u32 s28, s28, s26
	s_subb_u32 s29, s29, s27
	s_cbranch_execnz .LBB71_14
.LBB71_13:                              ;   in Loop: Header=BB71_11 Depth=1
	v_cvt_f32_u32_e32 v1, s24
	s_sub_i32 s13, 0, s24
	s_mov_b32 s29, s18
	v_rcp_iflag_f32_e32 v1, v1
	s_nop 0
	v_mul_f32_e32 v1, 0x4f7ffffe, v1
	v_cvt_u32_f32_e32 v1, v1
	s_nop 0
	v_readfirstlane_b32 s19, v1
	s_mul_i32 s13, s13, s19
	s_mul_hi_u32 s13, s19, s13
	s_add_i32 s19, s19, s13
	s_mul_hi_u32 s13, s22, s19
	s_mul_i32 s26, s13, s24
	s_sub_i32 s26, s22, s26
	s_add_i32 s19, s13, 1
	s_sub_i32 s27, s26, s24
	s_cmp_ge_u32 s26, s24
	s_cselect_b32 s13, s19, s13
	s_cselect_b32 s26, s27, s26
	s_add_i32 s19, s13, 1
	s_cmp_ge_u32 s26, s24
	s_cselect_b32 s28, s19, s13
.LBB71_14:                              ;   in Loop: Header=BB71_11 Depth=1
	s_mul_i32 s13, s28, s25
	s_mul_hi_u32 s19, s28, s24
	s_load_dwordx2 s[26:27], s[20:21], 0xc8
	s_add_i32 s13, s19, s13
	s_mul_i32 s19, s29, s24
	s_add_i32 s13, s13, s19
	s_mul_i32 s19, s28, s24
	s_sub_u32 s19, s22, s19
	s_subb_u32 s13, s23, s13
	s_waitcnt lgkmcnt(0)
	s_mul_i32 s13, s26, s13
	s_mul_hi_u32 s22, s26, s19
	s_add_i32 s13, s22, s13
	s_mul_i32 s22, s27, s19
	s_add_i32 s13, s13, s22
	s_mul_i32 s19, s26, s19
	s_add_u32 s60, s19, s60
	s_addc_u32 s61, s13, s61
	s_add_i32 s3, s3, -1
	s_add_u32 s20, s20, -8
	s_addc_u32 s21, s21, -1
	s_cmp_gt_u32 s3, 2
	s_cbranch_scc0 .LBB71_17
; %bb.15:                               ;   in Loop: Header=BB71_11 Depth=1
	s_mov_b64 s[22:23], s[28:29]
	s_branch .LBB71_11
.LBB71_16:                              ;   in Loop: Header=BB71_11 Depth=1
                                        ; implicit-def: $sgpr28_sgpr29
	s_branch .LBB71_13
.LBB71_17:
	s_load_dword s18, s[0:1], 0x4f8
	s_load_dwordx2 s[20:21], s[16:17], 0xd0
                                        ; implicit-def: $vgpr72 : SGPR spill to VGPR lane
	s_add_u32 s13, s0, 0x360
	v_writelane_b32 v72, s28, 0
                                        ; kill: killed $sgpr16 killed $sgpr17
	s_addc_u32 s17, s1, 0
	s_waitcnt lgkmcnt(0)
	s_cmp_lt_i32 s18, 2
	v_writelane_b32 v72, s29, 1
	v_writelane_b32 v72, s20, 2
	s_mov_b64 s[66:67], 0
	s_nop 0
	v_writelane_b32 v72, s21, 3
	s_cbranch_scc1 .LBB71_25
; %bb.18:
	s_mov_b32 s16, 0
	s_add_i32 s3, s18, 1
	s_add_i32 s18, s18, -1
	s_mov_b32 s19, s16
	s_lshl_b64 s[18:19], s[18:19], 3
	s_add_u32 s13, s13, s18
	s_addc_u32 s17, s17, s19
	s_add_u32 s18, s13, 8
	s_addc_u32 s19, s17, 0
.LBB71_19:                              ; =>This Inner Loop Header: Depth=1
	s_load_dwordx2 s[20:21], s[18:19], 0x0
	s_waitcnt lgkmcnt(0)
	s_or_b64 s[22:23], s[6:7], s[20:21]
	s_mov_b32 s17, s23
	s_cmp_lg_u64 s[16:17], 0
	s_cbranch_scc0 .LBB71_24
; %bb.20:                               ;   in Loop: Header=BB71_19 Depth=1
	s_ashr_i32 s22, s21, 31
	s_add_u32 s24, s20, s22
	s_mov_b32 s23, s22
	s_addc_u32 s25, s21, s22
	s_xor_b64 s[24:25], s[24:25], s[22:23]
	v_cvt_f32_u32_e32 v1, s24
	v_cvt_f32_u32_e32 v2, s25
	s_sub_u32 s13, 0, s24
	s_subb_u32 s17, 0, s25
	v_fmac_f32_e32 v1, 0x4f800000, v2
	v_rcp_f32_e32 v1, v1
	s_nop 0
	v_mul_f32_e32 v1, 0x5f7ffffc, v1
	v_mul_f32_e32 v2, 0x2f800000, v1
	v_trunc_f32_e32 v2, v2
	v_fmac_f32_e32 v1, 0xcf800000, v2
	v_cvt_u32_f32_e32 v2, v2
	v_cvt_u32_f32_e32 v1, v1
	v_readfirstlane_b32 s28, v2
	v_readfirstlane_b32 s26, v1
	s_mul_i32 s27, s13, s28
	s_mul_hi_u32 s30, s13, s26
	s_mul_i32 s29, s17, s26
	s_add_i32 s27, s30, s27
	s_add_i32 s27, s27, s29
	s_mul_i32 s31, s13, s26
	s_mul_i32 s30, s26, s27
	s_mul_hi_u32 s33, s26, s31
	s_mul_hi_u32 s29, s26, s27
	s_add_u32 s30, s33, s30
	s_addc_u32 s29, 0, s29
	s_mul_hi_u32 s34, s28, s31
	s_mul_i32 s31, s28, s31
	s_add_u32 s30, s30, s31
	s_mul_hi_u32 s33, s28, s27
	s_addc_u32 s29, s29, s34
	s_addc_u32 s30, s33, 0
	s_mul_i32 s27, s28, s27
	s_add_u32 s27, s29, s27
	s_addc_u32 s29, 0, s30
	s_add_u32 s30, s26, s27
	s_cselect_b64 s[26:27], -1, 0
	s_cmp_lg_u64 s[26:27], 0
	s_addc_u32 s28, s28, s29
	s_mul_i32 s26, s13, s28
	s_mul_hi_u32 s27, s13, s30
	s_add_i32 s26, s27, s26
	s_mul_i32 s17, s17, s30
	s_add_i32 s26, s26, s17
	s_mul_i32 s13, s13, s30
	s_mul_hi_u32 s27, s28, s13
	s_mul_i32 s29, s28, s13
	s_mul_i32 s33, s30, s26
	s_mul_hi_u32 s13, s30, s13
	s_mul_hi_u32 s31, s30, s26
	s_add_u32 s13, s13, s33
	s_addc_u32 s31, 0, s31
	s_add_u32 s13, s13, s29
	s_mul_hi_u32 s17, s28, s26
	s_addc_u32 s13, s31, s27
	s_addc_u32 s17, s17, 0
	s_mul_i32 s26, s28, s26
	s_add_u32 s13, s13, s26
	s_addc_u32 s17, 0, s17
	s_add_u32 s13, s30, s13
	s_cselect_b64 s[26:27], -1, 0
	s_cmp_lg_u64 s[26:27], 0
	s_addc_u32 s17, s28, s17
	s_ashr_i32 s26, s7, 31
	s_add_u32 s28, s6, s26
	s_mov_b32 s27, s26
	s_addc_u32 s29, s7, s26
	s_xor_b64 s[28:29], s[28:29], s[26:27]
	s_mul_i32 s31, s28, s17
	s_mul_hi_u32 s33, s28, s13
	s_mul_hi_u32 s30, s28, s17
	s_add_u32 s31, s33, s31
	s_addc_u32 s30, 0, s30
	s_mul_hi_u32 s34, s29, s13
	s_mul_i32 s13, s29, s13
	s_add_u32 s13, s31, s13
	s_mul_hi_u32 s33, s29, s17
	s_addc_u32 s13, s30, s34
	s_addc_u32 s30, s33, 0
	s_mul_i32 s17, s29, s17
	s_add_u32 s13, s13, s17
	s_addc_u32 s17, 0, s30
	s_mul_i32 s30, s24, s17
	s_mul_hi_u32 s31, s24, s13
	s_add_i32 s30, s31, s30
	s_mul_i32 s31, s25, s13
	s_add_i32 s33, s30, s31
	s_sub_i32 s34, s29, s33
	s_mul_i32 s30, s24, s13
	s_sub_u32 s28, s28, s30
	s_cselect_b64 s[30:31], -1, 0
	s_cmp_lg_u64 s[30:31], 0
	s_subb_u32 s36, s34, s25
	s_sub_u32 s37, s28, s24
	s_cselect_b64 s[34:35], -1, 0
	s_cmp_lg_u64 s[34:35], 0
	s_subb_u32 s34, s36, 0
	s_cmp_ge_u32 s34, s25
	s_cselect_b32 s35, -1, 0
	s_cmp_ge_u32 s37, s24
	s_cselect_b32 s36, -1, 0
	s_cmp_eq_u32 s34, s25
	s_cselect_b32 s34, s36, s35
	s_add_u32 s35, s13, 1
	s_addc_u32 s36, s17, 0
	s_add_u32 s37, s13, 2
	s_addc_u32 s38, s17, 0
	s_cmp_lg_u32 s34, 0
	s_cselect_b32 s34, s37, s35
	s_cselect_b32 s35, s38, s36
	s_cmp_lg_u64 s[30:31], 0
	s_subb_u32 s29, s29, s33
	s_cmp_ge_u32 s29, s25
	s_cselect_b32 s30, -1, 0
	s_cmp_ge_u32 s28, s24
	s_cselect_b32 s24, -1, 0
	s_cmp_eq_u32 s29, s25
	s_cselect_b32 s24, s24, s30
	s_cmp_lg_u32 s24, 0
	s_cselect_b32 s25, s35, s17
	s_cselect_b32 s24, s34, s13
	s_xor_b64 s[22:23], s[26:27], s[22:23]
	s_xor_b64 s[24:25], s[24:25], s[22:23]
	s_sub_u32 s70, s24, s22
	s_subb_u32 s71, s25, s23
	s_cbranch_execnz .LBB71_22
.LBB71_21:                              ;   in Loop: Header=BB71_19 Depth=1
	v_cvt_f32_u32_e32 v1, s20
	s_sub_i32 s13, 0, s20
	s_mov_b32 s71, s16
	v_rcp_iflag_f32_e32 v1, v1
	s_nop 0
	v_mul_f32_e32 v1, 0x4f7ffffe, v1
	v_cvt_u32_f32_e32 v1, v1
	s_nop 0
	v_readfirstlane_b32 s17, v1
	s_mul_i32 s13, s13, s17
	s_mul_hi_u32 s13, s17, s13
	s_add_i32 s17, s17, s13
	s_mul_hi_u32 s13, s6, s17
	s_mul_i32 s22, s13, s20
	s_sub_i32 s22, s6, s22
	s_add_i32 s17, s13, 1
	s_sub_i32 s23, s22, s20
	s_cmp_ge_u32 s22, s20
	s_cselect_b32 s13, s17, s13
	s_cselect_b32 s22, s23, s22
	s_add_i32 s17, s13, 1
	s_cmp_ge_u32 s22, s20
	s_cselect_b32 s70, s17, s13
.LBB71_22:                              ;   in Loop: Header=BB71_19 Depth=1
	s_mul_i32 s13, s70, s21
	s_mul_hi_u32 s17, s70, s20
	s_load_dwordx2 s[22:23], s[18:19], 0xc8
	s_add_i32 s13, s17, s13
	s_mul_i32 s17, s71, s20
	s_add_i32 s13, s13, s17
	s_mul_i32 s17, s70, s20
	s_sub_u32 s6, s6, s17
	s_subb_u32 s7, s7, s13
	s_waitcnt lgkmcnt(0)
	s_mul_i32 s7, s22, s7
	s_mul_hi_u32 s13, s22, s6
	s_add_i32 s7, s13, s7
	s_mul_i32 s13, s23, s6
	s_add_i32 s7, s7, s13
	s_mul_i32 s6, s22, s6
	s_add_u32 s66, s6, s66
	s_addc_u32 s67, s7, s67
	s_add_i32 s3, s3, -1
	s_add_u32 s18, s18, -8
	s_addc_u32 s19, s19, -1
	s_cmp_gt_u32 s3, 2
	s_cbranch_scc0 .LBB71_26
; %bb.23:                               ;   in Loop: Header=BB71_19 Depth=1
	s_mov_b64 s[6:7], s[70:71]
	s_branch .LBB71_19
.LBB71_24:                              ;   in Loop: Header=BB71_19 Depth=1
                                        ; implicit-def: $sgpr70_sgpr71
	s_branch .LBB71_21
.LBB71_25:
	s_mov_b64 s[70:71], s[6:7]
.LBB71_26:
	s_load_dwordx2 s[6:7], s[0:1], 0x430
	s_mov_b32 s81, 0
                                        ; kill: killed $sgpr0 killed $sgpr1
	s_waitcnt lgkmcnt(0)
	v_writelane_b32 v72, s6, 4
	s_nop 1
	v_writelane_b32 v72, s7, 5
	s_load_dwordx2 s[16:17], s[0:1], 0x0
	s_load_dwordx2 s[6:7], s[0:1], 0x1c0
	s_waitcnt lgkmcnt(0)
	v_writelane_b32 v72, s6, 6
	s_nop 1
	v_writelane_b32 v72, s7, 7
	s_load_dwordx2 s[6:7], s[0:1], 0x360
	s_waitcnt lgkmcnt(0)
	v_writelane_b32 v72, s6, 8
	s_nop 1
	v_writelane_b32 v72, s7, 9
	v_cmp_eq_u32_e64 s[6:7], 0, v0
	s_mov_b64 s[0:1], exec
	s_nop 0
	v_writelane_b32 v72, s6, 10
	s_nop 1
	v_writelane_b32 v72, s7, 11
	s_and_b64 s[6:7], s[0:1], s[6:7]
	s_mov_b64 exec, s[6:7]
	s_cbranch_execz .LBB71_28
; %bb.27:
	v_mov_b32_e32 v2, 0
	v_mov_b32_e32 v4, s56
	;; [unrolled: 1-line block ×4, first 2 shown]
	ds_write_b32 v2, v2 offset:5136
	ds_write_b128 v2, v[2:5] offset:5120
.LBB71_28:
	s_or_b64 exec, exec, s[0:1]
	s_mul_i32 s0, s14, s9
	s_mul_hi_u32 s1, s14, s8
	s_add_i32 s0, s1, s0
	s_mul_i32 s1, s15, s8
	s_add_i32 s1, s0, s1
	s_mul_i32 s0, s14, s8
	s_lshl_b64 s[0:1], s[0:1], 1
	s_add_u32 s8, s16, s0
	v_mbcnt_lo_u32_b32 v1, -1, 0
	s_addc_u32 s9, s17, s1
	s_lshl_b64 s[84:85], s[4:5], 1
	v_mbcnt_hi_u32_b32 v48, -1, v1
	s_add_u32 s86, s8, s84
	v_cmp_gt_u32_e32 vcc, 64, v0
	v_cmp_gt_i32_e64 s[6:7], 4, v48
	s_addc_u32 s87, s9, s85
	s_and_b64 s[82:83], vcc, s[6:7]
	v_cmp_gt_u32_e64 s[6:7], 2, v0
	v_mov_b64_e32 v[4:5], 0x600
	s_waitcnt lgkmcnt(0)
	v_writelane_b32 v72, s6, 12
	s_barrier
	s_nop 0
	v_writelane_b32 v72, s7, 13
	v_cmp_gt_i64_e64 s[6:7], s[56:57], v[4:5]
	s_load_dword s3, s[10:11], 0xc
	v_mov_b32_e32 v3, 0
	v_writelane_b32 v72, s6, 14
	v_mov_b32_e32 v1, v3
	v_lshlrev_b64 v[8:9], v48, -1
	v_writelane_b32 v72, s7, 15
	v_mad_u64_u32 v[6:7], s[6:7], s62, v0, 0
	v_mov_b32_e32 v2, v7
	v_mad_u64_u32 v[4:5], s[6:7], s63, v0, v[2:3]
	v_cmp_gt_i64_e64 s[6:7], s[56:57], v[0:1]
	v_lshlrev_b32_e32 v2, 2, v48
	s_waitcnt lgkmcnt(0)
	s_and_b32 s78, s3, 0xffff
	s_bfe_u32 s3, s3, 0xa0006
	v_writelane_b32 v72, s6, 16
	v_and_b32_e32 v51, 0x100, v2
	s_cmp_gt_u32 s78, 63
	v_lshrrev_b32_e32 v2, 1, v0
	v_writelane_b32 v72, s7, 17
	s_cselect_b64 s[6:7], -1, 0
	v_and_b32_e32 v2, 0x1e0, v2
	v_writelane_b32 v72, s6, 18
	v_or_b32_e32 v52, 0xc00, v2
	v_add_u32_e32 v2, 2, v0
	v_not_b32_e32 v18, v8
	v_writelane_b32 v72, s7, 19
	s_add_u32 s6, s78, -1
	v_mov_b32_e32 v8, s57
	v_cmp_gt_i64_e32 vcc, s[56:57], v[2:3]
	v_not_b32_e32 v19, v9
	s_addc_u32 s7, 0, -1
	v_cndmask_b32_e32 v9, 0, v8, vcc
	v_mov_b32_e32 v8, s56
	s_add_u32 s93, s6, s56
	v_cndmask_b32_e32 v8, v2, v8, vcc
	v_mov_b32_e32 v21, -1
	v_not_b32_e32 v20, v0
	v_writelane_b32 v72, s6, 20
	s_addc_u32 s97, s7, s57
	v_lshl_add_u64 v[8:9], v[8:9], 0, v[20:21]
	v_writelane_b32 v72, s7, 21
	s_cmp_lt_u32 s2, s12
	v_cmp_lt_u64_e64 s[6:7], 3, v[8:9]
	s_cselect_b32 s2, 12, 18
	s_add_u32 s74, s10, s2
	v_writelane_b32 v72, s6, 22
	v_and_b32_e32 v22, -4, v8
	v_mov_b32_e32 v23, v9
	v_writelane_b32 v72, s7, 23
	s_mov_b32 s2, s62
	v_writelane_b32 v72, s2, 24
	v_cmp_ne_u64_e64 s[6:7], v[8:9], v[22:23]
	s_addc_u32 s75, s11, 0
	s_add_i32 s2, s3, -1
	v_writelane_b32 v72, s6, 25
	s_and_b32 s2, s2, 0xffff
	v_lshlrev_b32_e32 v20, 3, v0
	v_writelane_b32 v72, s7, 26
	s_bfe_u32 s6, s78, 0x30006
	s_cmp_gt_u32 s2, 6
	s_cselect_b64 s[10:11], -1, 0
	v_writelane_b32 v72, s10, 27
	s_and_b32 s64, s3, 0x3f8
	s_cmp_lg_u32 s6, 0
	v_writelane_b32 v72, s11, 28
	v_writelane_b32 v72, s6, 29
	s_cselect_b64 s[2:3], -1, 0
	v_writelane_b32 v72, s2, 30
	v_or_b32_e32 v10, 6, v20
	v_mov_b64_e32 v[8:9], s[8:9]
	v_writelane_b32 v72, s3, 31
	s_add_u32 s2, s0, s84
	s_addc_u32 s3, s1, s85
	s_add_u32 s2, s16, s2
	s_addc_u32 s3, s17, s3
	v_writelane_b32 v72, s2, 32
	v_mov_b32_e32 v7, v4
	v_lshlrev_b64 v[4:5], 1, v[6:7]
	v_writelane_b32 v72, s3, 33
	s_lshl_b64 s[2:3], s[62:63], 1
	v_writelane_b32 v72, s2, 34
	s_mov_b32 s55, s63
	s_mov_b32 s54, s62
	v_writelane_b32 v72, s3, 35
	v_mad_u64_u32 v[26:27], s[2:3], s62, v10, v[8:9]
	v_mov_b32_e32 v2, v27
	v_mad_u64_u32 v[10:11], s[2:3], s63, v10, v[2:3]
	s_lshl_b64 s[2:3], s[62:63], 3
	v_mov_b32_e32 v27, v10
	v_writelane_b32 v72, s2, 36
	v_or_b32_e32 v10, 4, v20
	s_mov_b32 s49, s63
	v_writelane_b32 v72, s3, 37
	v_mad_u64_u32 v[28:29], s[2:3], s62, v10, v[8:9]
	v_mov_b32_e32 v2, v29
	v_mad_u64_u32 v[10:11], s[2:3], s63, v10, v[2:3]
	v_mov_b32_e32 v29, v10
	v_or_b32_e32 v10, 2, v20
	v_mad_u64_u32 v[30:31], s[2:3], s62, v10, v[8:9]
	v_mov_b32_e32 v2, v31
	v_mad_u64_u32 v[8:9], s[2:3], s63, v10, v[2:3]
	s_add_u32 s2, s16, s84
	s_addc_u32 s3, s17, s85
	s_add_u32 s0, s2, s0
	s_addc_u32 s1, s3, s1
	v_lshl_add_u64 v[12:13], s[0:1], 0, v[4:5]
	s_mul_i32 s0, s63, s78
	s_mul_hi_u32 s1, s62, s78
	s_add_i32 s1, s1, s0
	s_mul_i32 s0, s62, s78
	s_lshl_b64 s[94:95], s[0:1], 1
	s_mov_b32 s0, 0
	v_writelane_b32 v72, s0, 38
	v_writelane_b32 v72, s70, 39
	s_mov_b32 s50, s62
	s_mov_b32 s51, s63
	v_writelane_b32 v72, s71, 40
	v_writelane_b32 v72, s82, 41
	s_mov_b32 s88, s62
	v_lshlrev_b32_e32 v49, 1, v0
	v_writelane_b32 v72, s83, 42
	v_writelane_b32 v72, s74, 43
	s_mov_b32 s89, s63
	v_mov_b32_e32 v2, 0xc00
	v_writelane_b32 v72, s75, 44
	v_writelane_b32 v72, s55, 45
	;; [unrolled: 1-line block ×7, first 2 shown]
	v_cmp_eq_u32_e64 s[4:5], 0, v48
	v_add_u32_e32 v50, 0xc00, v49
	v_lshl_add_u64 v[14:15], s[86:87], 0, v[4:5]
	v_lshlrev_b32_e32 v16, 2, v0
	v_mov_b32_e32 v17, v3
	s_mov_b32 s33, 0xffff
	s_mov_b32 s79, s81
	v_lshl_add_u64 v[24:25], v[22:23], 0, v[0:1]
	v_mov_b32_e32 v31, v8
	v_lshl_add_u64 v[32:33], v[6:7], 3, s[8:9]
	v_lshl_add_u64 v[34:35], s[56:57], 0, v[0:1]
	v_lshl_or_b32 v53, v48, 3, v2
	s_lshl_b32 s90, s78, 1
	s_mov_b32 s65, 14
	s_mov_b64 s[76:77], 0
	v_mov_b64_e32 v[36:37], s[58:59]
	s_mov_b32 s91, 0x5040100
	v_mov_b64_e32 v[60:61], s[56:57]
	s_movk_i32 s92, 0x3f80
	v_mov_b32_e32 v55, 0xffff
	v_mov_b32_e32 v56, 0x8000
	;; [unrolled: 1-line block ×6, first 2 shown]
	v_writelane_b32 v72, s89, 51
                                        ; implicit-def: $sgpr2_sgpr3
                                        ; implicit-def: $sgpr10_sgpr11
                                        ; implicit-def: $sgpr12_sgpr13
                                        ; implicit-def: $sgpr30_sgpr31
                                        ; implicit-def: $sgpr58_sgpr59
                                        ; implicit-def: $sgpr98_sgpr99
	v_writelane_b32 v72, s90, 52
	s_branch .LBB71_32
.LBB71_29:                              ;   in Loop: Header=BB71_32 Depth=1
	s_or_b64 exec, exec, s[14:15]
	s_and_b64 s[6:7], s[6:7], exec
	s_andn2_b64 s[24:25], s[24:25], exec
	s_andn2_b64 s[2:3], s[2:3], exec
	s_orn2_b64 s[18:19], s[8:9], exec
.LBB71_30:                              ;   in Loop: Header=BB71_32 Depth=1
	s_or_b64 exec, exec, s[0:1]
	s_andn2_b64 s[0:1], s[98:99], exec
	s_and_b64 s[6:7], s[6:7], exec
	s_or_b64 s[20:21], s[0:1], s[6:7]
	s_andn2_b64 s[0:1], s[58:59], exec
	s_and_b64 s[6:7], s[24:25], exec
	s_or_b64 s[24:25], s[0:1], s[6:7]
	;; [unrolled: 3-line block ×3, first 2 shown]
	s_orn2_b64 s[0:1], s[18:19], exec
.LBB71_31:                              ;   in Loop: Header=BB71_32 Depth=1
	s_or_b64 exec, exec, s[16:17]
	s_and_b64 s[0:1], exec, s[0:1]
	s_or_b64 s[76:77], s[0:1], s[76:77]
	s_andn2_b64 s[0:1], s[12:13], exec
	s_and_b64 s[2:3], s[20:21], exec
	s_or_b64 s[12:13], s[0:1], s[2:3]
	s_andn2_b64 s[0:1], s[10:11], exec
	s_and_b64 s[2:3], s[24:25], exec
	s_or_b64 s[10:11], s[0:1], s[2:3]
	v_readlane_b32 s0, v72, 53
	v_readlane_b32 s1, v72, 54
	s_andn2_b64 s[0:1], s[0:1], exec
	s_and_b64 s[2:3], s[8:9], exec
	s_mov_b64 s[98:99], s[20:21]
	s_mov_b64 s[58:59], s[24:25]
	;; [unrolled: 1-line block ×3, first 2 shown]
	s_or_b64 s[2:3], s[0:1], s[2:3]
	v_mov_b64_e32 v[36:37], v[8:9]
	s_andn2_b64 exec, exec, s[76:77]
	s_cbranch_execz .LBB71_295
.LBB71_32:                              ; =>This Loop Header: Depth=1
                                        ;     Child Loop BB71_37 Depth 2
                                        ;     Child Loop BB71_51 Depth 2
	;; [unrolled: 1-line block ×17, first 2 shown]
	ds_read_b128 v[4:7], v3 offset:5120
	v_writelane_b32 v72, s2, 53
	s_waitcnt lgkmcnt(0)
	v_readfirstlane_b32 s1, v5
	v_readfirstlane_b32 s0, v4
	v_writelane_b32 v72, s3, 54
	s_nop 0
	v_cmp_gt_i64_e64 s[2:3], s[0:1], 0
	s_and_b64 vcc, exec, s[2:3]
	s_cbranch_vccnz .LBB71_64
; %bb.33:                               ;   in Loop: Header=BB71_32 Depth=1
	v_readlane_b32 s2, v72, 14
	v_readlane_b32 s3, v72, 15
	s_and_b64 vcc, exec, s[2:3]
	s_cbranch_vccz .LBB71_45
; %bb.34:                               ;   in Loop: Header=BB71_32 Depth=1
	s_mov_b64 s[2:3], 0x601
	v_cmp_gt_i64_e32 vcc, s[2:3], v[6:7]
	s_mov_b64 s[6:7], 0
	s_mov_b64 s[2:3], 0
	s_cbranch_vccz .LBB71_46
; %bb.35:                               ;   in Loop: Header=BB71_32 Depth=1
	global_load_ushort v6, v3, s[74:75]
	global_load_ushort v8, v[14:15], off
	v_readlane_b32 s2, v72, 32
	v_readlane_b32 s3, v72, 33
	;; [unrolled: 1-line block ×4, first 2 shown]
	v_mov_b64_e32 v[4:5], s[2:3]
	s_mov_b64 s[8:9], 0
	s_waitcnt vmcnt(1)
	v_and_b32_e32 v2, 0xffff, v6
	v_readfirstlane_b32 s1, v6
	v_lshl_add_u64 v[6:7], v[0:1], 0, v[2:3]
	s_and_b32 s1, 0xffff, s1
	v_mad_u64_u32 v[4:5], s[2:3], s14, v6, v[4:5]
	v_mul_lo_u32 v7, s14, v7
	v_mul_lo_u32 v9, s15, v6
	s_mul_i32 s2, s15, s1
	s_mul_hi_u32 s3, s14, s1
	s_mul_i32 s16, s14, s1
	v_add3_u32 v5, v9, v5, v7
	s_add_i32 s17, s3, s2
	v_mov_b64_e32 v[6:7], v[0:1]
	s_branch .LBB71_37
.LBB71_36:                              ;   in Loop: Header=BB71_37 Depth=2
	s_or_b64 exec, exec, s[2:3]
	v_lshl_add_u64 v[4:5], v[4:5], 0, s[16:17]
	v_mov_b32_e32 v8, v9
	s_andn2_b64 exec, exec, s[8:9]
	s_cbranch_execz .LBB71_98
.LBB71_37:                              ;   Parent Loop BB71_32 Depth=1
                                        ; =>  This Inner Loop Header: Depth=2
	v_lshl_add_u64 v[6:7], v[6:7], 0, v[2:3]
	v_cmp_gt_i64_e64 s[2:3], s[56:57], v[6:7]
	v_cmp_le_i64_e32 vcc, s[56:57], v[6:7]
	s_waitcnt lgkmcnt(0)
	v_mov_b32_e32 v10, 0
	v_mov_b32_e32 v9, 0
	s_and_saveexec_b64 s[14:15], s[2:3]
	s_cbranch_execz .LBB71_39
; %bb.38:                               ;   in Loop: Header=BB71_37 Depth=2
	global_load_ushort v9, v[4:5], off
.LBB71_39:                              ;   in Loop: Header=BB71_37 Depth=2
	s_or_b64 exec, exec, s[14:15]
	s_waitcnt vmcnt(0)
	v_cmp_lt_i16_e64 s[2:3], -1, v8
	v_lshlrev_b32_e32 v38, 16, v8
	s_nop 0
	v_cndmask_b32_e64 v11, v55, v56, s[2:3]
	v_xor_b32_sdwa v11, v11, v8 dst_sel:DWORD dst_unused:UNUSED_PAD src0_sel:DWORD src1_sel:WORD_0
	v_cmp_o_f32_e64 s[2:3], v38, v38
	s_nop 1
	v_cndmask_b32_e64 v11, v55, v11, s[2:3]
	v_and_b32_e32 v11, v11, v58
	v_cmp_eq_u32_e64 s[14:15], v11, v54
	s_cmp_lg_u64 s[14:15], 0
	s_cselect_b64 s[2:3], -1, 0
	s_and_b64 s[2:3], s[4:5], s[2:3]
	s_and_saveexec_b64 s[18:19], s[2:3]
	s_cbranch_execz .LBB71_43
; %bb.40:                               ;   in Loop: Header=BB71_37 Depth=2
	s_mov_b64 s[22:23], exec
	v_mbcnt_lo_u32_b32 v10, s22, 0
	v_mbcnt_hi_u32_b32 v10, s23, v10
	s_bcnt1_i32_b64 s1, s[14:15]
	v_cmp_eq_u32_e64 s[2:3], 0, v10
                                        ; implicit-def: $vgpr11
	s_and_saveexec_b64 s[20:21], s[2:3]
; %bb.41:                               ;   in Loop: Header=BB71_37 Depth=2
	s_bcnt1_i32_b64 s2, s[22:23]
	s_mul_i32 s2, s1, s2
	v_mov_b32_e32 v11, s2
	ds_add_rtn_u32 v11, v3, v11 offset:5136
; %bb.42:                               ;   in Loop: Header=BB71_37 Depth=2
	s_or_b64 exec, exec, s[20:21]
	s_waitcnt lgkmcnt(0)
	v_readfirstlane_b32 s2, v11
	s_nop 1
	v_mov_b32_e32 v11, s2
	v_mad_u32_u24 v10, s1, v10, v11
.LBB71_43:                              ;   in Loop: Header=BB71_37 Depth=2
	s_or_b64 exec, exec, s[18:19]
	ds_bpermute_b32 v10, v51, v10
	s_and_b64 s[2:3], exec, vcc
	s_or_b64 s[8:9], s[2:3], s[8:9]
	s_and_saveexec_b64 s[2:3], s[14:15]
	s_cbranch_execz .LBB71_36
; %bb.44:                               ;   in Loop: Header=BB71_37 Depth=2
	v_and_b32_e32 v38, s14, v18
	v_and_b32_e32 v11, s15, v19
	v_bcnt_u32_b32 v38, v38, 0
	v_bcnt_u32_b32 v11, v11, v38
	v_lshlrev_b32_e32 v11, 1, v11
	s_waitcnt lgkmcnt(0)
	v_lshl_add_u32 v10, v10, 1, v11
	ds_write_b16 v10, v8
	s_branch .LBB71_36
.LBB71_45:                              ;   in Loop: Header=BB71_32 Depth=1
	s_mov_b64 s[6:7], -1
	s_mov_b64 s[2:3], 0
.LBB71_46:                              ;   in Loop: Header=BB71_32 Depth=1
	s_and_b64 vcc, exec, s[6:7]
	s_cbranch_vccz .LBB71_62
.LBB71_47:                              ;   in Loop: Header=BB71_32 Depth=1
	s_mov_b64 s[2:3], exec
	v_readlane_b32 s6, v72, 16
	v_readlane_b32 s7, v72, 17
	s_and_b64 s[6:7], s[2:3], s[6:7]
	s_mov_b64 exec, s[6:7]
	s_cbranch_execz .LBB71_59
; %bb.48:                               ;   in Loop: Header=BB71_32 Depth=1
	global_load_ushort v2, v3, s[74:75]
	global_load_ushort v40, v[14:15], off
	v_mov_b32_e32 v8, v0
	s_waitcnt vmcnt(1)
	v_readfirstlane_b32 s1, v2
	v_add_u32_sdwa v2, v2, v0 dst_sel:DWORD dst_unused:UNUSED_PAD src0_sel:WORD_0 src1_sel:DWORD
	v_cmp_gt_i64_e32 vcc, s[56:57], v[2:3]
	s_and_saveexec_b64 s[6:7], vcc
	s_cbranch_execz .LBB71_58
; %bb.49:                               ;   in Loop: Header=BB71_32 Depth=1
	s_and_b32 s80, s1, 0xffff
	s_cmp_eq_u32 s80, 1
	v_readlane_b32 s14, v72, 22
	s_cselect_b64 s[8:9], -1, 0
	v_readlane_b32 s15, v72, 23
	s_and_b64 s[16:17], s[14:15], s[8:9]
	s_mov_b64 s[14:15], -1
	v_mov_b64_e32 v[6:7], v[0:1]
	v_mov_b64_e32 v[4:5], v[2:3]
                                        ; implicit-def: $vgpr8_vgpr9
	s_and_saveexec_b64 s[8:9], s[16:17]
	s_cbranch_execz .LBB71_53
; %bb.50:                               ;   in Loop: Header=BB71_32 Depth=1
	v_lshl_add_u64 v[8:9], v[2:3], 0, 3
	v_lshl_add_u64 v[6:7], v[2:3], 0, 2
	;; [unrolled: 1-line block ×3, first 2 shown]
	v_mov_b64_e32 v[10:11], v[8:9]
	s_waitcnt vmcnt(0)
	v_lshlrev_b32_e32 v42, 16, v40
	s_mov_b64 s[14:15], 0
	v_mov_b64_e32 v[38:39], v[22:23]
	v_mov_b32_e32 v41, v49
	v_mov_b64_e32 v[8:9], v[6:7]
	v_mov_b64_e32 v[6:7], v[4:5]
	;; [unrolled: 1-line block ×3, first 2 shown]
	v_readlane_b32 s1, v72, 24
.LBB71_51:                              ;   Parent Loop BB71_32 Depth=1
                                        ; =>  This Inner Loop Header: Depth=2
	v_mul_lo_u32 v40, v11, s88
	v_mul_lo_u32 v43, v10, s89
	v_mad_u64_u32 v[44:45], s[16:17], v10, s88, 0
	v_mul_lo_u32 v66, v9, s50
	v_mul_lo_u32 v67, v8, s51
	v_mad_u64_u32 v[46:47], s[16:17], v8, s50, 0
	;; [unrolled: 3-line block ×4, first 2 shown]
	v_add3_u32 v45, v45, v43, v40
	v_add3_u32 v47, v47, v67, v66
	;; [unrolled: 1-line block ×4, first 2 shown]
	v_lshl_add_u64 v[46:47], v[46:47], 1, s[86:87]
	v_lshl_add_u64 v[44:45], v[44:45], 1, s[86:87]
	;; [unrolled: 1-line block ×4, first 2 shown]
	global_load_ushort v43, v[46:47], off
	global_load_ushort v40, v[44:45], off
	s_nop 0
	global_load_ushort v44, v[62:63], off
	global_load_ushort v45, v[64:65], off
	v_lshl_add_u64 v[38:39], v[38:39], 0, -4
	v_cmp_eq_u64_e32 vcc, 0, v[38:39]
	v_lshl_add_u64 v[10:11], v[10:11], 0, 4
	v_lshl_add_u64 v[8:9], v[8:9], 0, 4
	;; [unrolled: 1-line block ×4, first 2 shown]
	s_or_b64 s[14:15], vcc, s[14:15]
	s_waitcnt vmcnt(2)
	v_perm_b32 v46, v40, v43, s91
	s_waitcnt vmcnt(1)
	v_perm_b32 v43, v43, v44, s91
	s_waitcnt vmcnt(0)
	v_alignbit_b32 v42, v45, v42, 16
	ds_write_b64 v41, v[42:43]
	v_add_u32_e32 v41, 8, v41
	v_mov_b32_e32 v42, v46
	s_andn2_b64 exec, exec, s[14:15]
	s_cbranch_execnz .LBB71_51
; %bb.52:                               ;   in Loop: Header=BB71_32 Depth=1
	s_or_b64 exec, exec, s[14:15]
	v_readlane_b32 s14, v72, 25
	v_lshl_add_u64 v[4:5], v[2:3], 0, v[22:23]
	v_readlane_b32 s15, v72, 26
	v_lshl_add_u64 v[8:9], v[4:5], 0, -1
	s_orn2_b64 s[14:15], s[14:15], exec
	v_mov_b64_e32 v[6:7], v[24:25]
.LBB71_53:                              ;   in Loop: Header=BB71_32 Depth=1
	s_or_b64 exec, exec, s[8:9]
	s_and_saveexec_b64 s[8:9], s[14:15]
	s_cbranch_execz .LBB71_57
; %bb.54:                               ;   in Loop: Header=BB71_32 Depth=1
	v_readlane_b32 s18, v72, 32
	v_readlane_b32 s19, v72, 33
	v_readlane_b32 s20, v72, 34
	v_readlane_b32 s21, v72, 35
	v_mov_b64_e32 v[8:9], s[18:19]
	v_mad_u64_u32 v[8:9], s[18:19], s20, v4, v[8:9]
	s_sub_u32 s14, 0, s80
	v_mul_lo_u32 v2, s20, v5
	v_mul_lo_u32 v7, s21, v4
	s_mul_i32 s1, s21, s80
	s_mul_hi_u32 s18, s20, s80
	s_mov_b64 s[16:17], 0
	s_subb_u32 s15, 0, 0
	v_add3_u32 v9, v7, v9, v2
	s_add_i32 s19, s18, s1
	s_mul_i32 s18, s20, s80
.LBB71_55:                              ;   Parent Loop BB71_32 Depth=1
                                        ; =>  This Inner Loop Header: Depth=2
	s_waitcnt vmcnt(0)
	v_mov_b32_e32 v2, v40
	global_load_ushort v40, v[8:9], off
	v_mov_b64_e32 v[10:11], v[4:5]
	v_lshlrev_b32_e32 v4, 1, v6
	ds_write_b16 v4, v2
	v_lshl_add_u64 v[4:5], v[10:11], 0, s[80:81]
	v_cmp_le_i64_e32 vcc, s[56:57], v[4:5]
	v_lshl_add_u64 v[8:9], v[8:9], 0, s[18:19]
	s_or_b64 s[16:17], vcc, s[16:17]
	v_mov_b64_e32 v[6:7], v[10:11]
	s_andn2_b64 exec, exec, s[16:17]
	s_cbranch_execnz .LBB71_55
; %bb.56:                               ;   in Loop: Header=BB71_32 Depth=1
	s_or_b64 exec, exec, s[16:17]
	v_lshl_add_u64 v[8:9], s[14:15], 0, v[4:5]
.LBB71_57:                              ;   in Loop: Header=BB71_32 Depth=1
	s_or_b64 exec, exec, s[8:9]
.LBB71_58:                              ;   in Loop: Header=BB71_32 Depth=1
	s_or_b64 exec, exec, s[6:7]
	v_lshlrev_b32_e32 v2, 1, v8
	s_waitcnt vmcnt(0)
	ds_write_b16 v2, v40
.LBB71_59:                              ;   in Loop: Header=BB71_32 Depth=1
	s_or_b64 exec, exec, s[2:3]
	s_waitcnt lgkmcnt(0)
	s_barrier
	s_mov_b64 s[2:3], exec
	v_readlane_b32 s6, v72, 10
	v_readlane_b32 s7, v72, 11
	s_and_b64 s[6:7], s[2:3], s[6:7]
	s_mov_b64 exec, s[6:7]
; %bb.60:                               ;   in Loop: Header=BB71_32 Depth=1
	ds_write_b64 v3, v[60:61] offset:5120
; %bb.61:                               ;   in Loop: Header=BB71_32 Depth=1
	s_or_b64 exec, exec, s[2:3]
	s_waitcnt lgkmcnt(0)
	s_barrier
	s_mov_b64 s[2:3], -1
.LBB71_62:                              ;   in Loop: Header=BB71_32 Depth=1
	s_and_b64 vcc, exec, s[2:3]
	s_cbranch_vccz .LBB71_64
; %bb.63:                               ;   in Loop: Header=BB71_32 Depth=1
	ds_read_b64 v[4:5], v3 offset:5120
	s_waitcnt lgkmcnt(0)
	v_readfirstlane_b32 s0, v4
.LBB71_64:                              ;   in Loop: Header=BB71_32 Depth=1
	s_cmp_lt_i32 s0, 1
	s_mov_b64 s[2:3], -1
                                        ; implicit-def: $vgpr4_vgpr5
                                        ; implicit-def: $vgpr8_vgpr9
	s_cbranch_scc0 .LBB71_79
; %bb.65:                               ;   in Loop: Header=BB71_32 Depth=1
	global_load_ushort v2, v3, s[74:75]
	s_mov_b32 s2, s81
	s_mov_b32 s3, s57
	s_waitcnt vmcnt(0)
	v_readfirstlane_b32 s1, v2
	s_and_b32 s72, s1, 0xffff
	s_lshl_b32 s80, s72, 2
	s_cmp_lg_u64 s[2:3], 0
	s_cbranch_scc0 .LBB71_97
; %bb.66:                               ;   in Loop: Header=BB71_32 Depth=1
	s_add_u32 s2, s80, 0
	s_addc_u32 s3, 0, 0
	s_xor_b64 s[2:3], s[2:3], 0
	v_cvt_f32_u32_e32 v2, s2
	v_cvt_f32_u32_e32 v4, s3
	s_sub_u32 s1, 0, s2
	s_subb_u32 s8, 0, s3
	v_fmac_f32_e32 v2, 0x4f800000, v4
	v_rcp_f32_e32 v2, v2
	s_nop 0
	v_mul_f32_e32 v2, 0x5f7ffffc, v2
	v_mul_f32_e32 v4, 0x2f800000, v2
	v_trunc_f32_e32 v4, v4
	v_fmac_f32_e32 v2, 0xcf800000, v4
	v_cvt_u32_f32_e32 v4, v4
	v_cvt_u32_f32_e32 v2, v2
	v_readfirstlane_b32 s9, v4
	v_readfirstlane_b32 s6, v2
	s_mul_i32 s7, s1, s9
	s_mul_hi_u32 s15, s1, s6
	s_mul_i32 s14, s8, s6
	s_add_i32 s7, s15, s7
	s_mul_i32 s16, s1, s6
	s_add_i32 s7, s7, s14
	s_mul_i32 s15, s6, s7
	s_mul_hi_u32 s17, s6, s16
	s_mul_hi_u32 s14, s6, s7
	s_add_u32 s15, s17, s15
	s_addc_u32 s14, 0, s14
	s_mul_hi_u32 s18, s9, s16
	s_mul_i32 s16, s9, s16
	s_add_u32 s15, s15, s16
	s_mul_hi_u32 s17, s9, s7
	s_addc_u32 s14, s14, s18
	s_addc_u32 s15, s17, 0
	s_mul_i32 s7, s9, s7
	s_add_u32 s7, s14, s7
	s_addc_u32 s14, 0, s15
	s_add_u32 s15, s6, s7
	s_cselect_b64 s[6:7], -1, 0
	s_cmp_lg_u64 s[6:7], 0
	s_addc_u32 s9, s9, s14
	s_mul_i32 s6, s1, s9
	s_mul_hi_u32 s7, s1, s15
	s_add_i32 s6, s7, s6
	s_mul_i32 s8, s8, s15
	s_add_i32 s6, s6, s8
	s_mul_i32 s1, s1, s15
	s_mul_hi_u32 s8, s9, s1
	s_mul_i32 s14, s9, s1
	s_mul_i32 s17, s15, s6
	s_mul_hi_u32 s1, s15, s1
	s_mul_hi_u32 s16, s15, s6
	s_add_u32 s1, s1, s17
	s_addc_u32 s16, 0, s16
	s_add_u32 s1, s1, s14
	s_mul_hi_u32 s7, s9, s6
	s_addc_u32 s1, s16, s8
	s_addc_u32 s7, s7, 0
	s_mul_i32 s6, s9, s6
	s_add_u32 s1, s1, s6
	s_addc_u32 s8, 0, s7
	s_add_u32 s1, s15, s1
	s_cselect_b64 s[6:7], -1, 0
	s_cmp_lg_u64 s[6:7], 0
	s_addc_u32 s14, s9, s8
	s_ashr_i32 s6, s57, 31
	s_add_u32 s8, s56, s6
	s_mov_b32 s7, s6
	s_addc_u32 s9, s57, s6
	s_xor_b64 s[8:9], s[8:9], s[6:7]
	s_mul_i32 s16, s8, s14
	s_mul_hi_u32 s17, s8, s1
	s_mul_hi_u32 s15, s8, s14
	s_add_u32 s16, s17, s16
	s_addc_u32 s15, 0, s15
	s_mul_hi_u32 s18, s9, s1
	s_mul_i32 s1, s9, s1
	s_add_u32 s1, s16, s1
	s_mul_hi_u32 s17, s9, s14
	s_addc_u32 s1, s15, s18
	s_addc_u32 s15, s17, 0
	s_mul_i32 s14, s9, s14
	s_add_u32 s1, s1, s14
	s_addc_u32 s14, 0, s15
	s_mul_i32 s14, s2, s14
	s_mul_hi_u32 s15, s2, s1
	s_add_i32 s14, s15, s14
	s_mul_i32 s15, s3, s1
	s_add_i32 s18, s14, s15
	s_sub_i32 s16, s9, s18
	s_mul_i32 s1, s2, s1
	s_sub_u32 s1, s8, s1
	s_cselect_b64 s[14:15], -1, 0
	s_cmp_lg_u64 s[14:15], 0
	s_subb_u32 s8, s16, s3
	s_sub_u32 s19, s1, s2
	s_cselect_b64 s[16:17], -1, 0
	s_cmp_lg_u64 s[16:17], 0
	s_subb_u32 s20, s8, 0
	s_cmp_ge_u32 s20, s3
	s_cselect_b32 s21, -1, 0
	s_cmp_ge_u32 s19, s2
	s_cselect_b32 s22, -1, 0
	s_cmp_eq_u32 s20, s3
	s_cselect_b32 s21, s22, s21
	s_cmp_lg_u64 s[16:17], 0
	s_subb_u32 s8, s8, s3
	s_sub_u32 s22, s19, s2
	s_cselect_b64 s[16:17], -1, 0
	s_cmp_lg_u64 s[16:17], 0
	s_subb_u32 s8, s8, 0
	s_cmp_lg_u32 s21, 0
	s_cselect_b32 s16, s22, s19
	s_cselect_b32 s8, s8, s20
	s_cmp_lg_u64 s[14:15], 0
	s_subb_u32 s9, s9, s18
	s_cmp_ge_u32 s9, s3
	s_cselect_b32 s14, -1, 0
	s_cmp_ge_u32 s1, s2
	s_cselect_b32 s2, -1, 0
	s_cmp_eq_u32 s9, s3
	s_cselect_b32 s2, s2, s14
	s_cmp_lg_u32 s2, 0
	s_cselect_b32 s3, s8, s9
	s_cselect_b32 s2, s16, s1
	s_xor_b64 s[2:3], s[2:3], s[6:7]
	s_sub_u32 s8, s2, s6
	s_subb_u32 s9, s3, s6
	s_cbranch_execnz .LBB71_68
.LBB71_67:                              ;   in Loop: Header=BB71_32 Depth=1
	v_cvt_f32_u32_e32 v2, s80
	s_sub_i32 s1, 0, s80
	s_mov_b32 s9, s81
	v_rcp_iflag_f32_e32 v2, v2
	s_nop 0
	v_mul_f32_e32 v2, 0x4f7ffffe, v2
	v_cvt_u32_f32_e32 v2, v2
	s_nop 0
	v_readfirstlane_b32 s2, v2
	s_mul_i32 s1, s1, s2
	s_mul_hi_u32 s1, s2, s1
	s_add_i32 s2, s2, s1
	s_mul_hi_u32 s1, s56, s2
	s_mul_i32 s1, s1, s80
	s_sub_i32 s1, s56, s1
	s_sub_i32 s2, s1, s80
	s_cmp_ge_u32 s1, s80
	s_cselect_b32 s1, s2, s1
	s_sub_i32 s2, s1, s80
	s_cmp_ge_u32 s1, s80
	s_cselect_b32 s8, s2, s1
.LBB71_68:                              ;   in Loop: Header=BB71_32 Depth=1
	s_sub_u32 s90, s56, s8
	s_subb_u32 s91, s57, s9
	s_mov_b32 s73, s81
	v_cmp_gt_i64_e32 vcc, s[90:91], v[16:17]
	v_mov_b64_e32 v[4:5], 0
	v_mov_b64_e32 v[6:7], 0
	;; [unrolled: 1-line block ×4, first 2 shown]
	s_and_saveexec_b64 s[6:7], vcc
	s_cbranch_execz .LBB71_72
; %bb.69:                               ;   in Loop: Header=BB71_32 Depth=1
	v_readlane_b32 s14, v72, 36
	v_readlane_b32 s15, v72, 37
	s_mul_i32 s1, s15, s72
	s_mul_hi_u32 s2, s14, s72
	s_mov_b32 s96, s93
	s_mov_b64 s[70:71], s[94:95]
	s_add_i32 s69, s2, s1
	s_mul_i32 s68, s14, s72
	s_mov_b64 s[88:89], 0
	v_mov_b64_e32 v[38:39], v[32:33]
	v_mov_b64_e32 v[40:41], v[30:31]
	;; [unrolled: 1-line block ×4, first 2 shown]
	s_mov_b64 s[94:95], 0
	s_mov_b64 s[92:93], 0
	;; [unrolled: 1-line block ×4, first 2 shown]
	v_mov_b64_e32 v[46:47], v[16:17]
.LBB71_70:                              ;   Parent Loop BB71_32 Depth=1
                                        ; =>  This Inner Loop Header: Depth=2
	v_lshl_add_u64 v[4:5], v[38:39], 0, s[84:85]
	v_lshl_add_u64 v[6:7], v[40:41], 0, s[84:85]
	;; [unrolled: 1-line block ×4, first 2 shown]
	global_load_ushort v2, v[4:5], off
	s_nop 0
	global_load_ushort v4, v[6:7], off
	global_load_ushort v5, v[8:9], off
	s_nop 0
	global_load_ushort v6, v[10:11], off
	v_lshl_add_u64 v[46:47], v[46:47], 0, s[80:81]
	v_cmp_le_i64_e32 vcc, s[90:91], v[46:47]
	v_lshl_add_u64 v[44:45], v[44:45], 0, s[68:69]
	v_lshl_add_u64 v[42:43], v[42:43], 0, s[68:69]
	;; [unrolled: 1-line block ×4, first 2 shown]
	s_waitcnt vmcnt(3)
	v_cmp_lt_i16_e64 s[2:3], -1, v2
	s_nop 1
	v_cndmask_b32_e64 v11, v55, v56, s[2:3]
	s_waitcnt vmcnt(2)
	v_cmp_lt_i16_e64 s[2:3], -1, v4
	v_lshlrev_b32_e32 v7, 16, v2
	v_lshlrev_b32_e32 v8, 16, v4
	v_cndmask_b32_e64 v62, v55, v56, s[2:3]
	s_waitcnt vmcnt(1)
	v_cmp_lt_i16_e64 s[2:3], -1, v5
	v_xor_b32_sdwa v2, v11, v2 dst_sel:DWORD dst_unused:UNUSED_PAD src0_sel:DWORD src1_sel:WORD_0
	v_cmp_o_f32_e64 s[18:19], v7, v7
	v_cndmask_b32_e64 v63, v55, v56, s[2:3]
	s_waitcnt vmcnt(0)
	v_cmp_lt_i16_e64 s[2:3], -1, v6
	v_lshlrev_b32_e32 v9, 16, v5
	v_xor_b32_sdwa v4, v62, v4 dst_sel:DWORD dst_unused:UNUSED_PAD src0_sel:DWORD src1_sel:WORD_0
	v_cndmask_b32_e64 v64, v55, v56, s[2:3]
	v_cmp_o_f32_e64 s[2:3], v8, v8
	v_cndmask_b32_e64 v2, v55, v2, s[18:19]
	v_lshlrev_b32_e32 v10, 16, v6
	v_xor_b32_sdwa v5, v63, v5 dst_sel:DWORD dst_unused:UNUSED_PAD src0_sel:DWORD src1_sel:WORD_0
	v_cmp_o_f32_e64 s[14:15], v9, v9
	v_cndmask_b32_e64 v4, v55, v4, s[2:3]
	v_and_b32_e32 v7, v2, v58
	v_bfe_u32 v2, v2, s65, 2
	v_xor_b32_sdwa v6, v64, v6 dst_sel:DWORD dst_unused:UNUSED_PAD src0_sel:DWORD src1_sel:WORD_0
	v_cmp_o_f32_e64 s[16:17], v10, v10
	v_cndmask_b32_e64 v5, v55, v5, s[14:15]
	v_and_b32_e32 v8, v4, v58
	v_bfe_u32 v4, v4, s65, 2
	v_cmp_eq_u32_e64 s[20:21], v7, v54
	v_cmp_eq_u32_e64 s[2:3], 0, v2
	v_cndmask_b32_e64 v6, v55, v6, s[16:17]
	v_and_b32_e32 v9, v5, v58
	v_bfe_u32 v5, v5, s65, 2
	v_cmp_eq_u32_e64 s[18:19], v8, v54
	v_cmp_eq_u32_e64 s[34:35], 0, v4
	s_and_b64 s[2:3], s[20:21], s[2:3]
	v_and_b32_e32 v10, v6, v58
	v_bfe_u32 v6, v6, s65, 2
	v_cmp_eq_u32_e64 s[16:17], v9, v54
	v_cmp_eq_u32_e64 s[36:37], 0, v5
	;; [unrolled: 1-line block ×5, first 2 shown]
	v_cndmask_b32_e64 v2, 0, 1, s[2:3]
	s_and_b64 s[2:3], s[18:19], s[34:35]
	v_cmp_eq_u32_e64 s[14:15], v10, v54
	v_cmp_eq_u32_e64 s[38:39], 0, v6
	;; [unrolled: 1-line block ×5, first 2 shown]
	v_cndmask_b32_e64 v4, 0, 1, s[2:3]
	s_and_b64 s[2:3], s[16:17], s[36:37]
	v_cmp_eq_u32_e64 s[44:45], 1, v5
	v_cmp_eq_u32_e64 s[52:53], 2, v5
	;; [unrolled: 1-line block ×3, first 2 shown]
	v_cndmask_b32_e64 v5, 0, 1, s[2:3]
	s_and_b64 s[2:3], s[14:15], s[38:39]
	v_cmp_eq_u32_e64 s[46:47], 1, v6
	v_cmp_eq_u32_e64 s[54:55], 2, v6
	;; [unrolled: 1-line block ×3, first 2 shown]
	v_cndmask_b32_e64 v6, 0, 1, s[2:3]
	v_cmp_ne_u32_e64 s[2:3], 0, v2
	v_cmp_ne_u32_e64 s[34:35], 0, v4
	v_cmp_ne_u32_e64 s[36:37], 0, v5
	v_cmp_ne_u32_e64 s[38:39], 0, v6
	s_bcnt1_i32_b64 s1, s[2:3]
	s_bcnt1_i32_b64 s2, s[34:35]
	s_bcnt1_i32_b64 s3, s[36:37]
	s_bcnt1_i32_b64 s34, s[38:39]
	s_add_u32 s1, s1, s74
	s_addc_u32 s35, 0, s75
	s_add_u32 s1, s1, s2
	s_addc_u32 s2, s35, 0
	s_add_u32 s1, s1, s3
	s_addc_u32 s2, s2, 0
	s_add_u32 s74, s1, s34
	s_addc_u32 s75, s2, 0
	s_and_b64 s[2:3], s[20:21], s[40:41]
	v_cndmask_b32_e64 v2, 0, 1, s[2:3]
	s_and_b64 s[2:3], s[18:19], s[42:43]
	v_cndmask_b32_e64 v6, 0, 1, s[2:3]
	s_and_b64 s[2:3], s[16:17], s[44:45]
	v_cndmask_b32_e64 v7, 0, 1, s[2:3]
	s_and_b64 s[2:3], s[14:15], s[46:47]
	v_cndmask_b32_e64 v8, 0, 1, s[2:3]
	v_cmp_ne_u32_e64 s[2:3], 0, v2
	v_cmp_ne_u32_e64 s[34:35], 0, v6
	v_cmp_ne_u32_e64 s[36:37], 0, v7
	v_cmp_ne_u32_e64 s[38:39], 0, v8
	s_bcnt1_i32_b64 s1, s[2:3]
	s_bcnt1_i32_b64 s2, s[34:35]
	s_bcnt1_i32_b64 s3, s[36:37]
	s_bcnt1_i32_b64 s34, s[38:39]
	s_add_u32 s1, s1, s82
	s_addc_u32 s35, 0, s83
	s_add_u32 s1, s1, s2
	s_addc_u32 s2, s35, 0
	s_add_u32 s1, s1, s3
	s_addc_u32 s2, s2, 0
	s_add_u32 s82, s1, s34
	s_addc_u32 s83, s2, 0
	s_and_b64 s[2:3], s[20:21], s[48:49]
	v_cndmask_b32_e64 v2, 0, 1, s[2:3]
	s_and_b64 s[2:3], s[18:19], s[50:51]
	v_cndmask_b32_e64 v8, 0, 1, s[2:3]
	s_and_b64 s[2:3], s[16:17], s[52:53]
	v_cndmask_b32_e64 v9, 0, 1, s[2:3]
	s_and_b64 s[2:3], s[14:15], s[54:55]
	;; [unrolled: 24-line block ×3, first 2 shown]
	v_cndmask_b32_e64 v62, 0, 1, s[2:3]
	v_cmp_ne_u32_e64 s[2:3], 0, v2
	v_cmp_ne_u32_e64 s[14:15], 0, v10
	;; [unrolled: 1-line block ×4, first 2 shown]
	s_bcnt1_i32_b64 s1, s[2:3]
	s_bcnt1_i32_b64 s2, s[14:15]
	;; [unrolled: 1-line block ×4, first 2 shown]
	s_add_u32 s1, s1, s94
	s_addc_u32 s15, 0, s95
	s_add_u32 s1, s1, s2
	s_addc_u32 s2, s15, 0
	;; [unrolled: 2-line block ×4, first 2 shown]
	v_mov_b64_e32 v[4:5], s[74:75]
	v_mov_b64_e32 v[6:7], s[82:83]
	;; [unrolled: 1-line block ×3, first 2 shown]
	s_or_b64 s[88:89], vcc, s[88:89]
	v_mov_b64_e32 v[10:11], s[94:95]
	s_andn2_b64 exec, exec, s[88:89]
	s_cbranch_execnz .LBB71_70
; %bb.71:                               ;   in Loop: Header=BB71_32 Depth=1
	s_or_b64 exec, exec, s[88:89]
	s_mov_b64 s[94:95], s[70:71]
	v_readlane_b32 s70, v72, 39
	v_readlane_b32 s82, v72, 41
	;; [unrolled: 1-line block ×5, first 2 shown]
	s_mov_b32 s93, s96
	v_readlane_b32 s75, v72, 44
	v_readlane_b32 s55, v72, 45
	;; [unrolled: 1-line block ×6, first 2 shown]
	s_movk_i32 s92, 0x3f80
.LBB71_72:                              ;   in Loop: Header=BB71_32 Depth=1
	s_or_b64 exec, exec, s[6:7]
	v_lshl_add_u64 v[38:39], s[90:91], 0, v[0:1]
	v_cmp_gt_i64_e32 vcc, s[56:57], v[38:39]
	s_and_saveexec_b64 s[6:7], vcc
	v_readlane_b32 s88, v72, 50
	v_readlane_b32 s89, v72, 51
	;; [unrolled: 1-line block ×3, first 2 shown]
	s_mov_b32 s91, 0x5040100
	s_cbranch_execz .LBB71_78
; %bb.73:                               ;   in Loop: Header=BB71_32 Depth=1
	v_mul_lo_u32 v2, v39, s62
	v_mul_lo_u32 v42, v38, s63
	v_mad_u64_u32 v[40:41], s[2:3], v38, s62, 0
	v_add3_u32 v41, v41, v42, v2
	v_lshl_add_u64 v[40:41], v[40:41], 1, s[86:87]
	global_load_ushort v2, v[40:41], off
	v_lshl_add_u64 v[40:41], v[34:35], 0, s[72:73]
	v_mov_b32_e32 v42, s9
	v_subrev_co_u32_e32 v43, vcc, s8, v40
	v_readlane_b32 s2, v72, 32
	s_nop 0
	v_subb_co_u32_e32 v40, vcc, v41, v42, vcc
	v_readlane_b32 s8, v72, 34
	v_readlane_b32 s3, v72, 33
	;; [unrolled: 1-line block ×3, first 2 shown]
	v_mul_lo_u32 v42, s8, v40
	v_mov_b64_e32 v[40:41], s[2:3]
	v_mad_u64_u32 v[40:41], s[2:3], s8, v43, v[40:41]
	v_mul_lo_u32 v44, s9, v43
	s_mul_i32 s1, s9, s72
	s_mul_hi_u32 s2, s8, s72
	v_add3_u32 v41, v44, v41, v42
	s_add_i32 s9, s2, s1
	s_mul_i32 s8, s8, s72
	s_mov_b64 s[14:15], 0
	s_branch .LBB71_75
.LBB71_74:                              ;   in Loop: Header=BB71_75 Depth=2
	s_or_b64 exec, exec, s[16:17]
	s_and_b64 s[2:3], exec, vcc
	s_waitcnt vmcnt(0)
	v_cmp_lt_i16_e32 vcc, -1, v2
	v_lshlrev_b32_e32 v44, 16, v2
	s_or_b64 s[14:15], s[2:3], s[14:15]
	v_cndmask_b32_e32 v43, v55, v56, vcc
	v_xor_b32_sdwa v2, v43, v2 dst_sel:DWORD dst_unused:UNUSED_PAD src0_sel:DWORD src1_sel:WORD_0
	v_cmp_o_f32_e32 vcc, v44, v44
	v_lshl_add_u64 v[40:41], v[40:41], 0, s[8:9]
	s_nop 0
	v_cndmask_b32_e32 v2, v55, v2, vcc
	v_and_b32_e32 v43, v2, v58
	v_bfe_u32 v2, v2, s65, 2
	v_cmp_eq_u32_e32 vcc, v43, v54
	v_cmp_eq_u32_e64 s[2:3], 0, v2
	s_and_b64 s[2:3], vcc, s[2:3]
	s_nop 0
	v_cndmask_b32_e64 v43, 0, 1, s[2:3]
	v_cmp_ne_u32_e64 s[2:3], 0, v43
	s_bcnt1_i32_b64 s80, s[2:3]
	v_cmp_eq_u32_e64 s[2:3], 1, v2
	s_and_b64 s[2:3], vcc, s[2:3]
	v_lshl_add_u64 v[4:5], s[80:81], 0, v[4:5]
	v_cndmask_b32_e64 v43, 0, 1, s[2:3]
	v_cmp_ne_u32_e64 s[2:3], 0, v43
	s_bcnt1_i32_b64 s80, s[2:3]
	v_cmp_eq_u32_e64 s[2:3], 2, v2
	s_and_b64 s[2:3], vcc, s[2:3]
	v_lshl_add_u64 v[6:7], s[80:81], 0, v[6:7]
	;; [unrolled: 6-line block ×3, first 2 shown]
	v_cndmask_b32_e64 v2, 0, 1, s[2:3]
	v_cmp_ne_u32_e32 vcc, 0, v2
	s_bcnt1_i32_b64 s80, vcc
	v_lshl_add_u64 v[10:11], s[80:81], 0, v[10:11]
	v_mov_b32_e32 v2, v42
	s_andn2_b64 exec, exec, s[14:15]
	s_cbranch_execz .LBB71_77
.LBB71_75:                              ;   Parent Loop BB71_32 Depth=1
                                        ; =>  This Inner Loop Header: Depth=2
	v_lshl_add_u64 v[38:39], v[38:39], 0, s[72:73]
	v_cmp_gt_i64_e64 s[2:3], s[56:57], v[38:39]
	v_cmp_le_i64_e32 vcc, s[56:57], v[38:39]
	v_mov_b32_e32 v42, 0
	s_and_saveexec_b64 s[16:17], s[2:3]
	s_cbranch_execz .LBB71_74
; %bb.76:                               ;   in Loop: Header=BB71_75 Depth=2
	global_load_ushort v42, v[40:41], off
	s_branch .LBB71_74
.LBB71_77:                              ;   in Loop: Header=BB71_32 Depth=1
	s_or_b64 exec, exec, s[14:15]
.LBB71_78:                              ;   in Loop: Header=BB71_32 Depth=1
	s_or_b64 exec, exec, s[6:7]
	s_mov_b64 s[2:3], 0
.LBB71_79:                              ;   in Loop: Header=BB71_32 Depth=1
	s_and_b64 vcc, exec, s[2:3]
	s_cbranch_vccz .LBB71_89
; %bb.80:                               ;   in Loop: Header=BB71_32 Depth=1
	global_load_ushort v2, v3, s[74:75]
	v_mov_b64_e32 v[8:9], 0
	s_waitcnt vmcnt(0)
	v_readfirstlane_b32 s1, v2
	s_and_b32 s92, 0xffff, s1
	s_lshl_b32 s80, s92, 2
	v_cvt_f32_u32_e32 v4, s80
	s_sub_i32 s1, 0, s80
	v_rcp_iflag_f32_e32 v6, v4
	v_mov_b64_e32 v[4:5], 0
	v_mul_f32_e32 v6, 0x4f7ffffe, v6
	v_cvt_u32_f32_e32 v10, v6
	v_mov_b64_e32 v[6:7], 0
	v_readfirstlane_b32 s2, v10
	s_mul_i32 s1, s1, s2
	s_mul_hi_u32 s1, s2, s1
	s_add_i32 s2, s2, s1
	s_mul_hi_u32 s1, s0, s2
	s_mul_i32 s2, s1, s80
	s_sub_i32 s2, s0, s2
	s_add_i32 s3, s1, 1
	s_sub_i32 s6, s2, s80
	s_cmp_ge_u32 s2, s80
	s_cselect_b32 s1, s3, s1
	s_cselect_b32 s2, s6, s2
	s_add_i32 s3, s1, 1
	s_cmp_ge_u32 s2, s80
	s_cselect_b32 s1, s3, s1
	s_mul_hi_u32 s9, s92, s1
	s_mul_i32 s8, s92, s1
	s_lshl_b64 s[6:7], s[8:9], 2
	v_cmp_gt_u64_e32 vcc, s[6:7], v[16:17]
	v_mov_b64_e32 v[10:11], 0
	s_and_saveexec_b64 s[68:69], vcc
	s_cbranch_execz .LBB71_84
; %bb.81:                               ;   in Loop: Header=BB71_32 Depth=1
	s_lshl_b32 s1, s92, 3
	s_mov_b64 s[72:73], 0
	v_mov_b32_e32 v40, v20
	s_mov_b64 s[74:75], 0
	s_mov_b64 s[82:83], 0
	s_mov_b64 s[88:89], 0
	s_mov_b64 s[90:91], 0
	v_mov_b64_e32 v[38:39], v[16:17]
.LBB71_82:                              ;   Parent Loop BB71_32 Depth=1
                                        ; =>  This Inner Loop Header: Depth=2
	ds_read_b64 v[4:5], v40
	v_lshl_add_u64 v[38:39], v[38:39], 0, s[80:81]
	v_cmp_le_u64_e32 vcc, s[6:7], v[38:39]
	v_add_u32_e32 v40, s1, v40
	s_waitcnt lgkmcnt(0)
	v_cmp_lt_i16_e64 s[2:3], -1, v4
	v_lshlrev_b32_e32 v6, 16, v4
	s_nop 0
	v_cndmask_b32_e64 v10, v55, v56, s[2:3]
	v_cmp_gt_i16_sdwa s[2:3], v4, v21 src0_sel:WORD_1 src1_sel:DWORD
	v_and_b32_e32 v7, 0xffff0000, v4
	v_cmp_o_f32_e64 s[18:19], v6, v6
	v_cndmask_b32_e64 v11, v55, v56, s[2:3]
	v_cmp_lt_i16_e64 s[2:3], -1, v5
	v_xor_b32_sdwa v11, v11, v4 dst_sel:DWORD dst_unused:UNUSED_PAD src0_sel:DWORD src1_sel:WORD_1
	v_bitop3_b32 v4, v10, v4, s33 bitop3:0x78
	v_cndmask_b32_e64 v41, v55, v56, s[2:3]
	v_cmp_gt_i16_sdwa s[2:3], v5, v21 src0_sel:WORD_1 src1_sel:DWORD
	v_lshlrev_b32_e32 v8, 16, v5
	v_cndmask_b32_e64 v4, v55, v4, s[18:19]
	v_cndmask_b32_e64 v42, v55, v56, s[2:3]
	v_cmp_o_f32_e64 s[2:3], v7, v7
	v_and_b32_e32 v9, 0xffff0000, v5
	v_bitop3_b32 v7, v41, v5, s33 bitop3:0x78
	v_cmp_o_f32_e64 s[14:15], v8, v8
	v_cndmask_b32_e64 v6, v55, v11, s[2:3]
	v_and_b32_e32 v8, v4, v58
	v_bfe_u32 v4, v4, s65, 2
	v_xor_b32_sdwa v5, v42, v5 dst_sel:DWORD dst_unused:UNUSED_PAD src0_sel:DWORD src1_sel:WORD_1
	v_cmp_o_f32_e64 s[16:17], v9, v9
	v_cndmask_b32_e64 v7, v55, v7, s[14:15]
	v_and_b32_e32 v9, v6, v58
	v_bfe_u32 v6, v6, s65, 2
	v_cmp_eq_u32_e64 s[20:21], v8, v54
	v_cmp_eq_u32_e64 s[2:3], 0, v4
	v_cndmask_b32_e64 v5, v55, v5, s[16:17]
	v_and_b32_e32 v10, v7, v58
	v_bfe_u32 v7, v7, s65, 2
	v_cmp_eq_u32_e64 s[18:19], v9, v54
	v_cmp_eq_u32_e64 s[34:35], 0, v6
	s_and_b64 s[2:3], s[20:21], s[2:3]
	v_and_b32_e32 v11, v5, v58
	v_bfe_u32 v5, v5, s65, 2
	v_cmp_eq_u32_e64 s[16:17], v10, v54
	v_cmp_eq_u32_e64 s[36:37], 0, v7
	;; [unrolled: 1-line block ×5, first 2 shown]
	v_cndmask_b32_e64 v4, 0, 1, s[2:3]
	s_and_b64 s[2:3], s[18:19], s[34:35]
	v_cmp_eq_u32_e64 s[14:15], v11, v54
	v_cmp_eq_u32_e64 s[38:39], 0, v5
	;; [unrolled: 1-line block ×5, first 2 shown]
	v_cndmask_b32_e64 v5, 0, 1, s[2:3]
	s_and_b64 s[2:3], s[16:17], s[36:37]
	v_cmp_eq_u32_e64 s[42:43], 1, v6
	v_cmp_eq_u32_e64 s[50:51], 2, v6
	;; [unrolled: 1-line block ×3, first 2 shown]
	v_cndmask_b32_e64 v6, 0, 1, s[2:3]
	s_and_b64 s[2:3], s[14:15], s[38:39]
	v_cmp_eq_u32_e64 s[44:45], 1, v7
	v_cmp_eq_u32_e64 s[52:53], 2, v7
	;; [unrolled: 1-line block ×3, first 2 shown]
	v_cndmask_b32_e64 v7, 0, 1, s[2:3]
	v_cmp_ne_u32_e64 s[2:3], 0, v4
	v_cmp_ne_u32_e64 s[34:35], 0, v5
	v_cmp_ne_u32_e64 s[36:37], 0, v6
	v_cmp_ne_u32_e64 s[38:39], 0, v7
	s_bcnt1_i32_b64 s2, s[2:3]
	s_bcnt1_i32_b64 s3, s[34:35]
	s_bcnt1_i32_b64 s9, s[36:37]
	s_bcnt1_i32_b64 s34, s[38:39]
	s_add_u32 s2, s2, s90
	s_addc_u32 s35, 0, s91
	s_add_u32 s2, s2, s3
	s_addc_u32 s3, s35, 0
	s_add_u32 s2, s2, s9
	s_addc_u32 s3, s3, 0
	s_add_u32 s90, s2, s34
	s_addc_u32 s91, s3, 0
	s_and_b64 s[2:3], s[20:21], s[40:41]
	v_cndmask_b32_e64 v6, 0, 1, s[2:3]
	s_and_b64 s[2:3], s[18:19], s[42:43]
	v_cndmask_b32_e64 v7, 0, 1, s[2:3]
	s_and_b64 s[2:3], s[16:17], s[44:45]
	v_cndmask_b32_e64 v8, 0, 1, s[2:3]
	s_and_b64 s[2:3], s[14:15], s[46:47]
	v_cndmask_b32_e64 v9, 0, 1, s[2:3]
	v_cmp_ne_u32_e64 s[2:3], 0, v6
	v_cmp_ne_u32_e64 s[34:35], 0, v7
	v_cmp_ne_u32_e64 s[36:37], 0, v8
	v_cmp_ne_u32_e64 s[38:39], 0, v9
	s_bcnt1_i32_b64 s2, s[2:3]
	s_bcnt1_i32_b64 s3, s[34:35]
	s_bcnt1_i32_b64 s9, s[36:37]
	s_bcnt1_i32_b64 s34, s[38:39]
	s_add_u32 s2, s2, s88
	s_addc_u32 s35, 0, s89
	s_add_u32 s2, s2, s3
	s_addc_u32 s3, s35, 0
	s_add_u32 s2, s2, s9
	s_addc_u32 s3, s3, 0
	s_add_u32 s88, s2, s34
	s_addc_u32 s89, s3, 0
	s_and_b64 s[2:3], s[20:21], s[48:49]
	v_cndmask_b32_e64 v8, 0, 1, s[2:3]
	s_and_b64 s[2:3], s[18:19], s[50:51]
	v_cndmask_b32_e64 v9, 0, 1, s[2:3]
	s_and_b64 s[2:3], s[16:17], s[52:53]
	v_cndmask_b32_e64 v10, 0, 1, s[2:3]
	s_and_b64 s[2:3], s[14:15], s[54:55]
	;; [unrolled: 24-line block ×3, first 2 shown]
	v_cndmask_b32_e64 v42, 0, 1, s[2:3]
	v_cmp_ne_u32_e64 s[2:3], 0, v10
	v_cmp_ne_u32_e64 s[14:15], 0, v11
	;; [unrolled: 1-line block ×4, first 2 shown]
	s_bcnt1_i32_b64 s2, s[2:3]
	s_bcnt1_i32_b64 s3, s[14:15]
	;; [unrolled: 1-line block ×4, first 2 shown]
	s_add_u32 s2, s2, s74
	s_addc_u32 s15, 0, s75
	s_add_u32 s2, s2, s3
	s_addc_u32 s3, s15, 0
	s_add_u32 s2, s2, s9
	s_addc_u32 s3, s3, 0
	s_add_u32 s74, s2, s14
	s_addc_u32 s75, s3, 0
	v_mov_b64_e32 v[4:5], s[90:91]
	v_mov_b64_e32 v[6:7], s[88:89]
	;; [unrolled: 1-line block ×3, first 2 shown]
	s_or_b64 s[72:73], vcc, s[72:73]
	v_mov_b64_e32 v[10:11], s[74:75]
	s_andn2_b64 exec, exec, s[72:73]
	s_cbranch_execnz .LBB71_82
; %bb.83:                               ;   in Loop: Header=BB71_32 Depth=1
	s_or_b64 exec, exec, s[72:73]
	v_readlane_b32 s70, v72, 39
	v_readlane_b32 s82, v72, 41
	v_readlane_b32 s74, v72, 43
	v_readlane_b32 s71, v72, 40
	v_readlane_b32 s83, v72, 42
	v_readlane_b32 s75, v72, 44
	v_readlane_b32 s55, v72, 45
	v_readlane_b32 s54, v72, 46
	v_readlane_b32 s49, v72, 47
	v_readlane_b32 s50, v72, 48
	v_readlane_b32 s51, v72, 49
	v_readlane_b32 s88, v72, 50
	v_readlane_b32 s89, v72, 51
	v_readlane_b32 s90, v72, 52
	s_mov_b32 s91, 0x5040100
.LBB71_84:                              ;   in Loop: Header=BB71_32 Depth=1
	s_or_b64 exec, exec, s[68:69]
	s_bitset0_b32 s0, 31
	s_mov_b32 s1, s81
	v_lshl_add_u64 v[38:39], s[6:7], 0, v[0:1]
	v_and_b32_e32 v2, 0xffff, v2
	v_cmp_gt_u64_e32 vcc, s[0:1], v[38:39]
	s_and_saveexec_b64 s[6:7], vcc
	s_cbranch_execz .LBB71_88
; %bb.85:                               ;   in Loop: Header=BB71_32 Depth=1
	v_lshl_add_u32 v40, s8, 3, v49
	s_lshl_b32 s22, s92, 1
	s_mov_b64 s[8:9], 0
.LBB71_86:                              ;   Parent Loop BB71_32 Depth=1
                                        ; =>  This Inner Loop Header: Depth=2
	ds_read_u16 v41, v40
	v_lshl_add_u64 v[38:39], v[38:39], 0, v[2:3]
	v_cmp_le_u64_e32 vcc, s[0:1], v[38:39]
	v_add_u32_e32 v40, s22, v40
	s_waitcnt lgkmcnt(0)
	v_cmp_lt_i16_e64 s[2:3], -1, v41
	v_lshlrev_b32_e32 v42, 16, v41
	s_nop 0
	v_cndmask_b32_e64 v43, v55, v56, s[2:3]
	v_xor_b32_sdwa v41, v43, v41 dst_sel:DWORD dst_unused:UNUSED_PAD src0_sel:DWORD src1_sel:WORD_0
	v_cmp_o_f32_e64 s[2:3], v42, v42
	s_nop 1
	v_cndmask_b32_e64 v41, v55, v41, s[2:3]
	v_and_b32_e32 v42, v41, v58
	v_bfe_u32 v41, v41, s65, 2
	v_cmp_eq_u32_e64 s[2:3], v42, v54
	v_cmp_eq_u32_e64 s[14:15], 0, v41
	v_cmp_eq_u32_e64 s[16:17], 1, v41
	s_and_b64 s[14:15], s[2:3], s[14:15]
	v_cmp_eq_u32_e64 s[18:19], 2, v41
	v_cmp_eq_u32_e64 s[20:21], 3, v41
	v_cndmask_b32_e64 v41, 0, 1, s[14:15]
	s_and_b64 s[14:15], s[2:3], s[16:17]
	v_cndmask_b32_e64 v42, 0, 1, s[14:15]
	s_and_b64 s[14:15], s[2:3], s[18:19]
	s_and_b64 s[2:3], s[2:3], s[20:21]
	v_cndmask_b32_e64 v44, 0, 1, s[2:3]
	v_cmp_ne_u32_e64 s[2:3], 0, v41
	v_cndmask_b32_e64 v43, 0, 1, s[14:15]
	v_cmp_ne_u32_e64 s[14:15], 0, v42
	s_bcnt1_i32_b64 s80, s[2:3]
	v_cmp_ne_u32_e64 s[16:17], 0, v43
	v_lshl_add_u64 v[4:5], s[80:81], 0, v[4:5]
	s_bcnt1_i32_b64 s80, s[14:15]
	v_cmp_ne_u32_e64 s[18:19], 0, v44
	v_lshl_add_u64 v[6:7], s[80:81], 0, v[6:7]
	s_bcnt1_i32_b64 s80, s[16:17]
	v_lshl_add_u64 v[8:9], s[80:81], 0, v[8:9]
	s_bcnt1_i32_b64 s80, s[18:19]
	s_or_b64 s[8:9], vcc, s[8:9]
	v_lshl_add_u64 v[10:11], s[80:81], 0, v[10:11]
	s_andn2_b64 exec, exec, s[8:9]
	s_cbranch_execnz .LBB71_86
; %bb.87:                               ;   in Loop: Header=BB71_32 Depth=1
	s_or_b64 exec, exec, s[8:9]
.LBB71_88:                              ;   in Loop: Header=BB71_32 Depth=1
	s_or_b64 exec, exec, s[6:7]
	s_movk_i32 s92, 0x3f80
.LBB71_89:                              ;   in Loop: Header=BB71_32 Depth=1
	v_readlane_b32 s0, v72, 38
	s_lshl_b32 s2, s0, 6
	s_and_saveexec_b64 s[0:1], s[4:5]
	s_cbranch_execz .LBB71_91
; %bb.90:                               ;   in Loop: Header=BB71_32 Depth=1
	v_lshl_add_u32 v2, s2, 3, v52
	ds_write_b128 v2, v[4:7]
	ds_write_b128 v2, v[8:11] offset:16
.LBB71_91:                              ;   in Loop: Header=BB71_32 Depth=1
	s_or_b64 exec, exec, s[0:1]
	s_waitcnt lgkmcnt(0)
	s_barrier
	s_and_saveexec_b64 s[0:1], s[82:83]
	s_cbranch_execz .LBB71_106
; %bb.92:                               ;   in Loop: Header=BB71_32 Depth=1
	v_readlane_b32 s6, v72, 18
	v_readlane_b32 s7, v72, 19
	s_andn2_b64 vcc, exec, s[6:7]
	v_mov_b64_e32 v[4:5], 0
	s_cbranch_vccnz .LBB71_105
; %bb.93:                               ;   in Loop: Header=BB71_32 Depth=1
	v_readlane_b32 s6, v72, 27
	v_readlane_b32 s7, v72, 28
	s_andn2_b64 vcc, exec, s[6:7]
	s_cbranch_vccnz .LBB71_101
; %bb.94:                               ;   in Loop: Header=BB71_32 Depth=1
	v_readlane_b32 s3, v72, 38
	v_mov_b64_e32 v[4:5], 0
	s_nop 0
	v_lshl_add_u32 v2, s3, 9, v53
	s_mov_b32 s3, 0
.LBB71_95:                              ;   Parent Loop BB71_32 Depth=1
                                        ; =>  This Inner Loop Header: Depth=2
	ds_read2_b64 v[6:9], v2 offset1:4
	ds_read2_b64 v[38:41], v2 offset0:8 offset1:12
	ds_read2_b64 v[42:45], v2 offset0:16 offset1:20
	;; [unrolled: 1-line block ×3, first 2 shown]
	s_add_i32 s3, s3, 8
	s_waitcnt lgkmcnt(3)
	v_lshl_add_u64 v[4:5], v[6:7], 0, v[4:5]
	v_lshl_add_u64 v[4:5], v[8:9], 0, v[4:5]
	s_waitcnt lgkmcnt(2)
	v_lshl_add_u64 v[4:5], v[38:39], 0, v[4:5]
	v_lshl_add_u64 v[4:5], v[40:41], 0, v[4:5]
	;; [unrolled: 3-line block ×3, first 2 shown]
	s_waitcnt lgkmcnt(0)
	v_lshl_add_u64 v[4:5], v[62:63], 0, v[4:5]
	v_add_u32_e32 v2, 0x100, v2
	s_cmp_eq_u32 s64, s3
	v_lshl_add_u64 v[4:5], v[64:65], 0, v[4:5]
	s_cbranch_scc0 .LBB71_95
; %bb.96:                               ;   in Loop: Header=BB71_32 Depth=1
	s_mov_b32 s3, s64
	s_branch .LBB71_102
.LBB71_97:                              ;   in Loop: Header=BB71_32 Depth=1
                                        ; implicit-def: $sgpr8_sgpr9
	s_branch .LBB71_67
.LBB71_98:                              ;   in Loop: Header=BB71_32 Depth=1
	s_or_b64 exec, exec, s[8:9]
	s_waitcnt lgkmcnt(0)
	s_barrier
	s_mov_b64 s[2:3], exec
	v_readlane_b32 s8, v72, 10
	v_readlane_b32 s9, v72, 11
	s_and_b64 s[8:9], s[2:3], s[8:9]
	s_mov_b64 exec, s[8:9]
	s_cbranch_execz .LBB71_100
; %bb.99:                               ;   in Loop: Header=BB71_32 Depth=1
	ds_read_b32 v4, v3 offset:5136
	s_waitcnt lgkmcnt(0)
	v_ashrrev_i32_e32 v5, 31, v4
	ds_write_b64 v3, v[4:5] offset:5120
.LBB71_100:                             ;   in Loop: Header=BB71_32 Depth=1
	s_or_b64 exec, exec, s[2:3]
	s_waitcnt lgkmcnt(0)
	s_barrier
	s_mov_b64 s[2:3], -1
	s_and_b64 vcc, exec, s[6:7]
	s_cbranch_vccnz .LBB71_47
	s_branch .LBB71_62
.LBB71_101:                             ;   in Loop: Header=BB71_32 Depth=1
	s_mov_b32 s3, 0
	v_mov_b64_e32 v[4:5], 0
.LBB71_102:                             ;   in Loop: Header=BB71_32 Depth=1
	v_readlane_b32 s6, v72, 30
	v_readlane_b32 s7, v72, 31
	s_andn2_b64 vcc, exec, s[6:7]
	s_cbranch_vccnz .LBB71_105
; %bb.103:                              ;   in Loop: Header=BB71_32 Depth=1
	v_readlane_b32 s6, v72, 38
	s_lshl_b32 s6, s6, 9
	s_lshl_b32 s3, s3, 5
	s_add_i32 s6, s6, s3
	v_add_u32_e32 v2, s6, v53
	v_readlane_b32 s3, v72, 29
.LBB71_104:                             ;   Parent Loop BB71_32 Depth=1
                                        ; =>  This Inner Loop Header: Depth=2
	ds_read_b64 v[6:7], v2
	s_add_i32 s3, s3, -1
	v_add_u32_e32 v2, 32, v2
	s_cmp_lg_u32 s3, 0
	s_waitcnt lgkmcnt(0)
	v_lshl_add_u64 v[4:5], v[6:7], 0, v[4:5]
	s_cbranch_scc1 .LBB71_104
.LBB71_105:                             ;   in Loop: Header=BB71_32 Depth=1
	v_add_lshl_u32 v2, s2, v48, 3
	ds_write_b64 v2, v[4:5] offset:3072
.LBB71_106:                             ;   in Loop: Header=BB71_32 Depth=1
	s_or_b64 exec, exec, s[0:1]
	s_lshl_b32 s0, s2, 3
	v_mov_b32_e32 v2, s0
	s_waitcnt lgkmcnt(0)
	s_barrier
	ds_read_b128 v[8:11], v2 offset:3088
	ds_read_b128 v[4:7], v2 offset:3072
	s_lshl_b32 s72, 3, s65
	v_cmp_eq_u64_e64 s[2:3], 1, v[36:37]
	s_not_b32 s52, s72
	s_waitcnt lgkmcnt(1)
	v_readfirstlane_b32 s22, v8
	s_waitcnt lgkmcnt(0)
	v_cmp_eq_u64_e32 vcc, 1, v[4:5]
	v_readfirstlane_b32 s23, v9
	v_readfirstlane_b32 s14, v10
	;; [unrolled: 1-line block ×3, first 2 shown]
	s_and_b64 s[2:3], vcc, s[2:3]
	s_mov_b64 s[0:1], -1
	s_mov_b64 s[18:19], -1
                                        ; implicit-def: $sgpr8_sgpr9
                                        ; implicit-def: $sgpr6_sgpr7
	s_and_saveexec_b64 s[16:17], s[2:3]
	s_cbranch_execz .LBB71_138
; %bb.107:                              ;   in Loop: Header=BB71_32 Depth=1
	ds_read_b64 v[8:9], v3 offset:5120
	s_waitcnt lgkmcnt(0)
	s_barrier
	v_readfirstlane_b32 s18, v8
	v_readfirstlane_b32 s19, v9
	s_mov_b64 s[6:7], exec
	v_readlane_b32 s8, v72, 12
	v_readlane_b32 s9, v72, 13
	s_and_b64 s[8:9], s[6:7], s[8:9]
	s_mov_b64 exec, s[8:9]
; %bb.108:                              ;   in Loop: Header=BB71_32 Depth=1
	ds_write_b16 v50, v3
; %bb.109:                              ;   in Loop: Header=BB71_32 Depth=1
	s_or_b64 exec, exec, s[6:7]
	v_cmp_lt_i64_e64 s[20:21], s[18:19], 1
	v_and_b32_e32 v54, s52, v54
	v_or_b32_e32 v58, s72, v58
	s_mov_b64 s[6:7], -1
	s_mov_b64 s[8:9], 0
	s_and_b64 vcc, exec, s[20:21]
	s_mov_b64 s[20:21], 0
	s_mov_b64 s[24:25], -1
	s_waitcnt lgkmcnt(0)
	s_barrier
                                        ; implicit-def: $vgpr59
	s_cbranch_vccz .LBB71_123
; %bb.110:                              ;   in Loop: Header=BB71_32 Depth=1
	s_mov_b32 s96, s81
	s_cmp_lg_u64 s[96:97], 0
	s_cbranch_scc0 .LBB71_164
; %bb.111:                              ;   in Loop: Header=BB71_32 Depth=1
	s_add_u32 s20, s78, 0
	s_addc_u32 s21, 0, 0
	s_xor_b64 s[20:21], s[20:21], 0
	v_cvt_f32_u32_e32 v2, s20
	v_cvt_f32_u32_e32 v8, s21
	s_sub_u32 s26, 0, s20
	s_subb_u32 s27, 0, s21
	v_fmac_f32_e32 v2, 0x4f800000, v8
	v_rcp_f32_e32 v2, v2
	s_nop 0
	v_mul_f32_e32 v2, 0x5f7ffffc, v2
	v_mul_f32_e32 v8, 0x2f800000, v2
	v_trunc_f32_e32 v8, v8
	v_fmac_f32_e32 v2, 0xcf800000, v8
	v_cvt_u32_f32_e32 v8, v8
	v_cvt_u32_f32_e32 v2, v2
	v_readfirstlane_b32 s28, v8
	v_readfirstlane_b32 s24, v2
	s_mul_i32 s25, s26, s28
	s_mul_hi_u32 s34, s26, s24
	s_mul_i32 s29, s27, s24
	s_add_i32 s25, s34, s25
	s_mul_i32 s35, s26, s24
	s_add_i32 s25, s25, s29
	s_mul_i32 s34, s24, s25
	s_mul_hi_u32 s36, s24, s35
	s_mul_hi_u32 s29, s24, s25
	s_add_u32 s34, s36, s34
	s_addc_u32 s29, 0, s29
	s_mul_hi_u32 s37, s28, s35
	s_mul_i32 s35, s28, s35
	s_add_u32 s34, s34, s35
	s_mul_hi_u32 s36, s28, s25
	s_addc_u32 s29, s29, s37
	s_addc_u32 s34, s36, 0
	s_mul_i32 s25, s28, s25
	s_add_u32 s25, s29, s25
	s_addc_u32 s29, 0, s34
	s_add_u32 s34, s24, s25
	s_cselect_b64 s[24:25], -1, 0
	s_cmp_lg_u64 s[24:25], 0
	s_addc_u32 s28, s28, s29
	s_mul_i32 s24, s26, s28
	s_mul_hi_u32 s25, s26, s34
	s_add_i32 s24, s25, s24
	s_mul_i32 s27, s27, s34
	s_add_i32 s24, s24, s27
	s_mul_i32 s26, s26, s34
	s_mul_hi_u32 s27, s28, s26
	s_mul_i32 s29, s28, s26
	s_mul_i32 s36, s34, s24
	s_mul_hi_u32 s26, s34, s26
	s_mul_hi_u32 s35, s34, s24
	s_add_u32 s26, s26, s36
	s_addc_u32 s35, 0, s35
	s_add_u32 s26, s26, s29
	s_mul_hi_u32 s25, s28, s24
	s_addc_u32 s26, s35, s27
	s_addc_u32 s25, s25, 0
	s_mul_i32 s24, s28, s24
	s_add_u32 s24, s26, s24
	s_addc_u32 s26, 0, s25
	s_add_u32 s29, s34, s24
	s_cselect_b64 s[24:25], -1, 0
	s_cmp_lg_u64 s[24:25], 0
	s_addc_u32 s28, s28, s26
	s_ashr_i32 s24, s97, 31
	s_add_u32 s26, s93, s24
	s_mov_b32 s25, s24
	s_addc_u32 s27, s97, s24
	s_xor_b64 s[26:27], s[26:27], s[24:25]
	s_mul_i32 s35, s26, s28
	s_mul_hi_u32 s36, s26, s29
	s_mul_hi_u32 s34, s26, s28
	s_add_u32 s35, s36, s35
	s_addc_u32 s34, 0, s34
	s_mul_hi_u32 s37, s27, s29
	s_mul_i32 s29, s27, s29
	s_add_u32 s29, s35, s29
	s_mul_hi_u32 s36, s27, s28
	s_addc_u32 s29, s34, s37
	s_addc_u32 s34, s36, 0
	s_mul_i32 s28, s27, s28
	s_add_u32 s28, s29, s28
	s_addc_u32 s29, 0, s34
	s_mul_i32 s29, s20, s29
	s_mul_hi_u32 s34, s20, s28
	s_add_i32 s29, s34, s29
	s_mul_i32 s34, s21, s28
	s_add_i32 s36, s29, s34
	s_sub_i32 s34, s27, s36
	s_mul_i32 s28, s20, s28
	s_sub_u32 s26, s26, s28
	s_cselect_b64 s[28:29], -1, 0
	s_cmp_lg_u64 s[28:29], 0
	s_subb_u32 s37, s34, s21
	s_sub_u32 s38, s26, s20
	s_cselect_b64 s[34:35], -1, 0
	s_cmp_lg_u64 s[34:35], 0
	s_subb_u32 s39, s37, 0
	s_cmp_ge_u32 s39, s21
	s_cselect_b32 s40, -1, 0
	s_cmp_ge_u32 s38, s20
	s_cselect_b32 s41, -1, 0
	s_cmp_eq_u32 s39, s21
	s_cselect_b32 s40, s41, s40
	s_cmp_lg_u64 s[34:35], 0
	s_subb_u32 s37, s37, s21
	s_sub_u32 s41, s38, s20
	s_cselect_b64 s[34:35], -1, 0
	s_cmp_lg_u64 s[34:35], 0
	s_subb_u32 s34, s37, 0
	s_cmp_lg_u32 s40, 0
	s_cselect_b32 s35, s41, s38
	s_cselect_b32 s34, s34, s39
	s_cmp_lg_u64 s[28:29], 0
	s_subb_u32 s27, s27, s36
	s_cmp_ge_u32 s27, s21
	s_cselect_b32 s28, -1, 0
	s_cmp_ge_u32 s26, s20
	s_cselect_b32 s20, -1, 0
	s_cmp_eq_u32 s27, s21
	s_cselect_b32 s20, s20, s28
	s_cmp_lg_u32 s20, 0
	s_cselect_b32 s21, s34, s27
	s_cselect_b32 s20, s35, s26
	s_xor_b64 s[20:21], s[20:21], s[24:25]
	s_sub_u32 s20, s20, s24
	s_subb_u32 s21, s21, s24
	s_cbranch_execnz .LBB71_113
.LBB71_112:                             ;   in Loop: Header=BB71_32 Depth=1
	v_cvt_f32_u32_e32 v2, s78
	s_sub_i32 s20, 0, s78
	v_rcp_iflag_f32_e32 v2, v2
	s_nop 0
	v_mul_f32_e32 v2, 0x4f7ffffe, v2
	v_cvt_u32_f32_e32 v2, v2
	s_nop 0
	v_readfirstlane_b32 s21, v2
	s_mul_i32 s20, s20, s21
	s_mul_hi_u32 s20, s21, s20
	s_add_i32 s21, s21, s20
	s_mul_hi_u32 s20, s93, s21
	s_mul_i32 s20, s20, s78
	s_sub_i32 s20, s93, s20
	s_sub_i32 s21, s20, s78
	s_cmp_ge_u32 s20, s78
	s_cselect_b32 s20, s21, s20
	s_sub_i32 s21, s20, s78
	s_cmp_ge_u32 s20, s78
	s_cselect_b32 s80, s21, s20
	s_mov_b64 s[20:21], s[80:81]
.LBB71_113:                             ;   in Loop: Header=BB71_32 Depth=1
	s_sub_u32 s28, s93, s20
	s_subb_u32 s29, s97, s21
	v_cmp_gt_i64_e32 vcc, s[28:29], v[0:1]
	s_mov_b64 s[24:25], 0
	s_mov_b64 s[20:21], 0
                                        ; implicit-def: $vgpr59
	s_and_saveexec_b64 s[26:27], vcc
	s_cbranch_execz .LBB71_122
; %bb.114:                              ;   in Loop: Header=BB71_32 Depth=1
	v_mov_b64_e32 v[8:9], v[12:13]
	v_mov_b64_e32 v[10:11], v[0:1]
                                        ; implicit-def: $sgpr34_sgpr35
	s_branch .LBB71_117
.LBB71_115:                             ;   in Loop: Header=BB71_117 Depth=2
	s_or_b64 exec, exec, s[36:37]
	s_waitcnt lgkmcnt(0)
	s_barrier
	ds_read_b32 v2, v3 offset:3072
	s_mov_b64 s[36:37], -1
	s_mov_b64 s[38:39], -1
	s_waitcnt lgkmcnt(0)
	s_barrier
	v_and_b32_e32 v38, 0x7fff, v2
	v_cmp_ne_u32_e32 vcc, 0, v38
	s_cbranch_vccz .LBB71_120
.LBB71_116:                             ;   in Loop: Header=BB71_117 Depth=2
	s_and_b64 s[36:37], exec, s[36:37]
	s_or_b64 s[20:21], s[36:37], s[20:21]
	s_andn2_b64 s[34:35], s[34:35], exec
	s_and_b64 s[36:37], s[38:39], exec
	s_or_b64 s[34:35], s[34:35], s[36:37]
	s_andn2_b64 exec, exec, s[20:21]
	s_cbranch_execz .LBB71_121
.LBB71_117:                             ;   Parent Loop BB71_32 Depth=1
                                        ; =>  This Inner Loop Header: Depth=2
	v_cmp_gt_i64_e32 vcc, s[56:57], v[10:11]
	s_and_saveexec_b64 s[36:37], vcc
	s_cbranch_execz .LBB71_115
; %bb.118:                              ;   in Loop: Header=BB71_117 Depth=2
	global_load_ushort v2, v[8:9], off
	s_waitcnt vmcnt(0)
	v_cmp_lt_i16_e32 vcc, -1, v2
	v_lshlrev_b32_e32 v38, 16, v2
	s_nop 0
	v_cndmask_b32_e32 v39, v55, v56, vcc
	v_xor_b32_sdwa v39, v39, v2 dst_sel:DWORD dst_unused:UNUSED_PAD src0_sel:DWORD src1_sel:WORD_0
	v_cmp_o_f32_e32 vcc, v38, v38
	s_nop 1
	v_cndmask_b32_e32 v38, v55, v39, vcc
	v_and_b32_e32 v38, v38, v58
	v_cmp_eq_u32_e32 vcc, v38, v54
	s_and_b64 exec, exec, vcc
	s_cbranch_execz .LBB71_115
; %bb.119:                              ;   in Loop: Header=BB71_117 Depth=2
	v_perm_b32 v2, v2, s92, v57
	ds_write_b32 v3, v2 offset:3072
	s_branch .LBB71_115
.LBB71_120:                             ;   in Loop: Header=BB71_117 Depth=2
	v_lshl_add_u64 v[10:11], v[10:11], 0, s[78:79]
	v_cmp_le_i64_e32 vcc, s[28:29], v[10:11]
	v_lshl_add_u64 v[8:9], v[8:9], 0, s[94:95]
	s_mov_b64 s[38:39], 0
	s_orn2_b64 s[36:37], vcc, exec
	s_branch .LBB71_116
.LBB71_121:                             ;   in Loop: Header=BB71_32 Depth=1
	s_or_b64 exec, exec, s[20:21]
	v_lshrrev_b32_e32 v59, 16, v2
	s_and_b64 s[20:21], s[34:35], exec
.LBB71_122:                             ;   in Loop: Header=BB71_32 Depth=1
	s_or_b64 exec, exec, s[26:27]
.LBB71_123:                             ;   in Loop: Header=BB71_32 Depth=1
	s_and_b64 vcc, exec, s[24:25]
	s_cbranch_vccz .LBB71_137
; %bb.124:                              ;   in Loop: Header=BB71_32 Depth=1
	v_readlane_b32 s6, v72, 20
	s_add_u32 s26, s18, s6
	v_readlane_b32 s6, v72, 21
	s_addc_u32 s7, s19, s6
	s_mov_b32 s6, s81
	s_cmp_lg_u64 s[6:7], 0
	s_cbranch_scc0 .LBB71_165
; %bb.125:                              ;   in Loop: Header=BB71_32 Depth=1
	s_add_u32 s8, s78, 0
	s_addc_u32 s9, 0, 0
	s_xor_b64 s[8:9], s[8:9], 0
	v_cvt_f32_u32_e32 v2, s8
	v_cvt_f32_u32_e32 v8, s9
	s_sub_u32 s6, 0, s8
	s_subb_u32 s27, 0, s9
	v_fmac_f32_e32 v2, 0x4f800000, v8
	v_rcp_f32_e32 v2, v2
	s_nop 0
	v_mul_f32_e32 v2, 0x5f7ffffc, v2
	v_mul_f32_e32 v8, 0x2f800000, v2
	v_trunc_f32_e32 v8, v8
	v_fmac_f32_e32 v2, 0xcf800000, v8
	v_cvt_u32_f32_e32 v8, v8
	v_cvt_u32_f32_e32 v2, v2
	v_readfirstlane_b32 s28, v8
	v_readfirstlane_b32 s24, v2
	s_mul_i32 s25, s6, s28
	s_mul_hi_u32 s34, s6, s24
	s_mul_i32 s29, s27, s24
	s_add_i32 s25, s34, s25
	s_mul_i32 s35, s6, s24
	s_add_i32 s25, s25, s29
	s_mul_i32 s34, s24, s25
	s_mul_hi_u32 s36, s24, s35
	s_mul_hi_u32 s29, s24, s25
	s_add_u32 s34, s36, s34
	s_addc_u32 s29, 0, s29
	s_mul_hi_u32 s37, s28, s35
	s_mul_i32 s35, s28, s35
	s_add_u32 s34, s34, s35
	s_mul_hi_u32 s36, s28, s25
	s_addc_u32 s29, s29, s37
	s_addc_u32 s34, s36, 0
	s_mul_i32 s25, s28, s25
	s_add_u32 s25, s29, s25
	s_addc_u32 s29, 0, s34
	s_add_u32 s34, s24, s25
	s_cselect_b64 s[24:25], -1, 0
	s_cmp_lg_u64 s[24:25], 0
	s_addc_u32 s28, s28, s29
	s_mul_i32 s24, s6, s28
	s_mul_hi_u32 s25, s6, s34
	s_add_i32 s24, s25, s24
	s_mul_i32 s27, s27, s34
	s_add_i32 s24, s24, s27
	s_mul_i32 s6, s6, s34
	s_mul_hi_u32 s27, s28, s6
	s_mul_i32 s29, s28, s6
	s_mul_i32 s36, s34, s24
	s_mul_hi_u32 s6, s34, s6
	s_mul_hi_u32 s35, s34, s24
	s_add_u32 s6, s6, s36
	s_addc_u32 s35, 0, s35
	s_add_u32 s6, s6, s29
	s_mul_hi_u32 s25, s28, s24
	s_addc_u32 s6, s35, s27
	s_addc_u32 s25, s25, 0
	s_mul_i32 s24, s28, s24
	s_add_u32 s6, s6, s24
	s_addc_u32 s27, 0, s25
	s_add_u32 s6, s34, s6
	s_cselect_b64 s[24:25], -1, 0
	s_cmp_lg_u64 s[24:25], 0
	s_addc_u32 s27, s28, s27
	s_ashr_i32 s24, s7, 31
	s_add_u32 s28, s26, s24
	s_mov_b32 s25, s24
	s_addc_u32 s29, s7, s24
	s_xor_b64 s[28:29], s[28:29], s[24:25]
	s_mul_i32 s35, s28, s27
	s_mul_hi_u32 s36, s28, s6
	s_mul_hi_u32 s34, s28, s27
	s_add_u32 s35, s36, s35
	s_addc_u32 s34, 0, s34
	s_mul_hi_u32 s37, s29, s6
	s_mul_i32 s6, s29, s6
	s_add_u32 s6, s35, s6
	s_mul_hi_u32 s36, s29, s27
	s_addc_u32 s6, s34, s37
	s_addc_u32 s34, s36, 0
	s_mul_i32 s27, s29, s27
	s_add_u32 s6, s6, s27
	s_addc_u32 s27, 0, s34
	s_mul_i32 s27, s8, s27
	s_mul_hi_u32 s34, s8, s6
	s_add_i32 s27, s34, s27
	s_mul_i32 s34, s9, s6
	s_add_i32 s27, s27, s34
	s_sub_i32 s36, s29, s27
	s_mul_i32 s6, s8, s6
	s_sub_u32 s6, s28, s6
	s_cselect_b64 s[34:35], -1, 0
	s_cmp_lg_u64 s[34:35], 0
	s_subb_u32 s28, s36, s9
	s_sub_u32 s38, s6, s8
	s_cselect_b64 s[36:37], -1, 0
	s_cmp_lg_u64 s[36:37], 0
	s_subb_u32 s39, s28, 0
	s_cmp_ge_u32 s39, s9
	s_cselect_b32 s40, -1, 0
	s_cmp_ge_u32 s38, s8
	s_cselect_b32 s41, -1, 0
	s_cmp_eq_u32 s39, s9
	s_cselect_b32 s40, s41, s40
	s_cmp_lg_u64 s[36:37], 0
	s_subb_u32 s28, s28, s9
	s_sub_u32 s41, s38, s8
	s_cselect_b64 s[36:37], -1, 0
	s_cmp_lg_u64 s[36:37], 0
	s_subb_u32 s28, s28, 0
	s_cmp_lg_u32 s40, 0
	s_cselect_b32 s36, s41, s38
	s_cselect_b32 s28, s28, s39
	s_cmp_lg_u64 s[34:35], 0
	s_subb_u32 s27, s29, s27
	s_cmp_ge_u32 s27, s9
	s_cselect_b32 s29, -1, 0
	s_cmp_ge_u32 s6, s8
	s_cselect_b32 s8, -1, 0
	s_cmp_eq_u32 s27, s9
	s_cselect_b32 s8, s8, s29
	s_cmp_lg_u32 s8, 0
	s_cselect_b32 s9, s28, s27
	s_cselect_b32 s8, s36, s6
	s_xor_b64 s[8:9], s[8:9], s[24:25]
	s_sub_u32 s8, s8, s24
	s_subb_u32 s9, s9, s24
	s_cbranch_execnz .LBB71_127
.LBB71_126:                             ;   in Loop: Header=BB71_32 Depth=1
	v_cvt_f32_u32_e32 v2, s78
	s_sub_i32 s6, 0, s78
	v_rcp_iflag_f32_e32 v2, v2
	s_nop 0
	v_mul_f32_e32 v2, 0x4f7ffffe, v2
	v_cvt_u32_f32_e32 v2, v2
	s_nop 0
	v_readfirstlane_b32 s8, v2
	s_mul_i32 s6, s6, s8
	s_mul_hi_u32 s6, s8, s6
	s_add_i32 s8, s8, s6
	s_mul_hi_u32 s6, s26, s8
	s_mul_i32 s6, s6, s78
	s_sub_i32 s6, s26, s6
	s_sub_i32 s8, s6, s78
	s_cmp_ge_u32 s6, s78
	s_cselect_b32 s6, s8, s6
	s_sub_i32 s8, s6, s78
	s_cmp_ge_u32 s6, s78
	s_cselect_b32 s80, s8, s6
	s_mov_b64 s[8:9], s[80:81]
.LBB71_127:                             ;   in Loop: Header=BB71_32 Depth=1
	s_sub_u32 s8, s26, s8
	s_subb_u32 s9, s7, s9
	v_cmp_gt_i64_e32 vcc, s[8:9], v[0:1]
                                        ; implicit-def: $vgpr59
	s_and_saveexec_b64 s[6:7], vcc
	s_cbranch_execz .LBB71_136
; %bb.128:                              ;   in Loop: Header=BB71_32 Depth=1
	s_mov_b64 s[24:25], 0
	v_mov_b32_e32 v2, v49
	v_mov_b64_e32 v[8:9], v[0:1]
                                        ; implicit-def: $sgpr26_sgpr27
	s_branch .LBB71_131
.LBB71_129:                             ;   in Loop: Header=BB71_131 Depth=2
	s_or_b64 exec, exec, s[28:29]
	s_waitcnt lgkmcnt(0)
	s_barrier
	ds_read_b32 v10, v3 offset:3072
	s_mov_b64 s[28:29], -1
	s_mov_b64 s[34:35], -1
	s_waitcnt lgkmcnt(0)
	s_barrier
	v_and_b32_e32 v11, 0x7fff, v10
	v_cmp_ne_u32_e32 vcc, 0, v11
	s_cbranch_vccz .LBB71_134
.LBB71_130:                             ;   in Loop: Header=BB71_131 Depth=2
	s_and_b64 s[28:29], exec, s[28:29]
	s_or_b64 s[24:25], s[28:29], s[24:25]
	s_andn2_b64 s[26:27], s[26:27], exec
	s_and_b64 s[28:29], s[34:35], exec
	s_or_b64 s[26:27], s[26:27], s[28:29]
	s_andn2_b64 exec, exec, s[24:25]
	s_cbranch_execz .LBB71_135
.LBB71_131:                             ;   Parent Loop BB71_32 Depth=1
                                        ; =>  This Inner Loop Header: Depth=2
	v_cmp_gt_u64_e32 vcc, s[18:19], v[8:9]
	s_and_saveexec_b64 s[28:29], vcc
	s_cbranch_execz .LBB71_129
; %bb.132:                              ;   in Loop: Header=BB71_131 Depth=2
	ds_read_u16 v10, v2
	s_waitcnt lgkmcnt(0)
	v_cmp_lt_i16_e32 vcc, -1, v10
	v_lshlrev_b32_e32 v11, 16, v10
	s_nop 0
	v_cndmask_b32_e32 v38, v55, v56, vcc
	v_xor_b32_sdwa v38, v38, v10 dst_sel:DWORD dst_unused:UNUSED_PAD src0_sel:DWORD src1_sel:WORD_0
	v_cmp_o_f32_e32 vcc, v11, v11
	s_nop 1
	v_cndmask_b32_e32 v11, v55, v38, vcc
	v_and_b32_e32 v11, v11, v58
	v_cmp_eq_u32_e32 vcc, v11, v54
	s_and_b64 exec, exec, vcc
	s_cbranch_execz .LBB71_129
; %bb.133:                              ;   in Loop: Header=BB71_131 Depth=2
	v_perm_b32 v10, v10, s92, v57
	ds_write_b32 v3, v10 offset:3072
	s_branch .LBB71_129
.LBB71_134:                             ;   in Loop: Header=BB71_131 Depth=2
	v_lshl_add_u64 v[8:9], v[8:9], 0, s[78:79]
	v_cmp_le_i64_e32 vcc, s[8:9], v[8:9]
	v_add_u32_e32 v2, s90, v2
	s_mov_b64 s[34:35], 0
	s_orn2_b64 s[28:29], vcc, exec
	s_branch .LBB71_130
.LBB71_135:                             ;   in Loop: Header=BB71_32 Depth=1
	s_or_b64 exec, exec, s[24:25]
	s_andn2_b64 s[8:9], s[20:21], exec
	s_and_b64 s[18:19], s[26:27], exec
	v_lshrrev_b32_e32 v59, 16, v10
	s_or_b64 s[20:21], s[8:9], s[18:19]
.LBB71_136:                             ;   in Loop: Header=BB71_32 Depth=1
	s_or_b64 exec, exec, s[6:7]
	s_mov_b64 s[6:7], 0
	s_mov_b64 s[8:9], -1
.LBB71_137:                             ;   in Loop: Header=BB71_32 Depth=1
	s_orn2_b64 s[18:19], s[20:21], exec
.LBB71_138:                             ;   in Loop: Header=BB71_32 Depth=1
	s_or_b64 exec, exec, s[16:17]
	s_andn2_b64 s[16:17], s[58:59], exec
	s_and_b64 s[8:9], s[8:9], exec
	s_or_b64 s[24:25], s[16:17], s[8:9]
	s_andn2_b64 s[8:9], s[30:31], exec
	s_and_b64 s[6:7], s[6:7], exec
	s_andn2_b64 s[20:21], s[98:99], exec
	s_or_b64 s[8:9], s[8:9], s[6:7]
                                        ; implicit-def: $vgpr8_vgpr9
	s_and_saveexec_b64 s[16:17], s[18:19]
	s_cbranch_execz .LBB71_31
; %bb.139:                              ;   in Loop: Header=BB71_32 Depth=1
	s_mov_b64 s[58:59], s[24:25]
	s_mov_b64 s[30:31], s[8:9]
	;; [unrolled: 1-line block ×3, first 2 shown]
	s_xor_b64 s[2:3], s[2:3], -1
	v_mov_b32_e32 v2, 1
	s_mov_b64 s[6:7], 0
	v_mov_b64_e32 v[8:9], 1
	s_and_saveexec_b64 s[0:1], s[2:3]
	s_cbranch_execz .LBB71_148
; %bb.140:                              ;   in Loop: Header=BB71_32 Depth=1
	v_cmp_le_i64_e32 vcc, v[36:37], v[4:5]
	s_and_saveexec_b64 s[2:3], vcc
	s_xor_b64 s[2:3], exec, s[2:3]
	s_cbranch_execz .LBB71_145
; %bb.141:                              ;   in Loop: Header=BB71_32 Depth=1
	ds_read_b64 v[8:9], v3 offset:5120
	v_and_b32_e32 v54, s52, v54
	v_or_b32_e32 v58, s72, v58
	s_waitcnt lgkmcnt(0)
	v_cmp_ne_u64_e32 vcc, 0, v[8:9]
	s_cbranch_vccnz .LBB71_145
; %bb.142:                              ;   in Loop: Header=BB71_32 Depth=1
	s_mov_b64 s[6:7], exec
	v_readlane_b32 s8, v72, 10
	v_readlane_b32 s9, v72, 11
	s_and_b64 s[8:9], s[6:7], s[8:9]
	s_mov_b64 exec, s[8:9]
; %bb.143:                              ;   in Loop: Header=BB71_32 Depth=1
	ds_write_b64 v3, v[4:5] offset:5128
; %bb.144:                              ;   in Loop: Header=BB71_32 Depth=1
	s_or_b64 exec, exec, s[6:7]
	s_waitcnt lgkmcnt(0)
	s_barrier
.LBB71_145:                             ;   in Loop: Header=BB71_32 Depth=1
	s_or_saveexec_b64 s[2:3], s[2:3]
	s_mov_b64 s[6:7], 0
	v_mov_b32_e32 v2, 8
	s_xor_b64 exec, exec, s[2:3]
; %bb.146:                              ;   in Loop: Header=BB71_32 Depth=1
	v_sub_co_u32_e32 v36, vcc, v36, v4
	s_mov_b64 s[6:7], exec
	s_nop 0
	v_subb_co_u32_e32 v37, vcc, v37, v5, vcc
	v_mov_b32_e32 v2, 0
; %bb.147:                              ;   in Loop: Header=BB71_32 Depth=1
	s_or_b64 exec, exec, s[2:3]
	s_and_b64 s[6:7], s[6:7], exec
	v_mov_b64_e32 v[8:9], v[36:37]
.LBB71_148:                             ;   in Loop: Header=BB71_32 Depth=1
	s_or_b64 exec, exec, s[0:1]
	s_mov_b64 s[18:19], -1
	s_mov_b64 s[0:1], -1
                                        ; implicit-def: $sgpr2_sgpr3
                                        ; implicit-def: $sgpr24_sgpr25
	s_and_saveexec_b64 s[8:9], s[6:7]
	s_xor_b64 s[20:21], exec, s[8:9]
	s_cbranch_execz .LBB71_290
; %bb.149:                              ;   in Loop: Header=BB71_32 Depth=1
	v_cmp_eq_u64_e32 vcc, 1, v[6:7]
	v_cmp_eq_u64_e64 s[2:3], 1, v[8:9]
	s_and_b64 s[0:1], vcc, s[2:3]
	s_mov_b64 s[6:7], -1
                                        ; implicit-def: $sgpr24_sgpr25
                                        ; implicit-def: $sgpr2_sgpr3
	s_and_saveexec_b64 s[26:27], s[0:1]
	s_cbranch_execz .LBB71_183
; %bb.150:                              ;   in Loop: Header=BB71_32 Depth=1
	ds_read_b64 v[4:5], v3 offset:5120
	s_waitcnt lgkmcnt(0)
	s_barrier
	v_readfirstlane_b32 s28, v4
	v_readfirstlane_b32 s29, v5
	s_mov_b64 s[2:3], exec
	v_readlane_b32 s6, v72, 12
	v_readlane_b32 s7, v72, 13
	s_and_b64 s[6:7], s[2:3], s[6:7]
	s_mov_b64 exec, s[6:7]
; %bb.151:                              ;   in Loop: Header=BB71_32 Depth=1
	ds_write_b16 v50, v3
; %bb.152:                              ;   in Loop: Header=BB71_32 Depth=1
	s_or_b64 exec, exec, s[2:3]
	v_and_b32_e32 v4, s52, v54
	v_cmp_gt_i64_e64 s[6:7], s[28:29], 0
	v_lshl_or_b32 v54, 1, s65, v4
	v_or_b32_e32 v58, s72, v58
	s_mov_b64 s[2:3], -1
	s_mov_b64 s[24:25], 0
	s_and_b64 vcc, exec, s[6:7]
	s_mov_b64 s[6:7], 0
	s_mov_b64 s[8:9], -1
	s_waitcnt lgkmcnt(0)
	s_barrier
                                        ; implicit-def: $vgpr59
	s_cbranch_vccnz .LBB71_168
; %bb.153:                              ;   in Loop: Header=BB71_32 Depth=1
	s_mov_b32 s96, s81
	s_cmp_lg_u64 s[96:97], 0
	s_cbranch_scc0 .LBB71_210
; %bb.154:                              ;   in Loop: Header=BB71_32 Depth=1
	s_add_u32 s6, s78, 0
	s_addc_u32 s7, 0, 0
	s_xor_b64 s[6:7], s[6:7], 0
	v_cvt_f32_u32_e32 v4, s6
	v_cvt_f32_u32_e32 v5, s7
	s_sub_u32 s34, 0, s6
	s_subb_u32 s35, 0, s7
	v_fmac_f32_e32 v4, 0x4f800000, v5
	v_rcp_f32_e32 v4, v4
	s_nop 0
	v_mul_f32_e32 v4, 0x5f7ffffc, v4
	v_mul_f32_e32 v5, 0x2f800000, v4
	v_trunc_f32_e32 v5, v5
	v_fmac_f32_e32 v4, 0xcf800000, v5
	v_cvt_u32_f32_e32 v5, v5
	v_cvt_u32_f32_e32 v4, v4
	v_readfirstlane_b32 s36, v5
	v_readfirstlane_b32 s8, v4
	s_mul_i32 s9, s34, s36
	s_mul_hi_u32 s38, s34, s8
	s_mul_i32 s37, s35, s8
	s_add_i32 s9, s38, s9
	s_mul_i32 s39, s34, s8
	s_add_i32 s9, s9, s37
	s_mul_i32 s38, s8, s9
	s_mul_hi_u32 s40, s8, s39
	s_mul_hi_u32 s37, s8, s9
	s_add_u32 s38, s40, s38
	s_addc_u32 s37, 0, s37
	s_mul_hi_u32 s41, s36, s39
	s_mul_i32 s39, s36, s39
	s_add_u32 s38, s38, s39
	s_mul_hi_u32 s40, s36, s9
	s_addc_u32 s37, s37, s41
	s_addc_u32 s38, s40, 0
	s_mul_i32 s9, s36, s9
	s_add_u32 s9, s37, s9
	s_addc_u32 s37, 0, s38
	s_add_u32 s38, s8, s9
	s_cselect_b64 s[8:9], -1, 0
	s_cmp_lg_u64 s[8:9], 0
	s_addc_u32 s36, s36, s37
	s_mul_i32 s8, s34, s36
	s_mul_hi_u32 s9, s34, s38
	s_add_i32 s8, s9, s8
	s_mul_i32 s35, s35, s38
	s_add_i32 s8, s8, s35
	s_mul_i32 s34, s34, s38
	s_mul_hi_u32 s35, s36, s34
	s_mul_i32 s37, s36, s34
	s_mul_i32 s40, s38, s8
	s_mul_hi_u32 s34, s38, s34
	s_mul_hi_u32 s39, s38, s8
	s_add_u32 s34, s34, s40
	s_addc_u32 s39, 0, s39
	s_add_u32 s34, s34, s37
	s_mul_hi_u32 s9, s36, s8
	s_addc_u32 s34, s39, s35
	s_addc_u32 s9, s9, 0
	s_mul_i32 s8, s36, s8
	s_add_u32 s8, s34, s8
	s_addc_u32 s34, 0, s9
	s_add_u32 s37, s38, s8
	s_cselect_b64 s[8:9], -1, 0
	s_cmp_lg_u64 s[8:9], 0
	s_addc_u32 s36, s36, s34
	s_ashr_i32 s8, s97, 31
	s_add_u32 s34, s93, s8
	s_mov_b32 s9, s8
	s_addc_u32 s35, s97, s8
	s_xor_b64 s[34:35], s[34:35], s[8:9]
	s_mul_i32 s39, s34, s36
	s_mul_hi_u32 s40, s34, s37
	s_mul_hi_u32 s38, s34, s36
	s_add_u32 s39, s40, s39
	s_addc_u32 s38, 0, s38
	s_mul_hi_u32 s41, s35, s37
	s_mul_i32 s37, s35, s37
	s_add_u32 s37, s39, s37
	s_mul_hi_u32 s40, s35, s36
	s_addc_u32 s37, s38, s41
	s_addc_u32 s38, s40, 0
	s_mul_i32 s36, s35, s36
	s_add_u32 s36, s37, s36
	s_addc_u32 s37, 0, s38
	s_mul_i32 s37, s6, s37
	s_mul_hi_u32 s38, s6, s36
	s_add_i32 s37, s38, s37
	s_mul_i32 s38, s7, s36
	s_add_i32 s40, s37, s38
	s_sub_i32 s38, s35, s40
	s_mul_i32 s36, s6, s36
	s_sub_u32 s34, s34, s36
	s_cselect_b64 s[36:37], -1, 0
	s_cmp_lg_u64 s[36:37], 0
	s_subb_u32 s41, s38, s7
	s_sub_u32 s42, s34, s6
	s_cselect_b64 s[38:39], -1, 0
	s_cmp_lg_u64 s[38:39], 0
	s_subb_u32 s43, s41, 0
	s_cmp_ge_u32 s43, s7
	s_cselect_b32 s44, -1, 0
	s_cmp_ge_u32 s42, s6
	s_cselect_b32 s45, -1, 0
	s_cmp_eq_u32 s43, s7
	s_cselect_b32 s44, s45, s44
	s_cmp_lg_u64 s[38:39], 0
	s_subb_u32 s41, s41, s7
	s_sub_u32 s45, s42, s6
	s_cselect_b64 s[38:39], -1, 0
	s_cmp_lg_u64 s[38:39], 0
	s_subb_u32 s38, s41, 0
	s_cmp_lg_u32 s44, 0
	s_cselect_b32 s39, s45, s42
	s_cselect_b32 s38, s38, s43
	s_cmp_lg_u64 s[36:37], 0
	s_subb_u32 s35, s35, s40
	s_cmp_ge_u32 s35, s7
	s_cselect_b32 s36, -1, 0
	s_cmp_ge_u32 s34, s6
	s_cselect_b32 s6, -1, 0
	s_cmp_eq_u32 s35, s7
	s_cselect_b32 s6, s6, s36
	s_cmp_lg_u32 s6, 0
	s_cselect_b32 s7, s38, s35
	s_cselect_b32 s6, s39, s34
	s_xor_b64 s[6:7], s[6:7], s[8:9]
	s_sub_u32 s6, s6, s8
	s_subb_u32 s7, s7, s8
	s_cbranch_execnz .LBB71_156
.LBB71_155:                             ;   in Loop: Header=BB71_32 Depth=1
	v_cvt_f32_u32_e32 v4, s78
	s_sub_i32 s6, 0, s78
	v_rcp_iflag_f32_e32 v4, v4
	s_nop 0
	v_mul_f32_e32 v4, 0x4f7ffffe, v4
	v_cvt_u32_f32_e32 v4, v4
	s_nop 0
	v_readfirstlane_b32 s7, v4
	s_mul_i32 s6, s6, s7
	s_mul_hi_u32 s6, s7, s6
	s_add_i32 s7, s7, s6
	s_mul_hi_u32 s6, s93, s7
	s_mul_i32 s6, s6, s78
	s_sub_i32 s6, s93, s6
	s_sub_i32 s7, s6, s78
	s_cmp_ge_u32 s6, s78
	s_cselect_b32 s6, s7, s6
	s_sub_i32 s7, s6, s78
	s_cmp_ge_u32 s6, s78
	s_cselect_b32 s80, s7, s6
	s_mov_b64 s[6:7], s[80:81]
.LBB71_156:                             ;   in Loop: Header=BB71_32 Depth=1
	s_sub_u32 s36, s93, s6
	s_subb_u32 s37, s97, s7
	v_cmp_gt_i64_e32 vcc, s[36:37], v[0:1]
	s_mov_b64 s[8:9], 0
	s_mov_b64 s[6:7], 0
                                        ; implicit-def: $vgpr59
	s_and_saveexec_b64 s[34:35], vcc
	s_cbranch_execz .LBB71_167
; %bb.157:                              ;   in Loop: Header=BB71_32 Depth=1
	v_mov_b64_e32 v[4:5], v[12:13]
	v_mov_b64_e32 v[10:11], v[0:1]
                                        ; implicit-def: $sgpr38_sgpr39
	s_branch .LBB71_160
.LBB71_158:                             ;   in Loop: Header=BB71_160 Depth=2
	s_or_b64 exec, exec, s[40:41]
	s_waitcnt lgkmcnt(0)
	s_barrier
	ds_read_b32 v36, v3 offset:3072
	s_mov_b64 s[40:41], -1
	s_mov_b64 s[42:43], -1
	s_waitcnt lgkmcnt(0)
	s_barrier
	v_and_b32_e32 v37, 0x7fff, v36
	v_cmp_ne_u32_e32 vcc, 0, v37
	s_cbranch_vccz .LBB71_163
.LBB71_159:                             ;   in Loop: Header=BB71_160 Depth=2
	s_and_b64 s[40:41], exec, s[40:41]
	s_or_b64 s[6:7], s[40:41], s[6:7]
	s_andn2_b64 s[38:39], s[38:39], exec
	s_and_b64 s[40:41], s[42:43], exec
	s_or_b64 s[38:39], s[38:39], s[40:41]
	s_andn2_b64 exec, exec, s[6:7]
	s_cbranch_execz .LBB71_166
.LBB71_160:                             ;   Parent Loop BB71_32 Depth=1
                                        ; =>  This Inner Loop Header: Depth=2
	v_cmp_gt_i64_e32 vcc, s[56:57], v[10:11]
	s_and_saveexec_b64 s[40:41], vcc
	s_cbranch_execz .LBB71_158
; %bb.161:                              ;   in Loop: Header=BB71_160 Depth=2
	global_load_ushort v36, v[4:5], off
	s_waitcnt vmcnt(0)
	v_cmp_lt_i16_e32 vcc, -1, v36
	v_lshlrev_b32_e32 v37, 16, v36
	s_nop 0
	v_cndmask_b32_e32 v38, v55, v56, vcc
	v_xor_b32_sdwa v38, v38, v36 dst_sel:DWORD dst_unused:UNUSED_PAD src0_sel:DWORD src1_sel:WORD_0
	v_cmp_o_f32_e32 vcc, v37, v37
	s_nop 1
	v_cndmask_b32_e32 v37, v55, v38, vcc
	v_and_b32_e32 v37, v37, v58
	v_cmp_eq_u32_e32 vcc, v37, v54
	s_and_b64 exec, exec, vcc
	s_cbranch_execz .LBB71_158
; %bb.162:                              ;   in Loop: Header=BB71_160 Depth=2
	v_perm_b32 v36, v36, s92, v57
	ds_write_b32 v3, v36 offset:3072
	s_branch .LBB71_158
.LBB71_163:                             ;   in Loop: Header=BB71_160 Depth=2
	v_lshl_add_u64 v[10:11], v[10:11], 0, s[78:79]
	v_cmp_le_i64_e32 vcc, s[36:37], v[10:11]
	v_lshl_add_u64 v[4:5], v[4:5], 0, s[94:95]
	s_mov_b64 s[42:43], 0
	s_orn2_b64 s[40:41], vcc, exec
	s_branch .LBB71_159
.LBB71_164:                             ;   in Loop: Header=BB71_32 Depth=1
                                        ; implicit-def: $sgpr20_sgpr21
	s_andn2_b64 vcc, exec, s[24:25]
	s_cbranch_vccz .LBB71_112
	s_branch .LBB71_113
.LBB71_165:                             ;   in Loop: Header=BB71_32 Depth=1
                                        ; implicit-def: $sgpr8_sgpr9
	s_branch .LBB71_126
.LBB71_166:                             ;   in Loop: Header=BB71_32 Depth=1
	s_or_b64 exec, exec, s[6:7]
	v_lshrrev_b32_e32 v59, 16, v36
	s_and_b64 s[6:7], s[38:39], exec
.LBB71_167:                             ;   in Loop: Header=BB71_32 Depth=1
	s_or_b64 exec, exec, s[34:35]
.LBB71_168:                             ;   in Loop: Header=BB71_32 Depth=1
	s_and_b64 vcc, exec, s[8:9]
	s_cbranch_vccz .LBB71_182
; %bb.169:                              ;   in Loop: Header=BB71_32 Depth=1
	v_readlane_b32 s2, v72, 20
	s_add_u32 s34, s28, s2
	v_readlane_b32 s2, v72, 21
	s_addc_u32 s3, s29, s2
	s_mov_b32 s2, s81
	s_cmp_lg_u64 s[2:3], 0
	s_cbranch_scc0 .LBB71_211
; %bb.170:                              ;   in Loop: Header=BB71_32 Depth=1
	s_add_u32 s8, s78, 0
	s_addc_u32 s9, 0, 0
	s_xor_b64 s[8:9], s[8:9], 0
	v_cvt_f32_u32_e32 v4, s8
	v_cvt_f32_u32_e32 v5, s9
	s_sub_u32 s2, 0, s8
	s_subb_u32 s35, 0, s9
	v_fmac_f32_e32 v4, 0x4f800000, v5
	v_rcp_f32_e32 v4, v4
	s_nop 0
	v_mul_f32_e32 v4, 0x5f7ffffc, v4
	v_mul_f32_e32 v5, 0x2f800000, v4
	v_trunc_f32_e32 v5, v5
	v_fmac_f32_e32 v4, 0xcf800000, v5
	v_cvt_u32_f32_e32 v5, v5
	v_cvt_u32_f32_e32 v4, v4
	v_readfirstlane_b32 s36, v5
	v_readfirstlane_b32 s24, v4
	s_mul_i32 s25, s2, s36
	s_mul_hi_u32 s38, s2, s24
	s_mul_i32 s37, s35, s24
	s_add_i32 s25, s38, s25
	s_mul_i32 s39, s2, s24
	s_add_i32 s25, s25, s37
	s_mul_i32 s38, s24, s25
	s_mul_hi_u32 s40, s24, s39
	s_mul_hi_u32 s37, s24, s25
	s_add_u32 s38, s40, s38
	s_addc_u32 s37, 0, s37
	s_mul_hi_u32 s41, s36, s39
	s_mul_i32 s39, s36, s39
	s_add_u32 s38, s38, s39
	s_mul_hi_u32 s40, s36, s25
	s_addc_u32 s37, s37, s41
	s_addc_u32 s38, s40, 0
	s_mul_i32 s25, s36, s25
	s_add_u32 s25, s37, s25
	s_addc_u32 s37, 0, s38
	s_add_u32 s38, s24, s25
	s_cselect_b64 s[24:25], -1, 0
	s_cmp_lg_u64 s[24:25], 0
	s_addc_u32 s36, s36, s37
	s_mul_i32 s24, s2, s36
	s_mul_hi_u32 s25, s2, s38
	s_add_i32 s24, s25, s24
	s_mul_i32 s35, s35, s38
	s_add_i32 s24, s24, s35
	s_mul_i32 s2, s2, s38
	s_mul_hi_u32 s35, s36, s2
	s_mul_i32 s37, s36, s2
	s_mul_i32 s40, s38, s24
	s_mul_hi_u32 s2, s38, s2
	s_mul_hi_u32 s39, s38, s24
	s_add_u32 s2, s2, s40
	s_addc_u32 s39, 0, s39
	s_add_u32 s2, s2, s37
	s_mul_hi_u32 s25, s36, s24
	s_addc_u32 s2, s39, s35
	s_addc_u32 s25, s25, 0
	s_mul_i32 s24, s36, s24
	s_add_u32 s2, s2, s24
	s_addc_u32 s35, 0, s25
	s_add_u32 s2, s38, s2
	s_cselect_b64 s[24:25], -1, 0
	s_cmp_lg_u64 s[24:25], 0
	s_addc_u32 s35, s36, s35
	s_ashr_i32 s24, s3, 31
	s_add_u32 s36, s34, s24
	s_mov_b32 s25, s24
	s_addc_u32 s37, s3, s24
	s_xor_b64 s[36:37], s[36:37], s[24:25]
	s_mul_i32 s39, s36, s35
	s_mul_hi_u32 s40, s36, s2
	s_mul_hi_u32 s38, s36, s35
	s_add_u32 s39, s40, s39
	s_addc_u32 s38, 0, s38
	s_mul_hi_u32 s41, s37, s2
	s_mul_i32 s2, s37, s2
	s_add_u32 s2, s39, s2
	s_mul_hi_u32 s40, s37, s35
	s_addc_u32 s2, s38, s41
	s_addc_u32 s38, s40, 0
	s_mul_i32 s35, s37, s35
	s_add_u32 s2, s2, s35
	s_addc_u32 s35, 0, s38
	s_mul_i32 s35, s8, s35
	s_mul_hi_u32 s38, s8, s2
	s_add_i32 s35, s38, s35
	s_mul_i32 s38, s9, s2
	s_add_i32 s35, s35, s38
	s_sub_i32 s40, s37, s35
	s_mul_i32 s2, s8, s2
	s_sub_u32 s2, s36, s2
	s_cselect_b64 s[38:39], -1, 0
	s_cmp_lg_u64 s[38:39], 0
	s_subb_u32 s36, s40, s9
	s_sub_u32 s42, s2, s8
	s_cselect_b64 s[40:41], -1, 0
	s_cmp_lg_u64 s[40:41], 0
	s_subb_u32 s43, s36, 0
	s_cmp_ge_u32 s43, s9
	s_cselect_b32 s44, -1, 0
	s_cmp_ge_u32 s42, s8
	s_cselect_b32 s45, -1, 0
	s_cmp_eq_u32 s43, s9
	s_cselect_b32 s44, s45, s44
	s_cmp_lg_u64 s[40:41], 0
	s_subb_u32 s36, s36, s9
	s_sub_u32 s45, s42, s8
	s_cselect_b64 s[40:41], -1, 0
	s_cmp_lg_u64 s[40:41], 0
	s_subb_u32 s36, s36, 0
	s_cmp_lg_u32 s44, 0
	s_cselect_b32 s40, s45, s42
	s_cselect_b32 s36, s36, s43
	s_cmp_lg_u64 s[38:39], 0
	s_subb_u32 s35, s37, s35
	s_cmp_ge_u32 s35, s9
	s_cselect_b32 s37, -1, 0
	s_cmp_ge_u32 s2, s8
	s_cselect_b32 s8, -1, 0
	s_cmp_eq_u32 s35, s9
	s_cselect_b32 s8, s8, s37
	s_cmp_lg_u32 s8, 0
	s_cselect_b32 s9, s36, s35
	s_cselect_b32 s8, s40, s2
	s_xor_b64 s[8:9], s[8:9], s[24:25]
	s_sub_u32 s8, s8, s24
	s_subb_u32 s9, s9, s24
	s_cbranch_execnz .LBB71_172
.LBB71_171:                             ;   in Loop: Header=BB71_32 Depth=1
	v_cvt_f32_u32_e32 v4, s78
	s_sub_i32 s2, 0, s78
	v_rcp_iflag_f32_e32 v4, v4
	s_nop 0
	v_mul_f32_e32 v4, 0x4f7ffffe, v4
	v_cvt_u32_f32_e32 v4, v4
	s_nop 0
	v_readfirstlane_b32 s8, v4
	s_mul_i32 s2, s2, s8
	s_mul_hi_u32 s2, s8, s2
	s_add_i32 s8, s8, s2
	s_mul_hi_u32 s2, s34, s8
	s_mul_i32 s2, s2, s78
	s_sub_i32 s2, s34, s2
	s_sub_i32 s8, s2, s78
	s_cmp_ge_u32 s2, s78
	s_cselect_b32 s2, s8, s2
	s_sub_i32 s8, s2, s78
	s_cmp_ge_u32 s2, s78
	s_cselect_b32 s80, s8, s2
	s_mov_b64 s[8:9], s[80:81]
.LBB71_172:                             ;   in Loop: Header=BB71_32 Depth=1
	s_sub_u32 s8, s34, s8
	s_subb_u32 s9, s3, s9
	v_cmp_gt_i64_e32 vcc, s[8:9], v[0:1]
                                        ; implicit-def: $vgpr59
	s_and_saveexec_b64 s[2:3], vcc
	s_cbranch_execz .LBB71_181
; %bb.173:                              ;   in Loop: Header=BB71_32 Depth=1
	s_mov_b64 s[24:25], 0
	v_mov_b32_e32 v10, v49
	v_mov_b64_e32 v[4:5], v[0:1]
                                        ; implicit-def: $sgpr34_sgpr35
	s_branch .LBB71_176
.LBB71_174:                             ;   in Loop: Header=BB71_176 Depth=2
	s_or_b64 exec, exec, s[36:37]
	s_waitcnt lgkmcnt(0)
	s_barrier
	ds_read_b32 v11, v3 offset:3072
	s_mov_b64 s[36:37], -1
	s_mov_b64 s[38:39], -1
	s_waitcnt lgkmcnt(0)
	s_barrier
	v_and_b32_e32 v36, 0x7fff, v11
	v_cmp_eq_u32_e32 vcc, 0, v36
	s_cbranch_vccnz .LBB71_179
.LBB71_175:                             ;   in Loop: Header=BB71_176 Depth=2
	s_and_b64 s[36:37], exec, s[36:37]
	s_or_b64 s[24:25], s[36:37], s[24:25]
	s_andn2_b64 s[34:35], s[34:35], exec
	s_and_b64 s[36:37], s[38:39], exec
	s_or_b64 s[34:35], s[34:35], s[36:37]
	s_andn2_b64 exec, exec, s[24:25]
	s_cbranch_execz .LBB71_180
.LBB71_176:                             ;   Parent Loop BB71_32 Depth=1
                                        ; =>  This Inner Loop Header: Depth=2
	v_cmp_gt_u64_e32 vcc, s[28:29], v[4:5]
	s_and_saveexec_b64 s[36:37], vcc
	s_cbranch_execz .LBB71_174
; %bb.177:                              ;   in Loop: Header=BB71_176 Depth=2
	ds_read_u16 v11, v10
	s_waitcnt lgkmcnt(0)
	v_cmp_lt_i16_e32 vcc, -1, v11
	v_lshlrev_b32_e32 v36, 16, v11
	s_nop 0
	v_cndmask_b32_e32 v37, v55, v56, vcc
	v_xor_b32_sdwa v37, v37, v11 dst_sel:DWORD dst_unused:UNUSED_PAD src0_sel:DWORD src1_sel:WORD_0
	v_cmp_o_f32_e32 vcc, v36, v36
	s_nop 1
	v_cndmask_b32_e32 v36, v55, v37, vcc
	v_and_b32_e32 v36, v36, v58
	v_cmp_eq_u32_e32 vcc, v36, v54
	s_and_b64 exec, exec, vcc
	s_cbranch_execz .LBB71_174
; %bb.178:                              ;   in Loop: Header=BB71_176 Depth=2
	v_perm_b32 v11, v11, s92, v57
	ds_write_b32 v3, v11 offset:3072
	s_branch .LBB71_174
.LBB71_179:                             ;   in Loop: Header=BB71_176 Depth=2
	v_lshl_add_u64 v[4:5], v[4:5], 0, s[78:79]
	v_cmp_le_i64_e32 vcc, s[8:9], v[4:5]
	v_add_u32_e32 v10, s90, v10
	s_mov_b64 s[38:39], 0
	s_orn2_b64 s[36:37], vcc, exec
	s_branch .LBB71_175
.LBB71_180:                             ;   in Loop: Header=BB71_32 Depth=1
	s_or_b64 exec, exec, s[24:25]
	s_andn2_b64 s[6:7], s[6:7], exec
	s_and_b64 s[8:9], s[34:35], exec
	v_lshrrev_b32_e32 v59, 16, v11
	s_or_b64 s[6:7], s[6:7], s[8:9]
.LBB71_181:                             ;   in Loop: Header=BB71_32 Depth=1
	s_or_b64 exec, exec, s[2:3]
	s_mov_b64 s[2:3], 0
	s_mov_b64 s[24:25], -1
.LBB71_182:                             ;   in Loop: Header=BB71_32 Depth=1
	s_orn2_b64 s[6:7], s[6:7], exec
.LBB71_183:                             ;   in Loop: Header=BB71_32 Depth=1
	s_or_b64 exec, exec, s[26:27]
	s_mov_b64 s[8:9], 0
	s_and_saveexec_b64 s[26:27], s[6:7]
	s_cbranch_execz .LBB71_289
; %bb.184:                              ;   in Loop: Header=BB71_32 Depth=1
	s_xor_b64 s[6:7], s[0:1], -1
	v_mov_b32_e32 v2, 1
	v_mov_b64_e32 v[4:5], 1
	s_and_saveexec_b64 s[0:1], s[6:7]
	s_cbranch_execz .LBB71_194
; %bb.185:                              ;   in Loop: Header=BB71_32 Depth=1
	v_cmp_le_i64_e32 vcc, v[8:9], v[6:7]
	s_and_saveexec_b64 s[6:7], vcc
	s_xor_b64 s[6:7], exec, s[6:7]
	s_cbranch_execz .LBB71_191
; %bb.186:                              ;   in Loop: Header=BB71_32 Depth=1
	ds_read_b64 v[4:5], v3 offset:5120
	v_and_b32_e32 v2, s52, v54
	v_lshl_or_b32 v54, 1, s65, v2
	v_or_b32_e32 v58, s72, v58
	s_waitcnt lgkmcnt(0)
	v_cmp_ne_u64_e32 vcc, 0, v[4:5]
	s_cbranch_vccnz .LBB71_190
; %bb.187:                              ;   in Loop: Header=BB71_32 Depth=1
	s_mov_b64 s[8:9], exec
	v_readlane_b32 s28, v72, 10
	v_readlane_b32 s29, v72, 11
	s_and_b64 s[28:29], s[8:9], s[28:29]
	s_mov_b64 exec, s[28:29]
; %bb.188:                              ;   in Loop: Header=BB71_32 Depth=1
	ds_write_b64 v3, v[6:7] offset:5128
; %bb.189:                              ;   in Loop: Header=BB71_32 Depth=1
	s_or_b64 exec, exec, s[8:9]
	s_waitcnt lgkmcnt(0)
	s_barrier
.LBB71_190:                             ;   in Loop: Header=BB71_32 Depth=1
                                        ; implicit-def: $vgpr4_vgpr5_vgpr6_vgpr7
.LBB71_191:                             ;   in Loop: Header=BB71_32 Depth=1
	s_or_saveexec_b64 s[6:7], s[6:7]
	s_mov_b64 s[8:9], 0
	v_mov_b32_e32 v2, 8
	s_xor_b64 exec, exec, s[6:7]
; %bb.192:                              ;   in Loop: Header=BB71_32 Depth=1
	v_sub_co_u32_e32 v8, vcc, v8, v6
	s_mov_b64 s[8:9], exec
	s_nop 0
	v_subb_co_u32_e32 v9, vcc, v9, v7, vcc
	v_mov_b32_e32 v2, 0
; %bb.193:                              ;   in Loop: Header=BB71_32 Depth=1
	s_or_b64 exec, exec, s[6:7]
	s_and_b64 s[8:9], s[8:9], exec
	v_mov_b64_e32 v[4:5], v[8:9]
.LBB71_194:                             ;   in Loop: Header=BB71_32 Depth=1
	s_or_b64 exec, exec, s[0:1]
	s_mov_b64 s[6:7], -1
                                        ; implicit-def: $sgpr28_sgpr29
                                        ; implicit-def: $sgpr34_sgpr35
	s_and_saveexec_b64 s[0:1], s[8:9]
	s_cbranch_execz .LBB71_288
; %bb.195:                              ;   in Loop: Header=BB71_32 Depth=1
	s_cmp_eq_u64 s[22:23], 1
	s_cselect_b64 s[6:7], -1, 0
	v_cmp_eq_u64_e32 vcc, 1, v[4:5]
	s_and_b64 s[38:39], s[6:7], vcc
	s_mov_b64 s[6:7], -1
                                        ; implicit-def: $sgpr34_sgpr35
                                        ; implicit-def: $sgpr28_sgpr29
	s_and_saveexec_b64 s[36:37], s[38:39]
	s_cbranch_execz .LBB71_229
; %bb.196:                              ;   in Loop: Header=BB71_32 Depth=1
	ds_read_b64 v[6:7], v3 offset:5120
	s_waitcnt lgkmcnt(0)
	s_barrier
	v_readfirstlane_b32 s40, v6
	v_readfirstlane_b32 s41, v7
	s_mov_b64 s[6:7], exec
	v_readlane_b32 s8, v72, 12
	v_readlane_b32 s9, v72, 13
	s_and_b64 s[8:9], s[6:7], s[8:9]
	s_mov_b64 exec, s[8:9]
; %bb.197:                              ;   in Loop: Header=BB71_32 Depth=1
	ds_write_b16 v50, v3
; %bb.198:                              ;   in Loop: Header=BB71_32 Depth=1
	s_or_b64 exec, exec, s[6:7]
	v_and_b32_e32 v6, s52, v54
	v_cmp_gt_i64_e64 s[6:7], s[40:41], 0
	v_lshl_or_b32 v54, 2, s65, v6
	v_or_b32_e32 v58, s72, v58
	s_mov_b64 s[28:29], -1
	s_mov_b64 s[34:35], 0
	s_and_b64 vcc, exec, s[6:7]
	s_mov_b64 s[6:7], 0
	s_mov_b64 s[8:9], -1
	s_waitcnt lgkmcnt(0)
	s_barrier
                                        ; implicit-def: $vgpr59
	s_cbranch_vccnz .LBB71_214
; %bb.199:                              ;   in Loop: Header=BB71_32 Depth=1
	s_mov_b32 s96, s81
	s_cmp_lg_u64 s[96:97], 0
	s_cbranch_scc0 .LBB71_255
; %bb.200:                              ;   in Loop: Header=BB71_32 Depth=1
	s_add_u32 s6, s78, 0
	s_addc_u32 s7, 0, 0
	s_xor_b64 s[6:7], s[6:7], 0
	v_cvt_f32_u32_e32 v6, s6
	v_cvt_f32_u32_e32 v7, s7
	s_sub_u32 s42, 0, s6
	s_subb_u32 s43, 0, s7
	v_fmac_f32_e32 v6, 0x4f800000, v7
	v_rcp_f32_e32 v6, v6
	s_nop 0
	v_mul_f32_e32 v6, 0x5f7ffffc, v6
	v_mul_f32_e32 v7, 0x2f800000, v6
	v_trunc_f32_e32 v7, v7
	v_fmac_f32_e32 v6, 0xcf800000, v7
	v_cvt_u32_f32_e32 v7, v7
	v_cvt_u32_f32_e32 v6, v6
	v_readfirstlane_b32 s44, v7
	v_readfirstlane_b32 s8, v6
	s_mul_i32 s9, s42, s44
	s_mul_hi_u32 s46, s42, s8
	s_mul_i32 s45, s43, s8
	s_add_i32 s9, s46, s9
	s_mul_i32 s47, s42, s8
	s_add_i32 s9, s9, s45
	s_mul_i32 s46, s8, s9
	s_mul_hi_u32 s48, s8, s47
	s_mul_hi_u32 s45, s8, s9
	s_add_u32 s46, s48, s46
	s_addc_u32 s45, 0, s45
	s_mul_hi_u32 s49, s44, s47
	s_mul_i32 s47, s44, s47
	s_add_u32 s46, s46, s47
	s_mul_hi_u32 s48, s44, s9
	s_addc_u32 s45, s45, s49
	s_addc_u32 s46, s48, 0
	s_mul_i32 s9, s44, s9
	s_add_u32 s9, s45, s9
	s_addc_u32 s45, 0, s46
	s_add_u32 s46, s8, s9
	s_cselect_b64 s[8:9], -1, 0
	s_cmp_lg_u64 s[8:9], 0
	s_addc_u32 s44, s44, s45
	s_mul_i32 s8, s42, s44
	s_mul_hi_u32 s9, s42, s46
	s_add_i32 s8, s9, s8
	s_mul_i32 s43, s43, s46
	s_add_i32 s8, s8, s43
	s_mul_i32 s42, s42, s46
	s_mul_hi_u32 s43, s44, s42
	s_mul_i32 s45, s44, s42
	s_mul_i32 s48, s46, s8
	s_mul_hi_u32 s42, s46, s42
	s_mul_hi_u32 s47, s46, s8
	s_add_u32 s42, s42, s48
	s_addc_u32 s47, 0, s47
	s_add_u32 s42, s42, s45
	s_mul_hi_u32 s9, s44, s8
	s_addc_u32 s42, s47, s43
	s_addc_u32 s9, s9, 0
	s_mul_i32 s8, s44, s8
	s_add_u32 s8, s42, s8
	s_addc_u32 s42, 0, s9
	s_add_u32 s45, s46, s8
	s_cselect_b64 s[8:9], -1, 0
	s_cmp_lg_u64 s[8:9], 0
	s_addc_u32 s44, s44, s42
	s_ashr_i32 s8, s97, 31
	s_add_u32 s42, s93, s8
	s_mov_b32 s9, s8
	s_addc_u32 s43, s97, s8
	s_xor_b64 s[42:43], s[42:43], s[8:9]
	s_mul_i32 s47, s42, s44
	s_mul_hi_u32 s48, s42, s45
	s_mul_hi_u32 s46, s42, s44
	s_add_u32 s47, s48, s47
	s_addc_u32 s46, 0, s46
	s_mul_hi_u32 s49, s43, s45
	s_mul_i32 s45, s43, s45
	s_add_u32 s45, s47, s45
	s_mul_hi_u32 s48, s43, s44
	s_addc_u32 s45, s46, s49
	s_addc_u32 s46, s48, 0
	s_mul_i32 s44, s43, s44
	s_add_u32 s44, s45, s44
	s_addc_u32 s45, 0, s46
	s_mul_i32 s45, s6, s45
	s_mul_hi_u32 s46, s6, s44
	s_add_i32 s45, s46, s45
	s_mul_i32 s46, s7, s44
	s_add_i32 s48, s45, s46
	s_sub_i32 s46, s43, s48
	s_mul_i32 s44, s6, s44
	s_sub_u32 s42, s42, s44
	s_cselect_b64 s[44:45], -1, 0
	s_cmp_lg_u64 s[44:45], 0
	s_subb_u32 s49, s46, s7
	s_sub_u32 s50, s42, s6
	s_cselect_b64 s[46:47], -1, 0
	s_cmp_lg_u64 s[46:47], 0
	s_subb_u32 s51, s49, 0
	s_cmp_ge_u32 s51, s7
	s_cselect_b32 s53, -1, 0
	s_cmp_ge_u32 s50, s6
	s_cselect_b32 s54, -1, 0
	s_cmp_eq_u32 s51, s7
	s_cselect_b32 s53, s54, s53
	s_cmp_lg_u64 s[46:47], 0
	s_subb_u32 s49, s49, s7
	s_sub_u32 s54, s50, s6
	s_cselect_b64 s[46:47], -1, 0
	s_cmp_lg_u64 s[46:47], 0
	s_subb_u32 s46, s49, 0
	s_cmp_lg_u32 s53, 0
	s_cselect_b32 s47, s54, s50
	s_cselect_b32 s46, s46, s51
	s_cmp_lg_u64 s[44:45], 0
	s_subb_u32 s43, s43, s48
	s_cmp_ge_u32 s43, s7
	s_cselect_b32 s44, -1, 0
	s_cmp_ge_u32 s42, s6
	s_cselect_b32 s6, -1, 0
	s_cmp_eq_u32 s43, s7
	s_cselect_b32 s6, s6, s44
	s_cmp_lg_u32 s6, 0
	s_cselect_b32 s7, s46, s43
	s_cselect_b32 s6, s47, s42
	s_xor_b64 s[6:7], s[6:7], s[8:9]
	s_sub_u32 s6, s6, s8
	s_subb_u32 s7, s7, s8
	s_cbranch_execnz .LBB71_202
.LBB71_201:                             ;   in Loop: Header=BB71_32 Depth=1
	v_cvt_f32_u32_e32 v6, s78
	s_sub_i32 s6, 0, s78
	v_rcp_iflag_f32_e32 v6, v6
	s_nop 0
	v_mul_f32_e32 v6, 0x4f7ffffe, v6
	v_cvt_u32_f32_e32 v6, v6
	s_nop 0
	v_readfirstlane_b32 s7, v6
	s_mul_i32 s6, s6, s7
	s_mul_hi_u32 s6, s7, s6
	s_add_i32 s7, s7, s6
	s_mul_hi_u32 s6, s93, s7
	s_mul_i32 s6, s6, s78
	s_sub_i32 s6, s93, s6
	s_sub_i32 s7, s6, s78
	s_cmp_ge_u32 s6, s78
	s_cselect_b32 s6, s7, s6
	s_sub_i32 s7, s6, s78
	s_cmp_ge_u32 s6, s78
	s_cselect_b32 s80, s7, s6
	s_mov_b64 s[6:7], s[80:81]
.LBB71_202:                             ;   in Loop: Header=BB71_32 Depth=1
	s_sub_u32 s44, s93, s6
	s_subb_u32 s45, s97, s7
	v_cmp_gt_i64_e32 vcc, s[44:45], v[0:1]
	s_mov_b64 s[8:9], 0
	s_mov_b64 s[6:7], 0
                                        ; implicit-def: $vgpr59
	s_and_saveexec_b64 s[42:43], vcc
	v_readlane_b32 s54, v72, 46
	s_cbranch_execz .LBB71_213
; %bb.203:                              ;   in Loop: Header=BB71_32 Depth=1
	v_mov_b64_e32 v[6:7], v[12:13]
	v_mov_b64_e32 v[8:9], v[0:1]
                                        ; implicit-def: $sgpr46_sgpr47
	s_branch .LBB71_206
.LBB71_204:                             ;   in Loop: Header=BB71_206 Depth=2
	s_or_b64 exec, exec, s[48:49]
	s_waitcnt lgkmcnt(0)
	s_barrier
	ds_read_b32 v10, v3 offset:3072
	s_mov_b64 s[48:49], -1
	s_mov_b64 s[50:51], -1
	s_waitcnt lgkmcnt(0)
	s_barrier
	v_and_b32_e32 v11, 0x7fff, v10
	v_cmp_ne_u32_e32 vcc, 0, v11
	s_cbranch_vccz .LBB71_209
.LBB71_205:                             ;   in Loop: Header=BB71_206 Depth=2
	s_and_b64 s[48:49], exec, s[48:49]
	s_or_b64 s[6:7], s[48:49], s[6:7]
	s_andn2_b64 s[46:47], s[46:47], exec
	s_and_b64 s[48:49], s[50:51], exec
	s_or_b64 s[46:47], s[46:47], s[48:49]
	s_andn2_b64 exec, exec, s[6:7]
	s_cbranch_execz .LBB71_212
.LBB71_206:                             ;   Parent Loop BB71_32 Depth=1
                                        ; =>  This Inner Loop Header: Depth=2
	v_cmp_gt_i64_e32 vcc, s[56:57], v[8:9]
	s_and_saveexec_b64 s[48:49], vcc
	s_cbranch_execz .LBB71_204
; %bb.207:                              ;   in Loop: Header=BB71_206 Depth=2
	global_load_ushort v10, v[6:7], off
	s_waitcnt vmcnt(0)
	v_cmp_lt_i16_e32 vcc, -1, v10
	v_lshlrev_b32_e32 v11, 16, v10
	s_nop 0
	v_cndmask_b32_e32 v36, v55, v56, vcc
	v_xor_b32_sdwa v36, v36, v10 dst_sel:DWORD dst_unused:UNUSED_PAD src0_sel:DWORD src1_sel:WORD_0
	v_cmp_o_f32_e32 vcc, v11, v11
	s_nop 1
	v_cndmask_b32_e32 v11, v55, v36, vcc
	v_and_b32_e32 v11, v11, v58
	v_cmp_eq_u32_e32 vcc, v11, v54
	s_and_b64 exec, exec, vcc
	s_cbranch_execz .LBB71_204
; %bb.208:                              ;   in Loop: Header=BB71_206 Depth=2
	v_perm_b32 v10, v10, s92, v57
	ds_write_b32 v3, v10 offset:3072
	s_branch .LBB71_204
.LBB71_209:                             ;   in Loop: Header=BB71_206 Depth=2
	v_lshl_add_u64 v[8:9], v[8:9], 0, s[78:79]
	v_cmp_le_i64_e32 vcc, s[44:45], v[8:9]
	v_lshl_add_u64 v[6:7], v[6:7], 0, s[94:95]
	s_mov_b64 s[50:51], 0
	s_orn2_b64 s[48:49], vcc, exec
	s_branch .LBB71_205
.LBB71_210:                             ;   in Loop: Header=BB71_32 Depth=1
                                        ; implicit-def: $sgpr6_sgpr7
	s_andn2_b64 vcc, exec, s[8:9]
	s_cbranch_vccz .LBB71_155
	s_branch .LBB71_156
.LBB71_211:                             ;   in Loop: Header=BB71_32 Depth=1
                                        ; implicit-def: $sgpr8_sgpr9
	s_branch .LBB71_171
.LBB71_212:                             ;   in Loop: Header=BB71_32 Depth=1
	s_or_b64 exec, exec, s[6:7]
	v_lshrrev_b32_e32 v59, 16, v10
	s_and_b64 s[6:7], s[46:47], exec
.LBB71_213:                             ;   in Loop: Header=BB71_32 Depth=1
	s_or_b64 exec, exec, s[42:43]
	v_readlane_b32 s49, v72, 47
	v_readlane_b32 s50, v72, 48
	v_readlane_b32 s51, v72, 49
.LBB71_214:                             ;   in Loop: Header=BB71_32 Depth=1
	s_and_b64 vcc, exec, s[8:9]
	s_cbranch_vccz .LBB71_228
; %bb.215:                              ;   in Loop: Header=BB71_32 Depth=1
	v_readlane_b32 s8, v72, 20
	s_add_u32 s42, s40, s8
	v_readlane_b32 s8, v72, 21
	s_addc_u32 s9, s41, s8
	s_mov_b32 s8, s81
	s_cmp_lg_u64 s[8:9], 0
	s_cbranch_scc0 .LBB71_256
; %bb.216:                              ;   in Loop: Header=BB71_32 Depth=1
	s_add_u32 s28, s78, 0
	s_addc_u32 s29, 0, 0
	s_xor_b64 s[28:29], s[28:29], 0
	v_cvt_f32_u32_e32 v6, s28
	v_cvt_f32_u32_e32 v7, s29
	s_sub_u32 s8, 0, s28
	s_subb_u32 s43, 0, s29
	v_fmac_f32_e32 v6, 0x4f800000, v7
	v_rcp_f32_e32 v6, v6
	s_nop 0
	v_mul_f32_e32 v6, 0x5f7ffffc, v6
	v_mul_f32_e32 v7, 0x2f800000, v6
	v_trunc_f32_e32 v7, v7
	v_fmac_f32_e32 v6, 0xcf800000, v7
	v_cvt_u32_f32_e32 v7, v7
	v_cvt_u32_f32_e32 v6, v6
	v_readfirstlane_b32 s44, v7
	v_readfirstlane_b32 s34, v6
	s_mul_i32 s35, s8, s44
	s_mul_hi_u32 s46, s8, s34
	s_mul_i32 s45, s43, s34
	s_add_i32 s35, s46, s35
	s_mul_i32 s47, s8, s34
	s_add_i32 s35, s35, s45
	s_mul_i32 s46, s34, s35
	s_mul_hi_u32 s48, s34, s47
	s_mul_hi_u32 s45, s34, s35
	s_add_u32 s46, s48, s46
	s_addc_u32 s45, 0, s45
	s_mul_hi_u32 s49, s44, s47
	s_mul_i32 s47, s44, s47
	s_add_u32 s46, s46, s47
	s_mul_hi_u32 s48, s44, s35
	s_addc_u32 s45, s45, s49
	s_addc_u32 s46, s48, 0
	s_mul_i32 s35, s44, s35
	s_add_u32 s35, s45, s35
	s_addc_u32 s45, 0, s46
	s_add_u32 s46, s34, s35
	s_cselect_b64 s[34:35], -1, 0
	s_cmp_lg_u64 s[34:35], 0
	s_addc_u32 s44, s44, s45
	s_mul_i32 s34, s8, s44
	s_mul_hi_u32 s35, s8, s46
	s_add_i32 s34, s35, s34
	s_mul_i32 s43, s43, s46
	s_add_i32 s34, s34, s43
	s_mul_i32 s8, s8, s46
	s_mul_hi_u32 s43, s44, s8
	s_mul_i32 s45, s44, s8
	s_mul_i32 s48, s46, s34
	s_mul_hi_u32 s8, s46, s8
	s_mul_hi_u32 s47, s46, s34
	s_add_u32 s8, s8, s48
	s_addc_u32 s47, 0, s47
	s_add_u32 s8, s8, s45
	s_mul_hi_u32 s35, s44, s34
	s_addc_u32 s8, s47, s43
	s_addc_u32 s35, s35, 0
	s_mul_i32 s34, s44, s34
	s_add_u32 s8, s8, s34
	s_addc_u32 s43, 0, s35
	s_add_u32 s8, s46, s8
	s_cselect_b64 s[34:35], -1, 0
	s_cmp_lg_u64 s[34:35], 0
	s_addc_u32 s43, s44, s43
	s_ashr_i32 s34, s9, 31
	s_add_u32 s44, s42, s34
	s_mov_b32 s35, s34
	s_addc_u32 s45, s9, s34
	s_xor_b64 s[44:45], s[44:45], s[34:35]
	s_mul_i32 s47, s44, s43
	s_mul_hi_u32 s48, s44, s8
	s_mul_hi_u32 s46, s44, s43
	s_add_u32 s47, s48, s47
	s_addc_u32 s46, 0, s46
	s_mul_hi_u32 s49, s45, s8
	s_mul_i32 s8, s45, s8
	s_add_u32 s8, s47, s8
	s_mul_hi_u32 s48, s45, s43
	s_addc_u32 s8, s46, s49
	s_addc_u32 s46, s48, 0
	s_mul_i32 s43, s45, s43
	s_add_u32 s8, s8, s43
	s_addc_u32 s43, 0, s46
	s_mul_i32 s43, s28, s43
	s_mul_hi_u32 s46, s28, s8
	s_add_i32 s43, s46, s43
	s_mul_i32 s46, s29, s8
	s_add_i32 s43, s43, s46
	s_sub_i32 s48, s45, s43
	s_mul_i32 s8, s28, s8
	s_sub_u32 s8, s44, s8
	s_cselect_b64 s[46:47], -1, 0
	s_cmp_lg_u64 s[46:47], 0
	s_subb_u32 s44, s48, s29
	s_sub_u32 s50, s8, s28
	s_cselect_b64 s[48:49], -1, 0
	s_cmp_lg_u64 s[48:49], 0
	s_subb_u32 s51, s44, 0
	s_cmp_ge_u32 s51, s29
	s_cselect_b32 s53, -1, 0
	s_cmp_ge_u32 s50, s28
	s_cselect_b32 s54, -1, 0
	s_cmp_eq_u32 s51, s29
	s_cselect_b32 s53, s54, s53
	s_cmp_lg_u64 s[48:49], 0
	s_subb_u32 s44, s44, s29
	s_sub_u32 s54, s50, s28
	s_cselect_b64 s[48:49], -1, 0
	s_cmp_lg_u64 s[48:49], 0
	s_subb_u32 s44, s44, 0
	s_cmp_lg_u32 s53, 0
	s_cselect_b32 s48, s54, s50
	s_cselect_b32 s44, s44, s51
	s_cmp_lg_u64 s[46:47], 0
	s_subb_u32 s43, s45, s43
	s_cmp_ge_u32 s43, s29
	s_cselect_b32 s45, -1, 0
	s_cmp_ge_u32 s8, s28
	s_cselect_b32 s28, -1, 0
	s_cmp_eq_u32 s43, s29
	s_cselect_b32 s28, s28, s45
	s_cmp_lg_u32 s28, 0
	s_cselect_b32 s29, s44, s43
	s_cselect_b32 s28, s48, s8
	s_xor_b64 s[28:29], s[28:29], s[34:35]
	s_sub_u32 s28, s28, s34
	v_readlane_b32 s50, v72, 48
	v_readlane_b32 s49, v72, 47
	;; [unrolled: 1-line block ×4, first 2 shown]
	s_subb_u32 s29, s29, s34
	s_cbranch_execnz .LBB71_218
.LBB71_217:                             ;   in Loop: Header=BB71_32 Depth=1
	v_cvt_f32_u32_e32 v6, s78
	s_sub_i32 s8, 0, s78
	v_rcp_iflag_f32_e32 v6, v6
	s_nop 0
	v_mul_f32_e32 v6, 0x4f7ffffe, v6
	v_cvt_u32_f32_e32 v6, v6
	s_nop 0
	v_readfirstlane_b32 s28, v6
	s_mul_i32 s8, s8, s28
	s_mul_hi_u32 s8, s28, s8
	s_add_i32 s28, s28, s8
	s_mul_hi_u32 s8, s42, s28
	s_mul_i32 s8, s8, s78
	s_sub_i32 s8, s42, s8
	s_sub_i32 s28, s8, s78
	s_cmp_ge_u32 s8, s78
	s_cselect_b32 s8, s28, s8
	s_sub_i32 s28, s8, s78
	s_cmp_ge_u32 s8, s78
	s_cselect_b32 s80, s28, s8
	s_mov_b64 s[28:29], s[80:81]
.LBB71_218:                             ;   in Loop: Header=BB71_32 Depth=1
	s_sub_u32 s28, s42, s28
	s_subb_u32 s29, s9, s29
	v_cmp_gt_i64_e32 vcc, s[28:29], v[0:1]
                                        ; implicit-def: $vgpr59
	s_and_saveexec_b64 s[8:9], vcc
	s_cbranch_execz .LBB71_227
; %bb.219:                              ;   in Loop: Header=BB71_32 Depth=1
	s_mov_b64 s[34:35], 0
	v_mov_b32_e32 v8, v49
	v_mov_b64_e32 v[6:7], v[0:1]
                                        ; implicit-def: $sgpr42_sgpr43
	s_branch .LBB71_222
.LBB71_220:                             ;   in Loop: Header=BB71_222 Depth=2
	s_or_b64 exec, exec, s[44:45]
	s_waitcnt lgkmcnt(0)
	s_barrier
	ds_read_b32 v9, v3 offset:3072
	s_mov_b64 s[44:45], -1
	s_mov_b64 s[46:47], -1
	s_waitcnt lgkmcnt(0)
	s_barrier
	v_and_b32_e32 v10, 0x7fff, v9
	v_cmp_eq_u32_e32 vcc, 0, v10
	s_cbranch_vccnz .LBB71_225
.LBB71_221:                             ;   in Loop: Header=BB71_222 Depth=2
	s_and_b64 s[44:45], exec, s[44:45]
	s_or_b64 s[34:35], s[44:45], s[34:35]
	s_andn2_b64 s[42:43], s[42:43], exec
	s_and_b64 s[44:45], s[46:47], exec
	s_or_b64 s[42:43], s[42:43], s[44:45]
	s_andn2_b64 exec, exec, s[34:35]
	s_cbranch_execz .LBB71_226
.LBB71_222:                             ;   Parent Loop BB71_32 Depth=1
                                        ; =>  This Inner Loop Header: Depth=2
	v_cmp_gt_u64_e32 vcc, s[40:41], v[6:7]
	s_and_saveexec_b64 s[44:45], vcc
	s_cbranch_execz .LBB71_220
; %bb.223:                              ;   in Loop: Header=BB71_222 Depth=2
	ds_read_u16 v9, v8
	s_waitcnt lgkmcnt(0)
	v_cmp_lt_i16_e32 vcc, -1, v9
	v_lshlrev_b32_e32 v10, 16, v9
	s_nop 0
	v_cndmask_b32_e32 v11, v55, v56, vcc
	v_xor_b32_sdwa v11, v11, v9 dst_sel:DWORD dst_unused:UNUSED_PAD src0_sel:DWORD src1_sel:WORD_0
	v_cmp_o_f32_e32 vcc, v10, v10
	s_nop 1
	v_cndmask_b32_e32 v10, v55, v11, vcc
	v_and_b32_e32 v10, v10, v58
	v_cmp_eq_u32_e32 vcc, v10, v54
	s_and_b64 exec, exec, vcc
	s_cbranch_execz .LBB71_220
; %bb.224:                              ;   in Loop: Header=BB71_222 Depth=2
	v_perm_b32 v9, v9, s92, v57
	ds_write_b32 v3, v9 offset:3072
	s_branch .LBB71_220
.LBB71_225:                             ;   in Loop: Header=BB71_222 Depth=2
	v_lshl_add_u64 v[6:7], v[6:7], 0, s[78:79]
	v_cmp_le_i64_e32 vcc, s[28:29], v[6:7]
	v_add_u32_e32 v8, s90, v8
	s_mov_b64 s[46:47], 0
	s_orn2_b64 s[44:45], vcc, exec
	s_branch .LBB71_221
.LBB71_226:                             ;   in Loop: Header=BB71_32 Depth=1
	s_or_b64 exec, exec, s[34:35]
	s_andn2_b64 s[6:7], s[6:7], exec
	s_and_b64 s[28:29], s[42:43], exec
	v_lshrrev_b32_e32 v59, 16, v9
	s_or_b64 s[6:7], s[6:7], s[28:29]
.LBB71_227:                             ;   in Loop: Header=BB71_32 Depth=1
	s_or_b64 exec, exec, s[8:9]
	s_mov_b64 s[28:29], 0
	s_mov_b64 s[34:35], -1
.LBB71_228:                             ;   in Loop: Header=BB71_32 Depth=1
	s_orn2_b64 s[6:7], s[6:7], exec
.LBB71_229:                             ;   in Loop: Header=BB71_32 Depth=1
	s_or_b64 exec, exec, s[36:37]
	s_mov_b64 s[8:9], 0
	s_and_saveexec_b64 s[36:37], s[6:7]
	s_cbranch_execz .LBB71_287
; %bb.230:                              ;   in Loop: Header=BB71_32 Depth=1
	s_xor_b64 s[38:39], s[38:39], -1
	v_mov_b32_e32 v2, 1
	v_mov_b64_e32 v[6:7], 1
	s_and_saveexec_b64 s[6:7], s[38:39]
	s_cbranch_execz .LBB71_239
; %bb.231:                              ;   in Loop: Header=BB71_32 Depth=1
	v_cmp_ge_i64_e32 vcc, s[22:23], v[4:5]
	s_and_saveexec_b64 s[8:9], vcc
	s_xor_b64 s[8:9], exec, s[8:9]
	s_cbranch_execz .LBB71_236
; %bb.232:                              ;   in Loop: Header=BB71_32 Depth=1
	ds_read_b64 v[6:7], v3 offset:5120
	v_and_b32_e32 v2, s52, v54
	v_lshl_or_b32 v54, 2, s65, v2
	v_or_b32_e32 v58, s72, v58
	s_waitcnt lgkmcnt(0)
	v_cmp_ne_u64_e32 vcc, 0, v[6:7]
	s_cbranch_vccnz .LBB71_236
; %bb.233:                              ;   in Loop: Header=BB71_32 Depth=1
	s_mov_b64 s[38:39], exec
	v_readlane_b32 s40, v72, 10
	v_readlane_b32 s41, v72, 11
	s_and_b64 s[40:41], s[38:39], s[40:41]
	s_mov_b64 exec, s[40:41]
; %bb.234:                              ;   in Loop: Header=BB71_32 Depth=1
	v_mov_b64_e32 v[6:7], s[22:23]
	ds_write_b64 v3, v[6:7] offset:5128
; %bb.235:                              ;   in Loop: Header=BB71_32 Depth=1
	s_or_b64 exec, exec, s[38:39]
	s_waitcnt lgkmcnt(0)
	s_barrier
.LBB71_236:                             ;   in Loop: Header=BB71_32 Depth=1
	s_or_saveexec_b64 s[8:9], s[8:9]
	s_mov_b64 s[38:39], 0
	v_mov_b32_e32 v2, 8
	s_xor_b64 exec, exec, s[8:9]
; %bb.237:                              ;   in Loop: Header=BB71_32 Depth=1
	v_mov_b32_e32 v2, s23
	v_subrev_co_u32_e32 v4, vcc, s22, v4
	s_mov_b64 s[38:39], exec
	s_nop 0
	v_subb_co_u32_e32 v5, vcc, v5, v2, vcc
	v_mov_b32_e32 v2, 0
; %bb.238:                              ;   in Loop: Header=BB71_32 Depth=1
	s_or_b64 exec, exec, s[8:9]
	s_and_b64 s[8:9], s[38:39], exec
	v_mov_b64_e32 v[6:7], v[4:5]
.LBB71_239:                             ;   in Loop: Header=BB71_32 Depth=1
	s_or_b64 exec, exec, s[6:7]
	s_mov_b64 s[6:7], -1
                                        ; implicit-def: $sgpr46_sgpr47
                                        ; implicit-def: $sgpr44_sgpr45
	s_and_saveexec_b64 s[22:23], s[8:9]
	s_cbranch_execz .LBB71_286
; %bb.240:                              ;   in Loop: Header=BB71_32 Depth=1
	s_cmp_eq_u64 s[14:15], 1
	s_cselect_b64 s[6:7], -1, 0
	v_cmp_eq_u64_e32 vcc, 1, v[6:7]
	s_and_b64 s[38:39], s[6:7], vcc
	s_mov_b64 s[8:9], -1
                                        ; implicit-def: $sgpr46_sgpr47
                                        ; implicit-def: $sgpr44_sgpr45
	s_and_saveexec_b64 s[40:41], s[38:39]
	s_cbranch_execz .LBB71_274
; %bb.241:                              ;   in Loop: Header=BB71_32 Depth=1
	ds_read_b64 v[4:5], v3 offset:5120
	s_waitcnt lgkmcnt(0)
	s_barrier
	v_readfirstlane_b32 s42, v4
	v_readfirstlane_b32 s43, v5
	s_mov_b64 s[6:7], exec
	v_readlane_b32 s8, v72, 12
	v_readlane_b32 s9, v72, 13
	s_and_b64 s[8:9], s[6:7], s[8:9]
	s_mov_b64 exec, s[8:9]
; %bb.242:                              ;   in Loop: Header=BB71_32 Depth=1
	ds_write_b16 v50, v3
; %bb.243:                              ;   in Loop: Header=BB71_32 Depth=1
	s_or_b64 exec, exec, s[6:7]
	v_cmp_gt_i64_e64 s[6:7], s[42:43], 0
	v_or_b32_e32 v54, s72, v54
	v_or_b32_e32 v58, s72, v58
	s_mov_b64 s[44:45], -1
	s_mov_b64 s[46:47], 0
	s_and_b64 vcc, exec, s[6:7]
	s_mov_b64 s[6:7], 0
	s_mov_b64 s[8:9], -1
	s_waitcnt lgkmcnt(0)
	s_barrier
                                        ; implicit-def: $vgpr59
	s_cbranch_vccnz .LBB71_259
; %bb.244:                              ;   in Loop: Header=BB71_32 Depth=1
	s_mov_b32 s96, s81
	s_cmp_lg_u64 s[96:97], 0
	s_cbranch_scc0 .LBB71_293
; %bb.245:                              ;   in Loop: Header=BB71_32 Depth=1
	s_add_u32 s6, s78, 0
	s_addc_u32 s7, 0, 0
	s_xor_b64 s[6:7], s[6:7], 0
	v_cvt_f32_u32_e32 v4, s6
	v_cvt_f32_u32_e32 v5, s7
	s_sub_u32 s48, 0, s6
	s_subb_u32 s49, 0, s7
	v_fmac_f32_e32 v4, 0x4f800000, v5
	v_rcp_f32_e32 v4, v4
	s_nop 0
	v_mul_f32_e32 v4, 0x5f7ffffc, v4
	v_mul_f32_e32 v5, 0x2f800000, v4
	v_trunc_f32_e32 v5, v5
	v_fmac_f32_e32 v4, 0xcf800000, v5
	v_cvt_u32_f32_e32 v5, v5
	v_cvt_u32_f32_e32 v4, v4
	v_readfirstlane_b32 s50, v5
	v_readfirstlane_b32 s8, v4
	s_mul_i32 s9, s48, s50
	s_mul_hi_u32 s52, s48, s8
	s_mul_i32 s51, s49, s8
	s_add_i32 s9, s52, s9
	s_mul_i32 s53, s48, s8
	s_add_i32 s9, s9, s51
	s_mul_i32 s52, s8, s9
	s_mul_hi_u32 s54, s8, s53
	s_mul_hi_u32 s51, s8, s9
	s_add_u32 s52, s54, s52
	s_addc_u32 s51, 0, s51
	s_mul_hi_u32 s55, s50, s53
	s_mul_i32 s53, s50, s53
	s_add_u32 s52, s52, s53
	s_mul_hi_u32 s54, s50, s9
	s_addc_u32 s51, s51, s55
	s_addc_u32 s52, s54, 0
	s_mul_i32 s9, s50, s9
	s_add_u32 s9, s51, s9
	s_addc_u32 s51, 0, s52
	s_add_u32 s52, s8, s9
	s_cselect_b64 s[8:9], -1, 0
	s_cmp_lg_u64 s[8:9], 0
	s_addc_u32 s50, s50, s51
	s_mul_i32 s8, s48, s50
	s_mul_hi_u32 s9, s48, s52
	s_add_i32 s8, s9, s8
	s_mul_i32 s49, s49, s52
	s_add_i32 s8, s8, s49
	s_mul_i32 s48, s48, s52
	s_mul_hi_u32 s49, s50, s48
	s_mul_i32 s51, s50, s48
	s_mul_i32 s54, s52, s8
	s_mul_hi_u32 s48, s52, s48
	s_mul_hi_u32 s53, s52, s8
	s_add_u32 s48, s48, s54
	s_addc_u32 s53, 0, s53
	s_add_u32 s48, s48, s51
	s_mul_hi_u32 s9, s50, s8
	s_addc_u32 s48, s53, s49
	s_addc_u32 s9, s9, 0
	s_mul_i32 s8, s50, s8
	s_add_u32 s8, s48, s8
	s_addc_u32 s48, 0, s9
	s_add_u32 s51, s52, s8
	s_cselect_b64 s[8:9], -1, 0
	s_cmp_lg_u64 s[8:9], 0
	s_addc_u32 s50, s50, s48
	s_ashr_i32 s8, s97, 31
	s_add_u32 s48, s93, s8
	s_mov_b32 s9, s8
	s_addc_u32 s49, s97, s8
	s_xor_b64 s[48:49], s[48:49], s[8:9]
	s_mul_i32 s53, s48, s50
	s_mul_hi_u32 s54, s48, s51
	s_mul_hi_u32 s52, s48, s50
	s_add_u32 s53, s54, s53
	s_addc_u32 s52, 0, s52
	s_mul_hi_u32 s55, s49, s51
	s_mul_i32 s51, s49, s51
	s_add_u32 s51, s53, s51
	s_mul_hi_u32 s54, s49, s50
	s_addc_u32 s51, s52, s55
	s_addc_u32 s52, s54, 0
	s_mul_i32 s50, s49, s50
	s_add_u32 s50, s51, s50
	s_addc_u32 s51, 0, s52
	s_mul_i32 s51, s6, s51
	s_mul_hi_u32 s52, s6, s50
	s_add_i32 s51, s52, s51
	s_mul_i32 s52, s7, s50
	s_add_i32 s54, s51, s52
	s_sub_i32 s52, s49, s54
	s_mul_i32 s50, s6, s50
	s_sub_u32 s48, s48, s50
	s_cselect_b64 s[50:51], -1, 0
	s_cmp_lg_u64 s[50:51], 0
	s_subb_u32 s55, s52, s7
	s_sub_u32 s68, s48, s6
	s_cselect_b64 s[52:53], -1, 0
	s_cmp_lg_u64 s[52:53], 0
	s_subb_u32 s69, s55, 0
	s_cmp_ge_u32 s69, s7
	s_cselect_b32 s73, -1, 0
	s_cmp_ge_u32 s68, s6
	s_cselect_b32 s74, -1, 0
	s_cmp_eq_u32 s69, s7
	s_cselect_b32 s73, s74, s73
	s_cmp_lg_u64 s[52:53], 0
	s_subb_u32 s55, s55, s7
	s_sub_u32 s74, s68, s6
	s_cselect_b64 s[52:53], -1, 0
	s_cmp_lg_u64 s[52:53], 0
	s_subb_u32 s52, s55, 0
	s_cmp_lg_u32 s73, 0
	s_cselect_b32 s53, s74, s68
	s_cselect_b32 s52, s52, s69
	s_cmp_lg_u64 s[50:51], 0
	s_subb_u32 s49, s49, s54
	s_cmp_ge_u32 s49, s7
	s_cselect_b32 s50, -1, 0
	s_cmp_ge_u32 s48, s6
	s_cselect_b32 s6, -1, 0
	s_cmp_eq_u32 s49, s7
	s_cselect_b32 s6, s6, s50
	s_cmp_lg_u32 s6, 0
	s_cselect_b32 s7, s52, s49
	s_cselect_b32 s6, s53, s48
	s_xor_b64 s[6:7], s[6:7], s[8:9]
	s_sub_u32 s6, s6, s8
	s_subb_u32 s7, s7, s8
	s_cbranch_execnz .LBB71_247
.LBB71_246:                             ;   in Loop: Header=BB71_32 Depth=1
	v_cvt_f32_u32_e32 v4, s78
	s_sub_i32 s6, 0, s78
	v_rcp_iflag_f32_e32 v4, v4
	s_nop 0
	v_mul_f32_e32 v4, 0x4f7ffffe, v4
	v_cvt_u32_f32_e32 v4, v4
	s_nop 0
	v_readfirstlane_b32 s7, v4
	s_mul_i32 s6, s6, s7
	s_mul_hi_u32 s6, s7, s6
	s_add_i32 s7, s7, s6
	s_mul_hi_u32 s6, s93, s7
	s_mul_i32 s6, s6, s78
	s_sub_i32 s6, s93, s6
	s_sub_i32 s7, s6, s78
	s_cmp_ge_u32 s6, s78
	s_cselect_b32 s6, s7, s6
	s_sub_i32 s7, s6, s78
	s_cmp_ge_u32 s6, s78
	s_cselect_b32 s80, s7, s6
	s_mov_b64 s[6:7], s[80:81]
.LBB71_247:                             ;   in Loop: Header=BB71_32 Depth=1
	s_sub_u32 s50, s93, s6
	s_subb_u32 s51, s97, s7
	v_cmp_gt_i64_e32 vcc, s[50:51], v[0:1]
	s_mov_b64 s[8:9], 0
	s_mov_b64 s[6:7], 0
                                        ; implicit-def: $vgpr59
	s_and_saveexec_b64 s[48:49], vcc
	v_readlane_b32 s74, v72, 43
	v_readlane_b32 s75, v72, 44
	s_cbranch_execz .LBB71_258
; %bb.248:                              ;   in Loop: Header=BB71_32 Depth=1
	v_mov_b64_e32 v[4:5], v[12:13]
	v_mov_b64_e32 v[8:9], v[0:1]
                                        ; implicit-def: $sgpr52_sgpr53
	s_branch .LBB71_251
.LBB71_249:                             ;   in Loop: Header=BB71_251 Depth=2
	s_or_b64 exec, exec, s[54:55]
	s_waitcnt lgkmcnt(0)
	s_barrier
	ds_read_b32 v10, v3 offset:3072
	s_mov_b64 s[54:55], -1
	s_mov_b64 s[68:69], -1
	s_waitcnt lgkmcnt(0)
	s_barrier
	v_and_b32_e32 v11, 0x7fff, v10
	v_cmp_ne_u32_e32 vcc, 0, v11
	s_cbranch_vccz .LBB71_254
.LBB71_250:                             ;   in Loop: Header=BB71_251 Depth=2
	s_and_b64 s[54:55], exec, s[54:55]
	s_or_b64 s[6:7], s[54:55], s[6:7]
	s_andn2_b64 s[52:53], s[52:53], exec
	s_and_b64 s[54:55], s[68:69], exec
	s_or_b64 s[52:53], s[52:53], s[54:55]
	s_andn2_b64 exec, exec, s[6:7]
	s_cbranch_execz .LBB71_257
.LBB71_251:                             ;   Parent Loop BB71_32 Depth=1
                                        ; =>  This Inner Loop Header: Depth=2
	v_cmp_gt_i64_e32 vcc, s[56:57], v[8:9]
	s_and_saveexec_b64 s[54:55], vcc
	s_cbranch_execz .LBB71_249
; %bb.252:                              ;   in Loop: Header=BB71_251 Depth=2
	global_load_ushort v10, v[4:5], off
	s_waitcnt vmcnt(0)
	v_cmp_lt_i16_e32 vcc, -1, v10
	v_lshlrev_b32_e32 v11, 16, v10
	s_nop 0
	v_cndmask_b32_e32 v36, v55, v56, vcc
	v_xor_b32_sdwa v36, v36, v10 dst_sel:DWORD dst_unused:UNUSED_PAD src0_sel:DWORD src1_sel:WORD_0
	v_cmp_o_f32_e32 vcc, v11, v11
	s_nop 1
	v_cndmask_b32_e32 v11, v55, v36, vcc
	v_and_b32_e32 v11, v11, v58
	v_cmp_eq_u32_e32 vcc, v11, v54
	s_and_b64 exec, exec, vcc
	s_cbranch_execz .LBB71_249
; %bb.253:                              ;   in Loop: Header=BB71_251 Depth=2
	v_perm_b32 v10, v10, s92, v57
	ds_write_b32 v3, v10 offset:3072
	s_branch .LBB71_249
.LBB71_254:                             ;   in Loop: Header=BB71_251 Depth=2
	v_lshl_add_u64 v[8:9], v[8:9], 0, s[78:79]
	v_cmp_le_i64_e32 vcc, s[50:51], v[8:9]
	v_lshl_add_u64 v[4:5], v[4:5], 0, s[94:95]
	s_mov_b64 s[68:69], 0
	s_orn2_b64 s[54:55], vcc, exec
	s_branch .LBB71_250
.LBB71_255:                             ;   in Loop: Header=BB71_32 Depth=1
                                        ; implicit-def: $sgpr6_sgpr7
	s_andn2_b64 vcc, exec, s[8:9]
	s_cbranch_vccz .LBB71_201
	s_branch .LBB71_202
.LBB71_256:                             ;   in Loop: Header=BB71_32 Depth=1
                                        ; implicit-def: $sgpr28_sgpr29
	s_branch .LBB71_217
.LBB71_257:                             ;   in Loop: Header=BB71_32 Depth=1
	s_or_b64 exec, exec, s[6:7]
	v_lshrrev_b32_e32 v59, 16, v10
	s_and_b64 s[6:7], s[52:53], exec
.LBB71_258:                             ;   in Loop: Header=BB71_32 Depth=1
	s_or_b64 exec, exec, s[48:49]
	v_readlane_b32 s55, v72, 45
	v_readlane_b32 s54, v72, 46
	;; [unrolled: 1-line block ×5, first 2 shown]
.LBB71_259:                             ;   in Loop: Header=BB71_32 Depth=1
	s_and_b64 vcc, exec, s[8:9]
	s_cbranch_vccz .LBB71_273
; %bb.260:                              ;   in Loop: Header=BB71_32 Depth=1
	v_readlane_b32 s8, v72, 20
	s_add_u32 s48, s42, s8
	v_readlane_b32 s8, v72, 21
	s_addc_u32 s9, s43, s8
	s_mov_b32 s8, s81
	s_cmp_lg_u64 s[8:9], 0
	s_cbranch_scc0 .LBB71_294
; %bb.261:                              ;   in Loop: Header=BB71_32 Depth=1
	s_add_u32 s44, s78, 0
	s_addc_u32 s45, 0, 0
	s_xor_b64 s[44:45], s[44:45], 0
	v_cvt_f32_u32_e32 v4, s44
	v_cvt_f32_u32_e32 v5, s45
	s_sub_u32 s8, 0, s44
	s_subb_u32 s49, 0, s45
	v_fmac_f32_e32 v4, 0x4f800000, v5
	v_rcp_f32_e32 v4, v4
	s_nop 0
	v_mul_f32_e32 v4, 0x5f7ffffc, v4
	v_mul_f32_e32 v5, 0x2f800000, v4
	v_trunc_f32_e32 v5, v5
	v_fmac_f32_e32 v4, 0xcf800000, v5
	v_cvt_u32_f32_e32 v5, v5
	v_cvt_u32_f32_e32 v4, v4
	v_readfirstlane_b32 s50, v5
	v_readfirstlane_b32 s46, v4
	s_mul_i32 s47, s8, s50
	s_mul_hi_u32 s52, s8, s46
	s_mul_i32 s51, s49, s46
	s_add_i32 s47, s52, s47
	s_mul_i32 s53, s8, s46
	s_add_i32 s47, s47, s51
	s_mul_i32 s52, s46, s47
	s_mul_hi_u32 s54, s46, s53
	s_mul_hi_u32 s51, s46, s47
	s_add_u32 s52, s54, s52
	s_addc_u32 s51, 0, s51
	s_mul_hi_u32 s55, s50, s53
	s_mul_i32 s53, s50, s53
	s_add_u32 s52, s52, s53
	s_mul_hi_u32 s54, s50, s47
	s_addc_u32 s51, s51, s55
	s_addc_u32 s52, s54, 0
	s_mul_i32 s47, s50, s47
	s_add_u32 s47, s51, s47
	s_addc_u32 s51, 0, s52
	s_add_u32 s52, s46, s47
	s_cselect_b64 s[46:47], -1, 0
	s_cmp_lg_u64 s[46:47], 0
	s_addc_u32 s50, s50, s51
	s_mul_i32 s46, s8, s50
	s_mul_hi_u32 s47, s8, s52
	s_add_i32 s46, s47, s46
	s_mul_i32 s49, s49, s52
	s_add_i32 s46, s46, s49
	s_mul_i32 s8, s8, s52
	s_mul_hi_u32 s49, s50, s8
	s_mul_i32 s51, s50, s8
	s_mul_i32 s54, s52, s46
	s_mul_hi_u32 s8, s52, s8
	s_mul_hi_u32 s53, s52, s46
	s_add_u32 s8, s8, s54
	s_addc_u32 s53, 0, s53
	s_add_u32 s8, s8, s51
	s_mul_hi_u32 s47, s50, s46
	s_addc_u32 s8, s53, s49
	s_addc_u32 s47, s47, 0
	s_mul_i32 s46, s50, s46
	s_add_u32 s8, s8, s46
	s_addc_u32 s49, 0, s47
	s_add_u32 s8, s52, s8
	s_cselect_b64 s[46:47], -1, 0
	s_cmp_lg_u64 s[46:47], 0
	s_addc_u32 s49, s50, s49
	s_ashr_i32 s46, s9, 31
	s_add_u32 s50, s48, s46
	s_mov_b32 s47, s46
	s_addc_u32 s51, s9, s46
	s_xor_b64 s[50:51], s[50:51], s[46:47]
	s_mul_i32 s53, s50, s49
	s_mul_hi_u32 s54, s50, s8
	s_mul_hi_u32 s52, s50, s49
	s_add_u32 s53, s54, s53
	s_addc_u32 s52, 0, s52
	s_mul_hi_u32 s55, s51, s8
	s_mul_i32 s8, s51, s8
	s_add_u32 s8, s53, s8
	s_mul_hi_u32 s54, s51, s49
	s_addc_u32 s8, s52, s55
	s_addc_u32 s52, s54, 0
	s_mul_i32 s49, s51, s49
	s_add_u32 s8, s8, s49
	s_addc_u32 s49, 0, s52
	s_mul_i32 s49, s44, s49
	s_mul_hi_u32 s52, s44, s8
	s_add_i32 s49, s52, s49
	s_mul_i32 s52, s45, s8
	s_add_i32 s49, s49, s52
	s_sub_i32 s54, s51, s49
	s_mul_i32 s8, s44, s8
	s_sub_u32 s8, s50, s8
	s_cselect_b64 s[52:53], -1, 0
	s_cmp_lg_u64 s[52:53], 0
	s_subb_u32 s50, s54, s45
	s_sub_u32 s68, s8, s44
	s_cselect_b64 s[54:55], -1, 0
	s_cmp_lg_u64 s[54:55], 0
	s_subb_u32 s69, s50, 0
	s_cmp_ge_u32 s69, s45
	s_cselect_b32 s73, -1, 0
	s_cmp_ge_u32 s68, s44
	s_cselect_b32 s74, -1, 0
	s_cmp_eq_u32 s69, s45
	s_cselect_b32 s73, s74, s73
	s_cmp_lg_u64 s[54:55], 0
	s_subb_u32 s50, s50, s45
	s_sub_u32 s74, s68, s44
	s_cselect_b64 s[54:55], -1, 0
	s_cmp_lg_u64 s[54:55], 0
	s_subb_u32 s50, s50, 0
	s_cmp_lg_u32 s73, 0
	s_cselect_b32 s54, s74, s68
	s_cselect_b32 s50, s50, s69
	s_cmp_lg_u64 s[52:53], 0
	s_subb_u32 s49, s51, s49
	s_cmp_ge_u32 s49, s45
	s_cselect_b32 s51, -1, 0
	s_cmp_ge_u32 s8, s44
	s_cselect_b32 s44, -1, 0
	s_cmp_eq_u32 s49, s45
	s_cselect_b32 s44, s44, s51
	s_cmp_lg_u32 s44, 0
	s_cselect_b32 s45, s50, s49
	s_cselect_b32 s44, s54, s8
	s_xor_b64 s[44:45], s[44:45], s[46:47]
	v_readlane_b32 s74, v72, 43
	s_sub_u32 s44, s44, s46
	v_readlane_b32 s55, v72, 45
	v_readlane_b32 s75, v72, 44
	;; [unrolled: 1-line block ×6, first 2 shown]
	s_subb_u32 s45, s45, s46
	s_cbranch_execnz .LBB71_263
.LBB71_262:                             ;   in Loop: Header=BB71_32 Depth=1
	v_cvt_f32_u32_e32 v4, s78
	s_sub_i32 s8, 0, s78
	v_rcp_iflag_f32_e32 v4, v4
	s_nop 0
	v_mul_f32_e32 v4, 0x4f7ffffe, v4
	v_cvt_u32_f32_e32 v4, v4
	s_nop 0
	v_readfirstlane_b32 s44, v4
	s_mul_i32 s8, s8, s44
	s_mul_hi_u32 s8, s44, s8
	s_add_i32 s44, s44, s8
	s_mul_hi_u32 s8, s48, s44
	s_mul_i32 s8, s8, s78
	s_sub_i32 s8, s48, s8
	s_sub_i32 s44, s8, s78
	s_cmp_ge_u32 s8, s78
	s_cselect_b32 s8, s44, s8
	s_sub_i32 s44, s8, s78
	s_cmp_ge_u32 s8, s78
	s_cselect_b32 s80, s44, s8
	s_mov_b64 s[44:45], s[80:81]
.LBB71_263:                             ;   in Loop: Header=BB71_32 Depth=1
	s_sub_u32 s44, s48, s44
	s_subb_u32 s45, s9, s45
	v_cmp_gt_i64_e32 vcc, s[44:45], v[0:1]
                                        ; implicit-def: $vgpr59
	s_and_saveexec_b64 s[8:9], vcc
	s_cbranch_execz .LBB71_272
; %bb.264:                              ;   in Loop: Header=BB71_32 Depth=1
	s_mov_b64 s[46:47], 0
	v_mov_b32_e32 v8, v49
	v_mov_b64_e32 v[4:5], v[0:1]
                                        ; implicit-def: $sgpr48_sgpr49
	s_branch .LBB71_267
.LBB71_265:                             ;   in Loop: Header=BB71_267 Depth=2
	s_or_b64 exec, exec, s[50:51]
	s_waitcnt lgkmcnt(0)
	s_barrier
	ds_read_b32 v9, v3 offset:3072
	s_mov_b64 s[50:51], -1
	s_mov_b64 s[52:53], -1
	s_waitcnt lgkmcnt(0)
	s_barrier
	v_and_b32_e32 v10, 0x7fff, v9
	v_cmp_eq_u32_e32 vcc, 0, v10
	s_cbranch_vccnz .LBB71_270
.LBB71_266:                             ;   in Loop: Header=BB71_267 Depth=2
	s_and_b64 s[50:51], exec, s[50:51]
	s_or_b64 s[46:47], s[50:51], s[46:47]
	s_andn2_b64 s[48:49], s[48:49], exec
	s_and_b64 s[50:51], s[52:53], exec
	s_or_b64 s[48:49], s[48:49], s[50:51]
	s_andn2_b64 exec, exec, s[46:47]
	s_cbranch_execz .LBB71_271
.LBB71_267:                             ;   Parent Loop BB71_32 Depth=1
                                        ; =>  This Inner Loop Header: Depth=2
	v_cmp_gt_u64_e32 vcc, s[42:43], v[4:5]
	s_and_saveexec_b64 s[50:51], vcc
	s_cbranch_execz .LBB71_265
; %bb.268:                              ;   in Loop: Header=BB71_267 Depth=2
	ds_read_u16 v9, v8
	s_waitcnt lgkmcnt(0)
	v_cmp_lt_i16_e32 vcc, -1, v9
	v_lshlrev_b32_e32 v10, 16, v9
	s_nop 0
	v_cndmask_b32_e32 v11, v55, v56, vcc
	v_xor_b32_sdwa v11, v11, v9 dst_sel:DWORD dst_unused:UNUSED_PAD src0_sel:DWORD src1_sel:WORD_0
	v_cmp_o_f32_e32 vcc, v10, v10
	s_nop 1
	v_cndmask_b32_e32 v10, v55, v11, vcc
	v_and_b32_e32 v10, v10, v58
	v_cmp_eq_u32_e32 vcc, v10, v54
	s_and_b64 exec, exec, vcc
	s_cbranch_execz .LBB71_265
; %bb.269:                              ;   in Loop: Header=BB71_267 Depth=2
	v_perm_b32 v9, v9, s92, v57
	ds_write_b32 v3, v9 offset:3072
	s_branch .LBB71_265
.LBB71_270:                             ;   in Loop: Header=BB71_267 Depth=2
	v_lshl_add_u64 v[4:5], v[4:5], 0, s[78:79]
	v_cmp_le_i64_e32 vcc, s[44:45], v[4:5]
	v_add_u32_e32 v8, s90, v8
	s_mov_b64 s[52:53], 0
	s_orn2_b64 s[50:51], vcc, exec
	s_branch .LBB71_266
.LBB71_271:                             ;   in Loop: Header=BB71_32 Depth=1
	s_or_b64 exec, exec, s[46:47]
	s_andn2_b64 s[6:7], s[6:7], exec
	s_and_b64 s[42:43], s[48:49], exec
	v_lshrrev_b32_e32 v59, 16, v9
	s_or_b64 s[6:7], s[6:7], s[42:43]
	v_readlane_b32 s49, v72, 47
	v_readlane_b32 s50, v72, 48
	;; [unrolled: 1-line block ×3, first 2 shown]
.LBB71_272:                             ;   in Loop: Header=BB71_32 Depth=1
	s_or_b64 exec, exec, s[8:9]
	s_mov_b64 s[44:45], 0
	s_mov_b64 s[46:47], -1
.LBB71_273:                             ;   in Loop: Header=BB71_32 Depth=1
	s_orn2_b64 s[8:9], s[6:7], exec
.LBB71_274:                             ;   in Loop: Header=BB71_32 Depth=1
	s_or_b64 exec, exec, s[40:41]
	s_mov_b64 s[40:41], 0
	s_and_saveexec_b64 s[6:7], s[8:9]
	s_cbranch_execz .LBB71_285
; %bb.275:                              ;   in Loop: Header=BB71_32 Depth=1
	s_xor_b64 s[38:39], s[38:39], -1
	v_mov_b64_e32 v[4:5], 1
	v_mov_b32_e32 v2, 1
	s_and_saveexec_b64 s[8:9], s[38:39]
	s_cbranch_execz .LBB71_284
; %bb.276:                              ;   in Loop: Header=BB71_32 Depth=1
	v_cmp_ge_i64_e32 vcc, s[14:15], v[6:7]
	s_and_saveexec_b64 s[38:39], vcc
	s_xor_b64 s[38:39], exec, s[38:39]
	s_cbranch_execz .LBB71_281
; %bb.277:                              ;   in Loop: Header=BB71_32 Depth=1
	ds_read_b64 v[4:5], v3 offset:5120
	v_or_b32_e32 v54, s72, v54
	v_or_b32_e32 v58, s72, v58
	s_waitcnt lgkmcnt(0)
	v_cmp_ne_u64_e32 vcc, 0, v[4:5]
	s_cbranch_vccnz .LBB71_281
; %bb.278:                              ;   in Loop: Header=BB71_32 Depth=1
	s_mov_b64 s[40:41], exec
	v_readlane_b32 s42, v72, 10
	v_readlane_b32 s43, v72, 11
	s_and_b64 s[42:43], s[40:41], s[42:43]
	s_mov_b64 exec, s[42:43]
; %bb.279:                              ;   in Loop: Header=BB71_32 Depth=1
	v_mov_b64_e32 v[4:5], s[14:15]
	ds_write_b64 v3, v[4:5] offset:5128
; %bb.280:                              ;   in Loop: Header=BB71_32 Depth=1
	s_or_b64 exec, exec, s[40:41]
	s_waitcnt lgkmcnt(0)
	s_barrier
.LBB71_281:                             ;   in Loop: Header=BB71_32 Depth=1
	s_andn2_saveexec_b64 s[38:39], s[38:39]
; %bb.282:                              ;   in Loop: Header=BB71_32 Depth=1
	v_mov_b32_e32 v2, s15
	v_subrev_co_u32_e32 v6, vcc, s14, v6
	s_nop 1
	v_subb_co_u32_e32 v7, vcc, v7, v2, vcc
; %bb.283:                              ;   in Loop: Header=BB71_32 Depth=1
	s_or_b64 exec, exec, s[38:39]
	v_mov_b32_e32 v2, 8
	v_mov_b64_e32 v[4:5], v[6:7]
.LBB71_284:                             ;   in Loop: Header=BB71_32 Depth=1
	s_or_b64 exec, exec, s[8:9]
	s_mov_b64 s[40:41], exec
	v_mov_b64_e32 v[6:7], v[4:5]
.LBB71_285:                             ;   in Loop: Header=BB71_32 Depth=1
	s_or_b64 exec, exec, s[6:7]
	s_orn2_b64 s[6:7], s[40:41], exec
.LBB71_286:                             ;   in Loop: Header=BB71_32 Depth=1
	s_or_b64 exec, exec, s[22:23]
	s_andn2_b64 s[8:9], s[34:35], exec
	s_and_b64 s[14:15], s[46:47], exec
	s_or_b64 s[34:35], s[8:9], s[14:15]
	s_andn2_b64 s[8:9], s[28:29], exec
	s_and_b64 s[14:15], s[44:45], exec
	s_or_b64 s[28:29], s[8:9], s[14:15]
	s_and_b64 s[8:9], s[6:7], exec
	v_mov_b64_e32 v[4:5], v[6:7]
.LBB71_287:                             ;   in Loop: Header=BB71_32 Depth=1
	s_or_b64 exec, exec, s[36:37]
	s_orn2_b64 s[6:7], s[8:9], exec
.LBB71_288:                             ;   in Loop: Header=BB71_32 Depth=1
	s_or_b64 exec, exec, s[0:1]
	s_andn2_b64 s[0:1], s[24:25], exec
	s_and_b64 s[8:9], s[34:35], exec
	s_or_b64 s[24:25], s[0:1], s[8:9]
	s_andn2_b64 s[0:1], s[2:3], exec
	s_and_b64 s[2:3], s[28:29], exec
	s_or_b64 s[2:3], s[0:1], s[2:3]
	s_and_b64 s[8:9], s[6:7], exec
	v_mov_b64_e32 v[8:9], v[4:5]
.LBB71_289:                             ;   in Loop: Header=BB71_32 Depth=1
	s_or_b64 exec, exec, s[26:27]
	s_orn2_b64 s[0:1], s[8:9], exec
.LBB71_290:                             ;   in Loop: Header=BB71_32 Depth=1
	s_or_b64 exec, exec, s[20:21]
	s_mov_b64 s[6:7], 0
	s_and_saveexec_b64 s[8:9], s[0:1]
	s_xor_b64 s[0:1], exec, s[8:9]
	s_cbranch_execz .LBB71_30
; %bb.291:                              ;   in Loop: Header=BB71_32 Depth=1
	v_and_b32_e32 v2, 7, v2
	v_cmp_eq_u32_e32 vcc, 0, v2
	s_mov_b64 s[8:9], -1
	s_mov_b64 s[6:7], -1
	s_and_saveexec_b64 s[14:15], vcc
	s_cbranch_execz .LBB71_29
; %bb.292:                              ;   in Loop: Header=BB71_32 Depth=1
	v_readlane_b32 s6, v72, 38
	s_xor_b32 s6, s6, 1
	s_add_i32 s18, s65, -2
	s_cmp_eq_u32 s65, 0
	s_cselect_b64 s[8:9], -1, 0
	v_writelane_b32 v72, s6, 38
	s_xor_b64 s[6:7], exec, -1
	s_orn2_b64 s[8:9], s[8:9], exec
	s_mov_b32 s65, s18
	s_branch .LBB71_29
.LBB71_293:                             ;   in Loop: Header=BB71_32 Depth=1
                                        ; implicit-def: $sgpr6_sgpr7
	s_andn2_b64 vcc, exec, s[8:9]
	s_cbranch_vccz .LBB71_246
	s_branch .LBB71_247
.LBB71_294:                             ;   in Loop: Header=BB71_32 Depth=1
                                        ; implicit-def: $sgpr44_sgpr45
	s_branch .LBB71_262
.LBB71_295:
	s_or_b64 exec, exec, s[76:77]
	s_xor_b64 s[4:5], s[10:11], -1
	s_xor_b64 s[0:1], s[2:3], -1
	;; [unrolled: 1-line block ×3, first 2 shown]
	s_mov_b64 s[2:3], 0
	s_and_saveexec_b64 s[8:9], s[0:1]
	s_xor_b64 s[0:1], exec, s[8:9]
	s_cbranch_execnz .LBB71_300
; %bb.296:
	s_andn2_saveexec_b64 s[0:1], s[0:1]
	s_cbranch_execnz .LBB71_322
.LBB71_297:
	s_or_b64 exec, exec, s[0:1]
	s_and_saveexec_b64 s[0:1], s[2:3]
.LBB71_298:
	; divergent unreachable
.LBB71_299:
	s_endpgm
.LBB71_300:
	s_and_saveexec_b64 s[2:3], s[4:5]
	s_xor_b64 s[4:5], exec, s[2:3]
	s_cbranch_execz .LBB71_320
; %bb.301:
	s_and_saveexec_b64 s[2:3], s[6:7]
	s_xor_b64 s[2:3], exec, s[2:3]
; %bb.302:
	v_and_b32_e32 v2, 0x8000, v54
	v_mov_b32_e32 v3, 0x8000
	v_mov_b32_e32 v4, 0xffff
	v_cmp_eq_u32_e32 vcc, 0, v2
	s_nop 1
	v_cndmask_b32_e32 v2, v3, v4, vcc
	v_xor_b32_e32 v59, v2, v54
; %bb.303:
	s_or_b64 exec, exec, s[2:3]
	s_mov_b64 s[2:3], exec
	v_readlane_b32 s6, v72, 10
	v_readlane_b32 s7, v72, 11
	s_and_b64 s[6:7], s[2:3], s[6:7]
	s_mov_b64 exec, s[6:7]
; %bb.304:
	v_mov_b32_e32 v2, 0
	v_mov_b32_e32 v3, s56
	ds_write_b32 v2, v3 offset:5140
; %bb.305:
	s_or_b64 exec, exec, s[2:3]
	s_waitcnt lgkmcnt(0)
	s_barrier
	s_mov_b64 s[6:7], exec
	v_readlane_b32 s2, v72, 16
	v_readlane_b32 s3, v72, 17
	s_and_b64 s[2:3], s[6:7], s[2:3]
	s_mov_b64 exec, s[2:3]
	s_cbranch_execz .LBB71_317
; %bb.306:
	v_mov_b32_e32 v2, 0
	ds_read_b32 v4, v2 offset:5140
	v_lshlrev_b32_e32 v6, 16, v59
	v_cmp_u_f32_e32 vcc, v6, v6
	s_mov_b64 s[8:9], 0
	s_xor_b64 s[10:11], vcc, -1
	s_waitcnt lgkmcnt(0)
	v_ashrrev_i32_e32 v5, 31, v4
                                        ; implicit-def: $sgpr12_sgpr13
                                        ; implicit-def: $sgpr14_sgpr15
                                        ; implicit-def: $sgpr16_sgpr17
	s_branch .LBB71_309
.LBB71_307:                             ;   in Loop: Header=BB71_309 Depth=1
	s_or_b64 exec, exec, s[22:23]
	s_andn2_b64 s[16:17], s[16:17], exec
	s_and_b64 s[2:3], s[2:3], exec
	s_or_b64 s[16:17], s[16:17], s[2:3]
	s_andn2_b64 s[2:3], s[14:15], exec
	s_and_b64 s[14:15], s[20:21], exec
	s_or_b64 s[14:15], s[2:3], s[14:15]
.LBB71_308:                             ;   in Loop: Header=BB71_309 Depth=1
	s_or_b64 exec, exec, s[18:19]
	s_and_b64 s[2:3], exec, s[14:15]
	s_or_b64 s[8:9], s[2:3], s[8:9]
	s_andn2_b64 s[2:3], s[12:13], exec
	s_and_b64 s[12:13], s[16:17], exec
	s_or_b64 s[12:13], s[2:3], s[12:13]
	s_andn2_b64 exec, exec, s[8:9]
	s_cbranch_execz .LBB71_312
.LBB71_309:                             ; =>This Inner Loop Header: Depth=1
	v_mov_b64_e32 v[2:3], v[0:1]
	v_cmp_lt_i64_e32 vcc, v[2:3], v[4:5]
	s_or_b64 s[16:17], s[16:17], exec
	s_or_b64 s[14:15], s[14:15], exec
                                        ; implicit-def: $vgpr0_vgpr1
	s_and_saveexec_b64 s[18:19], vcc
	s_cbranch_execz .LBB71_308
; %bb.310:                              ;   in Loop: Header=BB71_309 Depth=1
	global_load_ushort v0, v[12:13], off
	s_mov_b64 s[20:21], -1
	s_waitcnt vmcnt(0)
	v_lshlrev_b32_e32 v0, 16, v0
	v_cmp_o_f32_e64 s[2:3], v0, v0
	v_cmp_neq_f32_e32 vcc, v0, v6
	s_or_b64 s[2:3], s[10:11], s[2:3]
	s_and_b64 s[24:25], vcc, s[2:3]
	s_mov_b64 s[2:3], 0
                                        ; implicit-def: $vgpr0_vgpr1
	s_and_saveexec_b64 s[22:23], s[24:25]
	s_cbranch_execz .LBB71_307
; %bb.311:                              ;   in Loop: Header=BB71_309 Depth=1
	v_lshl_add_u64 v[0:1], v[2:3], 0, s[78:79]
	v_cmp_le_i64_e32 vcc, s[56:57], v[0:1]
	s_mov_b64 s[2:3], exec
	v_lshl_add_u64 v[12:13], v[12:13], 0, s[94:95]
	s_orn2_b64 s[20:21], vcc, exec
	s_branch .LBB71_307
.LBB71_312:
	s_or_b64 exec, exec, s[8:9]
	s_xor_b64 s[2:3], s[12:13], -1
	s_and_saveexec_b64 s[8:9], s[2:3]
	s_xor_b64 s[8:9], exec, s[8:9]
	s_cbranch_execz .LBB71_317
; %bb.313:
	s_mov_b64 s[2:3], exec
	s_brev_b32 s8, -2
.LBB71_314:                             ; =>This Inner Loop Header: Depth=1
	s_ff1_i32_b64 s9, s[2:3]
	v_readlane_b32 s12, v2, s9
	s_lshl_b64 s[10:11], 1, s9
	s_min_i32 s8, s8, s12
	s_andn2_b64 s[2:3], s[2:3], s[10:11]
	s_cmp_lg_u64 s[2:3], 0
	s_cbranch_scc1 .LBB71_314
; %bb.315:
	v_mbcnt_lo_u32_b32 v0, exec_lo, 0
	v_mbcnt_hi_u32_b32 v0, exec_hi, v0
	v_cmp_eq_u32_e32 vcc, 0, v0
	s_and_saveexec_b64 s[2:3], vcc
	s_xor_b64 s[2:3], exec, s[2:3]
; %bb.316:
	v_mov_b32_e32 v0, 0
	v_mov_b32_e32 v1, s8
	ds_min_i32 v0, v1 offset:5140
.LBB71_317:
	s_or_b64 exec, exec, s[6:7]
	s_waitcnt lgkmcnt(0)
	s_barrier
	s_mov_b64 s[2:3], exec
	v_readlane_b32 s6, v72, 10
	v_readlane_b32 s7, v72, 11
	s_and_b64 s[6:7], s[2:3], s[6:7]
	s_mov_b64 exec, s[6:7]
	s_cbranch_execz .LBB71_319
; %bb.318:
	v_readlane_b32 s8, v72, 0
	v_readlane_b32 s9, v72, 1
	;; [unrolled: 1-line block ×4, first 2 shown]
	s_mul_i32 s6, s10, s9
	s_mul_hi_u32 s7, s10, s8
	s_add_i32 s6, s7, s6
	s_mul_i32 s7, s11, s8
	s_add_i32 s7, s6, s7
	s_mul_i32 s6, s10, s8
	v_readlane_b32 s10, v72, 4
	v_readlane_b32 s11, v72, 5
	s_mul_i32 s8, s10, s71
	s_mul_hi_u32 s9, s10, s70
	s_add_i32 s8, s9, s8
	s_mul_i32 s9, s11, s70
	s_add_i32 s9, s8, s9
	s_mul_i32 s8, s10, s70
	s_lshl_b64 s[6:7], s[6:7], 1
	v_readlane_b32 s10, v72, 6
	v_readlane_b32 s11, v72, 7
	s_add_u32 s10, s10, s6
	s_addc_u32 s11, s11, s7
	s_lshl_b64 s[6:7], s[60:61], 1
	v_mov_b32_e32 v2, 0
	s_add_u32 s6, s10, s6
	ds_read_b32 v0, v2 offset:5140
	s_addc_u32 s7, s11, s7
	s_lshl_b64 s[8:9], s[8:9], 3
	v_readlane_b32 s10, v72, 8
	v_readlane_b32 s11, v72, 9
	s_add_u32 s10, s10, s8
	s_addc_u32 s11, s11, s9
	s_lshl_b64 s[8:9], s[66:67], 3
	s_add_u32 s8, s10, s8
	s_addc_u32 s9, s11, s9
	s_waitcnt lgkmcnt(0)
	v_ashrrev_i32_e32 v1, 31, v0
	global_store_dwordx2 v2, v[0:1], s[8:9]
	global_store_short v2, v59, s[6:7]
.LBB71_319:
	s_or_b64 exec, exec, s[2:3]
.LBB71_320:
	s_or_saveexec_b64 s[2:3], s[4:5]
	s_mov_b64 s[4:5], 0
	s_xor_b64 exec, exec, s[2:3]
	s_cbranch_execnz .LBB71_323
.LBB71_321:
	s_or_b64 exec, exec, s[2:3]
	s_and_b64 s[2:3], s[4:5], exec
	s_andn2_saveexec_b64 s[0:1], s[0:1]
	s_cbranch_execz .LBB71_297
.LBB71_322:
	s_or_b64 s[2:3], s[2:3], exec
	s_trap 2
	s_or_b64 exec, exec, s[0:1]
	s_and_saveexec_b64 s[0:1], s[2:3]
	s_cbranch_execnz .LBB71_298
	s_branch .LBB71_299
.LBB71_323:
	s_mov_b64 s[4:5], exec
	s_trap 2
	s_branch .LBB71_321
	.section	.rodata,"a",@progbits
	.p2align	6, 0x0
	.amdhsa_kernel _ZN2at6native12_GLOBAL__N_114gatherKthValueIN3c108BFloat16ElLin1EEEvNS_4cuda6detail10TensorInfoIKT_T0_EESA_SA_SA_SA_NS7_IS8_SA_EENS7_IlSA_EE
		.amdhsa_group_segment_fixed_size 5144
		.amdhsa_private_segment_fixed_size 0
		.amdhsa_kernarg_size 1536
		.amdhsa_user_sgpr_count 2
		.amdhsa_user_sgpr_dispatch_ptr 0
		.amdhsa_user_sgpr_queue_ptr 0
		.amdhsa_user_sgpr_kernarg_segment_ptr 1
		.amdhsa_user_sgpr_dispatch_id 0
		.amdhsa_user_sgpr_kernarg_preload_length 0
		.amdhsa_user_sgpr_kernarg_preload_offset 0
		.amdhsa_user_sgpr_private_segment_size 0
		.amdhsa_uses_dynamic_stack 0
		.amdhsa_enable_private_segment 0
		.amdhsa_system_sgpr_workgroup_id_x 1
		.amdhsa_system_sgpr_workgroup_id_y 1
		.amdhsa_system_sgpr_workgroup_id_z 1
		.amdhsa_system_sgpr_workgroup_info 0
		.amdhsa_system_vgpr_workitem_id 0
		.amdhsa_next_free_vgpr 73
		.amdhsa_next_free_sgpr 100
		.amdhsa_accum_offset 76
		.amdhsa_reserve_vcc 1
		.amdhsa_float_round_mode_32 0
		.amdhsa_float_round_mode_16_64 0
		.amdhsa_float_denorm_mode_32 3
		.amdhsa_float_denorm_mode_16_64 3
		.amdhsa_dx10_clamp 1
		.amdhsa_ieee_mode 1
		.amdhsa_fp16_overflow 0
		.amdhsa_tg_split 0
		.amdhsa_exception_fp_ieee_invalid_op 0
		.amdhsa_exception_fp_denorm_src 0
		.amdhsa_exception_fp_ieee_div_zero 0
		.amdhsa_exception_fp_ieee_overflow 0
		.amdhsa_exception_fp_ieee_underflow 0
		.amdhsa_exception_fp_ieee_inexact 0
		.amdhsa_exception_int_div_zero 0
	.end_amdhsa_kernel
	.section	.text._ZN2at6native12_GLOBAL__N_114gatherKthValueIN3c108BFloat16ElLin1EEEvNS_4cuda6detail10TensorInfoIKT_T0_EESA_SA_SA_SA_NS7_IS8_SA_EENS7_IlSA_EE,"axG",@progbits,_ZN2at6native12_GLOBAL__N_114gatherKthValueIN3c108BFloat16ElLin1EEEvNS_4cuda6detail10TensorInfoIKT_T0_EESA_SA_SA_SA_NS7_IS8_SA_EENS7_IlSA_EE,comdat
.Lfunc_end71:
	.size	_ZN2at6native12_GLOBAL__N_114gatherKthValueIN3c108BFloat16ElLin1EEEvNS_4cuda6detail10TensorInfoIKT_T0_EESA_SA_SA_SA_NS7_IS8_SA_EENS7_IlSA_EE, .Lfunc_end71-_ZN2at6native12_GLOBAL__N_114gatherKthValueIN3c108BFloat16ElLin1EEEvNS_4cuda6detail10TensorInfoIKT_T0_EESA_SA_SA_SA_NS7_IS8_SA_EENS7_IlSA_EE
                                        ; -- End function
	.set _ZN2at6native12_GLOBAL__N_114gatherKthValueIN3c108BFloat16ElLin1EEEvNS_4cuda6detail10TensorInfoIKT_T0_EESA_SA_SA_SA_NS7_IS8_SA_EENS7_IlSA_EE.num_vgpr, 73
	.set _ZN2at6native12_GLOBAL__N_114gatherKthValueIN3c108BFloat16ElLin1EEEvNS_4cuda6detail10TensorInfoIKT_T0_EESA_SA_SA_SA_NS7_IS8_SA_EENS7_IlSA_EE.num_agpr, 0
	.set _ZN2at6native12_GLOBAL__N_114gatherKthValueIN3c108BFloat16ElLin1EEEvNS_4cuda6detail10TensorInfoIKT_T0_EESA_SA_SA_SA_NS7_IS8_SA_EENS7_IlSA_EE.numbered_sgpr, 100
	.set _ZN2at6native12_GLOBAL__N_114gatherKthValueIN3c108BFloat16ElLin1EEEvNS_4cuda6detail10TensorInfoIKT_T0_EESA_SA_SA_SA_NS7_IS8_SA_EENS7_IlSA_EE.num_named_barrier, 0
	.set _ZN2at6native12_GLOBAL__N_114gatherKthValueIN3c108BFloat16ElLin1EEEvNS_4cuda6detail10TensorInfoIKT_T0_EESA_SA_SA_SA_NS7_IS8_SA_EENS7_IlSA_EE.private_seg_size, 0
	.set _ZN2at6native12_GLOBAL__N_114gatherKthValueIN3c108BFloat16ElLin1EEEvNS_4cuda6detail10TensorInfoIKT_T0_EESA_SA_SA_SA_NS7_IS8_SA_EENS7_IlSA_EE.uses_vcc, 1
	.set _ZN2at6native12_GLOBAL__N_114gatherKthValueIN3c108BFloat16ElLin1EEEvNS_4cuda6detail10TensorInfoIKT_T0_EESA_SA_SA_SA_NS7_IS8_SA_EENS7_IlSA_EE.uses_flat_scratch, 0
	.set _ZN2at6native12_GLOBAL__N_114gatherKthValueIN3c108BFloat16ElLin1EEEvNS_4cuda6detail10TensorInfoIKT_T0_EESA_SA_SA_SA_NS7_IS8_SA_EENS7_IlSA_EE.has_dyn_sized_stack, 0
	.set _ZN2at6native12_GLOBAL__N_114gatherKthValueIN3c108BFloat16ElLin1EEEvNS_4cuda6detail10TensorInfoIKT_T0_EESA_SA_SA_SA_NS7_IS8_SA_EENS7_IlSA_EE.has_recursion, 0
	.set _ZN2at6native12_GLOBAL__N_114gatherKthValueIN3c108BFloat16ElLin1EEEvNS_4cuda6detail10TensorInfoIKT_T0_EESA_SA_SA_SA_NS7_IS8_SA_EENS7_IlSA_EE.has_indirect_call, 0
	.section	.AMDGPU.csdata,"",@progbits
; Kernel info:
; codeLenInByte = 20268
; TotalNumSgprs: 106
; NumVgprs: 73
; NumAgprs: 0
; TotalNumVgprs: 73
; ScratchSize: 0
; MemoryBound: 0
; FloatMode: 240
; IeeeMode: 1
; LDSByteSize: 5144 bytes/workgroup (compile time only)
; SGPRBlocks: 13
; VGPRBlocks: 9
; NumSGPRsForWavesPerEU: 106
; NumVGPRsForWavesPerEU: 73
; AccumOffset: 76
; Occupancy: 6
; WaveLimiterHint : 1
; COMPUTE_PGM_RSRC2:SCRATCH_EN: 0
; COMPUTE_PGM_RSRC2:USER_SGPR: 2
; COMPUTE_PGM_RSRC2:TRAP_HANDLER: 0
; COMPUTE_PGM_RSRC2:TGID_X_EN: 1
; COMPUTE_PGM_RSRC2:TGID_Y_EN: 1
; COMPUTE_PGM_RSRC2:TGID_Z_EN: 1
; COMPUTE_PGM_RSRC2:TIDIG_COMP_CNT: 0
; COMPUTE_PGM_RSRC3_GFX90A:ACCUM_OFFSET: 18
; COMPUTE_PGM_RSRC3_GFX90A:TG_SPLIT: 0
	.section	.text._ZN2at6native12_GLOBAL__N_112gatherMedianIhjLi1EEEvNS_4cuda6detail10TensorInfoIT_T0_EENS5_IlS7_EENS5_IKS6_S7_EES7_S7_S7_b,"axG",@progbits,_ZN2at6native12_GLOBAL__N_112gatherMedianIhjLi1EEEvNS_4cuda6detail10TensorInfoIT_T0_EENS5_IlS7_EENS5_IKS6_S7_EES7_S7_S7_b,comdat
	.globl	_ZN2at6native12_GLOBAL__N_112gatherMedianIhjLi1EEEvNS_4cuda6detail10TensorInfoIT_T0_EENS5_IlS7_EENS5_IKS6_S7_EES7_S7_S7_b ; -- Begin function _ZN2at6native12_GLOBAL__N_112gatherMedianIhjLi1EEEvNS_4cuda6detail10TensorInfoIT_T0_EENS5_IlS7_EENS5_IKS6_S7_EES7_S7_S7_b
	.p2align	8
	.type	_ZN2at6native12_GLOBAL__N_112gatherMedianIhjLi1EEEvNS_4cuda6detail10TensorInfoIT_T0_EENS5_IlS7_EENS5_IKS6_S7_EES7_S7_S7_b,@function
_ZN2at6native12_GLOBAL__N_112gatherMedianIhjLi1EEEvNS_4cuda6detail10TensorInfoIT_T0_EENS5_IlS7_EENS5_IKS6_S7_EES7_S7_S7_b: ; @_ZN2at6native12_GLOBAL__N_112gatherMedianIhjLi1EEEvNS_4cuda6detail10TensorInfoIT_T0_EENS5_IlS7_EENS5_IKS6_S7_EES7_S7_S7_b
; %bb.0:
	s_load_dwordx2 s[10:11], s[0:1], 0x298
	s_load_dwordx4 s[64:67], s[0:1], 0x288
	s_add_u32 s8, s0, 0x298
	s_addc_u32 s9, s1, 0
	s_waitcnt lgkmcnt(0)
	s_mul_i32 s4, s11, s4
	s_add_i32 s3, s4, s3
	s_mul_i32 s3, s3, s10
	s_add_i32 s16, s3, s2
	s_cmp_ge_u32 s16, s65
	s_cbranch_scc1 .LBB72_252
; %bb.1:
	v_cmp_eq_u32_e64 s[6:7], 0, v0
	s_mov_b64 s[4:5], exec
                                        ; implicit-def: $vgpr81 : SGPR spill to VGPR lane
	s_nop 0
	v_writelane_b32 v81, s6, 0
	s_nop 1
	v_writelane_b32 v81, s7, 1
	s_and_b64 s[6:7], s[4:5], s[6:7]
	s_mov_b64 exec, s[6:7]
; %bb.2:
	v_mov_b32_e32 v2, 0
	v_mov_b32_e32 v3, v2
	ds_write_b64 v2, v[2:3] offset:4096
; %bb.3:
	s_or_b64 exec, exec, s[4:5]
	v_mov_b32_e32 v1, 0
	s_waitcnt lgkmcnt(0)
	s_barrier
	s_barrier
	ds_read_b64 v[2:3], v1 offset:4096
	s_load_dwordx2 s[4:5], s[0:1], 0x1b0
	s_bitcmp1_b32 s67, 0
	s_cselect_b64 s[12:13], -1, 0
	s_mov_b32 s3, s64
	s_waitcnt lgkmcnt(0)
	v_readfirstlane_b32 s6, v2
	v_readfirstlane_b32 s7, v3
	s_nop 1
	v_cmp_lt_i64_e64 s[14:15], s[6:7], 1
	s_or_b64 s[12:13], s[12:13], s[14:15]
	s_andn2_b64 vcc, exec, s[12:13]
	s_cbranch_vccnz .LBB72_5
; %bb.4:
	s_not_b64 s[6:7], s[6:7]
	s_add_u32 s3, s6, s64
	s_addc_u32 s7, s7, 0
	s_lshr_b32 s6, s7, 31
	s_add_u32 s6, s3, s6
	s_addc_u32 s7, s7, 0
	s_lshr_b64 s[6:7], s[6:7], 1
	s_add_i32 s3, s6, 1
.LBB72_5:
	s_load_dwordx2 s[6:7], s[0:1], 0xd8
	s_waitcnt lgkmcnt(0)
	v_writelane_b32 v81, s6, 2
	s_nop 1
	v_writelane_b32 v81, s7, 3
	s_load_dword s11, s[0:1], 0x21c
	s_load_dwordx2 s[6:7], s[0:1], 0x0
	s_waitcnt lgkmcnt(0)
	v_writelane_b32 v81, s6, 4
	s_nop 1
	v_writelane_b32 v81, s7, 5
	s_mov_b64 s[6:7], exec
	v_readlane_b32 s12, v81, 0
	v_readlane_b32 s13, v81, 1
	s_and_b64 s[12:13], s[6:7], s[12:13]
	s_mov_b64 exec, s[12:13]
	s_cbranch_execz .LBB72_7
; %bb.6:
	v_mov_b32_e32 v2, 0
	v_mov_b32_e32 v3, s64
	ds_write_b32 v2, v2 offset:4112
	ds_write_b64 v2, v[2:3] offset:4104
.LBB72_7:
	s_or_b64 exec, exec, s[6:7]
	s_load_dword s6, s[0:1], 0x144
	s_waitcnt lgkmcnt(0)
	s_barrier
	s_load_dword s12, s[8:9], 0xc
	v_writelane_b32 v81, s6, 6
	s_load_dword s6, s[0:1], 0x6c
                                        ; kill: killed $sgpr0 killed $sgpr1
	s_mul_i32 s11, s11, s16
	v_cmp_gt_u32_e64 s[0:1], s64, v0
	v_mbcnt_lo_u32_b32 v1, -1, 0
	s_add_u32 s70, s4, s11
	s_waitcnt lgkmcnt(0)
	v_writelane_b32 v81, s6, 7
	v_writelane_b32 v81, s16, 8
	v_writelane_b32 v81, s0, 9
	v_mbcnt_hi_u32_b32 v28, -1, v1
	s_addc_u32 s71, s5, 0
	v_writelane_b32 v81, s1, 10
	s_and_b32 s67, s12, 0xffff
	v_cmp_gt_u32_e32 vcc, 64, v0
	v_cmp_gt_i32_e64 s[0:1], 4, v28
	s_and_b64 s[76:77], vcc, s[0:1]
	s_add_i32 s0, s67, -1
	s_lshl_b32 s65, s67, 2
	v_writelane_b32 v81, s0, 11
	s_add_i32 s0, s0, s64
	s_cmpk_gt_u32 s64, 0xc00
	s_cselect_b64 s[16:17], -1, 0
	s_cmp_gt_u32 s67, 63
	v_lshlrev_b64 v[2:3], v28, -1
	s_cselect_b64 s[80:81], -1, 0
	v_not_b32_e32 v24, v2
	v_lshrrev_b32_e32 v2, 2, v0
	s_cmp_lt_u32 s2, s10
	v_and_b32_e32 v2, 0xf0, v2
	s_cselect_b32 s1, 12, 18
	v_writelane_b32 v81, s16, 12
	v_or_b32_e32 v29, 0xc00, v2
	s_add_u32 s8, s8, s1
	v_add_u32_e32 v2, 2, v0
	v_writelane_b32 v81, s17, 13
	s_addc_u32 s9, s9, 0
	v_max_u32_e32 v2, s64, v2
	v_writelane_b32 v81, s8, 14
	v_xad_u32 v2, v0, -1, v2
	v_cmp_lt_u32_e64 s[10:11], 31, v2
	v_writelane_b32 v81, s9, 15
	v_not_b32_e32 v1, v3
	v_add_u32_e32 v3, -8, v2
	v_writelane_b32 v81, s10, 16
	v_lshrrev_b32_e32 v5, 3, v3
	s_bfe_u32 s8, s12, 0xa0006
	v_writelane_b32 v81, s11, 17
	v_cmp_lt_u32_e64 s[10:11], 7, v3
	v_and_b32_e32 v3, 8, v3
	s_add_i32 s1, s8, -2
	v_writelane_b32 v81, s10, 18
	s_lshr_b32 s2, s1, 1
	v_and_b32_e32 v30, -8, v2
	v_writelane_b32 v81, s11, 19
	v_cmp_eq_u32_e64 s[10:11], 0, v3
	s_add_i32 s2, s2, 1
	s_cmpk_gt_u32 s67, 0x7f
	v_writelane_b32 v81, s10, 20
	v_lshlrev_b32_e32 v25, 2, v0
	v_mov_b32_e32 v21, 0
	v_writelane_b32 v81, s11, 21
	v_cmp_ne_u32_e64 s[10:11], v2, v30
	v_cvt_f32_u32_e32 v2, s65
	s_mov_b32 s14, 0
	v_writelane_b32 v81, s10, 22
	v_mul_lo_u32 v18, s66, v0
	v_rcp_iflag_f32_e32 v2, v2
	v_writelane_b32 v81, s11, 23
	s_cselect_b64 s[10:11], -1, 0
	v_writelane_b32 v81, s10, 24
	s_and_b32 s9, s8, 0x3fe
	v_mul_f32_e32 v2, 0x4f7ffffe, v2
	v_writelane_b32 v81, s11, 25
	s_and_b32 s10, s2, 7
	s_cmp_gt_u32 s1, 13
	s_cselect_b64 s[12:13], -1, 0
	v_writelane_b32 v81, s12, 26
	s_and_b32 s1, s2, -8
	s_cmp_lg_u32 s10, 0
	v_writelane_b32 v81, s13, 27
	v_writelane_b32 v81, s1, 28
	v_cvt_u32_f32_e32 v2, v2
	v_writelane_b32 v81, s10, 29
	s_cselect_b64 s[10:11], -1, 0
	v_writelane_b32 v81, s10, 30
	s_cmp_lg_u32 s9, s8
	v_readfirstlane_b32 s2, v2
	v_writelane_b32 v81, s11, 31
	v_writelane_b32 v81, s8, 32
	v_cvt_f32_u32_e32 v2, s67
	v_writelane_b32 v81, s9, 33
	s_cselect_b64 s[8:9], -1, 0
	s_sub_i32 s1, 0, s65
	s_mul_i32 s1, s1, s2
	s_mul_hi_u32 s1, s2, s1
	s_add_i32 s24, s2, s1
	v_rcp_iflag_f32_e32 v2, v2
	s_mul_hi_u32 s1, s64, s24
	s_mul_i32 s1, s1, s65
	s_sub_i32 s1, s64, s1
	s_sub_i32 s2, s1, s65
	v_mul_f32_e32 v2, 0x4f7ffffe, v2
	s_cmp_ge_u32 s1, s65
	v_cvt_u32_f32_e32 v2, v2
	s_cselect_b32 s1, s2, s1
	s_sub_i32 s2, s1, s65
	v_writelane_b32 v81, s8, 34
	s_cmp_ge_u32 s1, s65
	s_cselect_b32 s1, s2, s1
	v_writelane_b32 v81, s9, 35
	s_sub_i32 s2, 0, s67
	v_readfirstlane_b32 s8, v2
	s_mul_i32 s2, s2, s8
	s_mul_hi_u32 s2, s8, s2
	s_add_i32 s2, s8, s2
	v_writelane_b32 v81, s2, 36
	s_mul_hi_u32 s2, s0, s2
	s_mul_i32 s2, s2, s67
	s_sub_i32 s2, s0, s2
	s_sub_i32 s25, s64, s1
	s_sub_i32 s9, s2, s67
	s_cmp_ge_u32 s2, s67
	s_cselect_b32 s2, s9, s2
	s_sub_i32 s9, s2, s67
	s_cmp_ge_u32 s2, s67
	v_mul_lo_u32 v2, s66, v25
	s_cselect_b32 s2, s9, s2
	v_add_u32_e32 v34, s66, v2
	v_or_b32_e32 v2, 2, v25
	s_sub_i32 s82, s0, s2
	v_mul_lo_u32 v35, s66, v2
	v_or_b32_e32 v2, 3, v25
	s_add_i32 s0, s67, s64
	v_add_u32_e32 v33, s25, v0
	v_cmp_gt_u32_e64 s[8:9], s82, v0
	v_mul_lo_u32 v36, s66, v2
	v_add_u32_e32 v2, s0, v0
	v_mov_b32_e32 v19, v21
	v_lshlrev_b32_e32 v4, 2, v28
	v_add_u32_e32 v5, 1, v5
	v_mul_lo_u32 v20, v33, s66
	v_writelane_b32 v81, s8, 37
	s_mul_i32 s75, s66, s67
	v_subrev_u32_e32 v2, s1, v2
	s_mov_b32 s15, 1
	v_cmp_eq_u32_e64 s[4:5], 0, v28
	v_cmp_gt_u32_e64 s[6:7], 2, v0
	v_lshl_add_u64 v[22:23], s[70:71], 0, v[18:19]
	v_and_b32_e32 v19, 0x100, v4
	v_add_u32_e32 v31, v0, v30
	s_mov_b32 s62, s66
	s_mov_b32 s63, s66
	;; [unrolled: 1-line block ×8, first 2 shown]
	v_and_b32_e32 v32, 0x3ffffffe, v5
	v_cmp_gt_u32_e64 s[16:17], s25, v25
	v_cmp_gt_u32_e64 s[18:19], s64, v33
	v_lshl_add_u64 v[26:27], s[70:71], 0, v[20:21]
	v_writelane_b32 v81, s9, 38
	s_lshl_b32 s83, s75, 2
	v_lshlrev_b32_e32 v37, 2, v18
	v_mul_lo_u32 v39, s66, v2
	v_or_b32_e32 v40, 0xc00, v4
	s_mov_b64 s[92:93], 0
	v_mov_b32_e32 v41, 6
	v_mov_b32_e32 v46, s3
	s_movk_i32 s84, 0xff
	s_mov_b32 s85, 0xc0c0004
	s_mov_b32 s61, 0xc0c0007
	v_mov_b32_e32 v50, s64
	v_mov_b32_e32 v42, 0xc00
	;; [unrolled: 1-line block ×6, first 2 shown]
	s_mov_b32 s20, s14
	s_mov_b32 s87, s66
	;; [unrolled: 1-line block ×9, first 2 shown]
                                        ; implicit-def: $sgpr94_sgpr95
                                        ; implicit-def: $sgpr98_sgpr99
                                        ; implicit-def: $sgpr96_sgpr97
                                        ; implicit-def: $sgpr72_sgpr73
                                        ; implicit-def: $sgpr10_sgpr11
                                        ; implicit-def: $sgpr68_sgpr69
	s_branch .LBB72_11
.LBB72_8:                               ;   in Loop: Header=BB72_11 Depth=1
	s_or_b64 exec, exec, s[26:27]
	s_and_b64 s[14:15], s[14:15], exec
	s_andn2_b64 s[30:31], s[30:31], exec
	s_andn2_b64 s[28:29], s[28:29], exec
	s_orn2_b64 s[2:3], s[2:3], exec
.LBB72_9:                               ;   in Loop: Header=BB72_11 Depth=1
	s_or_b64 exec, exec, s[12:13]
	s_andn2_b64 s[12:13], s[68:69], exec
	s_and_b64 s[14:15], s[14:15], exec
	s_or_b64 s[68:69], s[12:13], s[14:15]
	s_andn2_b64 s[10:11], s[10:11], exec
	s_and_b64 s[12:13], s[30:31], exec
	s_or_b64 s[10:11], s[10:11], s[12:13]
	;; [unrolled: 3-line block ×3, first 2 shown]
	s_orn2_b64 s[2:3], s[2:3], exec
.LBB72_10:                              ;   in Loop: Header=BB72_11 Depth=1
	s_or_b64 exec, exec, s[0:1]
	s_and_b64 s[0:1], exec, s[2:3]
	s_or_b64 s[92:93], s[0:1], s[92:93]
	s_andn2_b64 s[0:1], s[96:97], exec
	s_and_b64 s[2:3], s[68:69], exec
	s_or_b64 s[96:97], s[0:1], s[2:3]
	s_andn2_b64 s[0:1], s[98:99], exec
	s_and_b64 s[2:3], s[10:11], exec
	;; [unrolled: 3-line block ×3, first 2 shown]
	s_or_b64 s[94:95], s[0:1], s[2:3]
	s_mov_b32 s20, s9
	v_mov_b32_e32 v46, v5
	s_andn2_b64 exec, exec, s[92:93]
	s_cbranch_execz .LBB72_248
.LBB72_11:                              ; =>This Loop Header: Depth=1
                                        ;     Child Loop BB72_16 Depth 2
                                        ;     Child Loop BB72_37 Depth 2
	;; [unrolled: 1-line block ×18, first 2 shown]
	ds_read_b64 v[2:3], v21 offset:4104
	s_waitcnt lgkmcnt(0)
	v_readfirstlane_b32 s21, v2
	s_cmp_lg_u32 s21, 0
	s_cbranch_scc1 .LBB72_54
; %bb.12:                               ;   in Loop: Header=BB72_11 Depth=1
	v_readlane_b32 s0, v81, 12
	v_readlane_b32 s1, v81, 13
	s_and_b64 vcc, exec, s[0:1]
	s_cbranch_vccz .LBB72_24
; %bb.13:                               ;   in Loop: Header=BB72_11 Depth=1
	s_movk_i32 s0, 0xc01
	v_cmp_gt_u32_e32 vcc, s0, v3
	s_mov_b64 s[12:13], 0
	s_mov_b64 s[0:1], 0
	s_cbranch_vccz .LBB72_25
; %bb.14:                               ;   in Loop: Header=BB72_11 Depth=1
	v_readlane_b32 s0, v81, 14
	v_readlane_b32 s1, v81, 15
	s_nop 4
	global_load_ushort v2, v21, s[0:1]
	global_load_ubyte v4, v[22:23], off
	s_mov_b64 s[14:15], 0
	v_mov_b32_e32 v6, v0
	s_waitcnt vmcnt(1)
	v_add_u32_e32 v5, v0, v2
	v_mul_lo_u32 v3, s66, v2
	v_mul_lo_u32 v5, s66, v5
	s_branch .LBB72_16
.LBB72_15:                              ;   in Loop: Header=BB72_16 Depth=2
	s_or_b64 exec, exec, s[2:3]
	v_add_u32_e32 v5, v5, v3
	v_mov_b32_e32 v4, v7
	s_andn2_b64 exec, exec, s[14:15]
	s_cbranch_execz .LBB72_31
.LBB72_16:                              ;   Parent Loop BB72_11 Depth=1
                                        ; =>  This Inner Loop Header: Depth=2
	v_add_u32_e32 v6, v6, v2
	v_cmp_gt_u32_e64 s[0:1], s64, v6
	v_cmp_le_u32_e32 vcc, s64, v6
	s_waitcnt lgkmcnt(0)
	v_mov_b32_e32 v8, 0
	v_mov_b32_e32 v7, 0
	s_and_saveexec_b64 s[2:3], s[0:1]
	s_cbranch_execz .LBB72_18
; %bb.17:                               ;   in Loop: Header=BB72_16 Depth=2
	global_load_ubyte v7, v5, s[70:71]
.LBB72_18:                              ;   in Loop: Header=BB72_16 Depth=2
	s_or_b64 exec, exec, s[2:3]
	s_waitcnt vmcnt(0)
	v_bitop3_b32 v9, v4, s84, v44 bitop3:0x80
	v_cmp_eq_u32_e64 s[0:1], v9, v38
	s_cmp_lg_u64 s[0:1], 0
	s_cselect_b64 s[2:3], -1, 0
	s_and_b64 s[2:3], s[4:5], s[2:3]
	s_and_saveexec_b64 s[26:27], s[2:3]
	s_cbranch_execz .LBB72_22
; %bb.19:                               ;   in Loop: Header=BB72_16 Depth=2
	s_mov_b64 s[30:31], exec
	v_mbcnt_lo_u32_b32 v8, s30, 0
	v_mbcnt_hi_u32_b32 v8, s31, v8
	s_bcnt1_i32_b64 s9, s[0:1]
	v_cmp_eq_u32_e64 s[2:3], 0, v8
                                        ; implicit-def: $vgpr9
	s_and_saveexec_b64 s[28:29], s[2:3]
; %bb.20:                               ;   in Loop: Header=BB72_16 Depth=2
	s_bcnt1_i32_b64 s2, s[30:31]
	s_mul_i32 s2, s9, s2
	v_mov_b32_e32 v9, s2
	ds_add_rtn_u32 v9, v21, v9 offset:4112
; %bb.21:                               ;   in Loop: Header=BB72_16 Depth=2
	s_or_b64 exec, exec, s[28:29]
	s_waitcnt lgkmcnt(0)
	v_readfirstlane_b32 s2, v9
	s_nop 1
	v_mov_b32_e32 v9, s2
	v_mad_u32_u24 v8, s9, v8, v9
.LBB72_22:                              ;   in Loop: Header=BB72_16 Depth=2
	s_or_b64 exec, exec, s[26:27]
	ds_bpermute_b32 v8, v19, v8
	s_and_b64 s[2:3], exec, vcc
	s_or_b64 s[14:15], s[2:3], s[14:15]
	s_and_saveexec_b64 s[2:3], s[0:1]
	s_cbranch_execz .LBB72_15
; %bb.23:                               ;   in Loop: Header=BB72_16 Depth=2
	v_and_b32_e32 v10, s0, v24
	v_and_b32_e32 v9, s1, v1
	v_bcnt_u32_b32 v10, v10, 0
	v_bcnt_u32_b32 v9, v9, v10
	s_waitcnt lgkmcnt(0)
	v_add_u32_e32 v8, v8, v9
	ds_write_b8 v8, v4
	s_branch .LBB72_15
.LBB72_24:                              ;   in Loop: Header=BB72_11 Depth=1
	s_mov_b64 s[12:13], -1
	s_mov_b64 s[0:1], 0
.LBB72_25:                              ;   in Loop: Header=BB72_11 Depth=1
	s_and_b64 vcc, exec, s[12:13]
	s_cbranch_vccz .LBB72_52
.LBB72_26:                              ;   in Loop: Header=BB72_11 Depth=1
	s_mov_b64 s[2:3], exec
	v_readlane_b32 s0, v81, 9
	v_readlane_b32 s1, v81, 10
	s_and_b64 s[0:1], s[2:3], s[0:1]
	s_mov_b64 exec, s[0:1]
	s_cbranch_execz .LBB72_49
; %bb.27:                               ;   in Loop: Header=BB72_11 Depth=1
	v_readlane_b32 s0, v81, 14
	v_readlane_b32 s1, v81, 15
	s_nop 4
	global_load_ushort v2, v21, s[0:1]
	global_load_ubyte v20, v[22:23], off
	v_mov_b32_e32 v3, v0
	s_waitcnt vmcnt(1)
	v_readfirstlane_b32 s21, v2
	v_add_u32_e32 v2, v0, v2
	v_cmp_gt_u32_e32 vcc, s64, v2
	s_and_saveexec_b64 s[26:27], vcc
	s_cbranch_execz .LBB72_48
; %bb.28:                               ;   in Loop: Header=BB72_11 Depth=1
	s_mov_b64 s[0:1], 0
	s_mul_i32 s30, s66, s21
                                        ; implicit-def: $vgpr3
                                        ; implicit-def: $vgpr4
                                        ; implicit-def: $vgpr5
	s_mov_b64 s[12:13], exec
	v_readlane_b32 s14, v81, 16
	v_readlane_b32 s15, v81, 17
	s_and_b64 s[14:15], s[12:13], s[14:15]
	s_xor_b64 s[28:29], s[14:15], s[12:13]
	s_mov_b64 exec, s[14:15]
	s_cbranch_execnz .LBB72_34
; %bb.29:                               ;   in Loop: Header=BB72_11 Depth=1
	s_andn2_saveexec_b64 s[12:13], s[28:29]
	s_cbranch_execnz .LBB72_43
.LBB72_30:                              ;   in Loop: Header=BB72_11 Depth=1
	s_or_b64 exec, exec, s[12:13]
	s_and_saveexec_b64 s[12:13], s[0:1]
	s_cbranch_execnz .LBB72_44
	s_branch .LBB72_47
.LBB72_31:                              ;   in Loop: Header=BB72_11 Depth=1
	s_or_b64 exec, exec, s[14:15]
	s_waitcnt lgkmcnt(0)
	s_barrier
	s_mov_b64 s[0:1], exec
	v_readlane_b32 s2, v81, 0
	v_readlane_b32 s3, v81, 1
	s_and_b64 s[2:3], s[0:1], s[2:3]
	s_mov_b64 exec, s[2:3]
	s_cbranch_execz .LBB72_33
; %bb.32:                               ;   in Loop: Header=BB72_11 Depth=1
	ds_read_b32 v2, v21 offset:4112
	s_waitcnt lgkmcnt(0)
	ds_write_b32 v21, v2 offset:4104
.LBB72_33:                              ;   in Loop: Header=BB72_11 Depth=1
	s_or_b64 exec, exec, s[0:1]
	s_waitcnt lgkmcnt(0)
	s_barrier
	s_mov_b64 s[0:1], -1
	s_and_b64 vcc, exec, s[12:13]
	s_cbranch_vccnz .LBB72_26
	s_branch .LBB72_52
.LBB72_34:                              ;   in Loop: Header=BB72_11 Depth=1
	v_cvt_f32_u32_e32 v3, s21
	v_add_u32_e32 v4, s21, v2
	v_max_u32_e32 v4, s64, v4
	s_lshl_b32 s0, s21, 1
	v_rcp_iflag_f32_e32 v3, v3
	v_sub_u32_e32 v4, v4, v0
	v_cmp_ne_u32_e32 vcc, s0, v4
	s_sub_i32 s1, 0, s21
	v_mul_f32_e32 v3, 0x4f7ffffe, v3
	v_cvt_u32_f32_e32 v3, v3
	v_cndmask_b32_e64 v5, 0, 1, vcc
	v_or_b32_e32 v5, s0, v5
	v_sub_u32_e32 v4, v4, v5
	v_mul_lo_u32 v5, s1, v3
	v_mul_hi_u32 v5, v3, v5
	v_add_u32_e32 v3, v3, v5
	v_mul_hi_u32 v3, v4, v3
	v_mul_lo_u32 v5, v3, s21
	v_sub_u32_e32 v4, v4, v5
	v_add_u32_e32 v5, 1, v3
	v_cmp_le_u32_e64 s[0:1], s21, v4
	s_nop 1
	v_cndmask_b32_e64 v3, v3, v5, s[0:1]
	v_subrev_u32_e32 v5, s21, v4
	v_cndmask_b32_e64 v4, v4, v5, s[0:1]
	v_add_u32_e32 v5, 1, v3
	v_cmp_le_u32_e64 s[0:1], s21, v4
	v_mul_lo_u32 v4, s66, v2
	s_nop 0
	v_cndmask_b32_e64 v3, v3, v5, s[0:1]
	v_addc_co_u32_e32 v3, vcc, 0, v3, vcc
	s_abs_i32 s0, s30
	v_mul_hi_u32 v5, s0, v3
	v_mul_lo_u32 v3, s0, v3
	s_not_b32 s0, s30
	s_ashr_i32 s0, s0, 31
	s_cmp_eq_u32 s21, 1
	v_cmp_eq_u32_e32 vcc, 0, v5
	v_xor_b32_e32 v4, s0, v4
	s_cselect_b64 s[12:13], -1, 0
	v_cmp_le_u32_e64 s[0:1], v3, v4
	s_and_b64 s[12:13], vcc, s[12:13]
	s_and_b64 s[14:15], s[12:13], s[0:1]
	s_mov_b64 s[12:13], -1
	v_mov_b32_e32 v4, v0
                                        ; implicit-def: $vgpr3
	s_and_saveexec_b64 s[0:1], s[14:15]
	s_cbranch_execz .LBB72_42
; %bb.35:                               ;   in Loop: Header=BB72_11 Depth=1
	v_add_u32_e32 v9, 7, v2
	v_add_u32_e32 v8, 6, v2
	;; [unrolled: 1-line block ×7, first 2 shown]
	v_mov_b64_e32 v[16:17], v[8:9]
	s_waitcnt vmcnt(0)
	v_lshlrev_b32_e32 v47, 24, v20
	v_mov_b32_e32 v49, 0
	v_mov_b64_e32 v[14:15], v[6:7]
	v_mov_b64_e32 v[12:13], v[4:5]
	;; [unrolled: 1-line block ×3, first 2 shown]
                                        ; implicit-def: $vgpr20
	s_mov_b64 s[12:13], exec
	v_readlane_b32 s14, v81, 18
	v_readlane_b32 s15, v81, 19
	s_and_b64 s[14:15], s[12:13], s[14:15]
	s_mov_b64 exec, s[14:15]
	s_cbranch_execz .LBB72_39
; %bb.36:                               ;   in Loop: Header=BB72_11 Depth=1
	v_mov_b64_e32 v[16:17], v[8:9]
	s_mov_b32 s9, 0
	s_mov_b64 s[14:15], 0
	v_mov_b32_e32 v48, v32
	v_mov_b64_e32 v[14:15], v[6:7]
	v_mov_b64_e32 v[12:13], v[4:5]
	;; [unrolled: 1-line block ×3, first 2 shown]
.LBB72_37:                              ;   Parent Loop BB72_11 Depth=1
                                        ; =>  This Inner Loop Header: Depth=2
	v_mul_lo_u32 v6, v16, s59
	v_mul_lo_u32 v8, v15, s23
	;; [unrolled: 1-line block ×6, first 2 shown]
	v_mov_b32_e32 v57, v21
	v_mov_b32_e32 v55, v21
	;; [unrolled: 1-line block ×5, first 2 shown]
	v_add_u32_e32 v49, 8, v11
	v_add_u32_e32 v51, 8, v12
	;; [unrolled: 1-line block ×7, first 2 shown]
	v_mul_lo_u32 v4, v17, s60
	v_mul_lo_u32 v58, v11, s63
	v_mov_b32_e32 v59, v21
	v_mov_b32_e32 v5, v21
	v_add_u32_e32 v3, 8, v10
	v_mov_b32_e32 v61, v21
	v_mov_b32_e32 v63, v21
	;; [unrolled: 1-line block ×5, first 2 shown]
	v_lshl_add_u64 v[74:75], s[70:71], 0, v[20:21]
	v_lshl_add_u64 v[56:57], s[70:71], 0, v[56:57]
	;; [unrolled: 1-line block ×6, first 2 shown]
	v_mul_lo_u32 v72, v68, s60
	v_mul_lo_u32 v70, v66, s59
	;; [unrolled: 1-line block ×7, first 2 shown]
	v_mov_b32_e32 v71, v21
	v_mov_b32_e32 v73, v21
	v_lshl_add_u64 v[58:59], s[70:71], 0, v[58:59]
	v_lshl_add_u64 v[4:5], s[70:71], 0, v[4:5]
	v_mul_lo_u32 v20, v3, s62
	global_load_ubyte v3, v[52:53], off
	global_load_ubyte v51, v[6:7], off
	;; [unrolled: 1-line block ×7, first 2 shown]
	s_nop 0
	global_load_ubyte v74, v[74:75], off
	v_lshl_add_u64 v[6:7], s[70:71], 0, v[60:61]
	v_lshl_add_u64 v[8:9], s[70:71], 0, v[62:63]
	;; [unrolled: 1-line block ×8, first 2 shown]
	global_load_ubyte v52, v[52:53], off
	s_nop 0
	global_load_ubyte v53, v[54:55], off
	s_nop 0
	global_load_ubyte v54, v[58:59], off
	global_load_ubyte v20, v[60:61], off
	;; [unrolled: 1-line block ×3, first 2 shown]
	s_nop 0
	global_load_ubyte v56, v[4:5], off
	s_nop 0
	global_load_ubyte v8, v[8:9], off
	;; [unrolled: 2-line block ×3, first 2 shown]
	v_add_u32_e32 v48, -2, v48
	v_add_u32_e32 v9, s9, v0
	s_add_i32 s9, s9, 16
	v_cmp_eq_u32_e32 vcc, 0, v48
	v_add_u32_e32 v17, 16, v17
	v_add_u32_e32 v16, 16, v16
	;; [unrolled: 1-line block ×8, first 2 shown]
	v_mov_b32_e32 v49, s9
	s_or_b64 s[14:15], vcc, s[14:15]
	s_waitcnt vmcnt(12)
	v_perm_b32 v4, v77, v51, s85
	s_waitcnt vmcnt(11)
	v_perm_b32 v3, v78, v3, s85
	v_lshl_or_b32 v5, v4, 16, v3
	s_waitcnt vmcnt(9)
	v_perm_b32 v7, v80, v79, s85
	s_waitcnt vmcnt(8)
	v_perm_b32 v47, v47, v74, s61
	v_lshl_or_b32 v4, v7, 16, v47
	s_waitcnt vmcnt(6)
	v_perm_b32 v3, v52, v53, s85
	s_waitcnt vmcnt(4)
	v_perm_b32 v51, v54, v20, s85
	;; [unrolled: 2-line block ×4, first 2 shown]
	v_lshl_or_b32 v7, v7, 16, v3
	s_waitcnt vmcnt(0)
	v_perm_b32 v6, v6, v8, s85
	v_perm_b32 v8, v53, v55, s85
	v_lshl_or_b32 v6, v6, 16, v47
	v_lshl_or_b32 v47, v51, 16, v8
	ds_write_b128 v9, v[4:7]
	s_andn2_b64 exec, exec, s[14:15]
	s_cbranch_execnz .LBB72_37
; %bb.38:                               ;   in Loop: Header=BB72_11 Depth=1
	s_or_b64 exec, exec, s[14:15]
.LBB72_39:                              ;   in Loop: Header=BB72_11 Depth=1
	s_or_b64 exec, exec, s[12:13]
	s_mov_b64 s[12:13], exec
	v_readlane_b32 s14, v81, 20
	v_readlane_b32 s15, v81, 21
	s_and_b64 s[14:15], s[12:13], s[14:15]
	s_mov_b64 exec, s[14:15]
	s_cbranch_execz .LBB72_41
; %bb.40:                               ;   in Loop: Header=BB72_11 Depth=1
	v_mul_lo_u32 v4, v16, s59
	v_mul_lo_u32 v6, v15, s23
	;; [unrolled: 1-line block ×3, first 2 shown]
	v_mov_b32_e32 v9, v21
	v_mov_b32_e32 v7, v21
	v_mov_b32_e32 v5, v21
	v_mul_lo_u32 v14, v13, s86
	v_mul_lo_u32 v12, v12, s79
	;; [unrolled: 1-line block ×4, first 2 shown]
	v_mov_b32_e32 v53, v21
	v_mov_b32_e32 v13, v21
	;; [unrolled: 1-line block ×3, first 2 shown]
	v_lshl_add_u64 v[8:9], s[70:71], 0, v[8:9]
	v_lshl_add_u64 v[6:7], s[70:71], 0, v[6:7]
	;; [unrolled: 1-line block ×3, first 2 shown]
	v_mul_lo_u32 v16, v17, s60
	v_mov_b32_e32 v17, v21
	v_lshl_add_u64 v[10:11], s[70:71], 0, v[20:21]
	v_lshl_add_u64 v[52:53], s[70:71], 0, v[52:53]
	;; [unrolled: 1-line block ×5, first 2 shown]
	global_load_ubyte v3, v[8:9], off
	s_nop 0
	global_load_ubyte v4, v[4:5], off
	s_nop 0
	global_load_ubyte v20, v[16:17], off
	global_load_ubyte v5, v[6:7], off
	s_nop 0
	global_load_ubyte v6, v[14:15], off
	global_load_ubyte v7, v[12:13], off
	;; [unrolled: 1-line block ×4, first 2 shown]
	s_waitcnt vmcnt(4)
	v_perm_b32 v4, v5, v4, s85
	s_waitcnt vmcnt(3)
	v_perm_b32 v3, v6, v3, s85
	v_lshl_or_b32 v5, v4, 16, v3
	s_waitcnt vmcnt(1)
	v_perm_b32 v6, v8, v7, s85
	s_waitcnt vmcnt(0)
	v_perm_b32 v7, v47, v9, s61
	v_lshl_or_b32 v4, v6, 16, v7
	v_add_u32_e32 v3, v0, v49
	ds_write_b64 v3, v[4:5]
.LBB72_41:                              ;   in Loop: Header=BB72_11 Depth=1
	s_or_b64 exec, exec, s[12:13]
	v_readlane_b32 s12, v81, 22
	v_add_u32_e32 v2, v2, v30
	v_readlane_b32 s13, v81, 23
	v_add_u32_e32 v3, -1, v2
	s_orn2_b64 s[12:13], s[12:13], exec
	v_mov_b32_e32 v4, v31
.LBB72_42:                              ;   in Loop: Header=BB72_11 Depth=1
	s_or_b64 exec, exec, s[0:1]
	v_mov_b32_e32 v5, s30
	s_and_b64 s[0:1], s[12:13], exec
	s_andn2_saveexec_b64 s[12:13], s[28:29]
	s_cbranch_execz .LBB72_30
.LBB72_43:                              ;   in Loop: Header=BB72_11 Depth=1
	v_mov_b32_e32 v5, s30
	s_or_b64 s[0:1], s[0:1], exec
	v_mov_b32_e32 v4, v0
	s_or_b64 exec, exec, s[12:13]
	s_and_saveexec_b64 s[12:13], s[0:1]
	s_cbranch_execz .LBB72_47
.LBB72_44:                              ;   in Loop: Header=BB72_11 Depth=1
	s_sub_i32 s9, 0, s21
	v_mul_lo_u32 v3, s66, v2
	s_mov_b64 s[0:1], 0
.LBB72_45:                              ;   Parent Loop BB72_11 Depth=1
                                        ; =>  This Inner Loop Header: Depth=2
	global_load_ubyte v6, v3, s[70:71]
	v_mov_b32_e32 v7, v2
	v_add_u32_e32 v2, s21, v7
	v_cmp_le_u32_e32 vcc, s64, v2
	s_waitcnt vmcnt(1)
	ds_write_b8 v4, v20
	v_add_u32_e32 v3, v3, v5
	v_mov_b32_e32 v4, v7
	s_or_b64 s[0:1], vcc, s[0:1]
	s_waitcnt vmcnt(0)
	v_mov_b32_e32 v20, v6
	s_andn2_b64 exec, exec, s[0:1]
	s_cbranch_execnz .LBB72_45
; %bb.46:                               ;   in Loop: Header=BB72_11 Depth=1
	s_or_b64 exec, exec, s[0:1]
	v_add_u32_e32 v3, s9, v2
	v_mov_b32_e32 v20, v6
.LBB72_47:                              ;   in Loop: Header=BB72_11 Depth=1
	s_or_b64 exec, exec, s[12:13]
.LBB72_48:                              ;   in Loop: Header=BB72_11 Depth=1
	s_or_b64 exec, exec, s[26:27]
	s_waitcnt vmcnt(0)
	ds_write_b8 v3, v20
.LBB72_49:                              ;   in Loop: Header=BB72_11 Depth=1
	s_or_b64 exec, exec, s[2:3]
	s_waitcnt lgkmcnt(0)
	s_barrier
	s_mov_b64 s[0:1], exec
	v_readlane_b32 s2, v81, 0
	v_readlane_b32 s3, v81, 1
	s_and_b64 s[2:3], s[0:1], s[2:3]
	s_mov_b64 exec, s[2:3]
; %bb.50:                               ;   in Loop: Header=BB72_11 Depth=1
	ds_write_b32 v21, v50 offset:4104
; %bb.51:                               ;   in Loop: Header=BB72_11 Depth=1
	s_or_b64 exec, exec, s[0:1]
	s_mov_b64 s[0:1], -1
	s_waitcnt lgkmcnt(0)
	s_barrier
.LBB72_52:                              ;   in Loop: Header=BB72_11 Depth=1
	s_mov_b32 s21, 0
	s_and_b64 vcc, exec, s[0:1]
	s_cbranch_vccz .LBB72_54
; %bb.53:                               ;   in Loop: Header=BB72_11 Depth=1
	ds_read_b32 v2, v21 offset:4104
	s_waitcnt lgkmcnt(0)
	v_readfirstlane_b32 s21, v2
.LBB72_54:                              ;   in Loop: Header=BB72_11 Depth=1
	s_cmp_lt_i32 s21, 1
	s_mov_b64 s[0:1], -1
                                        ; implicit-def: $vgpr5
	s_cbranch_scc1 .LBB72_64
; %bb.55:                               ;   in Loop: Header=BB72_11 Depth=1
	s_and_b64 vcc, exec, s[0:1]
	s_cbranch_vccnz .LBB72_75
.LBB72_56:                              ;   in Loop: Header=BB72_11 Depth=1
	s_lshl_b32 s9, s20, 6
	s_and_saveexec_b64 s[0:1], s[4:5]
.LBB72_57:                              ;   in Loop: Header=BB72_11 Depth=1
	v_lshl_add_u32 v6, s9, 2, v29
	ds_write_b128 v6, v[2:5]
.LBB72_58:                              ;   in Loop: Header=BB72_11 Depth=1
	s_or_b64 exec, exec, s[0:1]
	s_waitcnt lgkmcnt(0)
	s_barrier
	s_and_saveexec_b64 s[0:1], s[76:77]
	s_cbranch_execz .LBB72_92
; %bb.59:                               ;   in Loop: Header=BB72_11 Depth=1
	v_add_u32_e32 v4, s9, v28
	s_andn2_b64 vcc, exec, s[80:81]
	v_mov_b32_e32 v2, 0
	s_cbranch_vccnz .LBB72_91
; %bb.60:                               ;   in Loop: Header=BB72_11 Depth=1
	v_readlane_b32 s2, v81, 24
	v_readlane_b32 s3, v81, 25
	s_andn2_b64 vcc, exec, s[2:3]
	s_cbranch_vccnz .LBB72_84
; %bb.61:                               ;   in Loop: Header=BB72_11 Depth=1
	v_readlane_b32 s2, v81, 26
	v_readlane_b32 s3, v81, 27
	s_andn2_b64 vcc, exec, s[2:3]
	v_lshl_add_u32 v5, v4, 2, v42
	s_cbranch_vccnz .LBB72_85
; %bb.62:                               ;   in Loop: Header=BB72_11 Depth=1
	s_mov_b32 s3, 1
	s_mov_b32 s2, 0
	v_mov_b32_e32 v2, 0
	v_mov_b32_e32 v3, 0
	v_readlane_b32 s12, v81, 28
.LBB72_63:                              ;   Parent Loop BB72_11 Depth=1
                                        ; =>  This Inner Loop Header: Depth=2
	v_lshl_add_u32 v20, s2, 4, v5
	v_lshl_add_u32 v47, s3, 4, v5
	ds_read2_b32 v[6:7], v20 offset1:8
	ds_read2_b32 v[8:9], v47 offset1:8
	ds_read2_b32 v[10:11], v20 offset0:16 offset1:24
	ds_read2_b32 v[12:13], v47 offset0:16 offset1:24
	;; [unrolled: 1-line block ×6, first 2 shown]
	s_waitcnt lgkmcnt(7)
	v_add3_u32 v2, v6, v2, v7
	s_waitcnt lgkmcnt(6)
	v_add3_u32 v3, v8, v3, v9
	;; [unrolled: 2-line block ×3, first 2 shown]
	v_add3_u32 v2, v10, v2, v11
	s_add_i32 s3, s3, 16
	s_add_i32 s2, s2, 16
	s_add_i32 s12, s12, -8
	s_waitcnt lgkmcnt(3)
	v_add3_u32 v2, v14, v2, v15
	s_waitcnt lgkmcnt(2)
	v_add3_u32 v3, v16, v3, v17
	s_cmp_lg_u32 s12, 0
	s_waitcnt lgkmcnt(0)
	v_add3_u32 v3, v52, v3, v53
	v_add3_u32 v2, v48, v2, v49
	s_cbranch_scc1 .LBB72_63
	s_branch .LBB72_86
.LBB72_64:                              ;   in Loop: Header=BB72_11 Depth=1
	v_mov_b32_e32 v2, 0
	v_mov_b32_e32 v3, 0
	;; [unrolled: 1-line block ×4, first 2 shown]
	s_and_saveexec_b64 s[12:13], s[16:17]
	s_cbranch_execz .LBB72_68
; %bb.65:                               ;   in Loop: Header=BB72_11 Depth=1
	s_mov_b32 s78, 0
	s_mov_b64 s[14:15], 0
	s_mov_b32 s79, 0
	s_mov_b32 s9, 0
	;; [unrolled: 1-line block ×4, first 2 shown]
	v_mov_b32_e32 v6, v25
.LBB72_66:                              ;   Parent Loop BB72_11 Depth=1
                                        ; =>  This Inner Loop Header: Depth=2
	v_add_u32_e32 v2, s78, v37
	v_add_u32_e32 v3, s78, v34
	;; [unrolled: 1-line block ×4, first 2 shown]
	global_load_ubyte v2, v2, s[70:71]
	s_nop 0
	global_load_ubyte v3, v3, s[70:71]
	s_nop 0
	;; [unrolled: 2-line block ×3, first 2 shown]
	global_load_ubyte v5, v5, s[70:71]
	v_add_u32_e32 v6, s65, v6
	s_add_i32 s78, s78, s83
	v_cmp_le_u32_e32 vcc, s25, v6
	s_waitcnt vmcnt(3)
	v_and_b32_e32 v7, v44, v2
	v_bfe_u32 v2, v2, v41, 2
	s_waitcnt vmcnt(2)
	v_and_b32_e32 v8, v44, v3
	v_bfe_u32 v3, v3, v41, 2
	v_cmp_eq_u32_e64 s[0:1], v7, v38
	v_cmp_eq_u32_e64 s[30:31], 0, v2
	s_waitcnt vmcnt(1)
	v_and_b32_e32 v9, v44, v4
	v_bfe_u32 v4, v4, v41, 2
	v_cmp_eq_u32_e64 s[2:3], v8, v38
	v_cmp_eq_u32_e64 s[34:35], 0, v3
	s_and_b64 s[30:31], s[0:1], s[30:31]
	s_waitcnt vmcnt(0)
	v_and_b32_e32 v10, v44, v5
	v_bfe_u32 v5, v5, v41, 2
	v_cmp_eq_u32_e64 s[26:27], v9, v38
	v_cmp_eq_u32_e64 s[36:37], 0, v4
	;; [unrolled: 1-line block ×5, first 2 shown]
	v_cndmask_b32_e64 v2, 0, 1, s[30:31]
	s_and_b64 s[30:31], s[2:3], s[34:35]
	v_cmp_eq_u32_e64 s[28:29], v10, v38
	v_cmp_eq_u32_e64 s[38:39], 0, v5
	;; [unrolled: 1-line block ×5, first 2 shown]
	v_cndmask_b32_e64 v3, 0, 1, s[30:31]
	s_and_b64 s[30:31], s[26:27], s[36:37]
	v_cmp_eq_u32_e64 s[44:45], 1, v4
	v_cmp_eq_u32_e64 s[52:53], 2, v4
	;; [unrolled: 1-line block ×3, first 2 shown]
	v_cndmask_b32_e64 v4, 0, 1, s[30:31]
	s_and_b64 s[30:31], s[28:29], s[38:39]
	v_cmp_eq_u32_e64 s[46:47], 1, v5
	v_cmp_eq_u32_e64 s[54:55], 2, v5
	v_cmp_eq_u32_e64 s[62:63], 3, v5
	v_cndmask_b32_e64 v5, 0, 1, s[30:31]
	s_and_b64 s[30:31], s[0:1], s[40:41]
	v_cndmask_b32_e64 v7, 0, 1, s[30:31]
	s_and_b64 s[30:31], s[2:3], s[42:43]
	;; [unrolled: 2-line block ×5, first 2 shown]
	s_and_b64 s[0:1], s[0:1], s[56:57]
	v_cndmask_b32_e64 v11, 0, 1, s[30:31]
	s_and_b64 s[30:31], s[2:3], s[50:51]
	v_cndmask_b32_e64 v15, 0, 1, s[0:1]
	;; [unrolled: 2-line block ×7, first 2 shown]
	v_cndmask_b32_e64 v20, 0, 1, s[0:1]
	v_cmp_ne_u32_e64 s[0:1], 0, v2
	v_cmp_ne_u32_e64 s[2:3], 0, v3
	;; [unrolled: 1-line block ×11, first 2 shown]
	s_bcnt1_i32_b64 s0, s[0:1]
	s_bcnt1_i32_b64 s1, s[2:3]
	;; [unrolled: 1-line block ×8, first 2 shown]
	v_cmp_ne_u32_e64 s[38:39], 0, v10
	v_cmp_ne_u32_e64 s[44:45], 0, v13
	;; [unrolled: 1-line block ×3, first 2 shown]
	s_bcnt1_i32_b64 s27, s[34:35]
	s_bcnt1_i32_b64 s31, s[42:43]
	;; [unrolled: 1-line block ×3, first 2 shown]
	s_add_i32 s0, s86, s0
	s_add_i32 s26, s33, s26
	;; [unrolled: 1-line block ×4, first 2 shown]
	v_cmp_ne_u32_e64 s[46:47], 0, v14
	v_cmp_ne_u32_e64 s[54:55], 0, v20
	s_bcnt1_i32_b64 s29, s[38:39]
	s_bcnt1_i32_b64 s34, s[44:45]
	;; [unrolled: 1-line block ×3, first 2 shown]
	s_add_i32 s0, s0, s1
	s_add_i32 s1, s26, s27
	;; [unrolled: 1-line block ×4, first 2 shown]
	s_bcnt1_i32_b64 s35, s[46:47]
	s_bcnt1_i32_b64 s39, s[54:55]
	s_add_i32 s0, s0, s2
	s_add_i32 s1, s1, s28
	;; [unrolled: 1-line block ×8, first 2 shown]
	s_or_b64 s[14:15], vcc, s[14:15]
	v_mov_b32_e32 v2, s86
	v_mov_b32_e32 v3, s33
	;; [unrolled: 1-line block ×4, first 2 shown]
	s_andn2_b64 exec, exec, s[14:15]
	s_cbranch_execnz .LBB72_66
; %bb.67:                               ;   in Loop: Header=BB72_11 Depth=1
	s_or_b64 exec, exec, s[14:15]
	s_mov_b32 s62, s87
	s_mov_b32 s63, s88
	;; [unrolled: 1-line block ×9, first 2 shown]
.LBB72_68:                              ;   in Loop: Header=BB72_11 Depth=1
	s_or_b64 exec, exec, s[12:13]
	s_and_saveexec_b64 s[2:3], s[18:19]
	s_cbranch_execz .LBB72_74
; %bb.69:                               ;   in Loop: Header=BB72_11 Depth=1
	global_load_ubyte v9, v[26:27], off
	s_mov_b64 s[12:13], 0
	v_mov_b32_e32 v6, v39
	v_mov_b32_e32 v7, v33
	s_branch .LBB72_71
.LBB72_70:                              ;   in Loop: Header=BB72_71 Depth=2
	s_or_b64 exec, exec, s[14:15]
	s_waitcnt vmcnt(0)
	v_and_b32_e32 v10, 0xff, v9
	v_bitop3_b32 v9, v44, v9, s84 bitop3:0x80
	s_and_b64 s[0:1], exec, vcc
	v_cmp_eq_u32_e32 vcc, v9, v38
	v_bfe_u32 v9, v10, v41, 2
	s_or_b64 s[12:13], s[0:1], s[12:13]
	v_cmp_eq_u32_e64 s[0:1], 0, v9
	s_and_b64 s[0:1], vcc, s[0:1]
	v_add_u32_e32 v6, s75, v6
	v_cndmask_b32_e64 v10, 0, 1, s[0:1]
	v_cmp_ne_u32_e64 s[0:1], 0, v10
	s_bcnt1_i32_b64 s0, s[0:1]
	s_nop 0
	v_add_u32_e32 v2, s0, v2
	v_cmp_eq_u32_e64 s[0:1], 1, v9
	s_and_b64 s[0:1], vcc, s[0:1]
	s_nop 0
	v_cndmask_b32_e64 v10, 0, 1, s[0:1]
	v_cmp_ne_u32_e64 s[0:1], 0, v10
	s_bcnt1_i32_b64 s0, s[0:1]
	s_nop 0
	v_add_u32_e32 v3, s0, v3
	v_cmp_eq_u32_e64 s[0:1], 2, v9
	s_and_b64 s[0:1], vcc, s[0:1]
	s_nop 0
	;; [unrolled: 8-line block ×3, first 2 shown]
	v_cndmask_b32_e64 v9, 0, 1, s[0:1]
	v_cmp_ne_u32_e32 vcc, 0, v9
	s_bcnt1_i32_b64 s0, vcc
	v_add_u32_e32 v5, s0, v5
	v_mov_b32_e32 v9, v8
	s_andn2_b64 exec, exec, s[12:13]
	s_cbranch_execz .LBB72_73
.LBB72_71:                              ;   Parent Loop BB72_11 Depth=1
                                        ; =>  This Inner Loop Header: Depth=2
	v_add_u32_e32 v7, s67, v7
	v_cmp_gt_u32_e64 s[0:1], s64, v7
	v_cmp_le_u32_e32 vcc, s64, v7
	v_mov_b32_e32 v8, 0
	s_and_saveexec_b64 s[14:15], s[0:1]
	s_cbranch_execz .LBB72_70
; %bb.72:                               ;   in Loop: Header=BB72_71 Depth=2
	global_load_ubyte v8, v6, s[70:71]
	s_branch .LBB72_70
.LBB72_73:                              ;   in Loop: Header=BB72_11 Depth=1
	s_or_b64 exec, exec, s[12:13]
.LBB72_74:                              ;   in Loop: Header=BB72_11 Depth=1
	s_or_b64 exec, exec, s[2:3]
	s_branch .LBB72_56
.LBB72_75:                              ;   in Loop: Header=BB72_11 Depth=1
	s_mul_hi_u32 s0, s21, s24
	s_mul_i32 s0, s0, s65
	s_sub_i32 s0, s21, s0
	s_sub_i32 s1, s0, s65
	s_cmp_ge_u32 s0, s65
	s_cselect_b32 s0, s1, s0
	s_sub_i32 s1, s0, s65
	s_cmp_ge_u32 s0, s65
	s_cselect_b32 s0, s1, s0
	s_sub_i32 s78, s21, s0
	v_cmp_gt_u32_e32 vcc, s78, v25
	v_mov_b32_e32 v2, 0
	v_mov_b32_e32 v3, 0
	;; [unrolled: 1-line block ×4, first 2 shown]
	s_and_saveexec_b64 s[12:13], vcc
	s_cbranch_execz .LBB72_79
; %bb.76:                               ;   in Loop: Header=BB72_11 Depth=1
	s_mov_b32 s79, 0
	s_mov_b64 s[14:15], 0
	s_mov_b32 s9, 0
	s_mov_b32 s33, 0
	;; [unrolled: 1-line block ×3, first 2 shown]
	v_mov_b32_e32 v6, v25
.LBB72_77:                              ;   Parent Loop BB72_11 Depth=1
                                        ; =>  This Inner Loop Header: Depth=2
	ds_read_b32 v2, v6
	v_add_u32_e32 v6, s65, v6
	v_cmp_le_u32_e32 vcc, s78, v6
	s_waitcnt lgkmcnt(0)
	v_and_b32_e32 v7, 0xff, v2
	v_lshrrev_b32_e32 v3, 16, v2
	v_lshrrev_b32_e32 v4, 8, v2
	;; [unrolled: 1-line block ×3, first 2 shown]
	v_bfe_u32 v8, v2, 8, 8
	v_bfe_u32 v9, v2, 16, 8
	v_bitop3_b32 v2, v44, v2, s84 bitop3:0x80
	v_bfe_u32 v7, v7, v41, 2
	v_cmp_eq_u32_e64 s[0:1], v2, v38
	v_bitop3_b32 v2, v44, v4, s84 bitop3:0x80
	v_bfe_u32 v8, v8, v41, 2
	v_cmp_eq_u32_e64 s[30:31], 0, v7
	;; [unrolled: 3-line block ×3, first 2 shown]
	v_cmp_eq_u32_e64 s[34:35], 0, v8
	s_and_b64 s[30:31], s[0:1], s[30:31]
	v_and_b32_e32 v4, v44, v5
	v_bfe_u32 v5, v5, v41, 2
	v_cmp_eq_u32_e64 s[26:27], v3, v38
	v_cmp_eq_u32_e64 s[36:37], 0, v9
	v_cndmask_b32_e64 v2, 0, 1, s[30:31]
	s_and_b64 s[30:31], s[2:3], s[34:35]
	v_cmp_eq_u32_e64 s[28:29], v4, v38
	v_cmp_eq_u32_e64 s[38:39], 0, v5
	v_cndmask_b32_e64 v3, 0, 1, s[30:31]
	s_and_b64 s[30:31], s[26:27], s[36:37]
	v_cmp_eq_u32_e64 s[40:41], 1, v7
	v_cndmask_b32_e64 v4, 0, 1, s[30:31]
	s_and_b64 s[30:31], s[28:29], s[38:39]
	v_cmp_eq_u32_e64 s[42:43], 1, v8
	v_cmp_eq_u32_e64 s[46:47], 1, v5
	;; [unrolled: 1-line block ×4, first 2 shown]
	v_cndmask_b32_e64 v5, 0, 1, s[30:31]
	s_and_b64 s[30:31], s[0:1], s[40:41]
	v_cmp_eq_u32_e64 s[44:45], 1, v9
	v_cmp_eq_u32_e64 s[48:49], 2, v7
	;; [unrolled: 1-line block ×3, first 2 shown]
	v_cndmask_b32_e64 v7, 0, 1, s[30:31]
	s_and_b64 s[30:31], s[2:3], s[42:43]
	v_cmp_eq_u32_e64 s[50:51], 2, v8
	v_cmp_eq_u32_e64 s[58:59], 3, v8
	v_cndmask_b32_e64 v8, 0, 1, s[30:31]
	s_and_b64 s[30:31], s[26:27], s[44:45]
	v_cmp_eq_u32_e64 s[52:53], 2, v9
	v_cmp_eq_u32_e64 s[60:61], 3, v9
	v_cndmask_b32_e64 v9, 0, 1, s[30:31]
	s_and_b64 s[30:31], s[28:29], s[46:47]
	v_cndmask_b32_e64 v10, 0, 1, s[30:31]
	s_and_b64 s[30:31], s[0:1], s[48:49]
	s_and_b64 s[0:1], s[0:1], s[56:57]
	v_cndmask_b32_e64 v11, 0, 1, s[30:31]
	s_and_b64 s[30:31], s[2:3], s[50:51]
	v_cndmask_b32_e64 v15, 0, 1, s[0:1]
	;; [unrolled: 2-line block ×7, first 2 shown]
	v_cndmask_b32_e64 v20, 0, 1, s[0:1]
	v_cmp_ne_u32_e64 s[0:1], 0, v2
	v_cmp_ne_u32_e64 s[2:3], 0, v3
	;; [unrolled: 1-line block ×11, first 2 shown]
	s_bcnt1_i32_b64 s0, s[0:1]
	s_bcnt1_i32_b64 s1, s[2:3]
	;; [unrolled: 1-line block ×8, first 2 shown]
	v_cmp_ne_u32_e64 s[38:39], 0, v10
	v_cmp_ne_u32_e64 s[44:45], 0, v13
	v_cmp_ne_u32_e64 s[52:53], 0, v17
	s_bcnt1_i32_b64 s27, s[34:35]
	s_bcnt1_i32_b64 s31, s[42:43]
	;; [unrolled: 1-line block ×3, first 2 shown]
	s_add_i32 s0, s86, s0
	s_add_i32 s26, s33, s26
	;; [unrolled: 1-line block ×4, first 2 shown]
	v_cmp_ne_u32_e64 s[46:47], 0, v14
	v_cmp_ne_u32_e64 s[54:55], 0, v20
	s_bcnt1_i32_b64 s29, s[38:39]
	s_bcnt1_i32_b64 s34, s[44:45]
	;; [unrolled: 1-line block ×3, first 2 shown]
	s_add_i32 s0, s0, s1
	s_add_i32 s1, s26, s27
	;; [unrolled: 1-line block ×4, first 2 shown]
	s_bcnt1_i32_b64 s35, s[46:47]
	s_bcnt1_i32_b64 s39, s[54:55]
	s_add_i32 s0, s0, s2
	s_add_i32 s1, s1, s28
	;; [unrolled: 1-line block ×8, first 2 shown]
	s_or_b64 s[14:15], vcc, s[14:15]
	v_mov_b32_e32 v2, s86
	v_mov_b32_e32 v3, s33
	;; [unrolled: 1-line block ×4, first 2 shown]
	s_andn2_b64 exec, exec, s[14:15]
	s_cbranch_execnz .LBB72_77
; %bb.78:                               ;   in Loop: Header=BB72_11 Depth=1
	s_or_b64 exec, exec, s[14:15]
	s_mov_b32 s62, s87
	s_mov_b32 s63, s88
	;; [unrolled: 1-line block ×9, first 2 shown]
.LBB72_79:                              ;   in Loop: Header=BB72_11 Depth=1
	s_or_b64 exec, exec, s[12:13]
	v_add_u32_e32 v6, s78, v0
	v_cmp_gt_u32_e32 vcc, s21, v6
	s_and_saveexec_b64 s[12:13], vcc
	s_cbranch_execz .LBB72_83
; %bb.80:                               ;   in Loop: Header=BB72_11 Depth=1
	s_mov_b64 s[14:15], 0
.LBB72_81:                              ;   Parent Loop BB72_11 Depth=1
                                        ; =>  This Inner Loop Header: Depth=2
	ds_read_u8 v7, v6
	v_add_u32_e32 v6, s67, v6
	v_cmp_le_u32_e32 vcc, s21, v6
	s_waitcnt lgkmcnt(0)
	v_and_b32_e32 v8, v44, v7
	v_bfe_u32 v7, v7, v41, 2
	v_cmp_eq_u32_e64 s[0:1], v8, v38
	v_cmp_eq_u32_e64 s[2:3], 0, v7
	;; [unrolled: 1-line block ×3, first 2 shown]
	s_and_b64 s[2:3], s[0:1], s[2:3]
	v_cmp_eq_u32_e64 s[28:29], 2, v7
	v_cmp_eq_u32_e64 s[30:31], 3, v7
	v_cndmask_b32_e64 v7, 0, 1, s[2:3]
	s_and_b64 s[2:3], s[0:1], s[26:27]
	v_cndmask_b32_e64 v8, 0, 1, s[2:3]
	s_and_b64 s[2:3], s[0:1], s[28:29]
	s_and_b64 s[0:1], s[0:1], s[30:31]
	v_cndmask_b32_e64 v9, 0, 1, s[2:3]
	v_cndmask_b32_e64 v10, 0, 1, s[0:1]
	v_cmp_ne_u32_e64 s[0:1], 0, v7
	v_cmp_ne_u32_e64 s[2:3], 0, v8
	;; [unrolled: 1-line block ×4, first 2 shown]
	s_bcnt1_i32_b64 s0, s[0:1]
	s_bcnt1_i32_b64 s1, s[2:3]
	;; [unrolled: 1-line block ×4, first 2 shown]
	v_add_u32_e32 v2, s0, v2
	v_add_u32_e32 v3, s1, v3
	;; [unrolled: 1-line block ×3, first 2 shown]
	s_or_b64 s[14:15], vcc, s[14:15]
	v_add_u32_e32 v5, s3, v5
	s_andn2_b64 exec, exec, s[14:15]
	s_cbranch_execnz .LBB72_81
; %bb.82:                               ;   in Loop: Header=BB72_11 Depth=1
	s_or_b64 exec, exec, s[14:15]
.LBB72_83:                              ;   in Loop: Header=BB72_11 Depth=1
	s_or_b64 exec, exec, s[12:13]
	s_lshl_b32 s9, s20, 6
	s_and_saveexec_b64 s[0:1], s[4:5]
	s_cbranch_execnz .LBB72_57
	s_branch .LBB72_58
.LBB72_84:                              ;   in Loop: Header=BB72_11 Depth=1
	v_mov_b32_e32 v2, 0
	s_mov_b32 s12, 0
	s_cbranch_execnz .LBB72_89
	s_branch .LBB72_91
.LBB72_85:                              ;   in Loop: Header=BB72_11 Depth=1
	v_mov_b32_e32 v20, v21
	s_mov_b32 s2, 0
	v_mov_b64_e32 v[2:3], v[20:21]
	s_mov_b32 s3, 1
.LBB72_86:                              ;   in Loop: Header=BB72_11 Depth=1
	v_readlane_b32 s12, v81, 30
	v_readlane_b32 s13, v81, 31
	s_andn2_b64 vcc, exec, s[12:13]
	v_readlane_b32 s12, v81, 29
	s_cbranch_vccnz .LBB72_88
.LBB72_87:                              ;   Parent Loop BB72_11 Depth=1
                                        ; =>  This Inner Loop Header: Depth=2
	v_lshl_add_u32 v6, s2, 4, v5
	v_lshl_add_u32 v7, s3, 4, v5
	ds_read_b32 v7, v7
	ds_read_b32 v6, v6
	s_add_i32 s3, s3, 2
	s_add_i32 s2, s2, 2
	s_add_i32 s12, s12, -1
	s_cmp_lg_u32 s12, 0
	s_waitcnt lgkmcnt(1)
	v_add_u32_e32 v3, v7, v3
	s_waitcnt lgkmcnt(0)
	v_add_u32_e32 v2, v6, v2
	s_cbranch_scc1 .LBB72_87
.LBB72_88:                              ;   in Loop: Header=BB72_11 Depth=1
	v_readlane_b32 s2, v81, 34
	v_add_u32_e32 v2, v2, v3
	v_readlane_b32 s12, v81, 33
	v_readlane_b32 s3, v81, 35
	s_and_b64 vcc, exec, s[2:3]
	s_cbranch_vccz .LBB72_91
.LBB72_89:                              ;   in Loop: Header=BB72_11 Depth=1
	s_lshl_b32 s2, s20, 8
	s_lshl_b32 s3, s12, 4
	s_add_i32 s2, s2, s3
	v_add_u32_e32 v3, s2, v40
	v_readlane_b32 s2, v81, 32
	s_sub_i32 s2, s2, s12
.LBB72_90:                              ;   Parent Loop BB72_11 Depth=1
                                        ; =>  This Inner Loop Header: Depth=2
	ds_read_b32 v5, v3
	s_add_i32 s2, s2, -1
	v_add_u32_e32 v3, 16, v3
	s_cmp_eq_u32 s2, 0
	s_waitcnt lgkmcnt(0)
	v_add_u32_e32 v2, v5, v2
	s_cbranch_scc0 .LBB72_90
.LBB72_91:                              ;   in Loop: Header=BB72_11 Depth=1
	v_lshlrev_b32_e32 v3, 2, v4
	ds_write_b32 v3, v2 offset:3072
.LBB72_92:                              ;   in Loop: Header=BB72_11 Depth=1
	s_or_b64 exec, exec, s[0:1]
	s_lshl_b32 s0, s9, 2
	v_mov_b32_e32 v2, s0
	s_waitcnt lgkmcnt(0)
	s_barrier
	ds_read_b128 v[2:5], v2 offset:3072
	v_cmp_eq_u32_e32 vcc, 1, v46
	s_mov_b64 s[2:3], -1
	s_mov_b64 s[28:29], -1
                                        ; implicit-def: $sgpr14_sgpr15
                                        ; implicit-def: $sgpr12_sgpr13
	s_waitcnt lgkmcnt(0)
	v_readfirstlane_b32 s42, v2
	s_cmp_eq_u32 s42, 1
	v_lshlrev_b32_e64 v2, v41, 3
	s_cselect_b64 s[0:1], -1, 0
	v_readfirstlane_b32 s46, v3
	v_readfirstlane_b32 s54, v4
	v_readfirstlane_b32 s21, v5
	v_not_b32_e32 v4, v2
	s_and_b64 s[26:27], s[0:1], vcc
	s_and_saveexec_b64 s[0:1], s[26:27]
	s_cbranch_execz .LBB72_118
; %bb.93:                               ;   in Loop: Header=BB72_11 Depth=1
	ds_read_b32 v3, v21 offset:4104
	s_waitcnt lgkmcnt(0)
	s_barrier
	v_readfirstlane_b32 s9, v3
	s_and_saveexec_b64 s[12:13], s[6:7]
; %bb.94:                               ;   in Loop: Header=BB72_11 Depth=1
	ds_write_b8 v0, v21 offset:3072
; %bb.95:                               ;   in Loop: Header=BB72_11 Depth=1
	s_or_b64 exec, exec, s[12:13]
	v_and_b32_e32 v38, v38, v4
	v_or_b32_e32 v44, v44, v2
	s_mov_b64 s[12:13], -1
	s_mov_b64 s[14:15], 0
	s_cmp_eq_u32 s9, 0
	s_mov_b64 s[28:29], 0
	s_mov_b64 s[30:31], -1
	s_waitcnt lgkmcnt(0)
	s_barrier
                                        ; implicit-def: $vgpr45
	s_cbranch_scc1 .LBB72_106
; %bb.96:                               ;   in Loop: Header=BB72_11 Depth=1
	v_readlane_b32 s28, v81, 11
	s_add_i32 s28, s9, s28
	v_readlane_b32 s29, v81, 36
	s_mul_hi_u32 s29, s28, s29
	s_mul_i32 s29, s29, s67
	s_sub_i32 s29, s28, s29
	s_sub_i32 s30, s29, s67
	s_cmp_ge_u32 s29, s67
	s_cselect_b32 s29, s30, s29
	s_sub_i32 s30, s29, s67
	s_cmp_ge_u32 s29, s67
	s_cselect_b32 s29, s30, s29
	s_sub_i32 s33, s28, s29
	v_cmp_gt_u32_e32 vcc, s33, v0
	s_mov_b64 s[30:31], 0
	s_mov_b64 s[28:29], 0
                                        ; implicit-def: $vgpr45
	s_and_saveexec_b64 s[34:35], vcc
	s_cbranch_execz .LBB72_105
; %bb.97:                               ;   in Loop: Header=BB72_11 Depth=1
	v_mov_b32_e32 v3, v0
                                        ; implicit-def: $sgpr36_sgpr37
	s_branch .LBB72_100
.LBB72_98:                              ;   in Loop: Header=BB72_100 Depth=2
	s_or_b64 exec, exec, s[38:39]
	s_waitcnt lgkmcnt(0)
	s_barrier
	ds_read_u16 v5, v21 offset:3072
	s_mov_b64 s[38:39], -1
	s_waitcnt lgkmcnt(0)
	s_barrier
	v_cmp_ne_u32_sdwa s[40:41], v5, v21 src0_sel:BYTE_0 src1_sel:DWORD
	s_and_b64 vcc, exec, s[40:41]
	s_mov_b64 s[40:41], -1
	s_cbranch_vccz .LBB72_103
.LBB72_99:                              ;   in Loop: Header=BB72_100 Depth=2
	s_and_b64 s[38:39], exec, s[38:39]
	s_or_b64 s[28:29], s[38:39], s[28:29]
	s_andn2_b64 s[36:37], s[36:37], exec
	s_and_b64 s[38:39], s[40:41], exec
	s_or_b64 s[36:37], s[36:37], s[38:39]
	s_andn2_b64 exec, exec, s[28:29]
	s_cbranch_execz .LBB72_104
.LBB72_100:                             ;   Parent Loop BB72_11 Depth=1
                                        ; =>  This Inner Loop Header: Depth=2
	v_cmp_gt_u32_e32 vcc, s9, v3
	s_and_saveexec_b64 s[38:39], vcc
	s_cbranch_execz .LBB72_98
; %bb.101:                              ;   in Loop: Header=BB72_100 Depth=2
	ds_read_u8 v5, v3
	s_waitcnt lgkmcnt(0)
	v_bitop3_b32 v6, v5, s84, v44 bitop3:0x80
	v_cmp_eq_u32_e32 vcc, v6, v38
	s_and_b64 exec, exec, vcc
	s_cbranch_execz .LBB72_98
; %bb.102:                              ;   in Loop: Header=BB72_100 Depth=2
	v_lshlrev_b16_e32 v5, 8, v5
	v_or_b32_e32 v5, 1, v5
	ds_write_b16 v21, v5 offset:3072
	s_branch .LBB72_98
.LBB72_103:                             ;   in Loop: Header=BB72_100 Depth=2
	v_add_u32_e32 v3, s67, v3
	v_cmp_le_u32_e32 vcc, s33, v3
	s_mov_b64 s[40:41], 0
	s_orn2_b64 s[38:39], vcc, exec
	s_branch .LBB72_99
.LBB72_104:                             ;   in Loop: Header=BB72_11 Depth=1
	s_or_b64 exec, exec, s[28:29]
	v_lshrrev_b32_sdwa v45, v43, v5 dst_sel:DWORD dst_unused:UNUSED_PAD src0_sel:DWORD src1_sel:WORD_0
	s_and_b64 s[28:29], s[36:37], exec
.LBB72_105:                             ;   in Loop: Header=BB72_11 Depth=1
	s_or_b64 exec, exec, s[34:35]
.LBB72_106:                             ;   in Loop: Header=BB72_11 Depth=1
	s_and_b64 vcc, exec, s[30:31]
	s_cbranch_vccz .LBB72_117
; %bb.107:                              ;   in Loop: Header=BB72_11 Depth=1
                                        ; implicit-def: $vgpr45
	s_mov_b64 s[12:13], exec
	v_readlane_b32 s14, v81, 37
	v_readlane_b32 s15, v81, 38
	s_and_b64 s[14:15], s[12:13], s[14:15]
	s_mov_b64 exec, s[14:15]
	s_cbranch_execz .LBB72_116
; %bb.108:                              ;   in Loop: Header=BB72_11 Depth=1
	s_mov_b64 s[14:15], 0
	v_mov_b32_e32 v3, v18
	v_mov_b32_e32 v5, v0
                                        ; implicit-def: $sgpr30_sgpr31
	s_branch .LBB72_111
.LBB72_109:                             ;   in Loop: Header=BB72_111 Depth=2
	s_or_b64 exec, exec, s[34:35]
	s_waitcnt lgkmcnt(0)
	s_barrier
	ds_read_u16 v6, v21 offset:3072
	s_mov_b64 s[34:35], -1
	s_waitcnt lgkmcnt(0)
	s_barrier
	v_cmp_ne_u32_sdwa s[36:37], v6, v21 src0_sel:BYTE_0 src1_sel:DWORD
	s_and_b64 vcc, exec, s[36:37]
	s_mov_b64 s[36:37], -1
	s_cbranch_vccz .LBB72_114
.LBB72_110:                             ;   in Loop: Header=BB72_111 Depth=2
	s_and_b64 s[34:35], exec, s[34:35]
	s_or_b64 s[14:15], s[34:35], s[14:15]
	s_andn2_b64 s[30:31], s[30:31], exec
	s_and_b64 s[34:35], s[36:37], exec
	s_or_b64 s[30:31], s[30:31], s[34:35]
	s_andn2_b64 exec, exec, s[14:15]
	s_cbranch_execz .LBB72_115
.LBB72_111:                             ;   Parent Loop BB72_11 Depth=1
                                        ; =>  This Inner Loop Header: Depth=2
	v_cmp_gt_u32_e32 vcc, s64, v5
	s_and_saveexec_b64 s[34:35], vcc
	s_cbranch_execz .LBB72_109
; %bb.112:                              ;   in Loop: Header=BB72_111 Depth=2
	global_load_ubyte v6, v3, s[70:71]
	s_waitcnt vmcnt(0)
	v_bitop3_b32 v7, v6, s84, v44 bitop3:0x80
	v_cmp_eq_u32_e32 vcc, v7, v38
	s_and_b64 exec, exec, vcc
	s_cbranch_execz .LBB72_109
; %bb.113:                              ;   in Loop: Header=BB72_111 Depth=2
	v_lshlrev_b16_e32 v6, 8, v6
	v_or_b32_e32 v6, 1, v6
	ds_write_b16 v21, v6 offset:3072
	s_branch .LBB72_109
.LBB72_114:                             ;   in Loop: Header=BB72_111 Depth=2
	v_add_u32_e32 v5, s67, v5
	v_cmp_le_u32_e32 vcc, s82, v5
	v_add_u32_e32 v3, s75, v3
	s_mov_b64 s[36:37], 0
	s_orn2_b64 s[34:35], vcc, exec
	s_branch .LBB72_110
.LBB72_115:                             ;   in Loop: Header=BB72_11 Depth=1
	s_or_b64 exec, exec, s[14:15]
	s_andn2_b64 s[14:15], s[28:29], exec
	s_and_b64 s[28:29], s[30:31], exec
	v_lshrrev_b32_sdwa v45, v43, v6 dst_sel:DWORD dst_unused:UNUSED_PAD src0_sel:DWORD src1_sel:WORD_0
	s_or_b64 s[28:29], s[14:15], s[28:29]
.LBB72_116:                             ;   in Loop: Header=BB72_11 Depth=1
	s_or_b64 exec, exec, s[12:13]
	s_mov_b64 s[12:13], 0
	s_mov_b64 s[14:15], -1
.LBB72_117:                             ;   in Loop: Header=BB72_11 Depth=1
	s_orn2_b64 s[28:29], s[28:29], exec
.LBB72_118:                             ;   in Loop: Header=BB72_11 Depth=1
	s_or_b64 exec, exec, s[0:1]
	s_andn2_b64 s[0:1], s[10:11], exec
	s_and_b64 s[10:11], s[14:15], exec
	s_or_b64 s[10:11], s[0:1], s[10:11]
	s_andn2_b64 s[0:1], s[72:73], exec
	s_and_b64 s[12:13], s[12:13], exec
	v_readfirstlane_b32 s9, v0
	s_andn2_b64 s[68:69], s[68:69], exec
	s_or_b64 s[72:73], s[0:1], s[12:13]
                                        ; implicit-def: $vgpr5
	s_and_saveexec_b64 s[0:1], s[28:29]
	s_cbranch_execz .LBB72_10
; %bb.119:                              ;   in Loop: Header=BB72_11 Depth=1
	s_xor_b64 s[12:13], s[26:27], -1
	s_mov_b64 s[14:15], 0
	v_mov_b32_e32 v5, 1
	v_mov_b32_e32 v3, 1
	s_and_saveexec_b64 s[2:3], s[12:13]
	s_cbranch_execz .LBB72_128
; %bb.120:                              ;   in Loop: Header=BB72_11 Depth=1
	v_cmp_ge_u32_e32 vcc, s42, v46
	s_and_saveexec_b64 s[12:13], vcc
	s_xor_b64 s[12:13], exec, s[12:13]
	s_cbranch_execz .LBB72_125
; %bb.121:                              ;   in Loop: Header=BB72_11 Depth=1
	ds_read_b32 v3, v21 offset:4104
	v_and_b32_e32 v38, v38, v4
	v_or_b32_e32 v44, v44, v2
	s_waitcnt lgkmcnt(0)
	v_cmp_ne_u32_e32 vcc, 0, v3
	s_cbranch_vccnz .LBB72_125
; %bb.122:                              ;   in Loop: Header=BB72_11 Depth=1
	s_mov_b64 s[14:15], exec
	v_readlane_b32 s26, v81, 0
	v_readlane_b32 s27, v81, 1
	s_and_b64 s[26:27], s[14:15], s[26:27]
	s_mov_b64 exec, s[26:27]
; %bb.123:                              ;   in Loop: Header=BB72_11 Depth=1
	v_mov_b32_e32 v3, s42
	ds_write_b32 v21, v3 offset:4108
; %bb.124:                              ;   in Loop: Header=BB72_11 Depth=1
	s_or_b64 exec, exec, s[14:15]
	s_waitcnt lgkmcnt(0)
	s_barrier
.LBB72_125:                             ;   in Loop: Header=BB72_11 Depth=1
	s_or_saveexec_b64 s[12:13], s[12:13]
	s_mov_b64 s[14:15], 0
	v_mov_b32_e32 v3, 8
	s_xor_b64 exec, exec, s[12:13]
; %bb.126:                              ;   in Loop: Header=BB72_11 Depth=1
	s_mov_b64 s[14:15], exec
	v_subrev_u32_e32 v46, s42, v46
	v_mov_b32_e32 v3, 0
; %bb.127:                              ;   in Loop: Header=BB72_11 Depth=1
	s_or_b64 exec, exec, s[12:13]
	s_and_b64 s[14:15], s[14:15], exec
	v_mov_b32_e32 v5, v46
.LBB72_128:                             ;   in Loop: Header=BB72_11 Depth=1
	s_or_b64 exec, exec, s[2:3]
	s_mov_b64 s[2:3], -1
	s_mov_b64 s[12:13], -1
                                        ; implicit-def: $sgpr28_sgpr29
                                        ; implicit-def: $sgpr30_sgpr31
	s_and_saveexec_b64 s[26:27], s[14:15]
	s_xor_b64 s[26:27], exec, s[26:27]
	s_cbranch_execz .LBB72_245
; %bb.129:                              ;   in Loop: Header=BB72_11 Depth=1
	s_cmp_eq_u32 s46, 1
	s_cselect_b64 s[12:13], -1, 0
	v_cmp_eq_u32_e32 vcc, 1, v5
	s_and_b64 s[12:13], s[12:13], vcc
	s_mov_b64 s[36:37], -1
                                        ; implicit-def: $sgpr30_sgpr31
                                        ; implicit-def: $sgpr28_sgpr29
	s_and_saveexec_b64 s[14:15], s[12:13]
	s_cbranch_execz .LBB72_155
; %bb.130:                              ;   in Loop: Header=BB72_11 Depth=1
	ds_read_b32 v6, v21 offset:4104
	s_waitcnt lgkmcnt(0)
	s_barrier
	v_readfirstlane_b32 s9, v6
	s_and_saveexec_b64 s[28:29], s[6:7]
; %bb.131:                              ;   in Loop: Header=BB72_11 Depth=1
	ds_write_b8 v0, v21 offset:3072
; %bb.132:                              ;   in Loop: Header=BB72_11 Depth=1
	s_or_b64 exec, exec, s[28:29]
	v_and_b32_e32 v6, v38, v4
	v_lshl_or_b32 v38, 1, v41, v6
	v_or_b32_e32 v44, v44, v2
	s_mov_b64 s[28:29], -1
	s_mov_b64 s[30:31], 0
	s_cmp_eq_u32 s9, 0
	s_mov_b64 s[34:35], 0
	s_waitcnt lgkmcnt(0)
	s_barrier
                                        ; implicit-def: $vgpr45
	s_cbranch_scc1 .LBB72_143
; %bb.133:                              ;   in Loop: Header=BB72_11 Depth=1
	v_readlane_b32 s33, v81, 11
	s_add_i32 s33, s9, s33
	v_readlane_b32 s34, v81, 36
	s_mul_hi_u32 s34, s33, s34
	s_mul_i32 s34, s34, s67
	s_sub_i32 s34, s33, s34
	s_sub_i32 s35, s34, s67
	s_cmp_ge_u32 s34, s67
	s_cselect_b32 s34, s35, s34
	s_sub_i32 s35, s34, s67
	s_cmp_ge_u32 s34, s67
	s_cselect_b32 s34, s35, s34
	s_sub_i32 s33, s33, s34
	v_cmp_gt_u32_e32 vcc, s33, v0
	s_mov_b64 s[36:37], 0
	s_mov_b64 s[34:35], 0
                                        ; implicit-def: $vgpr45
	s_and_saveexec_b64 s[38:39], vcc
	s_cbranch_execz .LBB72_142
; %bb.134:                              ;   in Loop: Header=BB72_11 Depth=1
	v_mov_b32_e32 v6, v0
                                        ; implicit-def: $sgpr40_sgpr41
	s_branch .LBB72_137
.LBB72_135:                             ;   in Loop: Header=BB72_137 Depth=2
	s_or_b64 exec, exec, s[42:43]
	s_waitcnt lgkmcnt(0)
	s_barrier
	ds_read_u16 v7, v21 offset:3072
	s_mov_b64 s[42:43], -1
	s_waitcnt lgkmcnt(0)
	s_barrier
	v_cmp_ne_u32_sdwa s[44:45], v7, v21 src0_sel:BYTE_0 src1_sel:DWORD
	s_and_b64 vcc, exec, s[44:45]
	s_mov_b64 s[44:45], -1
	s_cbranch_vccz .LBB72_140
.LBB72_136:                             ;   in Loop: Header=BB72_137 Depth=2
	s_and_b64 s[42:43], exec, s[42:43]
	s_or_b64 s[34:35], s[42:43], s[34:35]
	s_andn2_b64 s[40:41], s[40:41], exec
	s_and_b64 s[42:43], s[44:45], exec
	s_or_b64 s[40:41], s[40:41], s[42:43]
	s_andn2_b64 exec, exec, s[34:35]
	s_cbranch_execz .LBB72_141
.LBB72_137:                             ;   Parent Loop BB72_11 Depth=1
                                        ; =>  This Inner Loop Header: Depth=2
	v_cmp_gt_u32_e32 vcc, s9, v6
	s_and_saveexec_b64 s[42:43], vcc
	s_cbranch_execz .LBB72_135
; %bb.138:                              ;   in Loop: Header=BB72_137 Depth=2
	ds_read_u8 v7, v6
	s_waitcnt lgkmcnt(0)
	v_bitop3_b32 v8, v7, s84, v44 bitop3:0x80
	v_cmp_eq_u32_e32 vcc, v8, v38
	s_and_b64 exec, exec, vcc
	s_cbranch_execz .LBB72_135
; %bb.139:                              ;   in Loop: Header=BB72_137 Depth=2
	v_lshlrev_b16_e32 v7, 8, v7
	v_or_b32_e32 v7, 1, v7
	ds_write_b16 v21, v7 offset:3072
	s_branch .LBB72_135
.LBB72_140:                             ;   in Loop: Header=BB72_137 Depth=2
	v_add_u32_e32 v6, s67, v6
	v_cmp_le_u32_e32 vcc, s33, v6
	s_mov_b64 s[44:45], 0
	s_orn2_b64 s[42:43], vcc, exec
	s_branch .LBB72_136
.LBB72_141:                             ;   in Loop: Header=BB72_11 Depth=1
	s_or_b64 exec, exec, s[34:35]
	v_lshrrev_b32_sdwa v45, v43, v7 dst_sel:DWORD dst_unused:UNUSED_PAD src0_sel:DWORD src1_sel:WORD_0
	s_and_b64 s[34:35], s[40:41], exec
.LBB72_142:                             ;   in Loop: Header=BB72_11 Depth=1
	s_or_b64 exec, exec, s[38:39]
.LBB72_143:                             ;   in Loop: Header=BB72_11 Depth=1
	s_and_b64 vcc, exec, s[36:37]
	s_cbranch_vccz .LBB72_154
; %bb.144:                              ;   in Loop: Header=BB72_11 Depth=1
                                        ; implicit-def: $vgpr45
	s_mov_b64 s[28:29], exec
	v_readlane_b32 s30, v81, 37
	v_readlane_b32 s31, v81, 38
	s_and_b64 s[30:31], s[28:29], s[30:31]
	s_mov_b64 exec, s[30:31]
	s_cbranch_execz .LBB72_153
; %bb.145:                              ;   in Loop: Header=BB72_11 Depth=1
	s_mov_b64 s[30:31], 0
	v_mov_b32_e32 v6, v18
	v_mov_b32_e32 v7, v0
                                        ; implicit-def: $sgpr36_sgpr37
	s_branch .LBB72_148
.LBB72_146:                             ;   in Loop: Header=BB72_148 Depth=2
	s_or_b64 exec, exec, s[38:39]
	s_waitcnt lgkmcnt(0)
	s_barrier
	ds_read_u16 v8, v21 offset:3072
	s_mov_b64 s[38:39], -1
	s_waitcnt lgkmcnt(0)
	s_barrier
	v_cmp_eq_u32_sdwa s[40:41], v8, v21 src0_sel:BYTE_0 src1_sel:DWORD
	s_and_b64 vcc, exec, s[40:41]
	s_mov_b64 s[40:41], -1
	s_cbranch_vccnz .LBB72_151
.LBB72_147:                             ;   in Loop: Header=BB72_148 Depth=2
	s_and_b64 s[38:39], exec, s[38:39]
	s_or_b64 s[30:31], s[38:39], s[30:31]
	s_andn2_b64 s[36:37], s[36:37], exec
	s_and_b64 s[38:39], s[40:41], exec
	s_or_b64 s[36:37], s[36:37], s[38:39]
	s_andn2_b64 exec, exec, s[30:31]
	s_cbranch_execz .LBB72_152
.LBB72_148:                             ;   Parent Loop BB72_11 Depth=1
                                        ; =>  This Inner Loop Header: Depth=2
	v_cmp_gt_u32_e32 vcc, s64, v7
	s_and_saveexec_b64 s[38:39], vcc
	s_cbranch_execz .LBB72_146
; %bb.149:                              ;   in Loop: Header=BB72_148 Depth=2
	global_load_ubyte v8, v6, s[70:71]
	s_waitcnt vmcnt(0)
	v_bitop3_b32 v9, v8, s84, v44 bitop3:0x80
	v_cmp_eq_u32_e32 vcc, v9, v38
	s_and_b64 exec, exec, vcc
	s_cbranch_execz .LBB72_146
; %bb.150:                              ;   in Loop: Header=BB72_148 Depth=2
	v_lshlrev_b16_e32 v8, 8, v8
	v_or_b32_e32 v8, 1, v8
	ds_write_b16 v21, v8 offset:3072
	s_branch .LBB72_146
.LBB72_151:                             ;   in Loop: Header=BB72_148 Depth=2
	v_add_u32_e32 v7, s67, v7
	v_cmp_le_u32_e32 vcc, s82, v7
	v_add_u32_e32 v6, s75, v6
	s_mov_b64 s[40:41], 0
	s_orn2_b64 s[38:39], vcc, exec
	s_branch .LBB72_147
.LBB72_152:                             ;   in Loop: Header=BB72_11 Depth=1
	s_or_b64 exec, exec, s[30:31]
	s_andn2_b64 s[30:31], s[34:35], exec
	s_and_b64 s[34:35], s[36:37], exec
	v_lshrrev_b32_sdwa v45, v43, v8 dst_sel:DWORD dst_unused:UNUSED_PAD src0_sel:DWORD src1_sel:WORD_0
	s_or_b64 s[34:35], s[30:31], s[34:35]
.LBB72_153:                             ;   in Loop: Header=BB72_11 Depth=1
	s_or_b64 exec, exec, s[28:29]
	s_mov_b64 s[28:29], 0
	s_mov_b64 s[30:31], -1
.LBB72_154:                             ;   in Loop: Header=BB72_11 Depth=1
	s_orn2_b64 s[36:37], s[34:35], exec
.LBB72_155:                             ;   in Loop: Header=BB72_11 Depth=1
	s_or_b64 exec, exec, s[14:15]
	s_mov_b64 s[14:15], 0
	s_and_saveexec_b64 s[34:35], s[36:37]
	s_cbranch_execz .LBB72_244
; %bb.156:                              ;   in Loop: Header=BB72_11 Depth=1
	s_xor_b64 s[36:37], s[12:13], -1
	v_mov_b32_e32 v6, 1
	v_mov_b32_e32 v3, 1
	s_and_saveexec_b64 s[12:13], s[36:37]
	s_cbranch_execz .LBB72_165
; %bb.157:                              ;   in Loop: Header=BB72_11 Depth=1
	v_cmp_ge_u32_e32 vcc, s46, v5
	s_and_saveexec_b64 s[14:15], vcc
	s_xor_b64 s[14:15], exec, s[14:15]
	s_cbranch_execz .LBB72_162
; %bb.158:                              ;   in Loop: Header=BB72_11 Depth=1
	ds_read_b32 v3, v21 offset:4104
	v_and_b32_e32 v6, v38, v4
	v_lshl_or_b32 v38, 1, v41, v6
	v_or_b32_e32 v44, v44, v2
	s_waitcnt lgkmcnt(0)
	v_cmp_ne_u32_e32 vcc, 0, v3
	s_cbranch_vccnz .LBB72_162
; %bb.159:                              ;   in Loop: Header=BB72_11 Depth=1
	s_mov_b64 s[36:37], exec
	v_readlane_b32 s38, v81, 0
	v_readlane_b32 s39, v81, 1
	s_and_b64 s[38:39], s[36:37], s[38:39]
	s_mov_b64 exec, s[38:39]
; %bb.160:                              ;   in Loop: Header=BB72_11 Depth=1
	v_mov_b32_e32 v3, s46
	ds_write_b32 v21, v3 offset:4108
; %bb.161:                              ;   in Loop: Header=BB72_11 Depth=1
	s_or_b64 exec, exec, s[36:37]
	s_waitcnt lgkmcnt(0)
	s_barrier
.LBB72_162:                             ;   in Loop: Header=BB72_11 Depth=1
	s_or_saveexec_b64 s[14:15], s[14:15]
	s_mov_b64 s[36:37], 0
	v_mov_b32_e32 v3, 8
	s_xor_b64 exec, exec, s[14:15]
; %bb.163:                              ;   in Loop: Header=BB72_11 Depth=1
	s_mov_b64 s[36:37], exec
	v_subrev_u32_e32 v5, s46, v5
	v_mov_b32_e32 v3, 0
; %bb.164:                              ;   in Loop: Header=BB72_11 Depth=1
	s_or_b64 exec, exec, s[14:15]
	s_and_b64 s[14:15], s[36:37], exec
	v_mov_b32_e32 v6, v5
.LBB72_165:                             ;   in Loop: Header=BB72_11 Depth=1
	s_or_b64 exec, exec, s[12:13]
	s_mov_b64 s[12:13], -1
                                        ; implicit-def: $sgpr38_sgpr39
                                        ; implicit-def: $sgpr40_sgpr41
	s_and_saveexec_b64 s[36:37], s[14:15]
	s_cbranch_execz .LBB72_243
; %bb.166:                              ;   in Loop: Header=BB72_11 Depth=1
	s_cmp_eq_u32 s54, 1
	s_cselect_b64 s[12:13], -1, 0
	v_cmp_eq_u32_e32 vcc, 1, v6
	s_and_b64 s[12:13], s[12:13], vcc
	s_mov_b64 s[44:45], -1
                                        ; implicit-def: $sgpr40_sgpr41
                                        ; implicit-def: $sgpr38_sgpr39
	s_and_saveexec_b64 s[14:15], s[12:13]
	s_cbranch_execz .LBB72_192
; %bb.167:                              ;   in Loop: Header=BB72_11 Depth=1
	ds_read_b32 v5, v21 offset:4104
	s_waitcnt lgkmcnt(0)
	s_barrier
	v_readfirstlane_b32 s9, v5
	s_and_saveexec_b64 s[38:39], s[6:7]
; %bb.168:                              ;   in Loop: Header=BB72_11 Depth=1
	ds_write_b8 v0, v21 offset:3072
; %bb.169:                              ;   in Loop: Header=BB72_11 Depth=1
	s_or_b64 exec, exec, s[38:39]
	v_and_b32_e32 v5, v38, v4
	v_lshl_or_b32 v38, 2, v41, v5
	v_or_b32_e32 v44, v44, v2
	s_mov_b64 s[38:39], -1
	s_mov_b64 s[40:41], 0
	s_cmp_eq_u32 s9, 0
	s_mov_b64 s[42:43], 0
	s_waitcnt lgkmcnt(0)
	s_barrier
                                        ; implicit-def: $vgpr45
	s_cbranch_scc1 .LBB72_180
; %bb.170:                              ;   in Loop: Header=BB72_11 Depth=1
	v_readlane_b32 s33, v81, 11
	s_add_i32 s33, s9, s33
	v_readlane_b32 s42, v81, 36
	s_mul_hi_u32 s42, s33, s42
	s_mul_i32 s42, s42, s67
	s_sub_i32 s42, s33, s42
	s_sub_i32 s43, s42, s67
	s_cmp_ge_u32 s42, s67
	s_cselect_b32 s42, s43, s42
	s_sub_i32 s43, s42, s67
	s_cmp_ge_u32 s42, s67
	s_cselect_b32 s42, s43, s42
	s_sub_i32 s33, s33, s42
	v_cmp_gt_u32_e32 vcc, s33, v0
	s_mov_b64 s[44:45], 0
	s_mov_b64 s[42:43], 0
                                        ; implicit-def: $vgpr45
	s_and_saveexec_b64 s[46:47], vcc
	s_cbranch_execz .LBB72_179
; %bb.171:                              ;   in Loop: Header=BB72_11 Depth=1
	v_mov_b32_e32 v5, v0
                                        ; implicit-def: $sgpr48_sgpr49
	s_branch .LBB72_174
.LBB72_172:                             ;   in Loop: Header=BB72_174 Depth=2
	s_or_b64 exec, exec, s[50:51]
	s_waitcnt lgkmcnt(0)
	s_barrier
	ds_read_u16 v7, v21 offset:3072
	s_mov_b64 s[50:51], -1
	s_waitcnt lgkmcnt(0)
	s_barrier
	v_cmp_ne_u32_sdwa s[52:53], v7, v21 src0_sel:BYTE_0 src1_sel:DWORD
	s_and_b64 vcc, exec, s[52:53]
	s_mov_b64 s[52:53], -1
	s_cbranch_vccz .LBB72_177
.LBB72_173:                             ;   in Loop: Header=BB72_174 Depth=2
	s_and_b64 s[50:51], exec, s[50:51]
	s_or_b64 s[42:43], s[50:51], s[42:43]
	s_andn2_b64 s[48:49], s[48:49], exec
	s_and_b64 s[50:51], s[52:53], exec
	s_or_b64 s[48:49], s[48:49], s[50:51]
	s_andn2_b64 exec, exec, s[42:43]
	s_cbranch_execz .LBB72_178
.LBB72_174:                             ;   Parent Loop BB72_11 Depth=1
                                        ; =>  This Inner Loop Header: Depth=2
	v_cmp_gt_u32_e32 vcc, s9, v5
	s_and_saveexec_b64 s[50:51], vcc
	s_cbranch_execz .LBB72_172
; %bb.175:                              ;   in Loop: Header=BB72_174 Depth=2
	ds_read_u8 v7, v5
	s_waitcnt lgkmcnt(0)
	v_bitop3_b32 v8, v7, s84, v44 bitop3:0x80
	v_cmp_eq_u32_e32 vcc, v8, v38
	s_and_b64 exec, exec, vcc
	s_cbranch_execz .LBB72_172
; %bb.176:                              ;   in Loop: Header=BB72_174 Depth=2
	v_lshlrev_b16_e32 v7, 8, v7
	v_or_b32_e32 v7, 1, v7
	ds_write_b16 v21, v7 offset:3072
	s_branch .LBB72_172
.LBB72_177:                             ;   in Loop: Header=BB72_174 Depth=2
	v_add_u32_e32 v5, s67, v5
	v_cmp_le_u32_e32 vcc, s33, v5
	s_mov_b64 s[52:53], 0
	s_orn2_b64 s[50:51], vcc, exec
	s_branch .LBB72_173
.LBB72_178:                             ;   in Loop: Header=BB72_11 Depth=1
	s_or_b64 exec, exec, s[42:43]
	v_lshrrev_b32_sdwa v45, v43, v7 dst_sel:DWORD dst_unused:UNUSED_PAD src0_sel:DWORD src1_sel:WORD_0
	s_and_b64 s[42:43], s[48:49], exec
.LBB72_179:                             ;   in Loop: Header=BB72_11 Depth=1
	s_or_b64 exec, exec, s[46:47]
.LBB72_180:                             ;   in Loop: Header=BB72_11 Depth=1
	s_and_b64 vcc, exec, s[44:45]
	s_cbranch_vccz .LBB72_191
; %bb.181:                              ;   in Loop: Header=BB72_11 Depth=1
                                        ; implicit-def: $vgpr45
	s_mov_b64 s[38:39], exec
	v_readlane_b32 s40, v81, 37
	v_readlane_b32 s41, v81, 38
	s_and_b64 s[40:41], s[38:39], s[40:41]
	s_mov_b64 exec, s[40:41]
	s_cbranch_execz .LBB72_190
; %bb.182:                              ;   in Loop: Header=BB72_11 Depth=1
	s_mov_b64 s[40:41], 0
	v_mov_b32_e32 v5, v18
	v_mov_b32_e32 v7, v0
                                        ; implicit-def: $sgpr44_sgpr45
	s_branch .LBB72_185
.LBB72_183:                             ;   in Loop: Header=BB72_185 Depth=2
	s_or_b64 exec, exec, s[46:47]
	s_waitcnt lgkmcnt(0)
	s_barrier
	ds_read_u16 v8, v21 offset:3072
	s_mov_b64 s[46:47], -1
	s_waitcnt lgkmcnt(0)
	s_barrier
	v_cmp_eq_u32_sdwa s[48:49], v8, v21 src0_sel:BYTE_0 src1_sel:DWORD
	s_and_b64 vcc, exec, s[48:49]
	s_mov_b64 s[48:49], -1
	s_cbranch_vccnz .LBB72_188
.LBB72_184:                             ;   in Loop: Header=BB72_185 Depth=2
	s_and_b64 s[46:47], exec, s[46:47]
	s_or_b64 s[40:41], s[46:47], s[40:41]
	s_andn2_b64 s[44:45], s[44:45], exec
	s_and_b64 s[46:47], s[48:49], exec
	s_or_b64 s[44:45], s[44:45], s[46:47]
	s_andn2_b64 exec, exec, s[40:41]
	s_cbranch_execz .LBB72_189
.LBB72_185:                             ;   Parent Loop BB72_11 Depth=1
                                        ; =>  This Inner Loop Header: Depth=2
	v_cmp_gt_u32_e32 vcc, s64, v7
	s_and_saveexec_b64 s[46:47], vcc
	s_cbranch_execz .LBB72_183
; %bb.186:                              ;   in Loop: Header=BB72_185 Depth=2
	global_load_ubyte v8, v5, s[70:71]
	s_waitcnt vmcnt(0)
	v_bitop3_b32 v9, v8, s84, v44 bitop3:0x80
	v_cmp_eq_u32_e32 vcc, v9, v38
	s_and_b64 exec, exec, vcc
	s_cbranch_execz .LBB72_183
; %bb.187:                              ;   in Loop: Header=BB72_185 Depth=2
	v_lshlrev_b16_e32 v8, 8, v8
	v_or_b32_e32 v8, 1, v8
	ds_write_b16 v21, v8 offset:3072
	s_branch .LBB72_183
.LBB72_188:                             ;   in Loop: Header=BB72_185 Depth=2
	v_add_u32_e32 v7, s67, v7
	v_cmp_le_u32_e32 vcc, s82, v7
	v_add_u32_e32 v5, s75, v5
	s_mov_b64 s[48:49], 0
	s_orn2_b64 s[46:47], vcc, exec
	s_branch .LBB72_184
.LBB72_189:                             ;   in Loop: Header=BB72_11 Depth=1
	s_or_b64 exec, exec, s[40:41]
	s_andn2_b64 s[40:41], s[42:43], exec
	s_and_b64 s[42:43], s[44:45], exec
	v_lshrrev_b32_sdwa v45, v43, v8 dst_sel:DWORD dst_unused:UNUSED_PAD src0_sel:DWORD src1_sel:WORD_0
	s_or_b64 s[42:43], s[40:41], s[42:43]
.LBB72_190:                             ;   in Loop: Header=BB72_11 Depth=1
	s_or_b64 exec, exec, s[38:39]
	s_mov_b64 s[38:39], 0
	s_mov_b64 s[40:41], -1
.LBB72_191:                             ;   in Loop: Header=BB72_11 Depth=1
	s_orn2_b64 s[44:45], s[42:43], exec
.LBB72_192:                             ;   in Loop: Header=BB72_11 Depth=1
	s_or_b64 exec, exec, s[14:15]
	s_mov_b64 s[14:15], 0
	s_and_saveexec_b64 s[42:43], s[44:45]
	s_cbranch_execz .LBB72_242
; %bb.193:                              ;   in Loop: Header=BB72_11 Depth=1
	s_xor_b64 s[44:45], s[12:13], -1
	v_mov_b32_e32 v5, 1
	v_mov_b32_e32 v3, 1
	s_and_saveexec_b64 s[12:13], s[44:45]
	s_cbranch_execz .LBB72_202
; %bb.194:                              ;   in Loop: Header=BB72_11 Depth=1
	v_cmp_ge_u32_e32 vcc, s54, v6
	s_and_saveexec_b64 s[14:15], vcc
	s_xor_b64 s[14:15], exec, s[14:15]
	s_cbranch_execz .LBB72_199
; %bb.195:                              ;   in Loop: Header=BB72_11 Depth=1
	ds_read_b32 v3, v21 offset:4104
	v_and_b32_e32 v4, v38, v4
	v_lshl_or_b32 v38, 2, v41, v4
	v_or_b32_e32 v44, v44, v2
	s_waitcnt lgkmcnt(0)
	v_cmp_ne_u32_e32 vcc, 0, v3
	s_cbranch_vccnz .LBB72_199
; %bb.196:                              ;   in Loop: Header=BB72_11 Depth=1
	s_mov_b64 s[44:45], exec
	v_readlane_b32 s46, v81, 0
	v_readlane_b32 s47, v81, 1
	s_and_b64 s[46:47], s[44:45], s[46:47]
	s_mov_b64 exec, s[46:47]
; %bb.197:                              ;   in Loop: Header=BB72_11 Depth=1
	v_mov_b32_e32 v3, s54
	ds_write_b32 v21, v3 offset:4108
; %bb.198:                              ;   in Loop: Header=BB72_11 Depth=1
	s_or_b64 exec, exec, s[44:45]
	s_waitcnt lgkmcnt(0)
	s_barrier
.LBB72_199:                             ;   in Loop: Header=BB72_11 Depth=1
	s_or_saveexec_b64 s[14:15], s[14:15]
	s_mov_b64 s[44:45], 0
	v_mov_b32_e32 v3, 8
	s_xor_b64 exec, exec, s[14:15]
; %bb.200:                              ;   in Loop: Header=BB72_11 Depth=1
	s_mov_b64 s[44:45], exec
	v_subrev_u32_e32 v6, s54, v6
	v_mov_b32_e32 v3, 0
; %bb.201:                              ;   in Loop: Header=BB72_11 Depth=1
	s_or_b64 exec, exec, s[14:15]
	s_and_b64 s[14:15], s[44:45], exec
	v_mov_b32_e32 v5, v6
.LBB72_202:                             ;   in Loop: Header=BB72_11 Depth=1
	s_or_b64 exec, exec, s[12:13]
	s_mov_b64 s[12:13], -1
                                        ; implicit-def: $sgpr48_sgpr49
                                        ; implicit-def: $sgpr46_sgpr47
	s_and_saveexec_b64 s[44:45], s[14:15]
	s_cbranch_execz .LBB72_241
; %bb.203:                              ;   in Loop: Header=BB72_11 Depth=1
	s_cmp_eq_u32 s21, 1
	s_cselect_b64 s[12:13], -1, 0
	v_cmp_eq_u32_e32 vcc, 1, v5
	s_and_b64 s[12:13], s[12:13], vcc
	s_mov_b64 s[50:51], -1
                                        ; implicit-def: $sgpr48_sgpr49
                                        ; implicit-def: $sgpr46_sgpr47
	s_and_saveexec_b64 s[14:15], s[12:13]
	s_cbranch_execz .LBB72_229
; %bb.204:                              ;   in Loop: Header=BB72_11 Depth=1
	ds_read_b32 v4, v21 offset:4104
	s_waitcnt lgkmcnt(0)
	s_barrier
	v_readfirstlane_b32 s9, v4
	s_and_saveexec_b64 s[46:47], s[6:7]
; %bb.205:                              ;   in Loop: Header=BB72_11 Depth=1
	ds_write_b8 v0, v21 offset:3072
; %bb.206:                              ;   in Loop: Header=BB72_11 Depth=1
	s_or_b64 exec, exec, s[46:47]
	v_or_b32_e32 v38, v38, v2
	v_or_b32_e32 v44, v44, v2
	s_mov_b64 s[46:47], -1
	s_mov_b64 s[48:49], 0
	s_cmp_eq_u32 s9, 0
	s_mov_b64 s[50:51], 0
	s_mov_b64 s[52:53], -1
	s_waitcnt lgkmcnt(0)
	s_barrier
                                        ; implicit-def: $vgpr45
	s_cbranch_scc1 .LBB72_217
; %bb.207:                              ;   in Loop: Header=BB72_11 Depth=1
	v_readlane_b32 s33, v81, 11
	s_add_i32 s33, s9, s33
	v_readlane_b32 s50, v81, 36
	s_mul_hi_u32 s50, s33, s50
	s_mul_i32 s50, s50, s67
	s_sub_i32 s50, s33, s50
	s_sub_i32 s51, s50, s67
	s_cmp_ge_u32 s50, s67
	s_cselect_b32 s50, s51, s50
	s_sub_i32 s51, s50, s67
	s_cmp_ge_u32 s50, s67
	s_cselect_b32 s50, s51, s50
	s_sub_i32 s33, s33, s50
	v_cmp_gt_u32_e32 vcc, s33, v0
	s_mov_b64 s[52:53], 0
	s_mov_b64 s[50:51], 0
                                        ; implicit-def: $vgpr45
	s_and_saveexec_b64 s[54:55], vcc
	s_cbranch_execz .LBB72_216
; %bb.208:                              ;   in Loop: Header=BB72_11 Depth=1
	v_mov_b32_e32 v4, v0
                                        ; implicit-def: $sgpr56_sgpr57
	s_branch .LBB72_211
.LBB72_209:                             ;   in Loop: Header=BB72_211 Depth=2
	s_or_b64 exec, exec, s[58:59]
	s_waitcnt lgkmcnt(0)
	s_barrier
	ds_read_u16 v6, v21 offset:3072
	s_mov_b64 s[58:59], -1
	s_waitcnt lgkmcnt(0)
	s_barrier
	v_cmp_ne_u32_sdwa s[60:61], v6, v21 src0_sel:BYTE_0 src1_sel:DWORD
	s_and_b64 vcc, exec, s[60:61]
	s_mov_b64 s[60:61], -1
	s_cbranch_vccz .LBB72_214
.LBB72_210:                             ;   in Loop: Header=BB72_211 Depth=2
	s_and_b64 s[58:59], exec, s[58:59]
	s_or_b64 s[50:51], s[58:59], s[50:51]
	s_andn2_b64 s[56:57], s[56:57], exec
	s_and_b64 s[58:59], s[60:61], exec
	s_or_b64 s[56:57], s[56:57], s[58:59]
	s_andn2_b64 exec, exec, s[50:51]
	s_cbranch_execz .LBB72_215
.LBB72_211:                             ;   Parent Loop BB72_11 Depth=1
                                        ; =>  This Inner Loop Header: Depth=2
	v_cmp_gt_u32_e32 vcc, s9, v4
	s_and_saveexec_b64 s[58:59], vcc
	s_cbranch_execz .LBB72_209
; %bb.212:                              ;   in Loop: Header=BB72_211 Depth=2
	ds_read_u8 v6, v4
	s_waitcnt lgkmcnt(0)
	v_bitop3_b32 v7, v6, s84, v44 bitop3:0x80
	v_cmp_eq_u32_e32 vcc, v7, v38
	s_and_b64 exec, exec, vcc
	s_cbranch_execz .LBB72_209
; %bb.213:                              ;   in Loop: Header=BB72_211 Depth=2
	v_lshlrev_b16_e32 v6, 8, v6
	v_or_b32_e32 v6, 1, v6
	ds_write_b16 v21, v6 offset:3072
	s_branch .LBB72_209
.LBB72_214:                             ;   in Loop: Header=BB72_211 Depth=2
	v_add_u32_e32 v4, s67, v4
	v_cmp_le_u32_e32 vcc, s33, v4
	s_mov_b64 s[60:61], 0
	s_orn2_b64 s[58:59], vcc, exec
	s_branch .LBB72_210
.LBB72_215:                             ;   in Loop: Header=BB72_11 Depth=1
	s_or_b64 exec, exec, s[50:51]
	v_lshrrev_b32_sdwa v45, v43, v6 dst_sel:DWORD dst_unused:UNUSED_PAD src0_sel:DWORD src1_sel:WORD_0
	s_and_b64 s[50:51], s[56:57], exec
	s_mov_b32 s58, s91
	s_mov_b32 s23, s22
	;; [unrolled: 1-line block ×5, first 2 shown]
.LBB72_216:                             ;   in Loop: Header=BB72_11 Depth=1
	s_or_b64 exec, exec, s[54:55]
.LBB72_217:                             ;   in Loop: Header=BB72_11 Depth=1
	s_and_b64 vcc, exec, s[52:53]
	s_cbranch_vccz .LBB72_228
; %bb.218:                              ;   in Loop: Header=BB72_11 Depth=1
                                        ; implicit-def: $vgpr45
	s_mov_b64 s[46:47], exec
	v_readlane_b32 s48, v81, 37
	v_readlane_b32 s49, v81, 38
	s_and_b64 s[48:49], s[46:47], s[48:49]
	s_mov_b64 exec, s[48:49]
	s_cbranch_execz .LBB72_227
; %bb.219:                              ;   in Loop: Header=BB72_11 Depth=1
	s_mov_b64 s[48:49], 0
	v_mov_b32_e32 v4, v18
	v_mov_b32_e32 v6, v0
                                        ; implicit-def: $sgpr52_sgpr53
	s_branch .LBB72_222
.LBB72_220:                             ;   in Loop: Header=BB72_222 Depth=2
	s_or_b64 exec, exec, s[54:55]
	s_waitcnt lgkmcnt(0)
	s_barrier
	ds_read_u16 v7, v21 offset:3072
	s_mov_b64 s[54:55], -1
	s_waitcnt lgkmcnt(0)
	s_barrier
	v_cmp_eq_u32_sdwa s[56:57], v7, v21 src0_sel:BYTE_0 src1_sel:DWORD
	s_and_b64 vcc, exec, s[56:57]
	s_mov_b64 s[56:57], -1
	s_cbranch_vccnz .LBB72_225
.LBB72_221:                             ;   in Loop: Header=BB72_222 Depth=2
	s_and_b64 s[54:55], exec, s[54:55]
	s_or_b64 s[48:49], s[54:55], s[48:49]
	s_andn2_b64 s[52:53], s[52:53], exec
	s_and_b64 s[54:55], s[56:57], exec
	s_or_b64 s[52:53], s[52:53], s[54:55]
	s_andn2_b64 exec, exec, s[48:49]
	s_cbranch_execz .LBB72_226
.LBB72_222:                             ;   Parent Loop BB72_11 Depth=1
                                        ; =>  This Inner Loop Header: Depth=2
	v_cmp_gt_u32_e32 vcc, s64, v6
	s_and_saveexec_b64 s[54:55], vcc
	s_cbranch_execz .LBB72_220
; %bb.223:                              ;   in Loop: Header=BB72_222 Depth=2
	global_load_ubyte v7, v4, s[70:71]
	s_waitcnt vmcnt(0)
	v_bitop3_b32 v8, v7, s84, v44 bitop3:0x80
	v_cmp_eq_u32_e32 vcc, v8, v38
	s_and_b64 exec, exec, vcc
	s_cbranch_execz .LBB72_220
; %bb.224:                              ;   in Loop: Header=BB72_222 Depth=2
	v_lshlrev_b16_e32 v7, 8, v7
	v_or_b32_e32 v7, 1, v7
	ds_write_b16 v21, v7 offset:3072
	s_branch .LBB72_220
.LBB72_225:                             ;   in Loop: Header=BB72_222 Depth=2
	v_add_u32_e32 v6, s67, v6
	v_cmp_le_u32_e32 vcc, s82, v6
	v_add_u32_e32 v4, s75, v4
	s_mov_b64 s[56:57], 0
	s_orn2_b64 s[54:55], vcc, exec
	s_branch .LBB72_221
.LBB72_226:                             ;   in Loop: Header=BB72_11 Depth=1
	s_or_b64 exec, exec, s[48:49]
	s_andn2_b64 s[48:49], s[50:51], exec
	s_and_b64 s[50:51], s[52:53], exec
	v_lshrrev_b32_sdwa v45, v43, v7 dst_sel:DWORD dst_unused:UNUSED_PAD src0_sel:DWORD src1_sel:WORD_0
	s_or_b64 s[50:51], s[48:49], s[50:51]
.LBB72_227:                             ;   in Loop: Header=BB72_11 Depth=1
	s_or_b64 exec, exec, s[46:47]
	s_mov_b64 s[46:47], 0
	s_mov_b64 s[48:49], -1
.LBB72_228:                             ;   in Loop: Header=BB72_11 Depth=1
	s_orn2_b64 s[50:51], s[50:51], exec
.LBB72_229:                             ;   in Loop: Header=BB72_11 Depth=1
	s_or_b64 exec, exec, s[14:15]
	s_mov_b64 s[52:53], 0
	s_and_saveexec_b64 s[14:15], s[50:51]
	s_cbranch_execz .LBB72_240
; %bb.230:                              ;   in Loop: Header=BB72_11 Depth=1
	s_xor_b64 s[50:51], s[12:13], -1
	v_mov_b32_e32 v3, 1
	v_mov_b32_e32 v4, 1
	s_and_saveexec_b64 s[12:13], s[50:51]
	s_cbranch_execz .LBB72_239
; %bb.231:                              ;   in Loop: Header=BB72_11 Depth=1
	v_cmp_ge_u32_e32 vcc, s21, v5
	s_and_saveexec_b64 s[50:51], vcc
	s_xor_b64 s[50:51], exec, s[50:51]
	s_cbranch_execz .LBB72_236
; %bb.232:                              ;   in Loop: Header=BB72_11 Depth=1
	ds_read_b32 v3, v21 offset:4104
	v_or_b32_e32 v38, v38, v2
	v_or_b32_e32 v44, v44, v2
	s_waitcnt lgkmcnt(0)
	v_cmp_ne_u32_e32 vcc, 0, v3
	s_cbranch_vccnz .LBB72_236
; %bb.233:                              ;   in Loop: Header=BB72_11 Depth=1
	s_mov_b64 s[52:53], exec
	v_readlane_b32 s54, v81, 0
	v_readlane_b32 s55, v81, 1
	s_and_b64 s[54:55], s[52:53], s[54:55]
	s_mov_b64 exec, s[54:55]
; %bb.234:                              ;   in Loop: Header=BB72_11 Depth=1
	v_mov_b32_e32 v2, s21
	ds_write_b32 v21, v2 offset:4108
; %bb.235:                              ;   in Loop: Header=BB72_11 Depth=1
	s_or_b64 exec, exec, s[52:53]
	s_waitcnt lgkmcnt(0)
	s_barrier
.LBB72_236:                             ;   in Loop: Header=BB72_11 Depth=1
	s_andn2_saveexec_b64 s[50:51], s[50:51]
; %bb.237:                              ;   in Loop: Header=BB72_11 Depth=1
	v_subrev_u32_e32 v5, s21, v5
; %bb.238:                              ;   in Loop: Header=BB72_11 Depth=1
	s_or_b64 exec, exec, s[50:51]
	v_mov_b32_e32 v3, 8
	v_mov_b32_e32 v4, v5
.LBB72_239:                             ;   in Loop: Header=BB72_11 Depth=1
	s_or_b64 exec, exec, s[12:13]
	s_mov_b64 s[52:53], exec
	v_mov_b32_e32 v5, v4
.LBB72_240:                             ;   in Loop: Header=BB72_11 Depth=1
	s_or_b64 exec, exec, s[14:15]
	s_orn2_b64 s[12:13], s[52:53], exec
.LBB72_241:                             ;   in Loop: Header=BB72_11 Depth=1
	s_or_b64 exec, exec, s[44:45]
	s_andn2_b64 s[14:15], s[40:41], exec
	s_and_b64 s[40:41], s[48:49], exec
	s_or_b64 s[40:41], s[14:15], s[40:41]
	s_andn2_b64 s[14:15], s[38:39], exec
	s_and_b64 s[38:39], s[46:47], exec
	s_or_b64 s[38:39], s[14:15], s[38:39]
	s_and_b64 s[14:15], s[12:13], exec
	v_mov_b32_e32 v6, v5
.LBB72_242:                             ;   in Loop: Header=BB72_11 Depth=1
	s_or_b64 exec, exec, s[42:43]
	s_orn2_b64 s[12:13], s[14:15], exec
.LBB72_243:                             ;   in Loop: Header=BB72_11 Depth=1
	s_or_b64 exec, exec, s[36:37]
	s_andn2_b64 s[14:15], s[30:31], exec
	s_and_b64 s[30:31], s[40:41], exec
	s_or_b64 s[30:31], s[14:15], s[30:31]
	s_andn2_b64 s[14:15], s[28:29], exec
	s_and_b64 s[28:29], s[38:39], exec
	s_or_b64 s[28:29], s[14:15], s[28:29]
	s_and_b64 s[14:15], s[12:13], exec
	v_mov_b32_e32 v5, v6
.LBB72_244:                             ;   in Loop: Header=BB72_11 Depth=1
	s_or_b64 exec, exec, s[34:35]
	s_orn2_b64 s[12:13], s[14:15], exec
.LBB72_245:                             ;   in Loop: Header=BB72_11 Depth=1
	s_or_b64 exec, exec, s[26:27]
	s_mov_b64 s[14:15], 0
                                        ; implicit-def: $sgpr9
	s_and_saveexec_b64 s[26:27], s[12:13]
	s_xor_b64 s[12:13], exec, s[26:27]
	s_cbranch_execz .LBB72_9
; %bb.246:                              ;   in Loop: Header=BB72_11 Depth=1
	v_and_b32_e32 v2, 7, v3
	v_cmp_eq_u32_e32 vcc, 0, v2
	s_mov_b64 s[2:3], -1
	s_mov_b64 s[14:15], -1
                                        ; implicit-def: $sgpr9
	s_and_saveexec_b64 s[26:27], vcc
	s_cbranch_execz .LBB72_8
; %bb.247:                              ;   in Loop: Header=BB72_11 Depth=1
	v_add_u32_e32 v2, -2, v41
	v_cmp_eq_u32_e32 vcc, 0, v41
	s_xor_b32 s9, s20, 1
	s_xor_b64 s[14:15], exec, -1
	s_orn2_b64 s[2:3], vcc, exec
	v_mov_b32_e32 v41, v2
	s_branch .LBB72_8
.LBB72_248:
	s_or_b64 exec, exec, s[92:93]
	s_xor_b64 s[6:7], s[98:99], -1
	s_xor_b64 s[0:1], s[94:95], -1
	;; [unrolled: 1-line block ×3, first 2 shown]
	s_mov_b64 s[2:3], 0
	s_and_saveexec_b64 s[8:9], s[0:1]
	s_xor_b64 s[0:1], exec, s[8:9]
	s_cbranch_execnz .LBB72_253
; %bb.249:
	s_andn2_saveexec_b64 s[0:1], s[0:1]
	s_cbranch_execnz .LBB72_266
.LBB72_250:
	s_or_b64 exec, exec, s[0:1]
	s_and_saveexec_b64 s[0:1], s[2:3]
.LBB72_251:
	; divergent unreachable
.LBB72_252:
	s_endpgm
.LBB72_253:
	s_and_saveexec_b64 s[2:3], s[6:7]
	s_xor_b64 s[2:3], exec, s[2:3]
	s_cbranch_execz .LBB72_264
; %bb.254:
	s_and_saveexec_b64 s[6:7], s[4:5]
	s_xor_b64 s[4:5], exec, s[6:7]
; %bb.255:
	v_mov_b32_e32 v45, v38
; %bb.256:
	s_or_b64 exec, exec, s[4:5]
	v_readlane_b32 s18, v81, 8
	v_readlane_b32 s4, v81, 7
	s_mul_i32 s4, s4, s18
	s_nop 0
	v_mov_b32_e32 v1, s4
	v_readlane_b32 s4, v81, 4
	v_readlane_b32 s5, v81, 5
	s_nop 4
	global_store_byte v1, v45, s[4:5]
	s_mov_b64 s[4:5], exec
	v_readlane_b32 s6, v81, 9
	v_readlane_b32 s7, v81, 10
	s_and_b64 s[6:7], s[4:5], s[6:7]
	s_mov_b64 exec, s[6:7]
	s_cbranch_execz .LBB72_263
; %bb.257:
	s_mov_b64 s[6:7], 0
                                        ; implicit-def: $sgpr8_sgpr9
                                        ; implicit-def: $sgpr12_sgpr13
                                        ; implicit-def: $sgpr10_sgpr11
	s_branch .LBB72_259
.LBB72_258:                             ;   in Loop: Header=BB72_259 Depth=1
	s_or_b64 exec, exec, s[14:15]
	s_and_b64 s[14:15], exec, s[12:13]
	s_or_b64 s[6:7], s[14:15], s[6:7]
	s_andn2_b64 s[8:9], s[8:9], exec
	s_and_b64 s[14:15], s[10:11], exec
	s_or_b64 s[8:9], s[8:9], s[14:15]
	s_andn2_b64 exec, exec, s[6:7]
	s_cbranch_execz .LBB72_261
.LBB72_259:                             ; =>This Inner Loop Header: Depth=1
	global_load_ubyte v1, v18, s[70:71]
	v_mov_b32_e32 v2, v0
	s_or_b64 s[10:11], s[10:11], exec
	s_or_b64 s[12:13], s[12:13], exec
                                        ; implicit-def: $vgpr0
	s_waitcnt vmcnt(0)
	v_cmp_ne_u16_sdwa s[16:17], v1, v45 src0_sel:DWORD src1_sel:BYTE_0
	s_and_saveexec_b64 s[14:15], s[16:17]
	s_cbranch_execz .LBB72_258
; %bb.260:                              ;   in Loop: Header=BB72_259 Depth=1
	v_add_u32_e32 v0, s67, v2
	v_cmp_le_u32_e32 vcc, s64, v0
	s_andn2_b64 s[12:13], s[12:13], exec
	s_and_b64 s[16:17], vcc, exec
	v_add_u32_e32 v18, s75, v18
	s_andn2_b64 s[10:11], s[10:11], exec
	s_or_b64 s[12:13], s[12:13], s[16:17]
	s_branch .LBB72_258
.LBB72_261:
	s_or_b64 exec, exec, s[6:7]
	s_and_saveexec_b64 s[6:7], s[8:9]
	s_xor_b64 s[6:7], exec, s[6:7]
	s_cbranch_execz .LBB72_263
; %bb.262:
	v_readlane_b32 s6, v81, 6
	s_mul_i32 s6, s6, s18
	s_mov_b32 s7, 0
	s_lshl_b64 s[6:7], s[6:7], 3
	v_readlane_b32 s8, v81, 2
	v_readlane_b32 s9, v81, 3
	s_add_u32 s6, s8, s6
	s_addc_u32 s7, s9, s7
	v_mov_b32_e32 v3, 0
	global_store_dwordx2 v3, v[2:3], s[6:7]
.LBB72_263:
	s_or_b64 exec, exec, s[4:5]
.LBB72_264:
	s_or_saveexec_b64 s[2:3], s[2:3]
	s_mov_b64 s[4:5], 0
	s_xor_b64 exec, exec, s[2:3]
	s_cbranch_execnz .LBB72_267
.LBB72_265:
	s_or_b64 exec, exec, s[2:3]
	s_and_b64 s[2:3], s[4:5], exec
	s_andn2_saveexec_b64 s[0:1], s[0:1]
	s_cbranch_execz .LBB72_250
.LBB72_266:
	s_or_b64 s[2:3], s[2:3], exec
	s_trap 2
	s_or_b64 exec, exec, s[0:1]
	s_and_saveexec_b64 s[0:1], s[2:3]
	s_cbranch_execnz .LBB72_251
	s_branch .LBB72_252
.LBB72_267:
	s_mov_b64 s[4:5], exec
	s_trap 2
	s_branch .LBB72_265
	.section	.rodata,"a",@progbits
	.p2align	6, 0x0
	.amdhsa_kernel _ZN2at6native12_GLOBAL__N_112gatherMedianIhjLi1EEEvNS_4cuda6detail10TensorInfoIT_T0_EENS5_IlS7_EENS5_IKS6_S7_EES7_S7_S7_b
		.amdhsa_group_segment_fixed_size 4120
		.amdhsa_private_segment_fixed_size 0
		.amdhsa_kernarg_size 920
		.amdhsa_user_sgpr_count 2
		.amdhsa_user_sgpr_dispatch_ptr 0
		.amdhsa_user_sgpr_queue_ptr 0
		.amdhsa_user_sgpr_kernarg_segment_ptr 1
		.amdhsa_user_sgpr_dispatch_id 0
		.amdhsa_user_sgpr_kernarg_preload_length 0
		.amdhsa_user_sgpr_kernarg_preload_offset 0
		.amdhsa_user_sgpr_private_segment_size 0
		.amdhsa_uses_dynamic_stack 0
		.amdhsa_enable_private_segment 0
		.amdhsa_system_sgpr_workgroup_id_x 1
		.amdhsa_system_sgpr_workgroup_id_y 1
		.amdhsa_system_sgpr_workgroup_id_z 1
		.amdhsa_system_sgpr_workgroup_info 0
		.amdhsa_system_vgpr_workitem_id 0
		.amdhsa_next_free_vgpr 82
		.amdhsa_next_free_sgpr 100
		.amdhsa_accum_offset 84
		.amdhsa_reserve_vcc 1
		.amdhsa_float_round_mode_32 0
		.amdhsa_float_round_mode_16_64 0
		.amdhsa_float_denorm_mode_32 3
		.amdhsa_float_denorm_mode_16_64 3
		.amdhsa_dx10_clamp 1
		.amdhsa_ieee_mode 1
		.amdhsa_fp16_overflow 0
		.amdhsa_tg_split 0
		.amdhsa_exception_fp_ieee_invalid_op 0
		.amdhsa_exception_fp_denorm_src 0
		.amdhsa_exception_fp_ieee_div_zero 0
		.amdhsa_exception_fp_ieee_overflow 0
		.amdhsa_exception_fp_ieee_underflow 0
		.amdhsa_exception_fp_ieee_inexact 0
		.amdhsa_exception_int_div_zero 0
	.end_amdhsa_kernel
	.section	.text._ZN2at6native12_GLOBAL__N_112gatherMedianIhjLi1EEEvNS_4cuda6detail10TensorInfoIT_T0_EENS5_IlS7_EENS5_IKS6_S7_EES7_S7_S7_b,"axG",@progbits,_ZN2at6native12_GLOBAL__N_112gatherMedianIhjLi1EEEvNS_4cuda6detail10TensorInfoIT_T0_EENS5_IlS7_EENS5_IKS6_S7_EES7_S7_S7_b,comdat
.Lfunc_end72:
	.size	_ZN2at6native12_GLOBAL__N_112gatherMedianIhjLi1EEEvNS_4cuda6detail10TensorInfoIT_T0_EENS5_IlS7_EENS5_IKS6_S7_EES7_S7_S7_b, .Lfunc_end72-_ZN2at6native12_GLOBAL__N_112gatherMedianIhjLi1EEEvNS_4cuda6detail10TensorInfoIT_T0_EENS5_IlS7_EENS5_IKS6_S7_EES7_S7_S7_b
                                        ; -- End function
	.set _ZN2at6native12_GLOBAL__N_112gatherMedianIhjLi1EEEvNS_4cuda6detail10TensorInfoIT_T0_EENS5_IlS7_EENS5_IKS6_S7_EES7_S7_S7_b.num_vgpr, 82
	.set _ZN2at6native12_GLOBAL__N_112gatherMedianIhjLi1EEEvNS_4cuda6detail10TensorInfoIT_T0_EENS5_IlS7_EENS5_IKS6_S7_EES7_S7_S7_b.num_agpr, 0
	.set _ZN2at6native12_GLOBAL__N_112gatherMedianIhjLi1EEEvNS_4cuda6detail10TensorInfoIT_T0_EENS5_IlS7_EENS5_IKS6_S7_EES7_S7_S7_b.numbered_sgpr, 100
	.set _ZN2at6native12_GLOBAL__N_112gatherMedianIhjLi1EEEvNS_4cuda6detail10TensorInfoIT_T0_EENS5_IlS7_EENS5_IKS6_S7_EES7_S7_S7_b.num_named_barrier, 0
	.set _ZN2at6native12_GLOBAL__N_112gatherMedianIhjLi1EEEvNS_4cuda6detail10TensorInfoIT_T0_EENS5_IlS7_EENS5_IKS6_S7_EES7_S7_S7_b.private_seg_size, 0
	.set _ZN2at6native12_GLOBAL__N_112gatherMedianIhjLi1EEEvNS_4cuda6detail10TensorInfoIT_T0_EENS5_IlS7_EENS5_IKS6_S7_EES7_S7_S7_b.uses_vcc, 1
	.set _ZN2at6native12_GLOBAL__N_112gatherMedianIhjLi1EEEvNS_4cuda6detail10TensorInfoIT_T0_EENS5_IlS7_EENS5_IKS6_S7_EES7_S7_S7_b.uses_flat_scratch, 0
	.set _ZN2at6native12_GLOBAL__N_112gatherMedianIhjLi1EEEvNS_4cuda6detail10TensorInfoIT_T0_EENS5_IlS7_EENS5_IKS6_S7_EES7_S7_S7_b.has_dyn_sized_stack, 0
	.set _ZN2at6native12_GLOBAL__N_112gatherMedianIhjLi1EEEvNS_4cuda6detail10TensorInfoIT_T0_EENS5_IlS7_EENS5_IKS6_S7_EES7_S7_S7_b.has_recursion, 0
	.set _ZN2at6native12_GLOBAL__N_112gatherMedianIhjLi1EEEvNS_4cuda6detail10TensorInfoIT_T0_EENS5_IlS7_EENS5_IKS6_S7_EES7_S7_S7_b.has_indirect_call, 0
	.section	.AMDGPU.csdata,"",@progbits
; Kernel info:
; codeLenInByte = 10884
; TotalNumSgprs: 106
; NumVgprs: 82
; NumAgprs: 0
; TotalNumVgprs: 82
; ScratchSize: 0
; MemoryBound: 0
; FloatMode: 240
; IeeeMode: 1
; LDSByteSize: 4120 bytes/workgroup (compile time only)
; SGPRBlocks: 13
; VGPRBlocks: 10
; NumSGPRsForWavesPerEU: 106
; NumVGPRsForWavesPerEU: 82
; AccumOffset: 84
; Occupancy: 5
; WaveLimiterHint : 1
; COMPUTE_PGM_RSRC2:SCRATCH_EN: 0
; COMPUTE_PGM_RSRC2:USER_SGPR: 2
; COMPUTE_PGM_RSRC2:TRAP_HANDLER: 0
; COMPUTE_PGM_RSRC2:TGID_X_EN: 1
; COMPUTE_PGM_RSRC2:TGID_Y_EN: 1
; COMPUTE_PGM_RSRC2:TGID_Z_EN: 1
; COMPUTE_PGM_RSRC2:TIDIG_COMP_CNT: 0
; COMPUTE_PGM_RSRC3_GFX90A:ACCUM_OFFSET: 20
; COMPUTE_PGM_RSRC3_GFX90A:TG_SPLIT: 0
	.section	.text._ZN2at6native12_GLOBAL__N_112gatherMedianIhjLi2EEEvNS_4cuda6detail10TensorInfoIT_T0_EENS5_IlS7_EENS5_IKS6_S7_EES7_S7_S7_b,"axG",@progbits,_ZN2at6native12_GLOBAL__N_112gatherMedianIhjLi2EEEvNS_4cuda6detail10TensorInfoIT_T0_EENS5_IlS7_EENS5_IKS6_S7_EES7_S7_S7_b,comdat
	.globl	_ZN2at6native12_GLOBAL__N_112gatherMedianIhjLi2EEEvNS_4cuda6detail10TensorInfoIT_T0_EENS5_IlS7_EENS5_IKS6_S7_EES7_S7_S7_b ; -- Begin function _ZN2at6native12_GLOBAL__N_112gatherMedianIhjLi2EEEvNS_4cuda6detail10TensorInfoIT_T0_EENS5_IlS7_EENS5_IKS6_S7_EES7_S7_S7_b
	.p2align	8
	.type	_ZN2at6native12_GLOBAL__N_112gatherMedianIhjLi2EEEvNS_4cuda6detail10TensorInfoIT_T0_EENS5_IlS7_EENS5_IKS6_S7_EES7_S7_S7_b,@function
_ZN2at6native12_GLOBAL__N_112gatherMedianIhjLi2EEEvNS_4cuda6detail10TensorInfoIT_T0_EENS5_IlS7_EENS5_IKS6_S7_EES7_S7_S7_b: ; @_ZN2at6native12_GLOBAL__N_112gatherMedianIhjLi2EEEvNS_4cuda6detail10TensorInfoIT_T0_EENS5_IlS7_EENS5_IKS6_S7_EES7_S7_S7_b
; %bb.0:
	s_load_dwordx2 s[10:11], s[0:1], 0x298
	s_load_dwordx4 s[64:67], s[0:1], 0x288
	s_add_u32 s8, s0, 0x298
	s_addc_u32 s9, s1, 0
	s_waitcnt lgkmcnt(0)
	s_mul_i32 s4, s11, s4
	s_add_i32 s3, s4, s3
	s_mul_i32 s3, s3, s10
	s_add_i32 s17, s3, s2
	s_cmp_ge_u32 s17, s65
	s_cbranch_scc1 .LBB73_252
; %bb.1:
	s_load_dword s3, s[0:1], 0xc
	s_load_dword s4, s[0:1], 0xe4
	;; [unrolled: 1-line block ×3, first 2 shown]
                                        ; implicit-def: $vgpr81 : SGPR spill to VGPR lane
	v_cmp_eq_u32_e64 s[12:13], 0, v0
	s_waitcnt lgkmcnt(0)
	v_cvt_f32_u32_e32 v1, s3
	v_cvt_f32_u32_e32 v2, s4
	;; [unrolled: 1-line block ×3, first 2 shown]
	v_writelane_b32 v81, s3, 0
	v_rcp_iflag_f32_e32 v1, v1
	v_rcp_iflag_f32_e32 v2, v2
	;; [unrolled: 1-line block ×3, first 2 shown]
	s_sub_i32 s3, 0, s3
	v_mul_f32_e32 v1, 0x4f7ffffe, v1
	v_mul_f32_e32 v2, 0x4f7ffffe, v2
	v_cvt_u32_f32_e32 v1, v1
	v_cvt_u32_f32_e32 v2, v2
	v_mul_f32_e32 v3, 0x4f7ffffe, v3
	v_cvt_u32_f32_e32 v3, v3
	v_writelane_b32 v81, s4, 1
	s_sub_i32 s4, 0, s4
	v_readfirstlane_b32 s15, v1
	v_readfirstlane_b32 s16, v2
	s_mul_i32 s3, s3, s15
	s_mul_i32 s4, s4, s16
	s_mul_hi_u32 s6, s15, s3
	s_mul_hi_u32 s7, s16, s4
	s_sub_i32 s3, 0, s11
	v_readfirstlane_b32 s4, v3
	s_mul_i32 s3, s3, s4
	s_mul_hi_u32 s3, s4, s3
	s_add_i32 s3, s4, s3
	s_mov_b64 s[4:5], exec
	v_writelane_b32 v81, s12, 2
	s_nop 1
	v_writelane_b32 v81, s13, 3
	s_and_b64 s[12:13], s[4:5], s[12:13]
	s_mov_b64 exec, s[12:13]
; %bb.2:
	v_mov_b32_e32 v2, 0
	v_mov_b32_e32 v3, v2
	ds_write_b64 v2, v[2:3] offset:4096
; %bb.3:
	s_or_b64 exec, exec, s[4:5]
	v_mov_b32_e32 v1, 0
	s_waitcnt lgkmcnt(0)
	s_barrier
	s_barrier
	ds_read_b64 v[2:3], v1 offset:4096
	s_add_i32 s15, s15, s6
	s_add_i32 s16, s16, s7
	s_load_dwordx2 s[6:7], s[0:1], 0x21c
	s_load_dwordx2 s[4:5], s[0:1], 0x1b0
	s_bitcmp1_b32 s67, 0
	s_waitcnt lgkmcnt(0)
	v_readfirstlane_b32 s12, v2
	v_readfirstlane_b32 s13, v3
	s_cselect_b64 s[18:19], -1, 0
	s_mul_hi_u32 s14, s17, s3
	v_cmp_lt_i64_e64 s[20:21], s[12:13], 1
	s_or_b64 s[18:19], s[18:19], s[20:21]
	s_andn2_b64 vcc, exec, s[18:19]
	s_mov_b32 s3, s64
	s_cbranch_vccnz .LBB73_5
; %bb.4:
	s_not_b64 s[12:13], s[12:13]
	s_add_u32 s3, s12, s64
	s_addc_u32 s13, s13, 0
	s_lshr_b32 s12, s13, 31
	s_add_u32 s12, s3, s12
	s_addc_u32 s13, s13, 0
	s_lshr_b64 s[12:13], s[12:13], 1
	s_add_i32 s3, s12, 1
.LBB73_5:
	s_load_dwordx2 s[12:13], s[0:1], 0x144
                                        ; kill: killed $sgpr0 killed $sgpr1
	s_waitcnt lgkmcnt(0)
	v_writelane_b32 v81, s12, 4
	s_nop 1
	v_writelane_b32 v81, s13, 5
	s_load_dwordx2 s[12:13], s[0:1], 0xd8
	s_waitcnt lgkmcnt(0)
	v_writelane_b32 v81, s12, 6
	s_nop 1
	v_writelane_b32 v81, s13, 7
	s_load_dwordx2 s[12:13], s[0:1], 0x6c
	;; [unrolled: 5-line block ×3, first 2 shown]
	s_mul_hi_u32 s0, s17, s15
	s_waitcnt lgkmcnt(0)
	v_writelane_b32 v81, s12, 10
	s_nop 1
	v_writelane_b32 v81, s13, 11
	v_writelane_b32 v81, s0, 12
	s_mul_hi_u32 s0, s17, s16
	v_writelane_b32 v81, s0, 13
	s_mov_b64 s[0:1], exec
	v_readlane_b32 s12, v81, 2
	v_readlane_b32 s13, v81, 3
	s_and_b64 s[12:13], s[0:1], s[12:13]
	s_mov_b64 exec, s[12:13]
	s_cbranch_execz .LBB73_7
; %bb.6:
	v_mov_b32_e32 v2, 0
	v_mov_b32_e32 v3, s64
	ds_write_b32 v2, v2 offset:4112
	ds_write_b64 v2, v[2:3] offset:4104
.LBB73_7:
	s_or_b64 exec, exec, s[0:1]
	s_mul_i32 s0, s14, s11
	s_sub_i32 s0, s17, s0
	s_add_i32 s1, s14, 1
	s_sub_i32 s12, s0, s11
	s_cmp_ge_u32 s0, s11
	s_cselect_b32 s1, s1, s14
	s_cselect_b32 s0, s12, s0
	s_add_i32 s12, s1, 1
	s_cmp_ge_u32 s0, s11
	s_cselect_b32 s0, s12, s1
	s_mul_i32 s1, s0, s11
	s_sub_i32 s1, s17, s1
	s_waitcnt lgkmcnt(0)
	s_barrier
	s_load_dword s11, s[8:9], 0xc
	s_mul_i32 s1, s1, s7
	s_mul_i32 s0, s0, s6
	s_add_i32 s0, s0, s1
	v_writelane_b32 v81, s17, 14
	s_add_u32 s72, s4, s0
	v_cmp_gt_u32_e64 s[0:1], s64, v0
	v_mbcnt_lo_u32_b32 v1, -1, 0
	v_mbcnt_hi_u32_b32 v28, -1, v1
	v_writelane_b32 v81, s0, 15
	s_addc_u32 s73, s5, 0
	s_waitcnt lgkmcnt(0)
	s_and_b32 s79, s11, 0xffff
	v_writelane_b32 v81, s1, 16
	v_cmp_gt_u32_e32 vcc, 64, v0
	v_cmp_gt_i32_e64 s[0:1], 4, v28
	s_and_b64 s[80:81], vcc, s[0:1]
	s_add_i32 s0, s79, -1
	s_lshl_b32 s67, s79, 2
	v_writelane_b32 v81, s0, 17
	s_add_i32 s0, s0, s64
	s_cmpk_gt_u32 s64, 0xc00
	s_cselect_b64 s[12:13], -1, 0
	s_cmp_gt_u32 s79, 63
	v_lshlrev_b64 v[2:3], v28, -1
	s_cselect_b64 s[84:85], -1, 0
	v_not_b32_e32 v24, v2
	v_lshrrev_b32_e32 v2, 2, v0
	s_cmp_lt_u32 s2, s10
	v_and_b32_e32 v2, 0xf0, v2
	s_cselect_b32 s1, 12, 18
	v_writelane_b32 v81, s12, 18
	v_or_b32_e32 v29, 0xc00, v2
	s_add_u32 s8, s8, s1
	v_add_u32_e32 v2, 2, v0
	v_writelane_b32 v81, s13, 19
	s_addc_u32 s9, s9, 0
	v_max_u32_e32 v2, s64, v2
	v_writelane_b32 v81, s8, 20
	v_xad_u32 v2, v0, -1, v2
	v_not_b32_e32 v1, v3
	v_writelane_b32 v81, s9, 21
	s_bfe_u32 s8, s11, 0xa0006
	v_cmp_lt_u32_e64 s[10:11], 31, v2
	v_add_u32_e32 v3, -8, v2
	v_lshrrev_b32_e32 v5, 3, v3
	v_writelane_b32 v81, s10, 22
	s_add_i32 s1, s8, -2
	s_lshr_b32 s2, s1, 1
	v_writelane_b32 v81, s11, 23
	v_cmp_lt_u32_e64 s[10:11], 7, v3
	v_and_b32_e32 v3, 8, v3
	v_and_b32_e32 v30, -8, v2
	v_writelane_b32 v81, s10, 24
	s_add_i32 s2, s2, 1
	s_cmpk_gt_u32 s79, 0x7f
	v_writelane_b32 v81, s11, 25
	v_cmp_eq_u32_e64 s[10:11], 0, v3
	v_lshlrev_b32_e32 v25, 2, v0
	v_mov_b32_e32 v21, 0
	v_writelane_b32 v81, s10, 26
	v_mul_lo_u32 v18, s66, v0
	v_mov_b32_e32 v19, v21
	v_writelane_b32 v81, s11, 27
	v_cmp_ne_u32_e64 s[10:11], v2, v30
	v_cvt_f32_u32_e32 v2, s67
	v_lshlrev_b32_e32 v4, 2, v28
	v_writelane_b32 v81, s10, 28
	v_add_u32_e32 v5, 1, v5
	v_rcp_iflag_f32_e32 v2, v2
	v_writelane_b32 v81, s11, 29
	s_cselect_b64 s[10:11], -1, 0
	v_writelane_b32 v81, s10, 30
	s_and_b32 s9, s8, 0x3fe
	v_mul_f32_e32 v2, 0x4f7ffffe, v2
	v_writelane_b32 v81, s11, 31
	s_and_b32 s10, s2, 7
	s_cmp_gt_u32 s1, 13
	s_cselect_b64 s[12:13], -1, 0
	v_writelane_b32 v81, s12, 32
	s_and_b32 s1, s2, -8
	s_cmp_lg_u32 s10, 0
	v_writelane_b32 v81, s13, 33
	v_writelane_b32 v81, s1, 34
	v_cvt_u32_f32_e32 v2, v2
	v_writelane_b32 v81, s10, 35
	s_cselect_b64 s[10:11], -1, 0
	v_writelane_b32 v81, s10, 36
	s_cmp_lg_u32 s9, s8
	v_readfirstlane_b32 s2, v2
	v_writelane_b32 v81, s11, 37
	v_writelane_b32 v81, s8, 38
	v_cvt_f32_u32_e32 v2, s79
	v_writelane_b32 v81, s9, 39
	s_cselect_b64 s[8:9], -1, 0
	s_sub_i32 s1, 0, s67
	s_mul_i32 s1, s1, s2
	s_mul_hi_u32 s1, s2, s1
	s_add_i32 s25, s2, s1
	v_rcp_iflag_f32_e32 v2, v2
	s_mul_hi_u32 s1, s64, s25
	s_mul_i32 s1, s1, s67
	s_sub_i32 s1, s64, s1
	s_sub_i32 s2, s1, s67
	v_mul_f32_e32 v2, 0x4f7ffffe, v2
	s_cmp_ge_u32 s1, s67
	v_cvt_u32_f32_e32 v2, v2
	s_cselect_b32 s1, s2, s1
	s_sub_i32 s2, s1, s67
	v_writelane_b32 v81, s8, 40
	s_cmp_ge_u32 s1, s67
	s_cselect_b32 s1, s2, s1
	v_writelane_b32 v81, s9, 41
	s_sub_i32 s2, 0, s79
	v_readfirstlane_b32 s9, v2
	s_mul_i32 s2, s2, s9
	s_mul_hi_u32 s2, s9, s2
	s_add_i32 s2, s9, s2
	v_writelane_b32 v81, s2, 42
	s_mul_hi_u32 s2, s0, s2
	s_mul_i32 s2, s2, s79
	s_sub_i32 s2, s0, s2
	s_sub_i32 s8, s64, s1
	;; [unrolled: 1-line block ×3, first 2 shown]
	s_cmp_ge_u32 s2, s79
	s_cselect_b32 s2, s9, s2
	s_sub_i32 s9, s2, s79
	s_cmp_ge_u32 s2, s79
	v_mul_lo_u32 v2, s66, v25
	s_cselect_b32 s2, s9, s2
	v_add_u32_e32 v34, s66, v2
	v_or_b32_e32 v2, 2, v25
	s_sub_i32 s86, s0, s2
	v_mul_lo_u32 v35, s66, v2
	v_or_b32_e32 v2, 3, v25
	s_add_i32 s0, s79, s64
	v_add_u32_e32 v33, s8, v0
	v_mul_lo_u32 v36, s66, v2
	v_add_u32_e32 v2, s0, v0
	v_mul_lo_u32 v20, v33, s66
	v_cmp_gt_u32_e64 s[10:11], s86, v0
	s_mul_i32 s78, s66, s79
	v_subrev_u32_e32 v2, s1, v2
	s_mov_b32 s20, 0
	v_cmp_eq_u32_e64 s[4:5], 0, v28
	v_cmp_gt_u32_e64 s[6:7], 2, v0
	v_lshl_add_u64 v[22:23], s[72:73], 0, v[18:19]
	v_and_b32_e32 v19, 0x100, v4
	v_add_u32_e32 v31, v0, v30
	s_mov_b32 s77, s66
	s_mov_b32 s83, s66
	;; [unrolled: 1-line block ×8, first 2 shown]
	v_and_b32_e32 v32, 0x3ffffffe, v5
	v_cmp_gt_u32_e64 s[16:17], s8, v25
	v_cmp_gt_u32_e64 s[18:19], s64, v33
	v_lshl_add_u64 v[26:27], s[72:73], 0, v[20:21]
	v_writelane_b32 v81, s10, 43
	s_lshl_b32 s87, s78, 2
	v_lshlrev_b32_e32 v37, 2, v18
	v_mul_lo_u32 v39, s66, v2
	v_or_b32_e32 v40, 0xc00, v4
	s_mov_b64 s[96:97], 0
	v_mov_b32_e32 v41, 6
	v_mov_b32_e32 v46, s3
	s_movk_i32 s88, 0xff
	s_mov_b32 s89, 0xc0c0004
	s_mov_b32 s63, 0xc0c0007
	v_mov_b32_e32 v50, s64
	v_mov_b32_e32 v42, 0xc00
	;; [unrolled: 1-line block ×6, first 2 shown]
	s_mov_b32 s92, s66
	s_mov_b32 s93, s66
	s_mov_b32 s94, s66
	s_mov_b32 s95, s66
	s_mov_b32 s24, s66
	s_mov_b32 s22, s66
	s_mov_b32 s65, s66
	s_mov_b32 s33, s66
	s_mov_b32 s21, 1
	v_writelane_b32 v81, s11, 44
                                        ; implicit-def: $sgpr98_sgpr99
                                        ; implicit-def: $sgpr68_sgpr69
                                        ; implicit-def: $sgpr70_sgpr71
                                        ; implicit-def: $sgpr10_sgpr11
                                        ; implicit-def: $sgpr12_sgpr13
                                        ; implicit-def: $sgpr74_sgpr75
	s_branch .LBB73_11
.LBB73_8:                               ;   in Loop: Header=BB73_11 Depth=1
	s_or_b64 exec, exec, s[34:35]
	s_and_b64 s[26:27], s[26:27], exec
	s_andn2_b64 s[30:31], s[30:31], exec
	s_andn2_b64 s[28:29], s[28:29], exec
	s_orn2_b64 s[2:3], s[2:3], exec
.LBB73_9:                               ;   in Loop: Header=BB73_11 Depth=1
	s_or_b64 exec, exec, s[14:15]
	s_andn2_b64 s[14:15], s[74:75], exec
	s_and_b64 s[20:21], s[26:27], exec
	s_or_b64 s[74:75], s[14:15], s[20:21]
	s_andn2_b64 s[12:13], s[12:13], exec
	s_and_b64 s[14:15], s[30:31], exec
	s_or_b64 s[12:13], s[12:13], s[14:15]
	;; [unrolled: 3-line block ×3, first 2 shown]
	s_orn2_b64 s[2:3], s[2:3], exec
.LBB73_10:                              ;   in Loop: Header=BB73_11 Depth=1
	s_or_b64 exec, exec, s[0:1]
	s_and_b64 s[0:1], exec, s[2:3]
	s_or_b64 s[96:97], s[0:1], s[96:97]
	s_andn2_b64 s[0:1], s[70:71], exec
	s_and_b64 s[2:3], s[74:75], exec
	s_or_b64 s[70:71], s[0:1], s[2:3]
	s_andn2_b64 s[0:1], s[68:69], exec
	s_and_b64 s[2:3], s[12:13], exec
	;; [unrolled: 3-line block ×3, first 2 shown]
	s_or_b64 s[98:99], s[0:1], s[2:3]
	s_mov_b32 s20, s9
	v_mov_b32_e32 v46, v5
	s_andn2_b64 exec, exec, s[96:97]
	s_cbranch_execz .LBB73_248
.LBB73_11:                              ; =>This Loop Header: Depth=1
                                        ;     Child Loop BB73_16 Depth 2
                                        ;     Child Loop BB73_37 Depth 2
	;; [unrolled: 1-line block ×18, first 2 shown]
	ds_read_b64 v[2:3], v21 offset:4104
	s_waitcnt lgkmcnt(0)
	v_readfirstlane_b32 s21, v2
	s_cmp_lg_u32 s21, 0
	s_cbranch_scc1 .LBB73_54
; %bb.12:                               ;   in Loop: Header=BB73_11 Depth=1
	v_readlane_b32 s0, v81, 18
	v_readlane_b32 s1, v81, 19
	s_and_b64 vcc, exec, s[0:1]
	s_cbranch_vccz .LBB73_24
; %bb.13:                               ;   in Loop: Header=BB73_11 Depth=1
	s_movk_i32 s0, 0xc01
	v_cmp_gt_u32_e32 vcc, s0, v3
	s_mov_b64 s[14:15], 0
	s_mov_b64 s[0:1], 0
	s_cbranch_vccz .LBB73_25
; %bb.14:                               ;   in Loop: Header=BB73_11 Depth=1
	v_readlane_b32 s0, v81, 20
	v_readlane_b32 s1, v81, 21
	s_nop 4
	global_load_ushort v2, v21, s[0:1]
	global_load_ubyte v4, v[22:23], off
	s_mov_b64 s[26:27], 0
	v_mov_b32_e32 v6, v0
	s_waitcnt vmcnt(1)
	v_add_u32_e32 v5, v0, v2
	v_mul_lo_u32 v3, s66, v2
	v_mul_lo_u32 v5, s66, v5
	s_branch .LBB73_16
.LBB73_15:                              ;   in Loop: Header=BB73_16 Depth=2
	s_or_b64 exec, exec, s[2:3]
	v_add_u32_e32 v5, v5, v3
	v_mov_b32_e32 v4, v7
	s_andn2_b64 exec, exec, s[26:27]
	s_cbranch_execz .LBB73_31
.LBB73_16:                              ;   Parent Loop BB73_11 Depth=1
                                        ; =>  This Inner Loop Header: Depth=2
	v_add_u32_e32 v6, v6, v2
	v_cmp_gt_u32_e64 s[0:1], s64, v6
	v_cmp_le_u32_e32 vcc, s64, v6
	s_waitcnt lgkmcnt(0)
	v_mov_b32_e32 v8, 0
	v_mov_b32_e32 v7, 0
	s_and_saveexec_b64 s[2:3], s[0:1]
	s_cbranch_execz .LBB73_18
; %bb.17:                               ;   in Loop: Header=BB73_16 Depth=2
	global_load_ubyte v7, v5, s[72:73]
.LBB73_18:                              ;   in Loop: Header=BB73_16 Depth=2
	s_or_b64 exec, exec, s[2:3]
	s_waitcnt vmcnt(0)
	v_bitop3_b32 v9, v4, s88, v44 bitop3:0x80
	v_cmp_eq_u32_e64 s[0:1], v9, v38
	s_cmp_lg_u64 s[0:1], 0
	s_cselect_b64 s[2:3], -1, 0
	s_and_b64 s[2:3], s[4:5], s[2:3]
	s_and_saveexec_b64 s[28:29], s[2:3]
	s_cbranch_execz .LBB73_22
; %bb.19:                               ;   in Loop: Header=BB73_16 Depth=2
	s_mov_b64 s[34:35], exec
	v_mbcnt_lo_u32_b32 v8, s34, 0
	v_mbcnt_hi_u32_b32 v8, s35, v8
	s_bcnt1_i32_b64 s9, s[0:1]
	v_cmp_eq_u32_e64 s[2:3], 0, v8
                                        ; implicit-def: $vgpr9
	s_and_saveexec_b64 s[30:31], s[2:3]
; %bb.20:                               ;   in Loop: Header=BB73_16 Depth=2
	s_bcnt1_i32_b64 s2, s[34:35]
	s_mul_i32 s2, s9, s2
	v_mov_b32_e32 v9, s2
	ds_add_rtn_u32 v9, v21, v9 offset:4112
; %bb.21:                               ;   in Loop: Header=BB73_16 Depth=2
	s_or_b64 exec, exec, s[30:31]
	s_waitcnt lgkmcnt(0)
	v_readfirstlane_b32 s2, v9
	s_nop 1
	v_mov_b32_e32 v9, s2
	v_mad_u32_u24 v8, s9, v8, v9
.LBB73_22:                              ;   in Loop: Header=BB73_16 Depth=2
	s_or_b64 exec, exec, s[28:29]
	ds_bpermute_b32 v8, v19, v8
	s_and_b64 s[2:3], exec, vcc
	s_or_b64 s[26:27], s[2:3], s[26:27]
	s_and_saveexec_b64 s[2:3], s[0:1]
	s_cbranch_execz .LBB73_15
; %bb.23:                               ;   in Loop: Header=BB73_16 Depth=2
	v_and_b32_e32 v10, s0, v24
	v_and_b32_e32 v9, s1, v1
	v_bcnt_u32_b32 v10, v10, 0
	v_bcnt_u32_b32 v9, v9, v10
	s_waitcnt lgkmcnt(0)
	v_add_u32_e32 v8, v8, v9
	ds_write_b8 v8, v4
	s_branch .LBB73_15
.LBB73_24:                              ;   in Loop: Header=BB73_11 Depth=1
	s_mov_b64 s[14:15], -1
	s_mov_b64 s[0:1], 0
.LBB73_25:                              ;   in Loop: Header=BB73_11 Depth=1
	s_and_b64 vcc, exec, s[14:15]
	s_cbranch_vccz .LBB73_52
.LBB73_26:                              ;   in Loop: Header=BB73_11 Depth=1
	s_mov_b64 s[2:3], exec
	v_readlane_b32 s0, v81, 15
	v_readlane_b32 s1, v81, 16
	s_and_b64 s[0:1], s[2:3], s[0:1]
	s_mov_b64 exec, s[0:1]
	s_cbranch_execz .LBB73_49
; %bb.27:                               ;   in Loop: Header=BB73_11 Depth=1
	v_readlane_b32 s0, v81, 20
	v_readlane_b32 s1, v81, 21
	s_nop 4
	global_load_ushort v2, v21, s[0:1]
	global_load_ubyte v20, v[22:23], off
	v_mov_b32_e32 v3, v0
	s_waitcnt vmcnt(1)
	v_readfirstlane_b32 s21, v2
	v_add_u32_e32 v2, v0, v2
	v_cmp_gt_u32_e32 vcc, s64, v2
	s_and_saveexec_b64 s[26:27], vcc
	s_cbranch_execz .LBB73_48
; %bb.28:                               ;   in Loop: Header=BB73_11 Depth=1
	v_readlane_b32 s28, v81, 22
	s_mov_b64 s[0:1], 0
	s_mul_i32 s34, s66, s21
	v_readlane_b32 s29, v81, 23
                                        ; implicit-def: $vgpr3
                                        ; implicit-def: $vgpr4
                                        ; implicit-def: $vgpr5
	s_and_saveexec_b64 s[14:15], s[28:29]
	s_xor_b64 s[28:29], exec, s[14:15]
	s_cbranch_execnz .LBB73_34
; %bb.29:                               ;   in Loop: Header=BB73_11 Depth=1
	s_andn2_saveexec_b64 s[14:15], s[28:29]
	s_cbranch_execnz .LBB73_43
.LBB73_30:                              ;   in Loop: Header=BB73_11 Depth=1
	s_or_b64 exec, exec, s[14:15]
	s_and_saveexec_b64 s[14:15], s[0:1]
	s_cbranch_execnz .LBB73_44
	s_branch .LBB73_47
.LBB73_31:                              ;   in Loop: Header=BB73_11 Depth=1
	s_or_b64 exec, exec, s[26:27]
	s_waitcnt lgkmcnt(0)
	s_barrier
	s_mov_b64 s[0:1], exec
	v_readlane_b32 s2, v81, 2
	v_readlane_b32 s3, v81, 3
	s_and_b64 s[2:3], s[0:1], s[2:3]
	s_mov_b64 exec, s[2:3]
	s_cbranch_execz .LBB73_33
; %bb.32:                               ;   in Loop: Header=BB73_11 Depth=1
	ds_read_b32 v2, v21 offset:4112
	s_waitcnt lgkmcnt(0)
	ds_write_b32 v21, v2 offset:4104
.LBB73_33:                              ;   in Loop: Header=BB73_11 Depth=1
	s_or_b64 exec, exec, s[0:1]
	s_waitcnt lgkmcnt(0)
	s_barrier
	s_mov_b64 s[0:1], -1
	s_and_b64 vcc, exec, s[14:15]
	s_cbranch_vccnz .LBB73_26
	s_branch .LBB73_52
.LBB73_34:                              ;   in Loop: Header=BB73_11 Depth=1
	v_cvt_f32_u32_e32 v3, s21
	v_add_u32_e32 v4, s21, v2
	v_max_u32_e32 v4, s64, v4
	s_lshl_b32 s0, s21, 1
	v_rcp_iflag_f32_e32 v3, v3
	v_sub_u32_e32 v4, v4, v0
	v_cmp_ne_u32_e32 vcc, s0, v4
	s_sub_i32 s1, 0, s21
	v_mul_f32_e32 v3, 0x4f7ffffe, v3
	v_cvt_u32_f32_e32 v3, v3
	v_cndmask_b32_e64 v5, 0, 1, vcc
	v_or_b32_e32 v5, s0, v5
	v_sub_u32_e32 v4, v4, v5
	v_mul_lo_u32 v5, s1, v3
	v_mul_hi_u32 v5, v3, v5
	v_add_u32_e32 v3, v3, v5
	v_mul_hi_u32 v3, v4, v3
	v_mul_lo_u32 v5, v3, s21
	v_sub_u32_e32 v4, v4, v5
	v_add_u32_e32 v5, 1, v3
	v_cmp_le_u32_e64 s[0:1], s21, v4
	s_nop 1
	v_cndmask_b32_e64 v3, v3, v5, s[0:1]
	v_subrev_u32_e32 v5, s21, v4
	v_cndmask_b32_e64 v4, v4, v5, s[0:1]
	v_add_u32_e32 v5, 1, v3
	v_cmp_le_u32_e64 s[0:1], s21, v4
	v_mul_lo_u32 v4, s66, v2
	s_nop 0
	v_cndmask_b32_e64 v3, v3, v5, s[0:1]
	v_addc_co_u32_e32 v3, vcc, 0, v3, vcc
	s_abs_i32 s0, s34
	v_mul_hi_u32 v5, s0, v3
	v_mul_lo_u32 v3, s0, v3
	s_not_b32 s0, s34
	s_ashr_i32 s0, s0, 31
	s_cmp_eq_u32 s21, 1
	v_cmp_eq_u32_e32 vcc, 0, v5
	v_xor_b32_e32 v4, s0, v4
	s_cselect_b64 s[14:15], -1, 0
	v_cmp_le_u32_e64 s[0:1], v3, v4
	s_and_b64 s[14:15], vcc, s[14:15]
	s_and_b64 s[30:31], s[14:15], s[0:1]
	s_mov_b64 s[14:15], -1
	v_mov_b32_e32 v4, v0
                                        ; implicit-def: $vgpr3
	s_and_saveexec_b64 s[0:1], s[30:31]
	s_cbranch_execz .LBB73_42
; %bb.35:                               ;   in Loop: Header=BB73_11 Depth=1
	v_add_u32_e32 v9, 7, v2
	v_add_u32_e32 v8, 6, v2
	;; [unrolled: 1-line block ×7, first 2 shown]
	v_mov_b64_e32 v[16:17], v[8:9]
	s_waitcnt vmcnt(0)
	v_lshlrev_b32_e32 v47, 24, v20
	v_mov_b32_e32 v49, 0
	v_mov_b64_e32 v[14:15], v[6:7]
	v_mov_b64_e32 v[12:13], v[4:5]
	;; [unrolled: 1-line block ×3, first 2 shown]
                                        ; implicit-def: $vgpr20
	s_mov_b64 s[14:15], exec
	v_readlane_b32 s30, v81, 24
	v_readlane_b32 s31, v81, 25
	s_and_b64 s[30:31], s[14:15], s[30:31]
	s_mov_b64 exec, s[30:31]
	s_cbranch_execz .LBB73_39
; %bb.36:                               ;   in Loop: Header=BB73_11 Depth=1
	v_mov_b64_e32 v[16:17], v[8:9]
	s_mov_b32 s9, 0
	s_mov_b64 s[30:31], 0
	v_mov_b32_e32 v48, v32
	v_mov_b64_e32 v[14:15], v[6:7]
	v_mov_b64_e32 v[12:13], v[4:5]
	v_mov_b64_e32 v[10:11], v[2:3]
.LBB73_37:                              ;   Parent Loop BB73_11 Depth=1
                                        ; =>  This Inner Loop Header: Depth=2
	v_mul_lo_u32 v6, v16, s61
	v_mul_lo_u32 v8, v15, s23
	;; [unrolled: 1-line block ×6, first 2 shown]
	v_mov_b32_e32 v57, v21
	v_mov_b32_e32 v55, v21
	;; [unrolled: 1-line block ×5, first 2 shown]
	v_add_u32_e32 v49, 8, v11
	v_add_u32_e32 v51, 8, v12
	;; [unrolled: 1-line block ×7, first 2 shown]
	v_mul_lo_u32 v4, v17, s62
	v_mul_lo_u32 v58, v11, s83
	v_mov_b32_e32 v59, v21
	v_mov_b32_e32 v5, v21
	v_add_u32_e32 v3, 8, v10
	v_mov_b32_e32 v61, v21
	v_mov_b32_e32 v63, v21
	;; [unrolled: 1-line block ×5, first 2 shown]
	v_lshl_add_u64 v[74:75], s[72:73], 0, v[20:21]
	v_lshl_add_u64 v[56:57], s[72:73], 0, v[56:57]
	;; [unrolled: 1-line block ×6, first 2 shown]
	v_mul_lo_u32 v72, v68, s62
	v_mul_lo_u32 v70, v66, s61
	;; [unrolled: 1-line block ×7, first 2 shown]
	v_mov_b32_e32 v71, v21
	v_mov_b32_e32 v73, v21
	v_lshl_add_u64 v[58:59], s[72:73], 0, v[58:59]
	v_lshl_add_u64 v[4:5], s[72:73], 0, v[4:5]
	v_mul_lo_u32 v20, v3, s77
	global_load_ubyte v3, v[52:53], off
	global_load_ubyte v51, v[6:7], off
	;; [unrolled: 1-line block ×7, first 2 shown]
	s_nop 0
	global_load_ubyte v74, v[74:75], off
	v_lshl_add_u64 v[6:7], s[72:73], 0, v[60:61]
	v_lshl_add_u64 v[8:9], s[72:73], 0, v[62:63]
	;; [unrolled: 1-line block ×8, first 2 shown]
	global_load_ubyte v52, v[52:53], off
	s_nop 0
	global_load_ubyte v53, v[54:55], off
	s_nop 0
	global_load_ubyte v54, v[58:59], off
	global_load_ubyte v20, v[60:61], off
	;; [unrolled: 1-line block ×3, first 2 shown]
	s_nop 0
	global_load_ubyte v56, v[4:5], off
	s_nop 0
	global_load_ubyte v8, v[8:9], off
	;; [unrolled: 2-line block ×3, first 2 shown]
	v_add_u32_e32 v48, -2, v48
	v_add_u32_e32 v9, s9, v0
	s_add_i32 s9, s9, 16
	v_cmp_eq_u32_e32 vcc, 0, v48
	v_add_u32_e32 v17, 16, v17
	v_add_u32_e32 v16, 16, v16
	;; [unrolled: 1-line block ×8, first 2 shown]
	v_mov_b32_e32 v49, s9
	s_or_b64 s[30:31], vcc, s[30:31]
	s_waitcnt vmcnt(12)
	v_perm_b32 v4, v77, v51, s89
	s_waitcnt vmcnt(11)
	v_perm_b32 v3, v78, v3, s89
	v_lshl_or_b32 v5, v4, 16, v3
	s_waitcnt vmcnt(9)
	v_perm_b32 v7, v80, v79, s89
	s_waitcnt vmcnt(8)
	v_perm_b32 v47, v47, v74, s63
	v_lshl_or_b32 v4, v7, 16, v47
	s_waitcnt vmcnt(6)
	v_perm_b32 v3, v52, v53, s89
	s_waitcnt vmcnt(4)
	v_perm_b32 v51, v54, v20, s89
	;; [unrolled: 2-line block ×4, first 2 shown]
	v_lshl_or_b32 v7, v7, 16, v3
	s_waitcnt vmcnt(0)
	v_perm_b32 v6, v6, v8, s89
	v_perm_b32 v8, v53, v55, s89
	v_lshl_or_b32 v6, v6, 16, v47
	v_lshl_or_b32 v47, v51, 16, v8
	ds_write_b128 v9, v[4:7]
	s_andn2_b64 exec, exec, s[30:31]
	s_cbranch_execnz .LBB73_37
; %bb.38:                               ;   in Loop: Header=BB73_11 Depth=1
	s_or_b64 exec, exec, s[30:31]
.LBB73_39:                              ;   in Loop: Header=BB73_11 Depth=1
	s_or_b64 exec, exec, s[14:15]
	s_mov_b64 s[14:15], exec
	v_readlane_b32 s30, v81, 26
	v_readlane_b32 s31, v81, 27
	s_and_b64 s[30:31], s[14:15], s[30:31]
	s_mov_b64 exec, s[30:31]
	s_cbranch_execz .LBB73_41
; %bb.40:                               ;   in Loop: Header=BB73_11 Depth=1
	v_mul_lo_u32 v4, v16, s61
	v_mul_lo_u32 v6, v15, s23
	;; [unrolled: 1-line block ×3, first 2 shown]
	v_mov_b32_e32 v9, v21
	v_mov_b32_e32 v7, v21
	;; [unrolled: 1-line block ×3, first 2 shown]
	v_mul_lo_u32 v14, v13, s91
	v_mul_lo_u32 v12, v12, s90
	;; [unrolled: 1-line block ×4, first 2 shown]
	v_mov_b32_e32 v53, v21
	v_mov_b32_e32 v13, v21
	;; [unrolled: 1-line block ×3, first 2 shown]
	v_lshl_add_u64 v[8:9], s[72:73], 0, v[8:9]
	v_lshl_add_u64 v[6:7], s[72:73], 0, v[6:7]
	;; [unrolled: 1-line block ×3, first 2 shown]
	v_mul_lo_u32 v16, v17, s62
	v_mov_b32_e32 v17, v21
	v_lshl_add_u64 v[10:11], s[72:73], 0, v[20:21]
	v_lshl_add_u64 v[52:53], s[72:73], 0, v[52:53]
	;; [unrolled: 1-line block ×5, first 2 shown]
	global_load_ubyte v3, v[8:9], off
	s_nop 0
	global_load_ubyte v4, v[4:5], off
	s_nop 0
	global_load_ubyte v20, v[16:17], off
	global_load_ubyte v5, v[6:7], off
	s_nop 0
	global_load_ubyte v6, v[14:15], off
	global_load_ubyte v7, v[12:13], off
	;; [unrolled: 1-line block ×4, first 2 shown]
	s_waitcnt vmcnt(4)
	v_perm_b32 v4, v5, v4, s89
	s_waitcnt vmcnt(3)
	v_perm_b32 v3, v6, v3, s89
	v_lshl_or_b32 v5, v4, 16, v3
	s_waitcnt vmcnt(1)
	v_perm_b32 v6, v8, v7, s89
	s_waitcnt vmcnt(0)
	v_perm_b32 v7, v47, v9, s63
	v_lshl_or_b32 v4, v6, 16, v7
	v_add_u32_e32 v3, v0, v49
	ds_write_b64 v3, v[4:5]
.LBB73_41:                              ;   in Loop: Header=BB73_11 Depth=1
	s_or_b64 exec, exec, s[14:15]
	v_readlane_b32 s14, v81, 28
	v_add_u32_e32 v2, v2, v30
	v_readlane_b32 s15, v81, 29
	v_add_u32_e32 v3, -1, v2
	s_orn2_b64 s[14:15], s[14:15], exec
	v_mov_b32_e32 v4, v31
.LBB73_42:                              ;   in Loop: Header=BB73_11 Depth=1
	s_or_b64 exec, exec, s[0:1]
	v_mov_b32_e32 v5, s34
	s_and_b64 s[0:1], s[14:15], exec
	s_andn2_saveexec_b64 s[14:15], s[28:29]
	s_cbranch_execz .LBB73_30
.LBB73_43:                              ;   in Loop: Header=BB73_11 Depth=1
	v_mov_b32_e32 v5, s34
	s_or_b64 s[0:1], s[0:1], exec
	v_mov_b32_e32 v4, v0
	s_or_b64 exec, exec, s[14:15]
	s_and_saveexec_b64 s[14:15], s[0:1]
	s_cbranch_execz .LBB73_47
.LBB73_44:                              ;   in Loop: Header=BB73_11 Depth=1
	s_sub_i32 s9, 0, s21
	v_mul_lo_u32 v3, s66, v2
	s_mov_b64 s[0:1], 0
.LBB73_45:                              ;   Parent Loop BB73_11 Depth=1
                                        ; =>  This Inner Loop Header: Depth=2
	global_load_ubyte v6, v3, s[72:73]
	v_mov_b32_e32 v7, v2
	v_add_u32_e32 v2, s21, v7
	v_cmp_le_u32_e32 vcc, s64, v2
	s_waitcnt vmcnt(1)
	ds_write_b8 v4, v20
	v_add_u32_e32 v3, v3, v5
	v_mov_b32_e32 v4, v7
	s_or_b64 s[0:1], vcc, s[0:1]
	s_waitcnt vmcnt(0)
	v_mov_b32_e32 v20, v6
	s_andn2_b64 exec, exec, s[0:1]
	s_cbranch_execnz .LBB73_45
; %bb.46:                               ;   in Loop: Header=BB73_11 Depth=1
	s_or_b64 exec, exec, s[0:1]
	v_add_u32_e32 v3, s9, v2
	v_mov_b32_e32 v20, v6
.LBB73_47:                              ;   in Loop: Header=BB73_11 Depth=1
	s_or_b64 exec, exec, s[14:15]
.LBB73_48:                              ;   in Loop: Header=BB73_11 Depth=1
	s_or_b64 exec, exec, s[26:27]
	s_waitcnt vmcnt(0)
	ds_write_b8 v3, v20
.LBB73_49:                              ;   in Loop: Header=BB73_11 Depth=1
	s_or_b64 exec, exec, s[2:3]
	s_waitcnt lgkmcnt(0)
	s_barrier
	s_mov_b64 s[0:1], exec
	v_readlane_b32 s2, v81, 2
	v_readlane_b32 s3, v81, 3
	s_and_b64 s[2:3], s[0:1], s[2:3]
	s_mov_b64 exec, s[2:3]
; %bb.50:                               ;   in Loop: Header=BB73_11 Depth=1
	ds_write_b32 v21, v50 offset:4104
; %bb.51:                               ;   in Loop: Header=BB73_11 Depth=1
	s_or_b64 exec, exec, s[0:1]
	s_mov_b64 s[0:1], -1
	s_waitcnt lgkmcnt(0)
	s_barrier
.LBB73_52:                              ;   in Loop: Header=BB73_11 Depth=1
	s_mov_b32 s21, 0
	s_and_b64 vcc, exec, s[0:1]
	s_cbranch_vccz .LBB73_54
; %bb.53:                               ;   in Loop: Header=BB73_11 Depth=1
	ds_read_b32 v2, v21 offset:4104
	s_waitcnt lgkmcnt(0)
	v_readfirstlane_b32 s21, v2
.LBB73_54:                              ;   in Loop: Header=BB73_11 Depth=1
	s_cmp_lt_i32 s21, 1
	s_mov_b64 s[0:1], -1
                                        ; implicit-def: $vgpr5
	s_cbranch_scc1 .LBB73_64
; %bb.55:                               ;   in Loop: Header=BB73_11 Depth=1
	s_and_b64 vcc, exec, s[0:1]
	s_cbranch_vccnz .LBB73_75
.LBB73_56:                              ;   in Loop: Header=BB73_11 Depth=1
	s_lshl_b32 s9, s20, 6
	s_and_saveexec_b64 s[0:1], s[4:5]
.LBB73_57:                              ;   in Loop: Header=BB73_11 Depth=1
	v_lshl_add_u32 v6, s9, 2, v29
	ds_write_b128 v6, v[2:5]
.LBB73_58:                              ;   in Loop: Header=BB73_11 Depth=1
	s_or_b64 exec, exec, s[0:1]
	s_waitcnt lgkmcnt(0)
	s_barrier
	s_and_saveexec_b64 s[0:1], s[80:81]
	s_cbranch_execz .LBB73_92
; %bb.59:                               ;   in Loop: Header=BB73_11 Depth=1
	v_add_u32_e32 v4, s9, v28
	s_andn2_b64 vcc, exec, s[84:85]
	v_mov_b32_e32 v2, 0
	s_cbranch_vccnz .LBB73_91
; %bb.60:                               ;   in Loop: Header=BB73_11 Depth=1
	v_readlane_b32 s2, v81, 30
	v_readlane_b32 s3, v81, 31
	s_andn2_b64 vcc, exec, s[2:3]
	s_cbranch_vccnz .LBB73_84
; %bb.61:                               ;   in Loop: Header=BB73_11 Depth=1
	v_readlane_b32 s2, v81, 32
	v_readlane_b32 s3, v81, 33
	s_andn2_b64 vcc, exec, s[2:3]
	v_lshl_add_u32 v5, v4, 2, v42
	s_cbranch_vccnz .LBB73_85
; %bb.62:                               ;   in Loop: Header=BB73_11 Depth=1
	s_mov_b32 s3, 1
	s_mov_b32 s2, 0
	v_mov_b32_e32 v2, 0
	v_mov_b32_e32 v3, 0
	v_readlane_b32 s14, v81, 34
.LBB73_63:                              ;   Parent Loop BB73_11 Depth=1
                                        ; =>  This Inner Loop Header: Depth=2
	v_lshl_add_u32 v20, s2, 4, v5
	v_lshl_add_u32 v47, s3, 4, v5
	ds_read2_b32 v[6:7], v20 offset1:8
	ds_read2_b32 v[8:9], v47 offset1:8
	ds_read2_b32 v[10:11], v20 offset0:16 offset1:24
	ds_read2_b32 v[12:13], v47 offset0:16 offset1:24
	;; [unrolled: 1-line block ×6, first 2 shown]
	s_waitcnt lgkmcnt(7)
	v_add3_u32 v2, v6, v2, v7
	s_waitcnt lgkmcnt(6)
	v_add3_u32 v3, v8, v3, v9
	s_waitcnt lgkmcnt(4)
	v_add3_u32 v3, v12, v3, v13
	v_add3_u32 v2, v10, v2, v11
	s_add_i32 s3, s3, 16
	s_add_i32 s2, s2, 16
	s_add_i32 s14, s14, -8
	s_waitcnt lgkmcnt(3)
	v_add3_u32 v2, v14, v2, v15
	s_waitcnt lgkmcnt(2)
	v_add3_u32 v3, v16, v3, v17
	s_cmp_lg_u32 s14, 0
	s_waitcnt lgkmcnt(0)
	v_add3_u32 v3, v52, v3, v53
	v_add3_u32 v2, v48, v2, v49
	s_cbranch_scc1 .LBB73_63
	s_branch .LBB73_86
.LBB73_64:                              ;   in Loop: Header=BB73_11 Depth=1
	v_mov_b32_e32 v2, 0
	v_mov_b32_e32 v3, 0
	v_mov_b32_e32 v4, 0
	v_mov_b32_e32 v5, 0
	s_and_saveexec_b64 s[14:15], s[16:17]
	s_cbranch_execz .LBB73_68
; %bb.65:                               ;   in Loop: Header=BB73_11 Depth=1
	s_mov_b32 s82, 0
	s_mov_b64 s[76:77], 0
	s_mov_b32 s83, 0
	s_mov_b32 s9, 0
	;; [unrolled: 1-line block ×4, first 2 shown]
	v_mov_b32_e32 v6, v25
.LBB73_66:                              ;   Parent Loop BB73_11 Depth=1
                                        ; =>  This Inner Loop Header: Depth=2
	v_add_u32_e32 v2, s82, v37
	v_add_u32_e32 v3, s82, v34
	;; [unrolled: 1-line block ×4, first 2 shown]
	global_load_ubyte v2, v2, s[72:73]
	s_nop 0
	global_load_ubyte v3, v3, s[72:73]
	s_nop 0
	;; [unrolled: 2-line block ×3, first 2 shown]
	global_load_ubyte v5, v5, s[72:73]
	v_add_u32_e32 v6, s67, v6
	s_add_i32 s82, s82, s87
	v_cmp_le_u32_e32 vcc, s8, v6
	s_waitcnt vmcnt(3)
	v_and_b32_e32 v7, v44, v2
	v_bfe_u32 v2, v2, v41, 2
	s_waitcnt vmcnt(2)
	v_and_b32_e32 v8, v44, v3
	v_bfe_u32 v3, v3, v41, 2
	v_cmp_eq_u32_e64 s[0:1], v7, v38
	v_cmp_eq_u32_e64 s[30:31], 0, v2
	s_waitcnt vmcnt(1)
	v_and_b32_e32 v9, v44, v4
	v_bfe_u32 v4, v4, v41, 2
	v_cmp_eq_u32_e64 s[2:3], v8, v38
	v_cmp_eq_u32_e64 s[34:35], 0, v3
	s_and_b64 s[30:31], s[0:1], s[30:31]
	s_waitcnt vmcnt(0)
	v_and_b32_e32 v10, v44, v5
	v_bfe_u32 v5, v5, v41, 2
	v_cmp_eq_u32_e64 s[26:27], v9, v38
	v_cmp_eq_u32_e64 s[36:37], 0, v4
	;; [unrolled: 1-line block ×5, first 2 shown]
	v_cndmask_b32_e64 v2, 0, 1, s[30:31]
	s_and_b64 s[30:31], s[2:3], s[34:35]
	v_cmp_eq_u32_e64 s[28:29], v10, v38
	v_cmp_eq_u32_e64 s[38:39], 0, v5
	;; [unrolled: 1-line block ×5, first 2 shown]
	v_cndmask_b32_e64 v3, 0, 1, s[30:31]
	s_and_b64 s[30:31], s[26:27], s[36:37]
	v_cmp_eq_u32_e64 s[44:45], 1, v4
	v_cmp_eq_u32_e64 s[52:53], 2, v4
	;; [unrolled: 1-line block ×3, first 2 shown]
	v_cndmask_b32_e64 v4, 0, 1, s[30:31]
	s_and_b64 s[30:31], s[28:29], s[38:39]
	v_cmp_eq_u32_e64 s[46:47], 1, v5
	v_cmp_eq_u32_e64 s[54:55], 2, v5
	;; [unrolled: 1-line block ×3, first 2 shown]
	v_cndmask_b32_e64 v5, 0, 1, s[30:31]
	s_and_b64 s[30:31], s[0:1], s[40:41]
	v_cndmask_b32_e64 v7, 0, 1, s[30:31]
	s_and_b64 s[30:31], s[2:3], s[42:43]
	;; [unrolled: 2-line block ×5, first 2 shown]
	s_and_b64 s[0:1], s[0:1], s[56:57]
	v_cndmask_b32_e64 v11, 0, 1, s[30:31]
	s_and_b64 s[30:31], s[2:3], s[50:51]
	v_cndmask_b32_e64 v15, 0, 1, s[0:1]
	;; [unrolled: 2-line block ×7, first 2 shown]
	v_cndmask_b32_e64 v20, 0, 1, s[0:1]
	v_cmp_ne_u32_e64 s[0:1], 0, v2
	v_cmp_ne_u32_e64 s[2:3], 0, v3
	;; [unrolled: 1-line block ×11, first 2 shown]
	s_bcnt1_i32_b64 s0, s[0:1]
	s_bcnt1_i32_b64 s1, s[2:3]
	;; [unrolled: 1-line block ×8, first 2 shown]
	v_cmp_ne_u32_e64 s[38:39], 0, v10
	v_cmp_ne_u32_e64 s[44:45], 0, v13
	v_cmp_ne_u32_e64 s[52:53], 0, v17
	s_bcnt1_i32_b64 s27, s[34:35]
	s_bcnt1_i32_b64 s31, s[42:43]
	;; [unrolled: 1-line block ×3, first 2 shown]
	s_add_i32 s0, s91, s0
	s_add_i32 s26, s90, s26
	;; [unrolled: 1-line block ×4, first 2 shown]
	v_cmp_ne_u32_e64 s[46:47], 0, v14
	v_cmp_ne_u32_e64 s[54:55], 0, v20
	s_bcnt1_i32_b64 s29, s[38:39]
	s_bcnt1_i32_b64 s34, s[44:45]
	s_bcnt1_i32_b64 s38, s[52:53]
	s_add_i32 s0, s0, s1
	s_add_i32 s1, s26, s27
	;; [unrolled: 1-line block ×4, first 2 shown]
	s_bcnt1_i32_b64 s35, s[46:47]
	s_bcnt1_i32_b64 s39, s[54:55]
	s_add_i32 s0, s0, s2
	s_add_i32 s1, s1, s28
	;; [unrolled: 1-line block ×8, first 2 shown]
	s_or_b64 s[76:77], vcc, s[76:77]
	v_mov_b32_e32 v2, s91
	v_mov_b32_e32 v3, s90
	v_mov_b32_e32 v4, s9
	v_mov_b32_e32 v5, s83
	s_andn2_b64 exec, exec, s[76:77]
	s_cbranch_execnz .LBB73_66
; %bb.67:                               ;   in Loop: Header=BB73_11 Depth=1
	s_or_b64 exec, exec, s[76:77]
	s_mov_b32 s77, s92
	s_mov_b32 s83, s93
	;; [unrolled: 1-line block ×9, first 2 shown]
.LBB73_68:                              ;   in Loop: Header=BB73_11 Depth=1
	s_or_b64 exec, exec, s[14:15]
	s_and_saveexec_b64 s[2:3], s[18:19]
	s_cbranch_execz .LBB73_74
; %bb.69:                               ;   in Loop: Header=BB73_11 Depth=1
	global_load_ubyte v9, v[26:27], off
	s_mov_b64 s[14:15], 0
	v_mov_b32_e32 v6, v39
	v_mov_b32_e32 v7, v33
	s_branch .LBB73_71
.LBB73_70:                              ;   in Loop: Header=BB73_71 Depth=2
	s_or_b64 exec, exec, s[26:27]
	s_waitcnt vmcnt(0)
	v_and_b32_e32 v10, 0xff, v9
	v_bitop3_b32 v9, v44, v9, s88 bitop3:0x80
	s_and_b64 s[0:1], exec, vcc
	v_cmp_eq_u32_e32 vcc, v9, v38
	v_bfe_u32 v9, v10, v41, 2
	s_or_b64 s[14:15], s[0:1], s[14:15]
	v_cmp_eq_u32_e64 s[0:1], 0, v9
	s_and_b64 s[0:1], vcc, s[0:1]
	v_add_u32_e32 v6, s78, v6
	v_cndmask_b32_e64 v10, 0, 1, s[0:1]
	v_cmp_ne_u32_e64 s[0:1], 0, v10
	s_bcnt1_i32_b64 s0, s[0:1]
	s_nop 0
	v_add_u32_e32 v2, s0, v2
	v_cmp_eq_u32_e64 s[0:1], 1, v9
	s_and_b64 s[0:1], vcc, s[0:1]
	s_nop 0
	v_cndmask_b32_e64 v10, 0, 1, s[0:1]
	v_cmp_ne_u32_e64 s[0:1], 0, v10
	s_bcnt1_i32_b64 s0, s[0:1]
	s_nop 0
	v_add_u32_e32 v3, s0, v3
	v_cmp_eq_u32_e64 s[0:1], 2, v9
	s_and_b64 s[0:1], vcc, s[0:1]
	s_nop 0
	;; [unrolled: 8-line block ×3, first 2 shown]
	v_cndmask_b32_e64 v9, 0, 1, s[0:1]
	v_cmp_ne_u32_e32 vcc, 0, v9
	s_bcnt1_i32_b64 s0, vcc
	v_add_u32_e32 v5, s0, v5
	v_mov_b32_e32 v9, v8
	s_andn2_b64 exec, exec, s[14:15]
	s_cbranch_execz .LBB73_73
.LBB73_71:                              ;   Parent Loop BB73_11 Depth=1
                                        ; =>  This Inner Loop Header: Depth=2
	v_add_u32_e32 v7, s79, v7
	v_cmp_gt_u32_e64 s[0:1], s64, v7
	v_cmp_le_u32_e32 vcc, s64, v7
	v_mov_b32_e32 v8, 0
	s_and_saveexec_b64 s[26:27], s[0:1]
	s_cbranch_execz .LBB73_70
; %bb.72:                               ;   in Loop: Header=BB73_71 Depth=2
	global_load_ubyte v8, v6, s[72:73]
	s_branch .LBB73_70
.LBB73_73:                              ;   in Loop: Header=BB73_11 Depth=1
	s_or_b64 exec, exec, s[14:15]
.LBB73_74:                              ;   in Loop: Header=BB73_11 Depth=1
	s_or_b64 exec, exec, s[2:3]
	s_branch .LBB73_56
.LBB73_75:                              ;   in Loop: Header=BB73_11 Depth=1
	s_mul_hi_u32 s0, s21, s25
	s_mul_i32 s0, s0, s67
	s_sub_i32 s0, s21, s0
	s_sub_i32 s1, s0, s67
	s_cmp_ge_u32 s0, s67
	s_cselect_b32 s0, s1, s0
	s_sub_i32 s1, s0, s67
	s_cmp_ge_u32 s0, s67
	s_cselect_b32 s0, s1, s0
	s_sub_i32 s82, s21, s0
	v_cmp_gt_u32_e32 vcc, s82, v25
	v_mov_b32_e32 v2, 0
	v_mov_b32_e32 v3, 0
	;; [unrolled: 1-line block ×4, first 2 shown]
	s_and_saveexec_b64 s[14:15], vcc
	s_cbranch_execz .LBB73_79
; %bb.76:                               ;   in Loop: Header=BB73_11 Depth=1
	s_mov_b32 s83, 0
	s_mov_b64 s[76:77], 0
	s_mov_b32 s9, 0
	s_mov_b32 s90, 0
	;; [unrolled: 1-line block ×3, first 2 shown]
	v_mov_b32_e32 v6, v25
.LBB73_77:                              ;   Parent Loop BB73_11 Depth=1
                                        ; =>  This Inner Loop Header: Depth=2
	ds_read_b32 v2, v6
	v_add_u32_e32 v6, s67, v6
	v_cmp_le_u32_e32 vcc, s82, v6
	s_waitcnt lgkmcnt(0)
	v_and_b32_e32 v7, 0xff, v2
	v_lshrrev_b32_e32 v3, 16, v2
	v_lshrrev_b32_e32 v4, 8, v2
	;; [unrolled: 1-line block ×3, first 2 shown]
	v_bfe_u32 v8, v2, 8, 8
	v_bfe_u32 v9, v2, 16, 8
	v_bitop3_b32 v2, v44, v2, s88 bitop3:0x80
	v_bfe_u32 v7, v7, v41, 2
	v_cmp_eq_u32_e64 s[0:1], v2, v38
	v_bitop3_b32 v2, v44, v4, s88 bitop3:0x80
	v_bfe_u32 v8, v8, v41, 2
	v_cmp_eq_u32_e64 s[30:31], 0, v7
	;; [unrolled: 3-line block ×3, first 2 shown]
	v_cmp_eq_u32_e64 s[34:35], 0, v8
	s_and_b64 s[30:31], s[0:1], s[30:31]
	v_and_b32_e32 v4, v44, v5
	v_bfe_u32 v5, v5, v41, 2
	v_cmp_eq_u32_e64 s[26:27], v3, v38
	v_cmp_eq_u32_e64 s[36:37], 0, v9
	v_cndmask_b32_e64 v2, 0, 1, s[30:31]
	s_and_b64 s[30:31], s[2:3], s[34:35]
	v_cmp_eq_u32_e64 s[28:29], v4, v38
	v_cmp_eq_u32_e64 s[38:39], 0, v5
	v_cndmask_b32_e64 v3, 0, 1, s[30:31]
	s_and_b64 s[30:31], s[26:27], s[36:37]
	v_cmp_eq_u32_e64 s[40:41], 1, v7
	v_cndmask_b32_e64 v4, 0, 1, s[30:31]
	s_and_b64 s[30:31], s[28:29], s[38:39]
	v_cmp_eq_u32_e64 s[42:43], 1, v8
	v_cmp_eq_u32_e64 s[46:47], 1, v5
	;; [unrolled: 1-line block ×4, first 2 shown]
	v_cndmask_b32_e64 v5, 0, 1, s[30:31]
	s_and_b64 s[30:31], s[0:1], s[40:41]
	v_cmp_eq_u32_e64 s[44:45], 1, v9
	v_cmp_eq_u32_e64 s[48:49], 2, v7
	;; [unrolled: 1-line block ×3, first 2 shown]
	v_cndmask_b32_e64 v7, 0, 1, s[30:31]
	s_and_b64 s[30:31], s[2:3], s[42:43]
	v_cmp_eq_u32_e64 s[50:51], 2, v8
	v_cmp_eq_u32_e64 s[58:59], 3, v8
	v_cndmask_b32_e64 v8, 0, 1, s[30:31]
	s_and_b64 s[30:31], s[26:27], s[44:45]
	v_cmp_eq_u32_e64 s[52:53], 2, v9
	v_cmp_eq_u32_e64 s[60:61], 3, v9
	v_cndmask_b32_e64 v9, 0, 1, s[30:31]
	s_and_b64 s[30:31], s[28:29], s[46:47]
	v_cndmask_b32_e64 v10, 0, 1, s[30:31]
	s_and_b64 s[30:31], s[0:1], s[48:49]
	s_and_b64 s[0:1], s[0:1], s[56:57]
	v_cndmask_b32_e64 v11, 0, 1, s[30:31]
	s_and_b64 s[30:31], s[2:3], s[50:51]
	v_cndmask_b32_e64 v15, 0, 1, s[0:1]
	;; [unrolled: 2-line block ×7, first 2 shown]
	v_cndmask_b32_e64 v20, 0, 1, s[0:1]
	v_cmp_ne_u32_e64 s[0:1], 0, v2
	v_cmp_ne_u32_e64 s[2:3], 0, v3
	;; [unrolled: 1-line block ×11, first 2 shown]
	s_bcnt1_i32_b64 s0, s[0:1]
	s_bcnt1_i32_b64 s1, s[2:3]
	s_bcnt1_i32_b64 s2, s[26:27]
	s_bcnt1_i32_b64 s3, s[28:29]
	s_bcnt1_i32_b64 s26, s[30:31]
	s_bcnt1_i32_b64 s28, s[36:37]
	s_bcnt1_i32_b64 s30, s[40:41]
	s_bcnt1_i32_b64 s36, s[48:49]
	v_cmp_ne_u32_e64 s[38:39], 0, v10
	v_cmp_ne_u32_e64 s[44:45], 0, v13
	;; [unrolled: 1-line block ×3, first 2 shown]
	s_bcnt1_i32_b64 s27, s[34:35]
	s_bcnt1_i32_b64 s31, s[42:43]
	;; [unrolled: 1-line block ×3, first 2 shown]
	s_add_i32 s0, s91, s0
	s_add_i32 s26, s90, s26
	;; [unrolled: 1-line block ×4, first 2 shown]
	v_cmp_ne_u32_e64 s[46:47], 0, v14
	v_cmp_ne_u32_e64 s[54:55], 0, v20
	s_bcnt1_i32_b64 s29, s[38:39]
	s_bcnt1_i32_b64 s34, s[44:45]
	;; [unrolled: 1-line block ×3, first 2 shown]
	s_add_i32 s0, s0, s1
	s_add_i32 s1, s26, s27
	;; [unrolled: 1-line block ×4, first 2 shown]
	s_bcnt1_i32_b64 s35, s[46:47]
	s_bcnt1_i32_b64 s39, s[54:55]
	s_add_i32 s0, s0, s2
	s_add_i32 s1, s1, s28
	;; [unrolled: 1-line block ×8, first 2 shown]
	s_or_b64 s[76:77], vcc, s[76:77]
	v_mov_b32_e32 v2, s91
	v_mov_b32_e32 v3, s90
	;; [unrolled: 1-line block ×4, first 2 shown]
	s_andn2_b64 exec, exec, s[76:77]
	s_cbranch_execnz .LBB73_77
; %bb.78:                               ;   in Loop: Header=BB73_11 Depth=1
	s_or_b64 exec, exec, s[76:77]
	s_mov_b32 s77, s92
	s_mov_b32 s83, s93
	;; [unrolled: 1-line block ×9, first 2 shown]
.LBB73_79:                              ;   in Loop: Header=BB73_11 Depth=1
	s_or_b64 exec, exec, s[14:15]
	v_add_u32_e32 v6, s82, v0
	v_cmp_gt_u32_e32 vcc, s21, v6
	s_and_saveexec_b64 s[14:15], vcc
	s_cbranch_execz .LBB73_83
; %bb.80:                               ;   in Loop: Header=BB73_11 Depth=1
	s_mov_b64 s[34:35], 0
.LBB73_81:                              ;   Parent Loop BB73_11 Depth=1
                                        ; =>  This Inner Loop Header: Depth=2
	ds_read_u8 v7, v6
	v_add_u32_e32 v6, s79, v6
	v_cmp_le_u32_e32 vcc, s21, v6
	s_waitcnt lgkmcnt(0)
	v_and_b32_e32 v8, v44, v7
	v_bfe_u32 v7, v7, v41, 2
	v_cmp_eq_u32_e64 s[0:1], v8, v38
	v_cmp_eq_u32_e64 s[2:3], 0, v7
	;; [unrolled: 1-line block ×3, first 2 shown]
	s_and_b64 s[2:3], s[0:1], s[2:3]
	v_cmp_eq_u32_e64 s[28:29], 2, v7
	v_cmp_eq_u32_e64 s[30:31], 3, v7
	v_cndmask_b32_e64 v7, 0, 1, s[2:3]
	s_and_b64 s[2:3], s[0:1], s[26:27]
	v_cndmask_b32_e64 v8, 0, 1, s[2:3]
	s_and_b64 s[2:3], s[0:1], s[28:29]
	s_and_b64 s[0:1], s[0:1], s[30:31]
	v_cndmask_b32_e64 v9, 0, 1, s[2:3]
	v_cndmask_b32_e64 v10, 0, 1, s[0:1]
	v_cmp_ne_u32_e64 s[0:1], 0, v7
	v_cmp_ne_u32_e64 s[2:3], 0, v8
	;; [unrolled: 1-line block ×4, first 2 shown]
	s_bcnt1_i32_b64 s0, s[0:1]
	s_bcnt1_i32_b64 s1, s[2:3]
	;; [unrolled: 1-line block ×4, first 2 shown]
	v_add_u32_e32 v2, s0, v2
	v_add_u32_e32 v3, s1, v3
	;; [unrolled: 1-line block ×3, first 2 shown]
	s_or_b64 s[34:35], vcc, s[34:35]
	v_add_u32_e32 v5, s3, v5
	s_andn2_b64 exec, exec, s[34:35]
	s_cbranch_execnz .LBB73_81
; %bb.82:                               ;   in Loop: Header=BB73_11 Depth=1
	s_or_b64 exec, exec, s[34:35]
.LBB73_83:                              ;   in Loop: Header=BB73_11 Depth=1
	s_or_b64 exec, exec, s[14:15]
	s_lshl_b32 s9, s20, 6
	s_and_saveexec_b64 s[0:1], s[4:5]
	s_cbranch_execnz .LBB73_57
	s_branch .LBB73_58
.LBB73_84:                              ;   in Loop: Header=BB73_11 Depth=1
	v_mov_b32_e32 v2, 0
	s_mov_b32 s14, 0
	s_cbranch_execnz .LBB73_89
	s_branch .LBB73_91
.LBB73_85:                              ;   in Loop: Header=BB73_11 Depth=1
	v_mov_b32_e32 v20, v21
	s_mov_b32 s2, 0
	v_mov_b64_e32 v[2:3], v[20:21]
	s_mov_b32 s3, 1
.LBB73_86:                              ;   in Loop: Header=BB73_11 Depth=1
	v_readlane_b32 s14, v81, 36
	v_readlane_b32 s15, v81, 37
	s_andn2_b64 vcc, exec, s[14:15]
	v_readlane_b32 s14, v81, 35
	s_cbranch_vccnz .LBB73_88
.LBB73_87:                              ;   Parent Loop BB73_11 Depth=1
                                        ; =>  This Inner Loop Header: Depth=2
	v_lshl_add_u32 v6, s2, 4, v5
	v_lshl_add_u32 v7, s3, 4, v5
	ds_read_b32 v7, v7
	ds_read_b32 v6, v6
	s_add_i32 s3, s3, 2
	s_add_i32 s2, s2, 2
	s_add_i32 s14, s14, -1
	s_cmp_lg_u32 s14, 0
	s_waitcnt lgkmcnt(1)
	v_add_u32_e32 v3, v7, v3
	s_waitcnt lgkmcnt(0)
	v_add_u32_e32 v2, v6, v2
	s_cbranch_scc1 .LBB73_87
.LBB73_88:                              ;   in Loop: Header=BB73_11 Depth=1
	v_readlane_b32 s2, v81, 40
	v_add_u32_e32 v2, v2, v3
	v_readlane_b32 s14, v81, 39
	v_readlane_b32 s3, v81, 41
	s_and_b64 vcc, exec, s[2:3]
	s_cbranch_vccz .LBB73_91
.LBB73_89:                              ;   in Loop: Header=BB73_11 Depth=1
	s_lshl_b32 s2, s20, 8
	s_lshl_b32 s3, s14, 4
	s_add_i32 s2, s2, s3
	v_add_u32_e32 v3, s2, v40
	v_readlane_b32 s2, v81, 38
	s_sub_i32 s2, s2, s14
.LBB73_90:                              ;   Parent Loop BB73_11 Depth=1
                                        ; =>  This Inner Loop Header: Depth=2
	ds_read_b32 v5, v3
	s_add_i32 s2, s2, -1
	v_add_u32_e32 v3, 16, v3
	s_cmp_eq_u32 s2, 0
	s_waitcnt lgkmcnt(0)
	v_add_u32_e32 v2, v5, v2
	s_cbranch_scc0 .LBB73_90
.LBB73_91:                              ;   in Loop: Header=BB73_11 Depth=1
	v_lshlrev_b32_e32 v3, 2, v4
	ds_write_b32 v3, v2 offset:3072
.LBB73_92:                              ;   in Loop: Header=BB73_11 Depth=1
	s_or_b64 exec, exec, s[0:1]
	s_lshl_b32 s0, s9, 2
	v_mov_b32_e32 v2, s0
	s_waitcnt lgkmcnt(0)
	s_barrier
	ds_read_b128 v[2:5], v2 offset:3072
	v_cmp_eq_u32_e32 vcc, 1, v46
	s_mov_b64 s[2:3], -1
	s_mov_b64 s[30:31], -1
                                        ; implicit-def: $sgpr28_sgpr29
                                        ; implicit-def: $sgpr14_sgpr15
	s_waitcnt lgkmcnt(0)
	v_readfirstlane_b32 s44, v2
	s_cmp_eq_u32 s44, 1
	v_lshlrev_b32_e64 v2, v41, 3
	s_cselect_b64 s[0:1], -1, 0
	v_readfirstlane_b32 s48, v3
	v_readfirstlane_b32 s56, v4
	;; [unrolled: 1-line block ×3, first 2 shown]
	v_not_b32_e32 v4, v2
	s_and_b64 s[26:27], s[0:1], vcc
	s_and_saveexec_b64 s[0:1], s[26:27]
	s_cbranch_execz .LBB73_118
; %bb.93:                               ;   in Loop: Header=BB73_11 Depth=1
	ds_read_b32 v3, v21 offset:4104
	s_waitcnt lgkmcnt(0)
	s_barrier
	v_readfirstlane_b32 s9, v3
	s_and_saveexec_b64 s[14:15], s[6:7]
; %bb.94:                               ;   in Loop: Header=BB73_11 Depth=1
	ds_write_b8 v0, v21 offset:3072
; %bb.95:                               ;   in Loop: Header=BB73_11 Depth=1
	s_or_b64 exec, exec, s[14:15]
	v_and_b32_e32 v38, v38, v4
	v_or_b32_e32 v44, v44, v2
	s_mov_b64 s[14:15], -1
	s_mov_b64 s[28:29], 0
	s_cmp_eq_u32 s9, 0
	s_mov_b64 s[30:31], 0
	s_mov_b64 s[34:35], -1
	s_waitcnt lgkmcnt(0)
	s_barrier
                                        ; implicit-def: $vgpr45
	s_cbranch_scc1 .LBB73_106
; %bb.96:                               ;   in Loop: Header=BB73_11 Depth=1
	v_readlane_b32 s30, v81, 17
	s_add_i32 s30, s9, s30
	v_readlane_b32 s31, v81, 42
	s_mul_hi_u32 s31, s30, s31
	s_mul_i32 s31, s31, s79
	s_sub_i32 s31, s30, s31
	s_sub_i32 s34, s31, s79
	s_cmp_ge_u32 s31, s79
	s_cselect_b32 s31, s34, s31
	s_sub_i32 s34, s31, s79
	s_cmp_ge_u32 s31, s79
	s_cselect_b32 s31, s34, s31
	s_sub_i32 s45, s30, s31
	v_cmp_gt_u32_e32 vcc, s45, v0
	s_mov_b64 s[34:35], 0
	s_mov_b64 s[30:31], 0
                                        ; implicit-def: $vgpr45
	s_and_saveexec_b64 s[36:37], vcc
	s_cbranch_execz .LBB73_105
; %bb.97:                               ;   in Loop: Header=BB73_11 Depth=1
	v_mov_b32_e32 v3, v0
                                        ; implicit-def: $sgpr38_sgpr39
	s_branch .LBB73_100
.LBB73_98:                              ;   in Loop: Header=BB73_100 Depth=2
	s_or_b64 exec, exec, s[40:41]
	s_waitcnt lgkmcnt(0)
	s_barrier
	ds_read_u16 v5, v21 offset:3072
	s_mov_b64 s[40:41], -1
	s_waitcnt lgkmcnt(0)
	s_barrier
	v_cmp_ne_u32_sdwa s[42:43], v5, v21 src0_sel:BYTE_0 src1_sel:DWORD
	s_and_b64 vcc, exec, s[42:43]
	s_mov_b64 s[42:43], -1
	s_cbranch_vccz .LBB73_103
.LBB73_99:                              ;   in Loop: Header=BB73_100 Depth=2
	s_and_b64 s[40:41], exec, s[40:41]
	s_or_b64 s[30:31], s[40:41], s[30:31]
	s_andn2_b64 s[38:39], s[38:39], exec
	s_and_b64 s[40:41], s[42:43], exec
	s_or_b64 s[38:39], s[38:39], s[40:41]
	s_andn2_b64 exec, exec, s[30:31]
	s_cbranch_execz .LBB73_104
.LBB73_100:                             ;   Parent Loop BB73_11 Depth=1
                                        ; =>  This Inner Loop Header: Depth=2
	v_cmp_gt_u32_e32 vcc, s9, v3
	s_and_saveexec_b64 s[40:41], vcc
	s_cbranch_execz .LBB73_98
; %bb.101:                              ;   in Loop: Header=BB73_100 Depth=2
	ds_read_u8 v5, v3
	s_waitcnt lgkmcnt(0)
	v_bitop3_b32 v6, v5, s88, v44 bitop3:0x80
	v_cmp_eq_u32_e32 vcc, v6, v38
	s_and_b64 exec, exec, vcc
	s_cbranch_execz .LBB73_98
; %bb.102:                              ;   in Loop: Header=BB73_100 Depth=2
	v_lshlrev_b16_e32 v5, 8, v5
	v_or_b32_e32 v5, 1, v5
	ds_write_b16 v21, v5 offset:3072
	s_branch .LBB73_98
.LBB73_103:                             ;   in Loop: Header=BB73_100 Depth=2
	v_add_u32_e32 v3, s79, v3
	v_cmp_le_u32_e32 vcc, s45, v3
	s_mov_b64 s[42:43], 0
	s_orn2_b64 s[40:41], vcc, exec
	s_branch .LBB73_99
.LBB73_104:                             ;   in Loop: Header=BB73_11 Depth=1
	s_or_b64 exec, exec, s[30:31]
	v_lshrrev_b32_sdwa v45, v43, v5 dst_sel:DWORD dst_unused:UNUSED_PAD src0_sel:DWORD src1_sel:WORD_0
	s_and_b64 s[30:31], s[38:39], exec
.LBB73_105:                             ;   in Loop: Header=BB73_11 Depth=1
	s_or_b64 exec, exec, s[36:37]
.LBB73_106:                             ;   in Loop: Header=BB73_11 Depth=1
	s_and_b64 vcc, exec, s[34:35]
	s_cbranch_vccz .LBB73_117
; %bb.107:                              ;   in Loop: Header=BB73_11 Depth=1
                                        ; implicit-def: $vgpr45
	s_mov_b64 s[14:15], exec
	v_readlane_b32 s28, v81, 43
	v_readlane_b32 s29, v81, 44
	s_and_b64 s[28:29], s[14:15], s[28:29]
	s_mov_b64 exec, s[28:29]
	s_cbranch_execz .LBB73_116
; %bb.108:                              ;   in Loop: Header=BB73_11 Depth=1
	s_mov_b64 s[28:29], 0
	v_mov_b32_e32 v3, v18
	v_mov_b32_e32 v5, v0
                                        ; implicit-def: $sgpr34_sgpr35
	s_branch .LBB73_111
.LBB73_109:                             ;   in Loop: Header=BB73_111 Depth=2
	s_or_b64 exec, exec, s[36:37]
	s_waitcnt lgkmcnt(0)
	s_barrier
	ds_read_u16 v6, v21 offset:3072
	s_mov_b64 s[36:37], -1
	s_waitcnt lgkmcnt(0)
	s_barrier
	v_cmp_ne_u32_sdwa s[38:39], v6, v21 src0_sel:BYTE_0 src1_sel:DWORD
	s_and_b64 vcc, exec, s[38:39]
	s_mov_b64 s[38:39], -1
	s_cbranch_vccz .LBB73_114
.LBB73_110:                             ;   in Loop: Header=BB73_111 Depth=2
	s_and_b64 s[36:37], exec, s[36:37]
	s_or_b64 s[28:29], s[36:37], s[28:29]
	s_andn2_b64 s[34:35], s[34:35], exec
	s_and_b64 s[36:37], s[38:39], exec
	s_or_b64 s[34:35], s[34:35], s[36:37]
	s_andn2_b64 exec, exec, s[28:29]
	s_cbranch_execz .LBB73_115
.LBB73_111:                             ;   Parent Loop BB73_11 Depth=1
                                        ; =>  This Inner Loop Header: Depth=2
	v_cmp_gt_u32_e32 vcc, s64, v5
	s_and_saveexec_b64 s[36:37], vcc
	s_cbranch_execz .LBB73_109
; %bb.112:                              ;   in Loop: Header=BB73_111 Depth=2
	global_load_ubyte v6, v3, s[72:73]
	s_waitcnt vmcnt(0)
	v_bitop3_b32 v7, v6, s88, v44 bitop3:0x80
	v_cmp_eq_u32_e32 vcc, v7, v38
	s_and_b64 exec, exec, vcc
	s_cbranch_execz .LBB73_109
; %bb.113:                              ;   in Loop: Header=BB73_111 Depth=2
	v_lshlrev_b16_e32 v6, 8, v6
	v_or_b32_e32 v6, 1, v6
	ds_write_b16 v21, v6 offset:3072
	s_branch .LBB73_109
.LBB73_114:                             ;   in Loop: Header=BB73_111 Depth=2
	v_add_u32_e32 v5, s79, v5
	v_cmp_le_u32_e32 vcc, s86, v5
	v_add_u32_e32 v3, s78, v3
	s_mov_b64 s[38:39], 0
	s_orn2_b64 s[36:37], vcc, exec
	s_branch .LBB73_110
.LBB73_115:                             ;   in Loop: Header=BB73_11 Depth=1
	s_or_b64 exec, exec, s[28:29]
	s_andn2_b64 s[28:29], s[30:31], exec
	s_and_b64 s[30:31], s[34:35], exec
	v_lshrrev_b32_sdwa v45, v43, v6 dst_sel:DWORD dst_unused:UNUSED_PAD src0_sel:DWORD src1_sel:WORD_0
	s_or_b64 s[30:31], s[28:29], s[30:31]
.LBB73_116:                             ;   in Loop: Header=BB73_11 Depth=1
	s_or_b64 exec, exec, s[14:15]
	s_mov_b64 s[14:15], 0
	s_mov_b64 s[28:29], -1
.LBB73_117:                             ;   in Loop: Header=BB73_11 Depth=1
	s_orn2_b64 s[30:31], s[30:31], exec
.LBB73_118:                             ;   in Loop: Header=BB73_11 Depth=1
	s_or_b64 exec, exec, s[0:1]
	s_andn2_b64 s[0:1], s[12:13], exec
	s_and_b64 s[12:13], s[28:29], exec
	s_or_b64 s[12:13], s[0:1], s[12:13]
	s_andn2_b64 s[0:1], s[10:11], exec
	s_and_b64 s[10:11], s[14:15], exec
	v_readfirstlane_b32 s9, v0
	s_andn2_b64 s[74:75], s[74:75], exec
	s_or_b64 s[10:11], s[0:1], s[10:11]
                                        ; implicit-def: $vgpr5
	s_and_saveexec_b64 s[0:1], s[30:31]
	s_cbranch_execz .LBB73_10
; %bb.119:                              ;   in Loop: Header=BB73_11 Depth=1
	s_xor_b64 s[14:15], s[26:27], -1
	s_mov_b64 s[26:27], 0
	v_mov_b32_e32 v5, 1
	v_mov_b32_e32 v3, 1
	s_and_saveexec_b64 s[2:3], s[14:15]
	s_cbranch_execz .LBB73_128
; %bb.120:                              ;   in Loop: Header=BB73_11 Depth=1
	v_cmp_ge_u32_e32 vcc, s44, v46
	s_and_saveexec_b64 s[14:15], vcc
	s_xor_b64 s[14:15], exec, s[14:15]
	s_cbranch_execz .LBB73_125
; %bb.121:                              ;   in Loop: Header=BB73_11 Depth=1
	ds_read_b32 v3, v21 offset:4104
	v_and_b32_e32 v38, v38, v4
	v_or_b32_e32 v44, v44, v2
	s_waitcnt lgkmcnt(0)
	v_cmp_ne_u32_e32 vcc, 0, v3
	s_cbranch_vccnz .LBB73_125
; %bb.122:                              ;   in Loop: Header=BB73_11 Depth=1
	s_mov_b64 s[26:27], exec
	v_readlane_b32 s28, v81, 2
	v_readlane_b32 s29, v81, 3
	s_and_b64 s[28:29], s[26:27], s[28:29]
	s_mov_b64 exec, s[28:29]
; %bb.123:                              ;   in Loop: Header=BB73_11 Depth=1
	v_mov_b32_e32 v3, s44
	ds_write_b32 v21, v3 offset:4108
; %bb.124:                              ;   in Loop: Header=BB73_11 Depth=1
	s_or_b64 exec, exec, s[26:27]
	s_waitcnt lgkmcnt(0)
	s_barrier
.LBB73_125:                             ;   in Loop: Header=BB73_11 Depth=1
	s_or_saveexec_b64 s[14:15], s[14:15]
	s_mov_b64 s[26:27], 0
	v_mov_b32_e32 v3, 8
	s_xor_b64 exec, exec, s[14:15]
; %bb.126:                              ;   in Loop: Header=BB73_11 Depth=1
	s_mov_b64 s[26:27], exec
	v_subrev_u32_e32 v46, s44, v46
	v_mov_b32_e32 v3, 0
; %bb.127:                              ;   in Loop: Header=BB73_11 Depth=1
	s_or_b64 exec, exec, s[14:15]
	s_and_b64 s[26:27], s[26:27], exec
	v_mov_b32_e32 v5, v46
.LBB73_128:                             ;   in Loop: Header=BB73_11 Depth=1
	s_or_b64 exec, exec, s[2:3]
	s_mov_b64 s[2:3], -1
	s_mov_b64 s[14:15], -1
                                        ; implicit-def: $sgpr28_sgpr29
                                        ; implicit-def: $sgpr30_sgpr31
	s_and_saveexec_b64 s[34:35], s[26:27]
	s_xor_b64 s[26:27], exec, s[34:35]
	s_cbranch_execz .LBB73_245
; %bb.129:                              ;   in Loop: Header=BB73_11 Depth=1
	s_cmp_eq_u32 s48, 1
	s_cselect_b64 s[14:15], -1, 0
	v_cmp_eq_u32_e32 vcc, 1, v5
	s_and_b64 s[14:15], s[14:15], vcc
	s_mov_b64 s[36:37], -1
                                        ; implicit-def: $sgpr30_sgpr31
                                        ; implicit-def: $sgpr28_sgpr29
	s_and_saveexec_b64 s[34:35], s[14:15]
	s_cbranch_execz .LBB73_155
; %bb.130:                              ;   in Loop: Header=BB73_11 Depth=1
	ds_read_b32 v6, v21 offset:4104
	s_waitcnt lgkmcnt(0)
	s_barrier
	v_readfirstlane_b32 s9, v6
	s_and_saveexec_b64 s[28:29], s[6:7]
; %bb.131:                              ;   in Loop: Header=BB73_11 Depth=1
	ds_write_b8 v0, v21 offset:3072
; %bb.132:                              ;   in Loop: Header=BB73_11 Depth=1
	s_or_b64 exec, exec, s[28:29]
	v_and_b32_e32 v6, v38, v4
	v_lshl_or_b32 v38, 1, v41, v6
	v_or_b32_e32 v44, v44, v2
	s_mov_b64 s[28:29], -1
	s_mov_b64 s[30:31], 0
	s_cmp_eq_u32 s9, 0
	s_mov_b64 s[36:37], 0
	s_mov_b64 s[38:39], -1
	s_waitcnt lgkmcnt(0)
	s_barrier
                                        ; implicit-def: $vgpr45
	s_cbranch_scc1 .LBB73_143
; %bb.133:                              ;   in Loop: Header=BB73_11 Depth=1
	v_readlane_b32 s36, v81, 17
	s_add_i32 s36, s9, s36
	v_readlane_b32 s37, v81, 42
	s_mul_hi_u32 s37, s36, s37
	s_mul_i32 s37, s37, s79
	s_sub_i32 s37, s36, s37
	s_sub_i32 s38, s37, s79
	s_cmp_ge_u32 s37, s79
	s_cselect_b32 s37, s38, s37
	s_sub_i32 s38, s37, s79
	s_cmp_ge_u32 s37, s79
	s_cselect_b32 s37, s38, s37
	s_sub_i32 s49, s36, s37
	v_cmp_gt_u32_e32 vcc, s49, v0
	s_mov_b64 s[38:39], 0
	s_mov_b64 s[36:37], 0
                                        ; implicit-def: $vgpr45
	s_and_saveexec_b64 s[40:41], vcc
	s_cbranch_execz .LBB73_142
; %bb.134:                              ;   in Loop: Header=BB73_11 Depth=1
	v_mov_b32_e32 v6, v0
                                        ; implicit-def: $sgpr42_sgpr43
	s_branch .LBB73_137
.LBB73_135:                             ;   in Loop: Header=BB73_137 Depth=2
	s_or_b64 exec, exec, s[44:45]
	s_waitcnt lgkmcnt(0)
	s_barrier
	ds_read_u16 v7, v21 offset:3072
	s_mov_b64 s[44:45], -1
	s_waitcnt lgkmcnt(0)
	s_barrier
	v_cmp_ne_u32_sdwa s[46:47], v7, v21 src0_sel:BYTE_0 src1_sel:DWORD
	s_and_b64 vcc, exec, s[46:47]
	s_mov_b64 s[46:47], -1
	s_cbranch_vccz .LBB73_140
.LBB73_136:                             ;   in Loop: Header=BB73_137 Depth=2
	s_and_b64 s[44:45], exec, s[44:45]
	s_or_b64 s[36:37], s[44:45], s[36:37]
	s_andn2_b64 s[42:43], s[42:43], exec
	s_and_b64 s[44:45], s[46:47], exec
	s_or_b64 s[42:43], s[42:43], s[44:45]
	s_andn2_b64 exec, exec, s[36:37]
	s_cbranch_execz .LBB73_141
.LBB73_137:                             ;   Parent Loop BB73_11 Depth=1
                                        ; =>  This Inner Loop Header: Depth=2
	v_cmp_gt_u32_e32 vcc, s9, v6
	s_and_saveexec_b64 s[44:45], vcc
	s_cbranch_execz .LBB73_135
; %bb.138:                              ;   in Loop: Header=BB73_137 Depth=2
	ds_read_u8 v7, v6
	s_waitcnt lgkmcnt(0)
	v_bitop3_b32 v8, v7, s88, v44 bitop3:0x80
	v_cmp_eq_u32_e32 vcc, v8, v38
	s_and_b64 exec, exec, vcc
	s_cbranch_execz .LBB73_135
; %bb.139:                              ;   in Loop: Header=BB73_137 Depth=2
	v_lshlrev_b16_e32 v7, 8, v7
	v_or_b32_e32 v7, 1, v7
	ds_write_b16 v21, v7 offset:3072
	s_branch .LBB73_135
.LBB73_140:                             ;   in Loop: Header=BB73_137 Depth=2
	v_add_u32_e32 v6, s79, v6
	v_cmp_le_u32_e32 vcc, s49, v6
	s_mov_b64 s[46:47], 0
	s_orn2_b64 s[44:45], vcc, exec
	s_branch .LBB73_136
.LBB73_141:                             ;   in Loop: Header=BB73_11 Depth=1
	s_or_b64 exec, exec, s[36:37]
	v_lshrrev_b32_sdwa v45, v43, v7 dst_sel:DWORD dst_unused:UNUSED_PAD src0_sel:DWORD src1_sel:WORD_0
	s_and_b64 s[36:37], s[42:43], exec
.LBB73_142:                             ;   in Loop: Header=BB73_11 Depth=1
	s_or_b64 exec, exec, s[40:41]
.LBB73_143:                             ;   in Loop: Header=BB73_11 Depth=1
	s_and_b64 vcc, exec, s[38:39]
	s_cbranch_vccz .LBB73_154
; %bb.144:                              ;   in Loop: Header=BB73_11 Depth=1
                                        ; implicit-def: $vgpr45
	s_mov_b64 s[28:29], exec
	v_readlane_b32 s30, v81, 43
	v_readlane_b32 s31, v81, 44
	s_and_b64 s[30:31], s[28:29], s[30:31]
	s_mov_b64 exec, s[30:31]
	s_cbranch_execz .LBB73_153
; %bb.145:                              ;   in Loop: Header=BB73_11 Depth=1
	s_mov_b64 s[30:31], 0
	v_mov_b32_e32 v6, v18
	v_mov_b32_e32 v7, v0
                                        ; implicit-def: $sgpr38_sgpr39
	s_branch .LBB73_148
.LBB73_146:                             ;   in Loop: Header=BB73_148 Depth=2
	s_or_b64 exec, exec, s[40:41]
	s_waitcnt lgkmcnt(0)
	s_barrier
	ds_read_u16 v8, v21 offset:3072
	s_mov_b64 s[40:41], -1
	s_waitcnt lgkmcnt(0)
	s_barrier
	v_cmp_eq_u32_sdwa s[42:43], v8, v21 src0_sel:BYTE_0 src1_sel:DWORD
	s_and_b64 vcc, exec, s[42:43]
	s_mov_b64 s[42:43], -1
	s_cbranch_vccnz .LBB73_151
.LBB73_147:                             ;   in Loop: Header=BB73_148 Depth=2
	s_and_b64 s[40:41], exec, s[40:41]
	s_or_b64 s[30:31], s[40:41], s[30:31]
	s_andn2_b64 s[38:39], s[38:39], exec
	s_and_b64 s[40:41], s[42:43], exec
	s_or_b64 s[38:39], s[38:39], s[40:41]
	s_andn2_b64 exec, exec, s[30:31]
	s_cbranch_execz .LBB73_152
.LBB73_148:                             ;   Parent Loop BB73_11 Depth=1
                                        ; =>  This Inner Loop Header: Depth=2
	v_cmp_gt_u32_e32 vcc, s64, v7
	s_and_saveexec_b64 s[40:41], vcc
	s_cbranch_execz .LBB73_146
; %bb.149:                              ;   in Loop: Header=BB73_148 Depth=2
	global_load_ubyte v8, v6, s[72:73]
	s_waitcnt vmcnt(0)
	v_bitop3_b32 v9, v8, s88, v44 bitop3:0x80
	v_cmp_eq_u32_e32 vcc, v9, v38
	s_and_b64 exec, exec, vcc
	s_cbranch_execz .LBB73_146
; %bb.150:                              ;   in Loop: Header=BB73_148 Depth=2
	v_lshlrev_b16_e32 v8, 8, v8
	v_or_b32_e32 v8, 1, v8
	ds_write_b16 v21, v8 offset:3072
	s_branch .LBB73_146
.LBB73_151:                             ;   in Loop: Header=BB73_148 Depth=2
	v_add_u32_e32 v7, s79, v7
	v_cmp_le_u32_e32 vcc, s86, v7
	v_add_u32_e32 v6, s78, v6
	s_mov_b64 s[42:43], 0
	s_orn2_b64 s[40:41], vcc, exec
	s_branch .LBB73_147
.LBB73_152:                             ;   in Loop: Header=BB73_11 Depth=1
	s_or_b64 exec, exec, s[30:31]
	s_andn2_b64 s[30:31], s[36:37], exec
	s_and_b64 s[36:37], s[38:39], exec
	v_lshrrev_b32_sdwa v45, v43, v8 dst_sel:DWORD dst_unused:UNUSED_PAD src0_sel:DWORD src1_sel:WORD_0
	s_or_b64 s[36:37], s[30:31], s[36:37]
.LBB73_153:                             ;   in Loop: Header=BB73_11 Depth=1
	s_or_b64 exec, exec, s[28:29]
	s_mov_b64 s[28:29], 0
	s_mov_b64 s[30:31], -1
.LBB73_154:                             ;   in Loop: Header=BB73_11 Depth=1
	s_orn2_b64 s[36:37], s[36:37], exec
.LBB73_155:                             ;   in Loop: Header=BB73_11 Depth=1
	s_or_b64 exec, exec, s[34:35]
	s_mov_b64 s[38:39], 0
	s_and_saveexec_b64 s[34:35], s[36:37]
	s_cbranch_execz .LBB73_244
; %bb.156:                              ;   in Loop: Header=BB73_11 Depth=1
	s_xor_b64 s[36:37], s[14:15], -1
	s_mov_b64 s[42:43], 0
	v_mov_b32_e32 v6, 1
	v_mov_b32_e32 v3, 1
	s_and_saveexec_b64 s[14:15], s[36:37]
	s_cbranch_execz .LBB73_165
; %bb.157:                              ;   in Loop: Header=BB73_11 Depth=1
	v_cmp_ge_u32_e32 vcc, s48, v5
	s_and_saveexec_b64 s[36:37], vcc
	s_xor_b64 s[36:37], exec, s[36:37]
	s_cbranch_execz .LBB73_162
; %bb.158:                              ;   in Loop: Header=BB73_11 Depth=1
	ds_read_b32 v3, v21 offset:4104
	v_and_b32_e32 v6, v38, v4
	v_lshl_or_b32 v38, 1, v41, v6
	v_or_b32_e32 v44, v44, v2
	s_waitcnt lgkmcnt(0)
	v_cmp_ne_u32_e32 vcc, 0, v3
	s_cbranch_vccnz .LBB73_162
; %bb.159:                              ;   in Loop: Header=BB73_11 Depth=1
	s_mov_b64 s[38:39], exec
	v_readlane_b32 s40, v81, 2
	v_readlane_b32 s41, v81, 3
	s_and_b64 s[40:41], s[38:39], s[40:41]
	s_mov_b64 exec, s[40:41]
; %bb.160:                              ;   in Loop: Header=BB73_11 Depth=1
	v_mov_b32_e32 v3, s48
	ds_write_b32 v21, v3 offset:4108
; %bb.161:                              ;   in Loop: Header=BB73_11 Depth=1
	s_or_b64 exec, exec, s[38:39]
	s_waitcnt lgkmcnt(0)
	s_barrier
.LBB73_162:                             ;   in Loop: Header=BB73_11 Depth=1
	s_or_saveexec_b64 s[36:37], s[36:37]
	s_mov_b64 s[38:39], 0
	v_mov_b32_e32 v3, 8
	s_xor_b64 exec, exec, s[36:37]
; %bb.163:                              ;   in Loop: Header=BB73_11 Depth=1
	s_mov_b64 s[38:39], exec
	v_subrev_u32_e32 v5, s48, v5
	v_mov_b32_e32 v3, 0
; %bb.164:                              ;   in Loop: Header=BB73_11 Depth=1
	s_or_b64 exec, exec, s[36:37]
	s_and_b64 s[42:43], s[38:39], exec
	v_mov_b32_e32 v6, v5
.LBB73_165:                             ;   in Loop: Header=BB73_11 Depth=1
	s_or_b64 exec, exec, s[14:15]
	s_mov_b64 s[14:15], -1
                                        ; implicit-def: $sgpr38_sgpr39
                                        ; implicit-def: $sgpr40_sgpr41
	s_and_saveexec_b64 s[36:37], s[42:43]
	s_cbranch_execz .LBB73_243
; %bb.166:                              ;   in Loop: Header=BB73_11 Depth=1
	s_cmp_eq_u32 s56, 1
	s_cselect_b64 s[14:15], -1, 0
	v_cmp_eq_u32_e32 vcc, 1, v6
	s_and_b64 s[14:15], s[14:15], vcc
	s_mov_b64 s[44:45], -1
                                        ; implicit-def: $sgpr40_sgpr41
                                        ; implicit-def: $sgpr38_sgpr39
	s_and_saveexec_b64 s[42:43], s[14:15]
	s_cbranch_execz .LBB73_192
; %bb.167:                              ;   in Loop: Header=BB73_11 Depth=1
	ds_read_b32 v5, v21 offset:4104
	s_waitcnt lgkmcnt(0)
	s_barrier
	v_readfirstlane_b32 s9, v5
	s_and_saveexec_b64 s[38:39], s[6:7]
; %bb.168:                              ;   in Loop: Header=BB73_11 Depth=1
	ds_write_b8 v0, v21 offset:3072
; %bb.169:                              ;   in Loop: Header=BB73_11 Depth=1
	s_or_b64 exec, exec, s[38:39]
	v_and_b32_e32 v5, v38, v4
	v_lshl_or_b32 v38, 2, v41, v5
	v_or_b32_e32 v44, v44, v2
	s_mov_b64 s[38:39], -1
	s_mov_b64 s[40:41], 0
	s_cmp_eq_u32 s9, 0
	s_mov_b64 s[44:45], 0
	s_mov_b64 s[46:47], -1
	s_waitcnt lgkmcnt(0)
	s_barrier
                                        ; implicit-def: $vgpr45
	s_cbranch_scc1 .LBB73_180
; %bb.170:                              ;   in Loop: Header=BB73_11 Depth=1
	v_readlane_b32 s44, v81, 17
	s_add_i32 s44, s9, s44
	v_readlane_b32 s45, v81, 42
	s_mul_hi_u32 s45, s44, s45
	s_mul_i32 s45, s45, s79
	s_sub_i32 s45, s44, s45
	s_sub_i32 s46, s45, s79
	s_cmp_ge_u32 s45, s79
	s_cselect_b32 s45, s46, s45
	s_sub_i32 s46, s45, s79
	s_cmp_ge_u32 s45, s79
	s_cselect_b32 s45, s46, s45
	s_sub_i32 s57, s44, s45
	v_cmp_gt_u32_e32 vcc, s57, v0
	s_mov_b64 s[46:47], 0
	s_mov_b64 s[44:45], 0
                                        ; implicit-def: $vgpr45
	s_and_saveexec_b64 s[48:49], vcc
	s_cbranch_execz .LBB73_179
; %bb.171:                              ;   in Loop: Header=BB73_11 Depth=1
	v_mov_b32_e32 v5, v0
                                        ; implicit-def: $sgpr50_sgpr51
	s_branch .LBB73_174
.LBB73_172:                             ;   in Loop: Header=BB73_174 Depth=2
	s_or_b64 exec, exec, s[52:53]
	s_waitcnt lgkmcnt(0)
	s_barrier
	ds_read_u16 v7, v21 offset:3072
	s_mov_b64 s[52:53], -1
	s_waitcnt lgkmcnt(0)
	s_barrier
	v_cmp_ne_u32_sdwa s[54:55], v7, v21 src0_sel:BYTE_0 src1_sel:DWORD
	s_and_b64 vcc, exec, s[54:55]
	s_mov_b64 s[54:55], -1
	s_cbranch_vccz .LBB73_177
.LBB73_173:                             ;   in Loop: Header=BB73_174 Depth=2
	s_and_b64 s[52:53], exec, s[52:53]
	s_or_b64 s[44:45], s[52:53], s[44:45]
	s_andn2_b64 s[50:51], s[50:51], exec
	s_and_b64 s[52:53], s[54:55], exec
	s_or_b64 s[50:51], s[50:51], s[52:53]
	s_andn2_b64 exec, exec, s[44:45]
	s_cbranch_execz .LBB73_178
.LBB73_174:                             ;   Parent Loop BB73_11 Depth=1
                                        ; =>  This Inner Loop Header: Depth=2
	v_cmp_gt_u32_e32 vcc, s9, v5
	s_and_saveexec_b64 s[52:53], vcc
	s_cbranch_execz .LBB73_172
; %bb.175:                              ;   in Loop: Header=BB73_174 Depth=2
	ds_read_u8 v7, v5
	s_waitcnt lgkmcnt(0)
	v_bitop3_b32 v8, v7, s88, v44 bitop3:0x80
	v_cmp_eq_u32_e32 vcc, v8, v38
	s_and_b64 exec, exec, vcc
	s_cbranch_execz .LBB73_172
; %bb.176:                              ;   in Loop: Header=BB73_174 Depth=2
	v_lshlrev_b16_e32 v7, 8, v7
	v_or_b32_e32 v7, 1, v7
	ds_write_b16 v21, v7 offset:3072
	s_branch .LBB73_172
.LBB73_177:                             ;   in Loop: Header=BB73_174 Depth=2
	v_add_u32_e32 v5, s79, v5
	v_cmp_le_u32_e32 vcc, s57, v5
	s_mov_b64 s[54:55], 0
	s_orn2_b64 s[52:53], vcc, exec
	s_branch .LBB73_173
.LBB73_178:                             ;   in Loop: Header=BB73_11 Depth=1
	s_or_b64 exec, exec, s[44:45]
	v_lshrrev_b32_sdwa v45, v43, v7 dst_sel:DWORD dst_unused:UNUSED_PAD src0_sel:DWORD src1_sel:WORD_0
	s_and_b64 s[44:45], s[50:51], exec
.LBB73_179:                             ;   in Loop: Header=BB73_11 Depth=1
	s_or_b64 exec, exec, s[48:49]
.LBB73_180:                             ;   in Loop: Header=BB73_11 Depth=1
	s_and_b64 vcc, exec, s[46:47]
	s_cbranch_vccz .LBB73_191
; %bb.181:                              ;   in Loop: Header=BB73_11 Depth=1
                                        ; implicit-def: $vgpr45
	s_mov_b64 s[38:39], exec
	v_readlane_b32 s40, v81, 43
	v_readlane_b32 s41, v81, 44
	s_and_b64 s[40:41], s[38:39], s[40:41]
	s_mov_b64 exec, s[40:41]
	s_cbranch_execz .LBB73_190
; %bb.182:                              ;   in Loop: Header=BB73_11 Depth=1
	s_mov_b64 s[40:41], 0
	v_mov_b32_e32 v5, v18
	v_mov_b32_e32 v7, v0
                                        ; implicit-def: $sgpr46_sgpr47
	s_branch .LBB73_185
.LBB73_183:                             ;   in Loop: Header=BB73_185 Depth=2
	s_or_b64 exec, exec, s[48:49]
	s_waitcnt lgkmcnt(0)
	s_barrier
	ds_read_u16 v8, v21 offset:3072
	s_mov_b64 s[48:49], -1
	s_waitcnt lgkmcnt(0)
	s_barrier
	v_cmp_eq_u32_sdwa s[50:51], v8, v21 src0_sel:BYTE_0 src1_sel:DWORD
	s_and_b64 vcc, exec, s[50:51]
	s_mov_b64 s[50:51], -1
	s_cbranch_vccnz .LBB73_188
.LBB73_184:                             ;   in Loop: Header=BB73_185 Depth=2
	s_and_b64 s[48:49], exec, s[48:49]
	s_or_b64 s[40:41], s[48:49], s[40:41]
	s_andn2_b64 s[46:47], s[46:47], exec
	s_and_b64 s[48:49], s[50:51], exec
	s_or_b64 s[46:47], s[46:47], s[48:49]
	s_andn2_b64 exec, exec, s[40:41]
	s_cbranch_execz .LBB73_189
.LBB73_185:                             ;   Parent Loop BB73_11 Depth=1
                                        ; =>  This Inner Loop Header: Depth=2
	v_cmp_gt_u32_e32 vcc, s64, v7
	s_and_saveexec_b64 s[48:49], vcc
	s_cbranch_execz .LBB73_183
; %bb.186:                              ;   in Loop: Header=BB73_185 Depth=2
	global_load_ubyte v8, v5, s[72:73]
	s_waitcnt vmcnt(0)
	v_bitop3_b32 v9, v8, s88, v44 bitop3:0x80
	v_cmp_eq_u32_e32 vcc, v9, v38
	s_and_b64 exec, exec, vcc
	s_cbranch_execz .LBB73_183
; %bb.187:                              ;   in Loop: Header=BB73_185 Depth=2
	v_lshlrev_b16_e32 v8, 8, v8
	v_or_b32_e32 v8, 1, v8
	ds_write_b16 v21, v8 offset:3072
	s_branch .LBB73_183
.LBB73_188:                             ;   in Loop: Header=BB73_185 Depth=2
	v_add_u32_e32 v7, s79, v7
	v_cmp_le_u32_e32 vcc, s86, v7
	v_add_u32_e32 v5, s78, v5
	s_mov_b64 s[50:51], 0
	s_orn2_b64 s[48:49], vcc, exec
	s_branch .LBB73_184
.LBB73_189:                             ;   in Loop: Header=BB73_11 Depth=1
	s_or_b64 exec, exec, s[40:41]
	s_andn2_b64 s[40:41], s[44:45], exec
	s_and_b64 s[44:45], s[46:47], exec
	v_lshrrev_b32_sdwa v45, v43, v8 dst_sel:DWORD dst_unused:UNUSED_PAD src0_sel:DWORD src1_sel:WORD_0
	s_or_b64 s[44:45], s[40:41], s[44:45]
.LBB73_190:                             ;   in Loop: Header=BB73_11 Depth=1
	s_or_b64 exec, exec, s[38:39]
	s_mov_b64 s[38:39], 0
	s_mov_b64 s[40:41], -1
.LBB73_191:                             ;   in Loop: Header=BB73_11 Depth=1
	s_orn2_b64 s[44:45], s[44:45], exec
.LBB73_192:                             ;   in Loop: Header=BB73_11 Depth=1
	s_or_b64 exec, exec, s[42:43]
	s_mov_b64 s[46:47], 0
	s_and_saveexec_b64 s[42:43], s[44:45]
	s_cbranch_execz .LBB73_242
; %bb.193:                              ;   in Loop: Header=BB73_11 Depth=1
	s_xor_b64 s[44:45], s[14:15], -1
	s_mov_b64 s[50:51], 0
	v_mov_b32_e32 v5, 1
	v_mov_b32_e32 v3, 1
	s_and_saveexec_b64 s[14:15], s[44:45]
	s_cbranch_execz .LBB73_202
; %bb.194:                              ;   in Loop: Header=BB73_11 Depth=1
	v_cmp_ge_u32_e32 vcc, s56, v6
	s_and_saveexec_b64 s[44:45], vcc
	s_xor_b64 s[44:45], exec, s[44:45]
	s_cbranch_execz .LBB73_199
; %bb.195:                              ;   in Loop: Header=BB73_11 Depth=1
	ds_read_b32 v3, v21 offset:4104
	v_and_b32_e32 v4, v38, v4
	v_lshl_or_b32 v38, 2, v41, v4
	v_or_b32_e32 v44, v44, v2
	s_waitcnt lgkmcnt(0)
	v_cmp_ne_u32_e32 vcc, 0, v3
	s_cbranch_vccnz .LBB73_199
; %bb.196:                              ;   in Loop: Header=BB73_11 Depth=1
	s_mov_b64 s[46:47], exec
	v_readlane_b32 s48, v81, 2
	v_readlane_b32 s49, v81, 3
	s_and_b64 s[48:49], s[46:47], s[48:49]
	s_mov_b64 exec, s[48:49]
; %bb.197:                              ;   in Loop: Header=BB73_11 Depth=1
	v_mov_b32_e32 v3, s56
	ds_write_b32 v21, v3 offset:4108
; %bb.198:                              ;   in Loop: Header=BB73_11 Depth=1
	s_or_b64 exec, exec, s[46:47]
	s_waitcnt lgkmcnt(0)
	s_barrier
.LBB73_199:                             ;   in Loop: Header=BB73_11 Depth=1
	s_or_saveexec_b64 s[44:45], s[44:45]
	s_mov_b64 s[46:47], 0
	v_mov_b32_e32 v3, 8
	s_xor_b64 exec, exec, s[44:45]
; %bb.200:                              ;   in Loop: Header=BB73_11 Depth=1
	s_mov_b64 s[46:47], exec
	v_subrev_u32_e32 v6, s56, v6
	v_mov_b32_e32 v3, 0
; %bb.201:                              ;   in Loop: Header=BB73_11 Depth=1
	s_or_b64 exec, exec, s[44:45]
	s_and_b64 s[50:51], s[46:47], exec
	v_mov_b32_e32 v5, v6
.LBB73_202:                             ;   in Loop: Header=BB73_11 Depth=1
	s_or_b64 exec, exec, s[14:15]
	s_mov_b64 s[14:15], -1
                                        ; implicit-def: $sgpr48_sgpr49
                                        ; implicit-def: $sgpr46_sgpr47
	s_and_saveexec_b64 s[44:45], s[50:51]
	s_cbranch_execz .LBB73_241
; %bb.203:                              ;   in Loop: Header=BB73_11 Depth=1
	s_cmp_eq_u32 s21, 1
	s_cselect_b64 s[14:15], -1, 0
	v_cmp_eq_u32_e32 vcc, 1, v5
	s_and_b64 s[14:15], s[14:15], vcc
	s_mov_b64 s[52:53], -1
                                        ; implicit-def: $sgpr48_sgpr49
                                        ; implicit-def: $sgpr46_sgpr47
	s_and_saveexec_b64 s[50:51], s[14:15]
	s_cbranch_execz .LBB73_229
; %bb.204:                              ;   in Loop: Header=BB73_11 Depth=1
	ds_read_b32 v4, v21 offset:4104
	s_waitcnt lgkmcnt(0)
	s_barrier
	v_readfirstlane_b32 s9, v4
	s_and_saveexec_b64 s[46:47], s[6:7]
; %bb.205:                              ;   in Loop: Header=BB73_11 Depth=1
	ds_write_b8 v0, v21 offset:3072
; %bb.206:                              ;   in Loop: Header=BB73_11 Depth=1
	s_or_b64 exec, exec, s[46:47]
	v_or_b32_e32 v38, v38, v2
	v_or_b32_e32 v44, v44, v2
	s_mov_b64 s[46:47], -1
	s_mov_b64 s[48:49], 0
	s_cmp_eq_u32 s9, 0
	s_mov_b64 s[52:53], 0
	s_mov_b64 s[54:55], -1
	s_waitcnt lgkmcnt(0)
	s_barrier
                                        ; implicit-def: $vgpr45
	s_cbranch_scc1 .LBB73_217
; %bb.207:                              ;   in Loop: Header=BB73_11 Depth=1
	v_readlane_b32 s52, v81, 17
	s_add_i32 s52, s9, s52
	v_readlane_b32 s53, v81, 42
	s_mul_hi_u32 s53, s52, s53
	s_mul_i32 s53, s53, s79
	s_sub_i32 s53, s52, s53
	s_sub_i32 s54, s53, s79
	s_cmp_ge_u32 s53, s79
	s_cselect_b32 s53, s54, s53
	s_sub_i32 s54, s53, s79
	s_cmp_ge_u32 s53, s79
	s_cselect_b32 s53, s54, s53
	s_sub_i32 s76, s52, s53
	v_cmp_gt_u32_e32 vcc, s76, v0
	s_mov_b64 s[54:55], 0
	s_mov_b64 s[52:53], 0
                                        ; implicit-def: $vgpr45
	s_and_saveexec_b64 s[56:57], vcc
	s_cbranch_execz .LBB73_216
; %bb.208:                              ;   in Loop: Header=BB73_11 Depth=1
	v_mov_b32_e32 v4, v0
                                        ; implicit-def: $sgpr58_sgpr59
	s_branch .LBB73_211
.LBB73_209:                             ;   in Loop: Header=BB73_211 Depth=2
	s_or_b64 exec, exec, s[60:61]
	s_waitcnt lgkmcnt(0)
	s_barrier
	ds_read_u16 v6, v21 offset:3072
	s_mov_b64 s[60:61], -1
	s_waitcnt lgkmcnt(0)
	s_barrier
	v_cmp_ne_u32_sdwa s[62:63], v6, v21 src0_sel:BYTE_0 src1_sel:DWORD
	s_and_b64 vcc, exec, s[62:63]
	s_mov_b64 s[62:63], -1
	s_cbranch_vccz .LBB73_214
.LBB73_210:                             ;   in Loop: Header=BB73_211 Depth=2
	s_and_b64 s[60:61], exec, s[60:61]
	s_or_b64 s[52:53], s[60:61], s[52:53]
	s_andn2_b64 s[58:59], s[58:59], exec
	s_and_b64 s[60:61], s[62:63], exec
	s_or_b64 s[58:59], s[58:59], s[60:61]
	s_andn2_b64 exec, exec, s[52:53]
	s_cbranch_execz .LBB73_215
.LBB73_211:                             ;   Parent Loop BB73_11 Depth=1
                                        ; =>  This Inner Loop Header: Depth=2
	v_cmp_gt_u32_e32 vcc, s9, v4
	s_and_saveexec_b64 s[60:61], vcc
	s_cbranch_execz .LBB73_209
; %bb.212:                              ;   in Loop: Header=BB73_211 Depth=2
	ds_read_u8 v6, v4
	s_waitcnt lgkmcnt(0)
	v_bitop3_b32 v7, v6, s88, v44 bitop3:0x80
	v_cmp_eq_u32_e32 vcc, v7, v38
	s_and_b64 exec, exec, vcc
	s_cbranch_execz .LBB73_209
; %bb.213:                              ;   in Loop: Header=BB73_211 Depth=2
	v_lshlrev_b16_e32 v6, 8, v6
	v_or_b32_e32 v6, 1, v6
	ds_write_b16 v21, v6 offset:3072
	s_branch .LBB73_209
.LBB73_214:                             ;   in Loop: Header=BB73_211 Depth=2
	v_add_u32_e32 v4, s79, v4
	v_cmp_le_u32_e32 vcc, s76, v4
	s_mov_b64 s[62:63], 0
	s_orn2_b64 s[60:61], vcc, exec
	s_branch .LBB73_210
.LBB73_215:                             ;   in Loop: Header=BB73_11 Depth=1
	s_or_b64 exec, exec, s[52:53]
	v_lshrrev_b32_sdwa v45, v43, v6 dst_sel:DWORD dst_unused:UNUSED_PAD src0_sel:DWORD src1_sel:WORD_0
	s_and_b64 s[52:53], s[58:59], exec
	s_mov_b32 s60, s24
	s_mov_b32 s23, s22
	;; [unrolled: 1-line block ×5, first 2 shown]
.LBB73_216:                             ;   in Loop: Header=BB73_11 Depth=1
	s_or_b64 exec, exec, s[56:57]
.LBB73_217:                             ;   in Loop: Header=BB73_11 Depth=1
	s_and_b64 vcc, exec, s[54:55]
	s_cbranch_vccz .LBB73_228
; %bb.218:                              ;   in Loop: Header=BB73_11 Depth=1
                                        ; implicit-def: $vgpr45
	s_mov_b64 s[46:47], exec
	v_readlane_b32 s48, v81, 43
	v_readlane_b32 s49, v81, 44
	s_and_b64 s[48:49], s[46:47], s[48:49]
	s_mov_b64 exec, s[48:49]
	s_cbranch_execz .LBB73_227
; %bb.219:                              ;   in Loop: Header=BB73_11 Depth=1
	s_mov_b64 s[48:49], 0
	v_mov_b32_e32 v4, v18
	v_mov_b32_e32 v6, v0
                                        ; implicit-def: $sgpr54_sgpr55
	s_branch .LBB73_222
.LBB73_220:                             ;   in Loop: Header=BB73_222 Depth=2
	s_or_b64 exec, exec, s[56:57]
	s_waitcnt lgkmcnt(0)
	s_barrier
	ds_read_u16 v7, v21 offset:3072
	s_mov_b64 s[56:57], -1
	s_waitcnt lgkmcnt(0)
	s_barrier
	v_cmp_eq_u32_sdwa s[58:59], v7, v21 src0_sel:BYTE_0 src1_sel:DWORD
	s_and_b64 vcc, exec, s[58:59]
	s_mov_b64 s[58:59], -1
	s_cbranch_vccnz .LBB73_225
.LBB73_221:                             ;   in Loop: Header=BB73_222 Depth=2
	s_and_b64 s[56:57], exec, s[56:57]
	s_or_b64 s[48:49], s[56:57], s[48:49]
	s_andn2_b64 s[54:55], s[54:55], exec
	s_and_b64 s[56:57], s[58:59], exec
	s_or_b64 s[54:55], s[54:55], s[56:57]
	s_andn2_b64 exec, exec, s[48:49]
	s_cbranch_execz .LBB73_226
.LBB73_222:                             ;   Parent Loop BB73_11 Depth=1
                                        ; =>  This Inner Loop Header: Depth=2
	v_cmp_gt_u32_e32 vcc, s64, v6
	s_and_saveexec_b64 s[56:57], vcc
	s_cbranch_execz .LBB73_220
; %bb.223:                              ;   in Loop: Header=BB73_222 Depth=2
	global_load_ubyte v7, v4, s[72:73]
	s_waitcnt vmcnt(0)
	v_bitop3_b32 v8, v7, s88, v44 bitop3:0x80
	v_cmp_eq_u32_e32 vcc, v8, v38
	s_and_b64 exec, exec, vcc
	s_cbranch_execz .LBB73_220
; %bb.224:                              ;   in Loop: Header=BB73_222 Depth=2
	v_lshlrev_b16_e32 v7, 8, v7
	v_or_b32_e32 v7, 1, v7
	ds_write_b16 v21, v7 offset:3072
	s_branch .LBB73_220
.LBB73_225:                             ;   in Loop: Header=BB73_222 Depth=2
	v_add_u32_e32 v6, s79, v6
	v_cmp_le_u32_e32 vcc, s86, v6
	v_add_u32_e32 v4, s78, v4
	s_mov_b64 s[58:59], 0
	s_orn2_b64 s[56:57], vcc, exec
	s_branch .LBB73_221
.LBB73_226:                             ;   in Loop: Header=BB73_11 Depth=1
	s_or_b64 exec, exec, s[48:49]
	s_andn2_b64 s[48:49], s[52:53], exec
	s_and_b64 s[52:53], s[54:55], exec
	v_lshrrev_b32_sdwa v45, v43, v7 dst_sel:DWORD dst_unused:UNUSED_PAD src0_sel:DWORD src1_sel:WORD_0
	s_or_b64 s[52:53], s[48:49], s[52:53]
.LBB73_227:                             ;   in Loop: Header=BB73_11 Depth=1
	s_or_b64 exec, exec, s[46:47]
	s_mov_b64 s[46:47], 0
	s_mov_b64 s[48:49], -1
.LBB73_228:                             ;   in Loop: Header=BB73_11 Depth=1
	s_orn2_b64 s[52:53], s[52:53], exec
.LBB73_229:                             ;   in Loop: Header=BB73_11 Depth=1
	s_or_b64 exec, exec, s[50:51]
	s_mov_b64 s[54:55], 0
	s_and_saveexec_b64 s[50:51], s[52:53]
	s_cbranch_execz .LBB73_240
; %bb.230:                              ;   in Loop: Header=BB73_11 Depth=1
	s_xor_b64 s[52:53], s[14:15], -1
	v_mov_b32_e32 v3, 1
	v_mov_b32_e32 v4, 1
	s_and_saveexec_b64 s[14:15], s[52:53]
	s_cbranch_execz .LBB73_239
; %bb.231:                              ;   in Loop: Header=BB73_11 Depth=1
	v_cmp_ge_u32_e32 vcc, s21, v5
	s_and_saveexec_b64 s[52:53], vcc
	s_xor_b64 s[52:53], exec, s[52:53]
	s_cbranch_execz .LBB73_236
; %bb.232:                              ;   in Loop: Header=BB73_11 Depth=1
	ds_read_b32 v3, v21 offset:4104
	v_or_b32_e32 v38, v38, v2
	v_or_b32_e32 v44, v44, v2
	s_waitcnt lgkmcnt(0)
	v_cmp_ne_u32_e32 vcc, 0, v3
	s_cbranch_vccnz .LBB73_236
; %bb.233:                              ;   in Loop: Header=BB73_11 Depth=1
	s_mov_b64 s[54:55], exec
	v_readlane_b32 s56, v81, 2
	v_readlane_b32 s57, v81, 3
	s_and_b64 s[56:57], s[54:55], s[56:57]
	s_mov_b64 exec, s[56:57]
; %bb.234:                              ;   in Loop: Header=BB73_11 Depth=1
	v_mov_b32_e32 v2, s21
	ds_write_b32 v21, v2 offset:4108
; %bb.235:                              ;   in Loop: Header=BB73_11 Depth=1
	s_or_b64 exec, exec, s[54:55]
	s_waitcnt lgkmcnt(0)
	s_barrier
.LBB73_236:                             ;   in Loop: Header=BB73_11 Depth=1
	s_andn2_saveexec_b64 s[52:53], s[52:53]
; %bb.237:                              ;   in Loop: Header=BB73_11 Depth=1
	v_subrev_u32_e32 v5, s21, v5
; %bb.238:                              ;   in Loop: Header=BB73_11 Depth=1
	s_or_b64 exec, exec, s[52:53]
	v_mov_b32_e32 v3, 8
	v_mov_b32_e32 v4, v5
.LBB73_239:                             ;   in Loop: Header=BB73_11 Depth=1
	s_or_b64 exec, exec, s[14:15]
	s_mov_b64 s[54:55], exec
	v_mov_b32_e32 v5, v4
.LBB73_240:                             ;   in Loop: Header=BB73_11 Depth=1
	s_or_b64 exec, exec, s[50:51]
	s_orn2_b64 s[14:15], s[54:55], exec
.LBB73_241:                             ;   in Loop: Header=BB73_11 Depth=1
	s_or_b64 exec, exec, s[44:45]
	s_andn2_b64 s[40:41], s[40:41], exec
	s_and_b64 s[44:45], s[48:49], exec
	s_or_b64 s[40:41], s[40:41], s[44:45]
	s_andn2_b64 s[38:39], s[38:39], exec
	s_and_b64 s[44:45], s[46:47], exec
	s_or_b64 s[38:39], s[38:39], s[44:45]
	s_and_b64 s[46:47], s[14:15], exec
	v_mov_b32_e32 v6, v5
.LBB73_242:                             ;   in Loop: Header=BB73_11 Depth=1
	s_or_b64 exec, exec, s[42:43]
	s_orn2_b64 s[14:15], s[46:47], exec
.LBB73_243:                             ;   in Loop: Header=BB73_11 Depth=1
	s_or_b64 exec, exec, s[36:37]
	s_andn2_b64 s[30:31], s[30:31], exec
	s_and_b64 s[36:37], s[40:41], exec
	s_or_b64 s[30:31], s[30:31], s[36:37]
	s_andn2_b64 s[28:29], s[28:29], exec
	s_and_b64 s[36:37], s[38:39], exec
	s_or_b64 s[28:29], s[28:29], s[36:37]
	s_and_b64 s[38:39], s[14:15], exec
	v_mov_b32_e32 v5, v6
.LBB73_244:                             ;   in Loop: Header=BB73_11 Depth=1
	s_or_b64 exec, exec, s[34:35]
	s_orn2_b64 s[14:15], s[38:39], exec
.LBB73_245:                             ;   in Loop: Header=BB73_11 Depth=1
	s_or_b64 exec, exec, s[26:27]
	s_mov_b64 s[26:27], 0
                                        ; implicit-def: $sgpr9
	s_and_saveexec_b64 s[34:35], s[14:15]
	s_xor_b64 s[14:15], exec, s[34:35]
	s_cbranch_execz .LBB73_9
; %bb.246:                              ;   in Loop: Header=BB73_11 Depth=1
	v_and_b32_e32 v2, 7, v3
	v_cmp_eq_u32_e32 vcc, 0, v2
	s_mov_b64 s[2:3], -1
	s_mov_b64 s[26:27], -1
                                        ; implicit-def: $sgpr9
	s_and_saveexec_b64 s[34:35], vcc
	s_cbranch_execz .LBB73_8
; %bb.247:                              ;   in Loop: Header=BB73_11 Depth=1
	v_add_u32_e32 v2, -2, v41
	v_cmp_eq_u32_e32 vcc, 0, v41
	s_xor_b32 s9, s20, 1
	s_xor_b64 s[26:27], exec, -1
	s_orn2_b64 s[2:3], vcc, exec
	v_mov_b32_e32 v41, v2
	s_branch .LBB73_8
.LBB73_248:
	s_or_b64 exec, exec, s[96:97]
	s_xor_b64 s[6:7], s[68:69], -1
	s_xor_b64 s[0:1], s[98:99], -1
	;; [unrolled: 1-line block ×3, first 2 shown]
	s_mov_b64 s[2:3], 0
	s_and_saveexec_b64 s[8:9], s[0:1]
	s_xor_b64 s[0:1], exec, s[8:9]
	s_cbranch_execnz .LBB73_253
; %bb.249:
	s_andn2_saveexec_b64 s[0:1], s[0:1]
	s_cbranch_execnz .LBB73_266
.LBB73_250:
	s_or_b64 exec, exec, s[0:1]
	s_and_saveexec_b64 s[0:1], s[2:3]
.LBB73_251:
	; divergent unreachable
.LBB73_252:
	s_endpgm
.LBB73_253:
	s_and_saveexec_b64 s[2:3], s[6:7]
	s_xor_b64 s[2:3], exec, s[2:3]
	s_cbranch_execz .LBB73_264
; %bb.254:
	s_and_saveexec_b64 s[6:7], s[4:5]
	s_xor_b64 s[4:5], exec, s[6:7]
; %bb.255:
	v_mov_b32_e32 v45, v38
; %bb.256:
	s_or_b64 exec, exec, s[4:5]
	v_readlane_b32 s7, v81, 0
	v_readlane_b32 s8, v81, 12
	s_mul_i32 s4, s8, s7
	v_readlane_b32 s18, v81, 14
	s_sub_i32 s4, s18, s4
	s_add_i32 s5, s8, 1
	s_sub_i32 s6, s4, s7
	s_cmp_ge_u32 s4, s7
	s_cselect_b32 s5, s5, s8
	s_cselect_b32 s4, s6, s4
	s_add_i32 s6, s5, 1
	s_cmp_ge_u32 s4, s7
	s_cselect_b32 s4, s6, s5
	s_mul_i32 s5, s4, s7
	v_readlane_b32 s6, v81, 8
	s_sub_i32 s5, s18, s5
	v_readlane_b32 s7, v81, 9
	s_mul_i32 s5, s5, s7
	s_mul_i32 s4, s4, s6
	s_add_i32 s4, s4, s5
	v_mov_b32_e32 v1, s4
	v_readlane_b32 s4, v81, 10
	v_readlane_b32 s5, v81, 11
	s_nop 4
	global_store_byte v1, v45, s[4:5]
	s_mov_b64 s[4:5], exec
	v_readlane_b32 s6, v81, 15
	v_readlane_b32 s7, v81, 16
	s_and_b64 s[6:7], s[4:5], s[6:7]
	s_mov_b64 exec, s[6:7]
	s_cbranch_execz .LBB73_263
; %bb.257:
	s_mov_b64 s[6:7], 0
                                        ; implicit-def: $sgpr8_sgpr9
                                        ; implicit-def: $sgpr12_sgpr13
                                        ; implicit-def: $sgpr10_sgpr11
	s_branch .LBB73_259
.LBB73_258:                             ;   in Loop: Header=BB73_259 Depth=1
	s_or_b64 exec, exec, s[14:15]
	s_and_b64 s[14:15], exec, s[12:13]
	s_or_b64 s[6:7], s[14:15], s[6:7]
	s_andn2_b64 s[8:9], s[8:9], exec
	s_and_b64 s[14:15], s[10:11], exec
	s_or_b64 s[8:9], s[8:9], s[14:15]
	s_andn2_b64 exec, exec, s[6:7]
	s_cbranch_execz .LBB73_261
.LBB73_259:                             ; =>This Inner Loop Header: Depth=1
	global_load_ubyte v1, v18, s[72:73]
	v_mov_b32_e32 v2, v0
	s_or_b64 s[10:11], s[10:11], exec
	s_or_b64 s[12:13], s[12:13], exec
                                        ; implicit-def: $vgpr0
	s_waitcnt vmcnt(0)
	v_cmp_ne_u16_sdwa s[16:17], v1, v45 src0_sel:DWORD src1_sel:BYTE_0
	s_and_saveexec_b64 s[14:15], s[16:17]
	s_cbranch_execz .LBB73_258
; %bb.260:                              ;   in Loop: Header=BB73_259 Depth=1
	v_add_u32_e32 v0, s79, v2
	v_cmp_le_u32_e32 vcc, s64, v0
	s_andn2_b64 s[12:13], s[12:13], exec
	s_and_b64 s[16:17], vcc, exec
	v_add_u32_e32 v18, s78, v18
	s_andn2_b64 s[10:11], s[10:11], exec
	s_or_b64 s[12:13], s[12:13], s[16:17]
	s_branch .LBB73_258
.LBB73_261:
	s_or_b64 exec, exec, s[6:7]
	s_and_saveexec_b64 s[6:7], s[8:9]
	s_xor_b64 s[6:7], exec, s[6:7]
	s_cbranch_execz .LBB73_263
; %bb.262:
	v_readlane_b32 s9, v81, 1
	v_readlane_b32 s10, v81, 13
	s_mul_i32 s6, s10, s9
	s_sub_i32 s6, s18, s6
	s_add_i32 s7, s10, 1
	s_sub_i32 s8, s6, s9
	s_cmp_ge_u32 s6, s9
	s_cselect_b32 s7, s7, s10
	s_cselect_b32 s6, s8, s6
	s_add_i32 s8, s7, 1
	s_cmp_ge_u32 s6, s9
	s_cselect_b32 s6, s8, s7
	s_mul_i32 s7, s6, s9
	v_readlane_b32 s8, v81, 4
	s_sub_i32 s7, s18, s7
	v_readlane_b32 s9, v81, 5
	s_mul_i32 s7, s7, s9
	s_mul_i32 s6, s6, s8
	s_add_i32 s6, s6, s7
	s_mov_b32 s7, 0
	s_lshl_b64 s[6:7], s[6:7], 3
	v_readlane_b32 s8, v81, 6
	v_readlane_b32 s9, v81, 7
	s_add_u32 s6, s8, s6
	s_addc_u32 s7, s9, s7
	v_mov_b32_e32 v3, 0
	global_store_dwordx2 v3, v[2:3], s[6:7]
.LBB73_263:
	s_or_b64 exec, exec, s[4:5]
.LBB73_264:
	s_or_saveexec_b64 s[2:3], s[2:3]
	s_mov_b64 s[4:5], 0
	s_xor_b64 exec, exec, s[2:3]
	s_cbranch_execnz .LBB73_267
.LBB73_265:
	s_or_b64 exec, exec, s[2:3]
	s_and_b64 s[2:3], s[4:5], exec
	s_andn2_saveexec_b64 s[0:1], s[0:1]
	s_cbranch_execz .LBB73_250
.LBB73_266:
	s_or_b64 s[2:3], s[2:3], exec
	s_trap 2
	s_or_b64 exec, exec, s[0:1]
	s_and_saveexec_b64 s[0:1], s[2:3]
	s_cbranch_execnz .LBB73_251
	s_branch .LBB73_252
.LBB73_267:
	s_mov_b64 s[4:5], exec
	s_trap 2
	s_branch .LBB73_265
	.section	.rodata,"a",@progbits
	.p2align	6, 0x0
	.amdhsa_kernel _ZN2at6native12_GLOBAL__N_112gatherMedianIhjLi2EEEvNS_4cuda6detail10TensorInfoIT_T0_EENS5_IlS7_EENS5_IKS6_S7_EES7_S7_S7_b
		.amdhsa_group_segment_fixed_size 4120
		.amdhsa_private_segment_fixed_size 0
		.amdhsa_kernarg_size 920
		.amdhsa_user_sgpr_count 2
		.amdhsa_user_sgpr_dispatch_ptr 0
		.amdhsa_user_sgpr_queue_ptr 0
		.amdhsa_user_sgpr_kernarg_segment_ptr 1
		.amdhsa_user_sgpr_dispatch_id 0
		.amdhsa_user_sgpr_kernarg_preload_length 0
		.amdhsa_user_sgpr_kernarg_preload_offset 0
		.amdhsa_user_sgpr_private_segment_size 0
		.amdhsa_uses_dynamic_stack 0
		.amdhsa_enable_private_segment 0
		.amdhsa_system_sgpr_workgroup_id_x 1
		.amdhsa_system_sgpr_workgroup_id_y 1
		.amdhsa_system_sgpr_workgroup_id_z 1
		.amdhsa_system_sgpr_workgroup_info 0
		.amdhsa_system_vgpr_workitem_id 0
		.amdhsa_next_free_vgpr 82
		.amdhsa_next_free_sgpr 100
		.amdhsa_accum_offset 84
		.amdhsa_reserve_vcc 1
		.amdhsa_float_round_mode_32 0
		.amdhsa_float_round_mode_16_64 0
		.amdhsa_float_denorm_mode_32 3
		.amdhsa_float_denorm_mode_16_64 3
		.amdhsa_dx10_clamp 1
		.amdhsa_ieee_mode 1
		.amdhsa_fp16_overflow 0
		.amdhsa_tg_split 0
		.amdhsa_exception_fp_ieee_invalid_op 0
		.amdhsa_exception_fp_denorm_src 0
		.amdhsa_exception_fp_ieee_div_zero 0
		.amdhsa_exception_fp_ieee_overflow 0
		.amdhsa_exception_fp_ieee_underflow 0
		.amdhsa_exception_fp_ieee_inexact 0
		.amdhsa_exception_int_div_zero 0
	.end_amdhsa_kernel
	.section	.text._ZN2at6native12_GLOBAL__N_112gatherMedianIhjLi2EEEvNS_4cuda6detail10TensorInfoIT_T0_EENS5_IlS7_EENS5_IKS6_S7_EES7_S7_S7_b,"axG",@progbits,_ZN2at6native12_GLOBAL__N_112gatherMedianIhjLi2EEEvNS_4cuda6detail10TensorInfoIT_T0_EENS5_IlS7_EENS5_IKS6_S7_EES7_S7_S7_b,comdat
.Lfunc_end73:
	.size	_ZN2at6native12_GLOBAL__N_112gatherMedianIhjLi2EEEvNS_4cuda6detail10TensorInfoIT_T0_EENS5_IlS7_EENS5_IKS6_S7_EES7_S7_S7_b, .Lfunc_end73-_ZN2at6native12_GLOBAL__N_112gatherMedianIhjLi2EEEvNS_4cuda6detail10TensorInfoIT_T0_EENS5_IlS7_EENS5_IKS6_S7_EES7_S7_S7_b
                                        ; -- End function
	.set _ZN2at6native12_GLOBAL__N_112gatherMedianIhjLi2EEEvNS_4cuda6detail10TensorInfoIT_T0_EENS5_IlS7_EENS5_IKS6_S7_EES7_S7_S7_b.num_vgpr, 82
	.set _ZN2at6native12_GLOBAL__N_112gatherMedianIhjLi2EEEvNS_4cuda6detail10TensorInfoIT_T0_EENS5_IlS7_EENS5_IKS6_S7_EES7_S7_S7_b.num_agpr, 0
	.set _ZN2at6native12_GLOBAL__N_112gatherMedianIhjLi2EEEvNS_4cuda6detail10TensorInfoIT_T0_EENS5_IlS7_EENS5_IKS6_S7_EES7_S7_S7_b.numbered_sgpr, 100
	.set _ZN2at6native12_GLOBAL__N_112gatherMedianIhjLi2EEEvNS_4cuda6detail10TensorInfoIT_T0_EENS5_IlS7_EENS5_IKS6_S7_EES7_S7_S7_b.num_named_barrier, 0
	.set _ZN2at6native12_GLOBAL__N_112gatherMedianIhjLi2EEEvNS_4cuda6detail10TensorInfoIT_T0_EENS5_IlS7_EENS5_IKS6_S7_EES7_S7_S7_b.private_seg_size, 0
	.set _ZN2at6native12_GLOBAL__N_112gatherMedianIhjLi2EEEvNS_4cuda6detail10TensorInfoIT_T0_EENS5_IlS7_EENS5_IKS6_S7_EES7_S7_S7_b.uses_vcc, 1
	.set _ZN2at6native12_GLOBAL__N_112gatherMedianIhjLi2EEEvNS_4cuda6detail10TensorInfoIT_T0_EENS5_IlS7_EENS5_IKS6_S7_EES7_S7_S7_b.uses_flat_scratch, 0
	.set _ZN2at6native12_GLOBAL__N_112gatherMedianIhjLi2EEEvNS_4cuda6detail10TensorInfoIT_T0_EENS5_IlS7_EENS5_IKS6_S7_EES7_S7_S7_b.has_dyn_sized_stack, 0
	.set _ZN2at6native12_GLOBAL__N_112gatherMedianIhjLi2EEEvNS_4cuda6detail10TensorInfoIT_T0_EENS5_IlS7_EENS5_IKS6_S7_EES7_S7_S7_b.has_recursion, 0
	.set _ZN2at6native12_GLOBAL__N_112gatherMedianIhjLi2EEEvNS_4cuda6detail10TensorInfoIT_T0_EENS5_IlS7_EENS5_IKS6_S7_EES7_S7_S7_b.has_indirect_call, 0
	.section	.AMDGPU.csdata,"",@progbits
; Kernel info:
; codeLenInByte = 11316
; TotalNumSgprs: 106
; NumVgprs: 82
; NumAgprs: 0
; TotalNumVgprs: 82
; ScratchSize: 0
; MemoryBound: 0
; FloatMode: 240
; IeeeMode: 1
; LDSByteSize: 4120 bytes/workgroup (compile time only)
; SGPRBlocks: 13
; VGPRBlocks: 10
; NumSGPRsForWavesPerEU: 106
; NumVGPRsForWavesPerEU: 82
; AccumOffset: 84
; Occupancy: 5
; WaveLimiterHint : 1
; COMPUTE_PGM_RSRC2:SCRATCH_EN: 0
; COMPUTE_PGM_RSRC2:USER_SGPR: 2
; COMPUTE_PGM_RSRC2:TRAP_HANDLER: 0
; COMPUTE_PGM_RSRC2:TGID_X_EN: 1
; COMPUTE_PGM_RSRC2:TGID_Y_EN: 1
; COMPUTE_PGM_RSRC2:TGID_Z_EN: 1
; COMPUTE_PGM_RSRC2:TIDIG_COMP_CNT: 0
; COMPUTE_PGM_RSRC3_GFX90A:ACCUM_OFFSET: 20
; COMPUTE_PGM_RSRC3_GFX90A:TG_SPLIT: 0
	.section	.text._ZN2at6native12_GLOBAL__N_112gatherMedianIhjLi3EEEvNS_4cuda6detail10TensorInfoIT_T0_EENS5_IlS7_EENS5_IKS6_S7_EES7_S7_S7_b,"axG",@progbits,_ZN2at6native12_GLOBAL__N_112gatherMedianIhjLi3EEEvNS_4cuda6detail10TensorInfoIT_T0_EENS5_IlS7_EENS5_IKS6_S7_EES7_S7_S7_b,comdat
	.globl	_ZN2at6native12_GLOBAL__N_112gatherMedianIhjLi3EEEvNS_4cuda6detail10TensorInfoIT_T0_EENS5_IlS7_EENS5_IKS6_S7_EES7_S7_S7_b ; -- Begin function _ZN2at6native12_GLOBAL__N_112gatherMedianIhjLi3EEEvNS_4cuda6detail10TensorInfoIT_T0_EENS5_IlS7_EENS5_IKS6_S7_EES7_S7_S7_b
	.p2align	8
	.type	_ZN2at6native12_GLOBAL__N_112gatherMedianIhjLi3EEEvNS_4cuda6detail10TensorInfoIT_T0_EENS5_IlS7_EENS5_IKS6_S7_EES7_S7_S7_b,@function
_ZN2at6native12_GLOBAL__N_112gatherMedianIhjLi3EEEvNS_4cuda6detail10TensorInfoIT_T0_EENS5_IlS7_EENS5_IKS6_S7_EES7_S7_S7_b: ; @_ZN2at6native12_GLOBAL__N_112gatherMedianIhjLi3EEEvNS_4cuda6detail10TensorInfoIT_T0_EENS5_IlS7_EENS5_IKS6_S7_EES7_S7_S7_b
; %bb.0:
	s_load_dwordx2 s[10:11], s[0:1], 0x298
	s_load_dwordx4 s[64:67], s[0:1], 0x288
	s_add_u32 s8, s0, 0x298
	s_addc_u32 s9, s1, 0
	s_waitcnt lgkmcnt(0)
	s_mul_i32 s4, s11, s4
	s_add_i32 s3, s4, s3
	s_mul_i32 s3, s3, s10
	s_add_i32 s26, s3, s2
	s_cmp_ge_u32 s26, s65
	s_cbranch_scc1 .LBB74_252
; %bb.1:
	s_load_dwordx2 s[16:17], s[0:1], 0xc
	s_load_dwordx2 s[12:13], s[0:1], 0x1bc
	;; [unrolled: 1-line block ×3, first 2 shown]
	s_load_dwordx4 s[4:7], s[0:1], 0x21c
                                        ; implicit-def: $vgpr81 : SGPR spill to VGPR lane
	s_waitcnt lgkmcnt(0)
	v_cvt_f32_u32_e32 v3, s19
	v_cvt_f32_u32_e32 v1, s17
	s_sub_i32 s3, 0, s17
	v_cvt_f32_u32_e32 v2, s16
	v_rcp_iflag_f32_e32 v3, v3
	v_rcp_iflag_f32_e32 v1, v1
	;; [unrolled: 1-line block ×3, first 2 shown]
	v_mul_f32_e32 v1, 0x4f7ffffe, v1
	v_cvt_u32_f32_e32 v1, v1
	v_mul_f32_e32 v2, 0x4f7ffffe, v2
	v_cvt_u32_f32_e32 v2, v2
	v_readfirstlane_b32 s7, v1
	s_mul_i32 s3, s3, s7
	s_mul_hi_u32 s3, s7, s3
	s_add_i32 s7, s7, s3
	s_mul_hi_u32 s3, s26, s7
	s_mul_i32 s7, s3, s17
	s_sub_i32 s7, s26, s7
	s_add_i32 s11, s3, 1
	s_sub_i32 s14, s7, s17
	s_cmp_ge_u32 s7, s17
	v_mul_f32_e32 v1, 0x4f7ffffe, v3
	s_cselect_b32 s3, s11, s3
	v_cvt_u32_f32_e32 v1, v1
	s_cselect_b32 s7, s14, s7
	s_add_i32 s11, s3, 1
	s_cmp_ge_u32 s7, s17
	s_cselect_b32 s3, s11, s3
	v_writelane_b32 v81, s3, 0
	v_readfirstlane_b32 s14, v1
	v_cvt_f32_u32_e32 v1, s18
	v_writelane_b32 v81, s16, 1
	s_sub_i32 s7, 0, s16
	v_readfirstlane_b32 s3, v2
	s_mul_i32 s7, s7, s3
	s_mul_hi_u32 s11, s3, s7
	s_sub_i32 s7, 0, s19
	s_mul_i32 s7, s7, s14
	v_rcp_iflag_f32_e32 v1, v1
	s_mul_hi_u32 s7, s14, s7
	v_cvt_f32_u32_e32 v2, s13
	s_add_i32 s14, s14, s7
	s_mul_hi_u32 s7, s26, s14
	s_mul_i32 s14, s7, s19
	v_mul_f32_e32 v1, 0x4f7ffffe, v1
	s_sub_i32 s14, s26, s14
	v_cvt_u32_f32_e32 v1, v1
	v_rcp_iflag_f32_e32 v2, v2
	v_writelane_b32 v81, s17, 2
	s_add_i32 s15, s7, 1
	s_sub_i32 s16, s14, s19
	s_cmp_ge_u32 s14, s19
	s_cselect_b32 s7, s15, s7
	s_cselect_b32 s14, s16, s14
	s_add_i32 s15, s7, 1
	v_readfirstlane_b32 s16, v1
	v_mul_f32_e32 v1, 0x4f7ffffe, v2
	s_cmp_ge_u32 s14, s19
	v_cvt_u32_f32_e32 v1, v1
	s_cselect_b32 s7, s15, s7
	v_writelane_b32 v81, s7, 3
	v_writelane_b32 v81, s18, 4
	s_sub_i32 s7, 0, s18
	s_mul_i32 s7, s7, s16
	v_readfirstlane_b32 s14, v1
	v_cvt_f32_u32_e32 v1, s12
	s_mul_hi_u32 s17, s16, s7
	s_sub_i32 s7, 0, s13
	s_mul_i32 s7, s7, s14
	s_mul_hi_u32 s7, s14, s7
	s_add_i32 s14, s14, s7
	v_rcp_iflag_f32_e32 v1, v1
	s_mul_hi_u32 s7, s26, s14
	s_mul_i32 s14, s7, s13
	s_sub_i32 s14, s26, s14
	v_writelane_b32 v81, s19, 5
	s_add_i32 s15, s7, 1
	s_sub_i32 s18, s14, s13
	v_mul_f32_e32 v1, 0x4f7ffffe, v1
	s_cmp_ge_u32 s14, s13
	v_cvt_u32_f32_e32 v1, v1
	s_cselect_b32 s7, s15, s7
	s_cselect_b32 s14, s18, s14
	s_add_i32 s15, s7, 1
	s_cmp_ge_u32 s14, s13
	s_cselect_b32 s7, s15, s7
	s_sub_i32 s14, 0, s12
	v_readfirstlane_b32 s20, v1
	s_mul_i32 s14, s14, s20
	s_mul_hi_u32 s14, s20, s14
	s_add_i32 s20, s20, s14
	v_cmp_eq_u32_e64 s[18:19], 0, v0
	s_mov_b64 s[14:15], exec
	s_nop 0
	v_writelane_b32 v81, s18, 6
	s_nop 1
	v_writelane_b32 v81, s19, 7
	s_and_b64 s[18:19], s[14:15], s[18:19]
	s_mov_b64 exec, s[18:19]
; %bb.2:
	v_mov_b32_e32 v2, 0
	v_mov_b32_e32 v3, v2
	ds_write_b64 v2, v[2:3] offset:4096
; %bb.3:
	s_or_b64 exec, exec, s[14:15]
	s_load_dwordx4 s[28:31], s[0:1], 0x144
	v_mov_b32_e32 v1, 0
	s_waitcnt lgkmcnt(0)
	s_barrier
	v_writelane_b32 v81, s28, 8
	s_barrier
	s_nop 0
	v_writelane_b32 v81, s29, 9
	v_writelane_b32 v81, s30, 10
	ds_read_b64 v[2:3], v1 offset:4096
	v_writelane_b32 v81, s31, 11
	s_load_dwordx4 s[28:31], s[0:1], 0x6c
	s_load_dwordx2 s[14:15], s[0:1], 0x1b0
	s_add_i32 s18, s3, s11
	s_add_i32 s19, s16, s17
	s_bitcmp1_b32 s67, 0
	s_waitcnt lgkmcnt(0)
	v_readfirstlane_b32 s16, v2
	v_readfirstlane_b32 s17, v3
	v_writelane_b32 v81, s28, 12
	s_mul_hi_u32 s11, s7, s20
	s_cselect_b64 s[20:21], -1, 0
	v_cmp_lt_i64_e64 s[24:25], s[16:17], 1
	v_writelane_b32 v81, s29, 13
	s_or_b64 s[20:21], s[20:21], s[24:25]
	v_writelane_b32 v81, s30, 14
	s_andn2_b64 vcc, exec, s[20:21]
	s_mov_b32 s3, s64
	v_writelane_b32 v81, s31, 15
	s_cbranch_vccnz .LBB74_5
; %bb.4:
	s_not_b64 s[16:17], s[16:17]
	s_add_u32 s3, s16, s64
	s_addc_u32 s17, s17, 0
	s_lshr_b32 s16, s17, 31
	s_add_u32 s16, s3, s16
	s_addc_u32 s17, s17, 0
	s_lshr_b64 s[16:17], s[16:17], 1
	s_add_i32 s3, s16, 1
.LBB74_5:
	s_load_dwordx2 s[16:17], s[0:1], 0xd8
                                        ; kill: killed $sgpr0 killed $sgpr1
	s_waitcnt lgkmcnt(0)
	v_writelane_b32 v81, s16, 16
	s_nop 1
	v_writelane_b32 v81, s17, 17
	s_load_dwordx2 s[16:17], s[0:1], 0x0
	s_waitcnt lgkmcnt(0)
	v_writelane_b32 v81, s16, 18
	s_nop 1
	v_writelane_b32 v81, s17, 19
	s_nop 0
	v_readlane_b32 s0, v81, 0
	s_mul_hi_u32 s0, s0, s18
	s_nop 0
	v_writelane_b32 v81, s0, 20
	s_nop 0
	v_readlane_b32 s0, v81, 3
	s_mul_hi_u32 s0, s0, s19
	s_nop 0
	v_writelane_b32 v81, s0, 21
	s_mov_b64 s[0:1], exec
	v_readlane_b32 s16, v81, 6
	v_readlane_b32 s17, v81, 7
	s_and_b64 s[16:17], s[0:1], s[16:17]
	s_mov_b64 exec, s[16:17]
	s_cbranch_execz .LBB74_7
; %bb.6:
	v_mov_b32_e32 v2, 0
	v_mov_b32_e32 v3, s64
	ds_write_b32 v2, v2 offset:4112
	ds_write_b64 v2, v[2:3] offset:4104
.LBB74_7:
	s_or_b64 exec, exec, s[0:1]
	s_mul_i32 s0, s7, s13
	s_mul_i32 s1, s11, s12
	s_sub_i32 s0, s26, s0
	s_sub_i32 s1, s7, s1
	s_mul_i32 s0, s0, s6
	s_add_i32 s6, s11, 1
	s_sub_i32 s13, s1, s12
	s_cmp_ge_u32 s1, s12
	s_cselect_b32 s6, s6, s11
	s_cselect_b32 s1, s13, s1
	s_add_i32 s11, s6, 1
	s_cmp_ge_u32 s1, s12
	s_cselect_b32 s1, s11, s6
	s_mul_i32 s6, s1, s12
	s_sub_i32 s6, s7, s6
	s_mul_i32 s5, s6, s5
	s_waitcnt lgkmcnt(0)
	s_barrier
	s_load_dword s11, s[8:9], 0xc
	s_add_i32 s0, s5, s0
	s_mul_i32 s1, s1, s4
	s_add_i32 s0, s0, s1
	v_writelane_b32 v81, s26, 22
	s_add_u32 s82, s14, s0
	v_cmp_gt_u32_e64 s[0:1], s64, v0
	v_mbcnt_lo_u32_b32 v1, -1, 0
	v_mbcnt_hi_u32_b32 v28, -1, v1
	v_writelane_b32 v81, s0, 23
	s_addc_u32 s83, s15, 0
	s_waitcnt lgkmcnt(0)
	s_and_b32 s67, s11, 0xffff
	v_writelane_b32 v81, s1, 24
	v_cmp_gt_u32_e32 vcc, 64, v0
	v_cmp_gt_i32_e64 s[0:1], 4, v28
	s_and_b64 s[88:89], vcc, s[0:1]
	s_add_i32 s0, s67, -1
	s_lshl_b32 s65, s67, 2
	v_writelane_b32 v81, s0, 25
	s_add_i32 s0, s0, s64
	s_cmpk_gt_u32 s64, 0xc00
	s_cselect_b64 s[12:13], -1, 0
	s_cmp_gt_u32 s67, 63
	v_lshlrev_b64 v[2:3], v28, -1
	s_cselect_b64 s[92:93], -1, 0
	v_not_b32_e32 v24, v2
	v_lshrrev_b32_e32 v2, 2, v0
	s_cmp_lt_u32 s2, s10
	v_and_b32_e32 v2, 0xf0, v2
	s_cselect_b32 s1, 12, 18
	v_writelane_b32 v81, s12, 26
	v_or_b32_e32 v29, 0xc00, v2
	s_add_u32 s8, s8, s1
	v_add_u32_e32 v2, 2, v0
	v_writelane_b32 v81, s13, 27
	s_addc_u32 s9, s9, 0
	v_max_u32_e32 v2, s64, v2
	v_writelane_b32 v81, s8, 28
	v_xad_u32 v2, v0, -1, v2
	v_not_b32_e32 v1, v3
	v_writelane_b32 v81, s9, 29
	s_bfe_u32 s8, s11, 0xa0006
	v_cmp_lt_u32_e64 s[10:11], 31, v2
	v_add_u32_e32 v3, -8, v2
	v_lshrrev_b32_e32 v5, 3, v3
	v_writelane_b32 v81, s10, 30
	s_add_i32 s1, s8, -2
	s_lshr_b32 s2, s1, 1
	v_writelane_b32 v81, s11, 31
	v_cmp_lt_u32_e64 s[10:11], 7, v3
	v_and_b32_e32 v3, 8, v3
	v_and_b32_e32 v30, -8, v2
	v_writelane_b32 v81, s10, 32
	s_add_i32 s2, s2, 1
	s_cmpk_gt_u32 s67, 0x7f
	v_writelane_b32 v81, s11, 33
	v_cmp_eq_u32_e64 s[10:11], 0, v3
	v_lshlrev_b32_e32 v25, 2, v0
	v_mov_b32_e32 v21, 0
	v_writelane_b32 v81, s10, 34
	v_mul_lo_u32 v18, s66, v0
	v_mov_b32_e32 v19, v21
	v_writelane_b32 v81, s11, 35
	v_cmp_ne_u32_e64 s[10:11], v2, v30
	v_cvt_f32_u32_e32 v2, s65
	v_lshlrev_b32_e32 v4, 2, v28
	v_writelane_b32 v81, s10, 36
	v_add_u32_e32 v5, 1, v5
	v_rcp_iflag_f32_e32 v2, v2
	v_writelane_b32 v81, s11, 37
	s_cselect_b64 s[10:11], -1, 0
	v_writelane_b32 v81, s10, 38
	s_and_b32 s9, s8, 0x3fe
	v_mul_f32_e32 v2, 0x4f7ffffe, v2
	v_writelane_b32 v81, s11, 39
	s_and_b32 s10, s2, 7
	s_cmp_gt_u32 s1, 13
	s_cselect_b64 s[12:13], -1, 0
	v_writelane_b32 v81, s12, 40
	s_and_b32 s1, s2, -8
	s_cmp_lg_u32 s10, 0
	v_writelane_b32 v81, s13, 41
	v_writelane_b32 v81, s1, 42
	v_cvt_u32_f32_e32 v2, v2
	v_writelane_b32 v81, s10, 43
	s_cselect_b64 s[10:11], -1, 0
	v_writelane_b32 v81, s10, 44
	s_cmp_lg_u32 s9, s8
	v_readfirstlane_b32 s2, v2
	v_writelane_b32 v81, s11, 45
	v_writelane_b32 v81, s8, 46
	v_cvt_f32_u32_e32 v2, s67
	v_writelane_b32 v81, s9, 47
	s_cselect_b64 s[8:9], -1, 0
	s_sub_i32 s1, 0, s65
	s_mul_i32 s1, s1, s2
	s_mul_hi_u32 s1, s2, s1
	s_add_i32 s94, s2, s1
	v_rcp_iflag_f32_e32 v2, v2
	s_mul_hi_u32 s1, s64, s94
	s_mul_i32 s1, s1, s65
	s_sub_i32 s1, s64, s1
	s_sub_i32 s2, s1, s65
	v_mul_f32_e32 v2, 0x4f7ffffe, v2
	s_cmp_ge_u32 s1, s65
	v_cvt_u32_f32_e32 v2, v2
	s_cselect_b32 s1, s2, s1
	s_sub_i32 s2, s1, s65
	v_writelane_b32 v81, s8, 48
	s_cmp_ge_u32 s1, s65
	s_cselect_b32 s1, s2, s1
	v_writelane_b32 v81, s9, 49
	s_sub_i32 s2, 0, s67
	v_readfirstlane_b32 s8, v2
	s_mul_i32 s2, s2, s8
	s_mul_hi_u32 s2, s8, s2
	s_add_i32 s2, s8, s2
	v_writelane_b32 v81, s2, 50
	s_mul_hi_u32 s2, s0, s2
	s_mul_i32 s2, s2, s67
	s_sub_i32 s2, s0, s2
	s_sub_i32 s95, s64, s1
	;; [unrolled: 1-line block ×3, first 2 shown]
	s_cmp_ge_u32 s2, s67
	s_cselect_b32 s2, s8, s2
	s_sub_i32 s8, s2, s67
	s_cmp_ge_u32 s2, s67
	v_mul_lo_u32 v2, s66, v25
	s_cselect_b32 s2, s8, s2
	v_add_u32_e32 v34, s66, v2
	v_or_b32_e32 v2, 2, v25
	s_sub_i32 s97, s0, s2
	v_mul_lo_u32 v35, s66, v2
	v_or_b32_e32 v2, 3, v25
	s_add_i32 s0, s67, s64
	v_add_u32_e32 v33, s95, v0
	v_mul_lo_u32 v36, s66, v2
	v_add_u32_e32 v2, s0, v0
	v_mul_lo_u32 v20, v33, s66
	v_cmp_gt_u32_e64 s[8:9], s97, v0
	s_mul_i32 s99, s66, s67
	v_subrev_u32_e32 v2, s1, v2
	s_mov_b32 s20, 0
	v_cmp_eq_u32_e64 s[4:5], 0, v28
	v_cmp_gt_u32_e64 s[6:7], 2, v0
	v_lshl_add_u64 v[22:23], s[82:83], 0, v[18:19]
	v_and_b32_e32 v19, 0x100, v4
	v_add_u32_e32 v31, v0, v30
	s_mov_b32 s81, s66
	s_mov_b32 s91, s66
	;; [unrolled: 1-line block ×8, first 2 shown]
	v_and_b32_e32 v32, 0x3ffffffe, v5
	v_cmp_gt_u32_e64 s[16:17], s95, v25
	v_cmp_gt_u32_e64 s[18:19], s64, v33
	v_lshl_add_u64 v[26:27], s[82:83], 0, v[20:21]
	v_writelane_b32 v81, s8, 51
	s_lshl_b32 s78, s99, 2
	v_lshlrev_b32_e32 v37, 2, v18
	v_mul_lo_u32 v39, s66, v2
	v_or_b32_e32 v40, 0xc00, v4
	s_mov_b64 s[70:71], 0
	v_mov_b32_e32 v41, 6
	v_mov_b32_e32 v46, s3
	s_movk_i32 s79, 0xff
	s_mov_b32 s33, 0xc0c0004
	v_mov_b32_e32 v50, s64
	v_mov_b32_e32 v42, 0xc00
	v_mov_b32_e32 v43, 8
	v_mov_b32_e32 v45, 0
	v_mov_b32_e32 v38, 0
	v_mov_b32_e32 v44, 0
	s_mov_b32 s24, s66
	s_mov_b32 s25, s66
	;; [unrolled: 1-line block ×9, first 2 shown]
	v_writelane_b32 v81, s9, 52
                                        ; implicit-def: $sgpr84_sgpr85
                                        ; implicit-def: $sgpr10_sgpr11
                                        ; implicit-def: $sgpr12_sgpr13
                                        ; implicit-def: $sgpr72_sgpr73
                                        ; implicit-def: $sgpr74_sgpr75
                                        ; implicit-def: $sgpr14_sgpr15
	s_branch .LBB74_11
.LBB74_8:                               ;   in Loop: Header=BB74_11 Depth=1
	s_or_b64 exec, exec, s[34:35]
	s_and_b64 s[26:27], s[26:27], exec
	s_andn2_b64 s[30:31], s[30:31], exec
	s_andn2_b64 s[28:29], s[28:29], exec
	s_orn2_b64 s[2:3], s[2:3], exec
.LBB74_9:                               ;   in Loop: Header=BB74_11 Depth=1
	s_or_b64 exec, exec, s[8:9]
	s_andn2_b64 s[8:9], s[14:15], exec
	s_and_b64 s[14:15], s[26:27], exec
	s_or_b64 s[14:15], s[8:9], s[14:15]
	s_andn2_b64 s[8:9], s[74:75], exec
	s_and_b64 s[20:21], s[30:31], exec
	s_or_b64 s[74:75], s[8:9], s[20:21]
	;; [unrolled: 3-line block ×3, first 2 shown]
	s_orn2_b64 s[2:3], s[2:3], exec
.LBB74_10:                              ;   in Loop: Header=BB74_11 Depth=1
	s_or_b64 exec, exec, s[0:1]
	s_and_b64 s[0:1], exec, s[2:3]
	s_or_b64 s[70:71], s[0:1], s[70:71]
	s_andn2_b64 s[0:1], s[12:13], exec
	s_and_b64 s[2:3], s[14:15], exec
	s_or_b64 s[12:13], s[0:1], s[2:3]
	s_andn2_b64 s[0:1], s[10:11], exec
	s_and_b64 s[2:3], s[74:75], exec
	s_or_b64 s[10:11], s[0:1], s[2:3]
	s_andn2_b64 s[0:1], s[84:85], exec
	s_and_b64 s[2:3], s[72:73], exec
	s_or_b64 s[84:85], s[0:1], s[2:3]
	s_mov_b32 s20, s36
	v_mov_b32_e32 v46, v5
	s_andn2_b64 exec, exec, s[70:71]
	s_cbranch_execz .LBB74_248
.LBB74_11:                              ; =>This Loop Header: Depth=1
                                        ;     Child Loop BB74_16 Depth 2
                                        ;     Child Loop BB74_37 Depth 2
	;; [unrolled: 1-line block ×18, first 2 shown]
	ds_read_b64 v[2:3], v21 offset:4104
	s_waitcnt lgkmcnt(0)
	v_readfirstlane_b32 s21, v2
	s_cmp_lg_u32 s21, 0
	s_cbranch_scc1 .LBB74_54
; %bb.12:                               ;   in Loop: Header=BB74_11 Depth=1
	v_readlane_b32 s0, v81, 26
	v_readlane_b32 s1, v81, 27
	s_and_b64 vcc, exec, s[0:1]
	s_cbranch_vccz .LBB74_24
; %bb.13:                               ;   in Loop: Header=BB74_11 Depth=1
	s_movk_i32 s0, 0xc01
	v_cmp_gt_u32_e32 vcc, s0, v3
	s_mov_b64 s[8:9], 0
	s_mov_b64 s[0:1], 0
	s_cbranch_vccz .LBB74_25
; %bb.14:                               ;   in Loop: Header=BB74_11 Depth=1
	v_readlane_b32 s0, v81, 28
	v_readlane_b32 s1, v81, 29
	s_nop 4
	global_load_ushort v2, v21, s[0:1]
	global_load_ubyte v4, v[22:23], off
	s_mov_b64 s[26:27], 0
	v_mov_b32_e32 v6, v0
	s_waitcnt vmcnt(1)
	v_add_u32_e32 v5, v0, v2
	v_mul_lo_u32 v3, s66, v2
	v_mul_lo_u32 v5, s66, v5
	s_branch .LBB74_16
.LBB74_15:                              ;   in Loop: Header=BB74_16 Depth=2
	s_or_b64 exec, exec, s[2:3]
	v_add_u32_e32 v5, v5, v3
	v_mov_b32_e32 v4, v7
	s_andn2_b64 exec, exec, s[26:27]
	s_cbranch_execz .LBB74_31
.LBB74_16:                              ;   Parent Loop BB74_11 Depth=1
                                        ; =>  This Inner Loop Header: Depth=2
	v_add_u32_e32 v6, v6, v2
	v_cmp_gt_u32_e64 s[0:1], s64, v6
	v_cmp_le_u32_e32 vcc, s64, v6
	s_waitcnt lgkmcnt(0)
	v_mov_b32_e32 v8, 0
	v_mov_b32_e32 v7, 0
	s_and_saveexec_b64 s[2:3], s[0:1]
	s_cbranch_execz .LBB74_18
; %bb.17:                               ;   in Loop: Header=BB74_16 Depth=2
	global_load_ubyte v7, v5, s[82:83]
.LBB74_18:                              ;   in Loop: Header=BB74_16 Depth=2
	s_or_b64 exec, exec, s[2:3]
	s_waitcnt vmcnt(0)
	v_bitop3_b32 v9, v4, s79, v44 bitop3:0x80
	v_cmp_eq_u32_e64 s[0:1], v9, v38
	s_cmp_lg_u64 s[0:1], 0
	s_cselect_b64 s[2:3], -1, 0
	s_and_b64 s[2:3], s[4:5], s[2:3]
	s_and_saveexec_b64 s[28:29], s[2:3]
	s_cbranch_execz .LBB74_22
; %bb.19:                               ;   in Loop: Header=BB74_16 Depth=2
	s_mov_b64 s[34:35], exec
	v_mbcnt_lo_u32_b32 v8, s34, 0
	v_mbcnt_hi_u32_b32 v8, s35, v8
	s_bcnt1_i32_b64 s21, s[0:1]
	v_cmp_eq_u32_e64 s[2:3], 0, v8
                                        ; implicit-def: $vgpr9
	s_and_saveexec_b64 s[30:31], s[2:3]
; %bb.20:                               ;   in Loop: Header=BB74_16 Depth=2
	s_bcnt1_i32_b64 s2, s[34:35]
	s_mul_i32 s2, s21, s2
	v_mov_b32_e32 v9, s2
	ds_add_rtn_u32 v9, v21, v9 offset:4112
; %bb.21:                               ;   in Loop: Header=BB74_16 Depth=2
	s_or_b64 exec, exec, s[30:31]
	s_waitcnt lgkmcnt(0)
	v_readfirstlane_b32 s2, v9
	s_nop 1
	v_mov_b32_e32 v9, s2
	v_mad_u32_u24 v8, s21, v8, v9
.LBB74_22:                              ;   in Loop: Header=BB74_16 Depth=2
	s_or_b64 exec, exec, s[28:29]
	ds_bpermute_b32 v8, v19, v8
	s_and_b64 s[2:3], exec, vcc
	s_or_b64 s[26:27], s[2:3], s[26:27]
	s_and_saveexec_b64 s[2:3], s[0:1]
	s_cbranch_execz .LBB74_15
; %bb.23:                               ;   in Loop: Header=BB74_16 Depth=2
	v_and_b32_e32 v10, s0, v24
	v_and_b32_e32 v9, s1, v1
	v_bcnt_u32_b32 v10, v10, 0
	v_bcnt_u32_b32 v9, v9, v10
	s_waitcnt lgkmcnt(0)
	v_add_u32_e32 v8, v8, v9
	ds_write_b8 v8, v4
	s_branch .LBB74_15
.LBB74_24:                              ;   in Loop: Header=BB74_11 Depth=1
	s_mov_b64 s[8:9], -1
	s_mov_b64 s[0:1], 0
.LBB74_25:                              ;   in Loop: Header=BB74_11 Depth=1
	s_and_b64 vcc, exec, s[8:9]
	s_cbranch_vccz .LBB74_52
.LBB74_26:                              ;   in Loop: Header=BB74_11 Depth=1
	s_mov_b64 s[2:3], exec
	v_readlane_b32 s0, v81, 23
	v_readlane_b32 s1, v81, 24
	s_and_b64 s[0:1], s[2:3], s[0:1]
	s_mov_b64 exec, s[0:1]
	s_cbranch_execz .LBB74_49
; %bb.27:                               ;   in Loop: Header=BB74_11 Depth=1
	v_readlane_b32 s0, v81, 28
	v_readlane_b32 s1, v81, 29
	s_nop 4
	global_load_ushort v2, v21, s[0:1]
	global_load_ubyte v20, v[22:23], off
	v_mov_b32_e32 v3, v0
	s_waitcnt vmcnt(1)
	v_readfirstlane_b32 s21, v2
	v_add_u32_e32 v2, v0, v2
	v_cmp_gt_u32_e32 vcc, s64, v2
	s_and_saveexec_b64 s[26:27], vcc
	s_cbranch_execz .LBB74_48
; %bb.28:                               ;   in Loop: Header=BB74_11 Depth=1
	v_readlane_b32 s28, v81, 30
	s_mov_b64 s[0:1], 0
	s_mul_i32 s34, s66, s21
	v_readlane_b32 s29, v81, 31
                                        ; implicit-def: $vgpr3
                                        ; implicit-def: $vgpr4
                                        ; implicit-def: $vgpr5
	s_and_saveexec_b64 s[8:9], s[28:29]
	s_xor_b64 s[28:29], exec, s[8:9]
	s_cbranch_execnz .LBB74_34
; %bb.29:                               ;   in Loop: Header=BB74_11 Depth=1
	s_andn2_saveexec_b64 s[8:9], s[28:29]
	s_cbranch_execnz .LBB74_43
.LBB74_30:                              ;   in Loop: Header=BB74_11 Depth=1
	s_or_b64 exec, exec, s[8:9]
	s_and_saveexec_b64 s[8:9], s[0:1]
	s_cbranch_execnz .LBB74_44
	s_branch .LBB74_47
.LBB74_31:                              ;   in Loop: Header=BB74_11 Depth=1
	s_or_b64 exec, exec, s[26:27]
	s_waitcnt lgkmcnt(0)
	s_barrier
	s_mov_b64 s[0:1], exec
	v_readlane_b32 s2, v81, 6
	v_readlane_b32 s3, v81, 7
	s_and_b64 s[2:3], s[0:1], s[2:3]
	s_mov_b64 exec, s[2:3]
	s_cbranch_execz .LBB74_33
; %bb.32:                               ;   in Loop: Header=BB74_11 Depth=1
	ds_read_b32 v2, v21 offset:4112
	s_waitcnt lgkmcnt(0)
	ds_write_b32 v21, v2 offset:4104
.LBB74_33:                              ;   in Loop: Header=BB74_11 Depth=1
	s_or_b64 exec, exec, s[0:1]
	s_waitcnt lgkmcnt(0)
	s_barrier
	s_mov_b64 s[0:1], -1
	s_and_b64 vcc, exec, s[8:9]
	s_cbranch_vccnz .LBB74_26
	s_branch .LBB74_52
.LBB74_34:                              ;   in Loop: Header=BB74_11 Depth=1
	v_cvt_f32_u32_e32 v3, s21
	v_add_u32_e32 v4, s21, v2
	v_max_u32_e32 v4, s64, v4
	s_lshl_b32 s0, s21, 1
	v_rcp_iflag_f32_e32 v3, v3
	v_sub_u32_e32 v4, v4, v0
	v_cmp_ne_u32_e32 vcc, s0, v4
	s_sub_i32 s1, 0, s21
	v_mul_f32_e32 v3, 0x4f7ffffe, v3
	v_cvt_u32_f32_e32 v3, v3
	v_cndmask_b32_e64 v5, 0, 1, vcc
	v_or_b32_e32 v5, s0, v5
	v_sub_u32_e32 v4, v4, v5
	v_mul_lo_u32 v5, s1, v3
	v_mul_hi_u32 v5, v3, v5
	v_add_u32_e32 v3, v3, v5
	v_mul_hi_u32 v3, v4, v3
	v_mul_lo_u32 v5, v3, s21
	v_sub_u32_e32 v4, v4, v5
	v_add_u32_e32 v5, 1, v3
	v_cmp_le_u32_e64 s[0:1], s21, v4
	s_nop 1
	v_cndmask_b32_e64 v3, v3, v5, s[0:1]
	v_subrev_u32_e32 v5, s21, v4
	v_cndmask_b32_e64 v4, v4, v5, s[0:1]
	v_add_u32_e32 v5, 1, v3
	v_cmp_le_u32_e64 s[0:1], s21, v4
	v_mul_lo_u32 v4, s66, v2
	s_nop 0
	v_cndmask_b32_e64 v3, v3, v5, s[0:1]
	v_addc_co_u32_e32 v3, vcc, 0, v3, vcc
	s_abs_i32 s0, s34
	v_mul_hi_u32 v5, s0, v3
	v_mul_lo_u32 v3, s0, v3
	s_not_b32 s0, s34
	s_ashr_i32 s0, s0, 31
	s_cmp_eq_u32 s21, 1
	v_cmp_eq_u32_e32 vcc, 0, v5
	v_xor_b32_e32 v4, s0, v4
	s_cselect_b64 s[8:9], -1, 0
	v_cmp_le_u32_e64 s[0:1], v3, v4
	s_and_b64 s[8:9], vcc, s[8:9]
	s_and_b64 s[30:31], s[8:9], s[0:1]
	s_mov_b64 s[8:9], -1
	v_mov_b32_e32 v4, v0
                                        ; implicit-def: $vgpr3
	s_and_saveexec_b64 s[0:1], s[30:31]
	s_cbranch_execz .LBB74_42
; %bb.35:                               ;   in Loop: Header=BB74_11 Depth=1
	v_add_u32_e32 v9, 7, v2
	v_add_u32_e32 v8, 6, v2
	;; [unrolled: 1-line block ×7, first 2 shown]
	v_mov_b64_e32 v[16:17], v[8:9]
	s_waitcnt vmcnt(0)
	v_lshlrev_b32_e32 v47, 24, v20
	v_mov_b32_e32 v49, 0
	v_mov_b64_e32 v[14:15], v[6:7]
	v_mov_b64_e32 v[12:13], v[4:5]
	;; [unrolled: 1-line block ×3, first 2 shown]
                                        ; implicit-def: $vgpr20
	s_mov_b64 s[8:9], exec
	v_readlane_b32 s30, v81, 32
	v_readlane_b32 s31, v81, 33
	s_and_b64 s[30:31], s[8:9], s[30:31]
	s_mov_b64 exec, s[30:31]
	s_cbranch_execz .LBB74_39
; %bb.36:                               ;   in Loop: Header=BB74_11 Depth=1
	v_mov_b64_e32 v[16:17], v[8:9]
	s_mov_b32 s35, 0
	s_mov_b64 s[30:31], 0
	v_mov_b32_e32 v48, v32
	v_mov_b64_e32 v[14:15], v[6:7]
	v_mov_b64_e32 v[12:13], v[4:5]
	;; [unrolled: 1-line block ×3, first 2 shown]
	s_mov_b32 s36, 0xc0c0007
.LBB74_37:                              ;   Parent Loop BB74_11 Depth=1
                                        ; =>  This Inner Loop Header: Depth=2
	v_mul_lo_u32 v6, v16, s63
	v_mul_lo_u32 v8, v15, s23
	v_mul_lo_u32 v52, v14, s62
	v_mul_lo_u32 v54, v13, s61
	v_mul_lo_u32 v56, v12, s60
	v_mul_lo_u32 v20, v10, s81
	v_mov_b32_e32 v57, v21
	v_mov_b32_e32 v55, v21
	;; [unrolled: 1-line block ×5, first 2 shown]
	v_add_u32_e32 v49, 8, v11
	v_add_u32_e32 v51, 8, v12
	;; [unrolled: 1-line block ×7, first 2 shown]
	v_mul_lo_u32 v4, v17, s90
	v_mul_lo_u32 v58, v11, s91
	v_mov_b32_e32 v59, v21
	v_mov_b32_e32 v5, v21
	v_add_u32_e32 v3, 8, v10
	v_mov_b32_e32 v61, v21
	v_mov_b32_e32 v63, v21
	;; [unrolled: 1-line block ×5, first 2 shown]
	v_lshl_add_u64 v[74:75], s[82:83], 0, v[20:21]
	v_lshl_add_u64 v[56:57], s[82:83], 0, v[56:57]
	v_lshl_add_u64 v[54:55], s[82:83], 0, v[54:55]
	v_lshl_add_u64 v[52:53], s[82:83], 0, v[52:53]
	v_lshl_add_u64 v[8:9], s[82:83], 0, v[8:9]
	v_lshl_add_u64 v[6:7], s[82:83], 0, v[6:7]
	v_mul_lo_u32 v72, v68, s90
	v_mul_lo_u32 v70, v66, s63
	;; [unrolled: 1-line block ×7, first 2 shown]
	v_mov_b32_e32 v71, v21
	v_mov_b32_e32 v73, v21
	v_lshl_add_u64 v[58:59], s[82:83], 0, v[58:59]
	v_lshl_add_u64 v[4:5], s[82:83], 0, v[4:5]
	v_mul_lo_u32 v20, v3, s81
	global_load_ubyte v3, v[52:53], off
	global_load_ubyte v51, v[6:7], off
	;; [unrolled: 1-line block ×7, first 2 shown]
	s_nop 0
	global_load_ubyte v74, v[74:75], off
	v_lshl_add_u64 v[6:7], s[82:83], 0, v[60:61]
	v_lshl_add_u64 v[8:9], s[82:83], 0, v[62:63]
	;; [unrolled: 1-line block ×8, first 2 shown]
	global_load_ubyte v52, v[52:53], off
	s_nop 0
	global_load_ubyte v53, v[54:55], off
	s_nop 0
	global_load_ubyte v54, v[58:59], off
	global_load_ubyte v20, v[60:61], off
	;; [unrolled: 1-line block ×3, first 2 shown]
	s_nop 0
	global_load_ubyte v56, v[4:5], off
	s_nop 0
	global_load_ubyte v8, v[8:9], off
	;; [unrolled: 2-line block ×3, first 2 shown]
	v_add_u32_e32 v48, -2, v48
	v_add_u32_e32 v9, s35, v0
	s_add_i32 s35, s35, 16
	v_cmp_eq_u32_e32 vcc, 0, v48
	v_add_u32_e32 v17, 16, v17
	v_add_u32_e32 v16, 16, v16
	;; [unrolled: 1-line block ×8, first 2 shown]
	v_mov_b32_e32 v49, s35
	s_or_b64 s[30:31], vcc, s[30:31]
	s_waitcnt vmcnt(12)
	v_perm_b32 v4, v77, v51, s33
	s_waitcnt vmcnt(11)
	v_perm_b32 v3, v78, v3, s33
	v_lshl_or_b32 v5, v4, 16, v3
	s_waitcnt vmcnt(9)
	v_perm_b32 v7, v80, v79, s33
	s_waitcnt vmcnt(8)
	v_perm_b32 v47, v47, v74, s36
	v_lshl_or_b32 v4, v7, 16, v47
	s_waitcnt vmcnt(6)
	v_perm_b32 v3, v52, v53, s33
	s_waitcnt vmcnt(4)
	v_perm_b32 v51, v54, v20, s33
	;; [unrolled: 2-line block ×4, first 2 shown]
	v_lshl_or_b32 v7, v7, 16, v3
	s_waitcnt vmcnt(0)
	v_perm_b32 v6, v6, v8, s33
	v_perm_b32 v8, v53, v55, s33
	v_lshl_or_b32 v6, v6, 16, v47
	v_lshl_or_b32 v47, v51, 16, v8
	ds_write_b128 v9, v[4:7]
	s_andn2_b64 exec, exec, s[30:31]
	s_cbranch_execnz .LBB74_37
; %bb.38:                               ;   in Loop: Header=BB74_11 Depth=1
	s_or_b64 exec, exec, s[30:31]
.LBB74_39:                              ;   in Loop: Header=BB74_11 Depth=1
	s_or_b64 exec, exec, s[8:9]
	s_mov_b64 s[8:9], exec
	v_readlane_b32 s30, v81, 34
	v_readlane_b32 s31, v81, 35
	s_and_b64 s[30:31], s[8:9], s[30:31]
	s_mov_b64 exec, s[30:31]
	s_cbranch_execz .LBB74_41
; %bb.40:                               ;   in Loop: Header=BB74_11 Depth=1
	v_mul_lo_u32 v4, v16, s63
	v_mul_lo_u32 v6, v15, s23
	;; [unrolled: 1-line block ×3, first 2 shown]
	v_mov_b32_e32 v9, v21
	v_mov_b32_e32 v7, v21
	;; [unrolled: 1-line block ×3, first 2 shown]
	v_mul_lo_u32 v14, v13, s61
	v_mul_lo_u32 v12, v12, s60
	;; [unrolled: 1-line block ×4, first 2 shown]
	v_mov_b32_e32 v53, v21
	v_mov_b32_e32 v13, v21
	;; [unrolled: 1-line block ×3, first 2 shown]
	v_lshl_add_u64 v[8:9], s[82:83], 0, v[8:9]
	v_lshl_add_u64 v[6:7], s[82:83], 0, v[6:7]
	;; [unrolled: 1-line block ×3, first 2 shown]
	v_mul_lo_u32 v16, v17, s90
	v_mov_b32_e32 v17, v21
	v_lshl_add_u64 v[10:11], s[82:83], 0, v[20:21]
	v_lshl_add_u64 v[52:53], s[82:83], 0, v[52:53]
	;; [unrolled: 1-line block ×5, first 2 shown]
	global_load_ubyte v3, v[8:9], off
	s_nop 0
	global_load_ubyte v4, v[4:5], off
	s_nop 0
	global_load_ubyte v20, v[16:17], off
	global_load_ubyte v5, v[6:7], off
	s_nop 0
	global_load_ubyte v6, v[14:15], off
	global_load_ubyte v7, v[12:13], off
	;; [unrolled: 1-line block ×4, first 2 shown]
	s_mov_b32 s30, 0xc0c0007
	s_waitcnt vmcnt(4)
	v_perm_b32 v4, v5, v4, s33
	s_waitcnt vmcnt(3)
	v_perm_b32 v3, v6, v3, s33
	v_lshl_or_b32 v5, v4, 16, v3
	s_waitcnt vmcnt(1)
	v_perm_b32 v6, v8, v7, s33
	s_waitcnt vmcnt(0)
	v_perm_b32 v7, v47, v9, s30
	v_lshl_or_b32 v4, v6, 16, v7
	v_add_u32_e32 v3, v0, v49
	ds_write_b64 v3, v[4:5]
.LBB74_41:                              ;   in Loop: Header=BB74_11 Depth=1
	s_or_b64 exec, exec, s[8:9]
	v_readlane_b32 s8, v81, 36
	v_add_u32_e32 v2, v2, v30
	v_readlane_b32 s9, v81, 37
	v_add_u32_e32 v3, -1, v2
	s_orn2_b64 s[8:9], s[8:9], exec
	v_mov_b32_e32 v4, v31
.LBB74_42:                              ;   in Loop: Header=BB74_11 Depth=1
	s_or_b64 exec, exec, s[0:1]
	v_mov_b32_e32 v5, s34
	s_and_b64 s[0:1], s[8:9], exec
	s_andn2_saveexec_b64 s[8:9], s[28:29]
	s_cbranch_execz .LBB74_30
.LBB74_43:                              ;   in Loop: Header=BB74_11 Depth=1
	v_mov_b32_e32 v5, s34
	s_or_b64 s[0:1], s[0:1], exec
	v_mov_b32_e32 v4, v0
	s_or_b64 exec, exec, s[8:9]
	s_and_saveexec_b64 s[8:9], s[0:1]
	s_cbranch_execz .LBB74_47
.LBB74_44:                              ;   in Loop: Header=BB74_11 Depth=1
	s_sub_i32 s28, 0, s21
	v_mul_lo_u32 v3, s66, v2
	s_mov_b64 s[0:1], 0
.LBB74_45:                              ;   Parent Loop BB74_11 Depth=1
                                        ; =>  This Inner Loop Header: Depth=2
	global_load_ubyte v6, v3, s[82:83]
	v_mov_b32_e32 v7, v2
	v_add_u32_e32 v2, s21, v7
	v_cmp_le_u32_e32 vcc, s64, v2
	s_waitcnt vmcnt(1)
	ds_write_b8 v4, v20
	v_add_u32_e32 v3, v3, v5
	v_mov_b32_e32 v4, v7
	s_or_b64 s[0:1], vcc, s[0:1]
	s_waitcnt vmcnt(0)
	v_mov_b32_e32 v20, v6
	s_andn2_b64 exec, exec, s[0:1]
	s_cbranch_execnz .LBB74_45
; %bb.46:                               ;   in Loop: Header=BB74_11 Depth=1
	s_or_b64 exec, exec, s[0:1]
	v_add_u32_e32 v3, s28, v2
	v_mov_b32_e32 v20, v6
.LBB74_47:                              ;   in Loop: Header=BB74_11 Depth=1
	s_or_b64 exec, exec, s[8:9]
.LBB74_48:                              ;   in Loop: Header=BB74_11 Depth=1
	s_or_b64 exec, exec, s[26:27]
	s_waitcnt vmcnt(0)
	ds_write_b8 v3, v20
.LBB74_49:                              ;   in Loop: Header=BB74_11 Depth=1
	s_or_b64 exec, exec, s[2:3]
	s_waitcnt lgkmcnt(0)
	s_barrier
	s_mov_b64 s[0:1], exec
	v_readlane_b32 s2, v81, 6
	v_readlane_b32 s3, v81, 7
	s_and_b64 s[2:3], s[0:1], s[2:3]
	s_mov_b64 exec, s[2:3]
; %bb.50:                               ;   in Loop: Header=BB74_11 Depth=1
	ds_write_b32 v21, v50 offset:4104
; %bb.51:                               ;   in Loop: Header=BB74_11 Depth=1
	s_or_b64 exec, exec, s[0:1]
	s_mov_b64 s[0:1], -1
	s_waitcnt lgkmcnt(0)
	s_barrier
.LBB74_52:                              ;   in Loop: Header=BB74_11 Depth=1
	s_mov_b32 s21, 0
	s_and_b64 vcc, exec, s[0:1]
	s_cbranch_vccz .LBB74_54
; %bb.53:                               ;   in Loop: Header=BB74_11 Depth=1
	ds_read_b32 v2, v21 offset:4104
	s_waitcnt lgkmcnt(0)
	v_readfirstlane_b32 s21, v2
.LBB74_54:                              ;   in Loop: Header=BB74_11 Depth=1
	s_cmp_lt_i32 s21, 1
	s_mov_b64 s[0:1], -1
                                        ; implicit-def: $vgpr5
	s_cbranch_scc1 .LBB74_64
; %bb.55:                               ;   in Loop: Header=BB74_11 Depth=1
	s_and_b64 vcc, exec, s[0:1]
	s_cbranch_vccnz .LBB74_75
.LBB74_56:                              ;   in Loop: Header=BB74_11 Depth=1
	s_lshl_b32 s8, s20, 6
	s_and_saveexec_b64 s[0:1], s[4:5]
.LBB74_57:                              ;   in Loop: Header=BB74_11 Depth=1
	v_lshl_add_u32 v6, s8, 2, v29
	ds_write_b128 v6, v[2:5]
.LBB74_58:                              ;   in Loop: Header=BB74_11 Depth=1
	s_or_b64 exec, exec, s[0:1]
	s_waitcnt lgkmcnt(0)
	s_barrier
	s_and_saveexec_b64 s[0:1], s[88:89]
	s_cbranch_execz .LBB74_92
; %bb.59:                               ;   in Loop: Header=BB74_11 Depth=1
	v_add_u32_e32 v4, s8, v28
	s_andn2_b64 vcc, exec, s[92:93]
	v_mov_b32_e32 v2, 0
	s_cbranch_vccnz .LBB74_91
; %bb.60:                               ;   in Loop: Header=BB74_11 Depth=1
	v_readlane_b32 s2, v81, 38
	v_readlane_b32 s3, v81, 39
	s_andn2_b64 vcc, exec, s[2:3]
	s_cbranch_vccnz .LBB74_84
; %bb.61:                               ;   in Loop: Header=BB74_11 Depth=1
	v_readlane_b32 s2, v81, 40
	v_readlane_b32 s3, v81, 41
	s_andn2_b64 vcc, exec, s[2:3]
	v_lshl_add_u32 v5, v4, 2, v42
	s_cbranch_vccnz .LBB74_85
; %bb.62:                               ;   in Loop: Header=BB74_11 Depth=1
	s_mov_b32 s3, 1
	s_mov_b32 s2, 0
	v_mov_b32_e32 v2, 0
	v_mov_b32_e32 v3, 0
	v_readlane_b32 s9, v81, 42
.LBB74_63:                              ;   Parent Loop BB74_11 Depth=1
                                        ; =>  This Inner Loop Header: Depth=2
	v_lshl_add_u32 v20, s2, 4, v5
	v_lshl_add_u32 v47, s3, 4, v5
	ds_read2_b32 v[6:7], v20 offset1:8
	ds_read2_b32 v[8:9], v47 offset1:8
	ds_read2_b32 v[10:11], v20 offset0:16 offset1:24
	ds_read2_b32 v[12:13], v47 offset0:16 offset1:24
	;; [unrolled: 1-line block ×6, first 2 shown]
	s_waitcnt lgkmcnt(7)
	v_add3_u32 v2, v6, v2, v7
	s_waitcnt lgkmcnt(6)
	v_add3_u32 v3, v8, v3, v9
	s_waitcnt lgkmcnt(4)
	v_add3_u32 v3, v12, v3, v13
	v_add3_u32 v2, v10, v2, v11
	s_add_i32 s3, s3, 16
	s_add_i32 s2, s2, 16
	s_add_i32 s9, s9, -8
	s_waitcnt lgkmcnt(3)
	v_add3_u32 v2, v14, v2, v15
	s_waitcnt lgkmcnt(2)
	v_add3_u32 v3, v16, v3, v17
	s_cmp_lg_u32 s9, 0
	s_waitcnt lgkmcnt(0)
	v_add3_u32 v3, v52, v3, v53
	v_add3_u32 v2, v48, v2, v49
	s_cbranch_scc1 .LBB74_63
	s_branch .LBB74_86
.LBB74_64:                              ;   in Loop: Header=BB74_11 Depth=1
	v_mov_b32_e32 v2, 0
	v_mov_b32_e32 v3, 0
	;; [unrolled: 1-line block ×4, first 2 shown]
	s_and_saveexec_b64 s[86:87], s[16:17]
	s_cbranch_execz .LBB74_68
; %bb.65:                               ;   in Loop: Header=BB74_11 Depth=1
	s_mov_b32 s90, 0
	s_mov_b64 s[8:9], 0
	s_mov_b32 s91, 0
	s_mov_b32 s81, 0
	;; [unrolled: 1-line block ×4, first 2 shown]
	v_mov_b32_e32 v6, v25
.LBB74_66:                              ;   Parent Loop BB74_11 Depth=1
                                        ; =>  This Inner Loop Header: Depth=2
	v_add_u32_e32 v2, s90, v37
	v_add_u32_e32 v3, s90, v34
	;; [unrolled: 1-line block ×4, first 2 shown]
	global_load_ubyte v2, v2, s[82:83]
	s_nop 0
	global_load_ubyte v3, v3, s[82:83]
	s_nop 0
	;; [unrolled: 2-line block ×3, first 2 shown]
	global_load_ubyte v5, v5, s[82:83]
	v_add_u32_e32 v6, s65, v6
	s_add_i32 s90, s90, s78
	v_cmp_le_u32_e32 vcc, s95, v6
	s_waitcnt vmcnt(3)
	v_and_b32_e32 v7, v44, v2
	v_bfe_u32 v2, v2, v41, 2
	s_waitcnt vmcnt(2)
	v_and_b32_e32 v8, v44, v3
	v_bfe_u32 v3, v3, v41, 2
	v_cmp_eq_u32_e64 s[0:1], v7, v38
	v_cmp_eq_u32_e64 s[30:31], 0, v2
	s_waitcnt vmcnt(1)
	v_and_b32_e32 v9, v44, v4
	v_bfe_u32 v4, v4, v41, 2
	v_cmp_eq_u32_e64 s[2:3], v8, v38
	v_cmp_eq_u32_e64 s[34:35], 0, v3
	s_and_b64 s[30:31], s[0:1], s[30:31]
	s_waitcnt vmcnt(0)
	v_and_b32_e32 v10, v44, v5
	v_bfe_u32 v5, v5, v41, 2
	v_cmp_eq_u32_e64 s[26:27], v9, v38
	v_cmp_eq_u32_e64 s[36:37], 0, v4
	;; [unrolled: 1-line block ×5, first 2 shown]
	v_cndmask_b32_e64 v2, 0, 1, s[30:31]
	s_and_b64 s[30:31], s[2:3], s[34:35]
	v_cmp_eq_u32_e64 s[28:29], v10, v38
	v_cmp_eq_u32_e64 s[38:39], 0, v5
	;; [unrolled: 1-line block ×5, first 2 shown]
	v_cndmask_b32_e64 v3, 0, 1, s[30:31]
	s_and_b64 s[30:31], s[26:27], s[36:37]
	v_cmp_eq_u32_e64 s[44:45], 1, v4
	v_cmp_eq_u32_e64 s[52:53], 2, v4
	;; [unrolled: 1-line block ×3, first 2 shown]
	v_cndmask_b32_e64 v4, 0, 1, s[30:31]
	s_and_b64 s[30:31], s[28:29], s[38:39]
	v_cmp_eq_u32_e64 s[46:47], 1, v5
	v_cmp_eq_u32_e64 s[54:55], 2, v5
	v_cmp_eq_u32_e64 s[62:63], 3, v5
	v_cndmask_b32_e64 v5, 0, 1, s[30:31]
	s_and_b64 s[30:31], s[0:1], s[40:41]
	v_cndmask_b32_e64 v7, 0, 1, s[30:31]
	s_and_b64 s[30:31], s[2:3], s[42:43]
	v_cndmask_b32_e64 v8, 0, 1, s[30:31]
	s_and_b64 s[30:31], s[26:27], s[44:45]
	v_cndmask_b32_e64 v9, 0, 1, s[30:31]
	s_and_b64 s[30:31], s[28:29], s[46:47]
	v_cndmask_b32_e64 v10, 0, 1, s[30:31]
	s_and_b64 s[30:31], s[0:1], s[48:49]
	s_and_b64 s[0:1], s[0:1], s[56:57]
	v_cndmask_b32_e64 v11, 0, 1, s[30:31]
	s_and_b64 s[30:31], s[2:3], s[50:51]
	v_cndmask_b32_e64 v15, 0, 1, s[0:1]
	;; [unrolled: 2-line block ×7, first 2 shown]
	v_cndmask_b32_e64 v20, 0, 1, s[0:1]
	v_cmp_ne_u32_e64 s[0:1], 0, v2
	v_cmp_ne_u32_e64 s[2:3], 0, v3
	;; [unrolled: 1-line block ×11, first 2 shown]
	s_bcnt1_i32_b64 s0, s[0:1]
	s_bcnt1_i32_b64 s1, s[2:3]
	s_bcnt1_i32_b64 s2, s[26:27]
	s_bcnt1_i32_b64 s3, s[28:29]
	s_bcnt1_i32_b64 s26, s[30:31]
	s_bcnt1_i32_b64 s28, s[36:37]
	s_bcnt1_i32_b64 s30, s[40:41]
	s_bcnt1_i32_b64 s36, s[48:49]
	v_cmp_ne_u32_e64 s[38:39], 0, v10
	v_cmp_ne_u32_e64 s[44:45], 0, v13
	;; [unrolled: 1-line block ×3, first 2 shown]
	s_bcnt1_i32_b64 s27, s[34:35]
	s_bcnt1_i32_b64 s31, s[42:43]
	;; [unrolled: 1-line block ×3, first 2 shown]
	s_add_i32 s0, s69, s0
	s_add_i32 s26, s68, s26
	;; [unrolled: 1-line block ×4, first 2 shown]
	v_cmp_ne_u32_e64 s[46:47], 0, v14
	v_cmp_ne_u32_e64 s[54:55], 0, v20
	s_bcnt1_i32_b64 s29, s[38:39]
	s_bcnt1_i32_b64 s34, s[44:45]
	;; [unrolled: 1-line block ×3, first 2 shown]
	s_add_i32 s0, s0, s1
	s_add_i32 s1, s26, s27
	;; [unrolled: 1-line block ×4, first 2 shown]
	s_bcnt1_i32_b64 s35, s[46:47]
	s_bcnt1_i32_b64 s39, s[54:55]
	s_add_i32 s0, s0, s2
	s_add_i32 s1, s1, s28
	s_add_i32 s2, s26, s34
	s_add_i32 s26, s27, s38
	s_add_i32 s69, s0, s3
	s_add_i32 s68, s1, s29
	s_add_i32 s81, s2, s35
	s_add_i32 s91, s26, s39
	s_or_b64 s[8:9], vcc, s[8:9]
	v_mov_b32_e32 v2, s69
	v_mov_b32_e32 v3, s68
	;; [unrolled: 1-line block ×4, first 2 shown]
	s_andn2_b64 exec, exec, s[8:9]
	s_cbranch_execnz .LBB74_66
; %bb.67:                               ;   in Loop: Header=BB74_11 Depth=1
	s_or_b64 exec, exec, s[8:9]
	s_mov_b32 s81, s24
	s_mov_b32 s91, s25
	;; [unrolled: 1-line block ×8, first 2 shown]
.LBB74_68:                              ;   in Loop: Header=BB74_11 Depth=1
	s_or_b64 exec, exec, s[86:87]
	s_and_saveexec_b64 s[2:3], s[18:19]
	s_cbranch_execz .LBB74_74
; %bb.69:                               ;   in Loop: Header=BB74_11 Depth=1
	global_load_ubyte v9, v[26:27], off
	s_mov_b64 s[8:9], 0
	v_mov_b32_e32 v6, v39
	v_mov_b32_e32 v7, v33
	s_branch .LBB74_71
.LBB74_70:                              ;   in Loop: Header=BB74_71 Depth=2
	s_or_b64 exec, exec, s[26:27]
	s_waitcnt vmcnt(0)
	v_and_b32_e32 v10, 0xff, v9
	v_bitop3_b32 v9, v44, v9, s79 bitop3:0x80
	s_and_b64 s[0:1], exec, vcc
	v_cmp_eq_u32_e32 vcc, v9, v38
	v_bfe_u32 v9, v10, v41, 2
	s_or_b64 s[8:9], s[0:1], s[8:9]
	v_cmp_eq_u32_e64 s[0:1], 0, v9
	s_and_b64 s[0:1], vcc, s[0:1]
	v_add_u32_e32 v6, s99, v6
	v_cndmask_b32_e64 v10, 0, 1, s[0:1]
	v_cmp_ne_u32_e64 s[0:1], 0, v10
	s_bcnt1_i32_b64 s0, s[0:1]
	s_nop 0
	v_add_u32_e32 v2, s0, v2
	v_cmp_eq_u32_e64 s[0:1], 1, v9
	s_and_b64 s[0:1], vcc, s[0:1]
	s_nop 0
	v_cndmask_b32_e64 v10, 0, 1, s[0:1]
	v_cmp_ne_u32_e64 s[0:1], 0, v10
	s_bcnt1_i32_b64 s0, s[0:1]
	s_nop 0
	v_add_u32_e32 v3, s0, v3
	v_cmp_eq_u32_e64 s[0:1], 2, v9
	s_and_b64 s[0:1], vcc, s[0:1]
	s_nop 0
	;; [unrolled: 8-line block ×3, first 2 shown]
	v_cndmask_b32_e64 v9, 0, 1, s[0:1]
	v_cmp_ne_u32_e32 vcc, 0, v9
	s_bcnt1_i32_b64 s0, vcc
	v_add_u32_e32 v5, s0, v5
	v_mov_b32_e32 v9, v8
	s_andn2_b64 exec, exec, s[8:9]
	s_cbranch_execz .LBB74_73
.LBB74_71:                              ;   Parent Loop BB74_11 Depth=1
                                        ; =>  This Inner Loop Header: Depth=2
	v_add_u32_e32 v7, s67, v7
	v_cmp_gt_u32_e64 s[0:1], s64, v7
	v_cmp_le_u32_e32 vcc, s64, v7
	v_mov_b32_e32 v8, 0
	s_and_saveexec_b64 s[26:27], s[0:1]
	s_cbranch_execz .LBB74_70
; %bb.72:                               ;   in Loop: Header=BB74_71 Depth=2
	global_load_ubyte v8, v6, s[82:83]
	s_branch .LBB74_70
.LBB74_73:                              ;   in Loop: Header=BB74_11 Depth=1
	s_or_b64 exec, exec, s[8:9]
.LBB74_74:                              ;   in Loop: Header=BB74_11 Depth=1
	s_or_b64 exec, exec, s[2:3]
	s_branch .LBB74_56
.LBB74_75:                              ;   in Loop: Header=BB74_11 Depth=1
	s_mul_hi_u32 s0, s21, s94
	s_mul_i32 s0, s0, s65
	s_sub_i32 s0, s21, s0
	s_sub_i32 s1, s0, s65
	s_cmp_ge_u32 s0, s65
	s_cselect_b32 s0, s1, s0
	s_sub_i32 s1, s0, s65
	s_cmp_ge_u32 s0, s65
	s_cselect_b32 s0, s1, s0
	s_sub_i32 s90, s21, s0
	v_cmp_gt_u32_e32 vcc, s90, v25
	v_mov_b32_e32 v2, 0
	v_mov_b32_e32 v3, 0
	;; [unrolled: 1-line block ×4, first 2 shown]
	s_and_saveexec_b64 s[86:87], vcc
	s_cbranch_execz .LBB74_79
; %bb.76:                               ;   in Loop: Header=BB74_11 Depth=1
	s_mov_b32 s91, 0
	s_mov_b64 s[8:9], 0
	s_mov_b32 s68, 0
	s_mov_b32 s69, 0
	;; [unrolled: 1-line block ×3, first 2 shown]
	v_mov_b32_e32 v6, v25
.LBB74_77:                              ;   Parent Loop BB74_11 Depth=1
                                        ; =>  This Inner Loop Header: Depth=2
	ds_read_b32 v2, v6
	v_add_u32_e32 v6, s65, v6
	v_cmp_le_u32_e32 vcc, s90, v6
	s_waitcnt lgkmcnt(0)
	v_and_b32_e32 v7, 0xff, v2
	v_lshrrev_b32_e32 v3, 16, v2
	v_lshrrev_b32_e32 v4, 8, v2
	;; [unrolled: 1-line block ×3, first 2 shown]
	v_bfe_u32 v8, v2, 8, 8
	v_bfe_u32 v9, v2, 16, 8
	v_bitop3_b32 v2, v44, v2, s79 bitop3:0x80
	v_bfe_u32 v7, v7, v41, 2
	v_cmp_eq_u32_e64 s[0:1], v2, v38
	v_bitop3_b32 v2, v44, v4, s79 bitop3:0x80
	v_bfe_u32 v8, v8, v41, 2
	v_cmp_eq_u32_e64 s[30:31], 0, v7
	;; [unrolled: 3-line block ×3, first 2 shown]
	v_cmp_eq_u32_e64 s[34:35], 0, v8
	s_and_b64 s[30:31], s[0:1], s[30:31]
	v_and_b32_e32 v4, v44, v5
	v_bfe_u32 v5, v5, v41, 2
	v_cmp_eq_u32_e64 s[26:27], v3, v38
	v_cmp_eq_u32_e64 s[36:37], 0, v9
	v_cndmask_b32_e64 v2, 0, 1, s[30:31]
	s_and_b64 s[30:31], s[2:3], s[34:35]
	v_cmp_eq_u32_e64 s[28:29], v4, v38
	v_cmp_eq_u32_e64 s[38:39], 0, v5
	v_cndmask_b32_e64 v3, 0, 1, s[30:31]
	s_and_b64 s[30:31], s[26:27], s[36:37]
	v_cmp_eq_u32_e64 s[40:41], 1, v7
	v_cndmask_b32_e64 v4, 0, 1, s[30:31]
	s_and_b64 s[30:31], s[28:29], s[38:39]
	v_cmp_eq_u32_e64 s[42:43], 1, v8
	v_cmp_eq_u32_e64 s[46:47], 1, v5
	;; [unrolled: 1-line block ×4, first 2 shown]
	v_cndmask_b32_e64 v5, 0, 1, s[30:31]
	s_and_b64 s[30:31], s[0:1], s[40:41]
	v_cmp_eq_u32_e64 s[44:45], 1, v9
	v_cmp_eq_u32_e64 s[48:49], 2, v7
	;; [unrolled: 1-line block ×3, first 2 shown]
	v_cndmask_b32_e64 v7, 0, 1, s[30:31]
	s_and_b64 s[30:31], s[2:3], s[42:43]
	v_cmp_eq_u32_e64 s[50:51], 2, v8
	v_cmp_eq_u32_e64 s[58:59], 3, v8
	v_cndmask_b32_e64 v8, 0, 1, s[30:31]
	s_and_b64 s[30:31], s[26:27], s[44:45]
	v_cmp_eq_u32_e64 s[52:53], 2, v9
	v_cmp_eq_u32_e64 s[60:61], 3, v9
	v_cndmask_b32_e64 v9, 0, 1, s[30:31]
	s_and_b64 s[30:31], s[28:29], s[46:47]
	v_cndmask_b32_e64 v10, 0, 1, s[30:31]
	s_and_b64 s[30:31], s[0:1], s[48:49]
	s_and_b64 s[0:1], s[0:1], s[56:57]
	v_cndmask_b32_e64 v11, 0, 1, s[30:31]
	s_and_b64 s[30:31], s[2:3], s[50:51]
	v_cndmask_b32_e64 v15, 0, 1, s[0:1]
	;; [unrolled: 2-line block ×7, first 2 shown]
	v_cndmask_b32_e64 v20, 0, 1, s[0:1]
	v_cmp_ne_u32_e64 s[0:1], 0, v2
	v_cmp_ne_u32_e64 s[2:3], 0, v3
	;; [unrolled: 1-line block ×11, first 2 shown]
	s_bcnt1_i32_b64 s0, s[0:1]
	s_bcnt1_i32_b64 s1, s[2:3]
	;; [unrolled: 1-line block ×8, first 2 shown]
	v_cmp_ne_u32_e64 s[38:39], 0, v10
	v_cmp_ne_u32_e64 s[44:45], 0, v13
	;; [unrolled: 1-line block ×3, first 2 shown]
	s_bcnt1_i32_b64 s27, s[34:35]
	s_bcnt1_i32_b64 s31, s[42:43]
	;; [unrolled: 1-line block ×3, first 2 shown]
	s_add_i32 s0, s81, s0
	s_add_i32 s26, s69, s26
	;; [unrolled: 1-line block ×4, first 2 shown]
	v_cmp_ne_u32_e64 s[46:47], 0, v14
	v_cmp_ne_u32_e64 s[54:55], 0, v20
	s_bcnt1_i32_b64 s29, s[38:39]
	s_bcnt1_i32_b64 s34, s[44:45]
	;; [unrolled: 1-line block ×3, first 2 shown]
	s_add_i32 s0, s0, s1
	s_add_i32 s1, s26, s27
	;; [unrolled: 1-line block ×4, first 2 shown]
	s_bcnt1_i32_b64 s35, s[46:47]
	s_bcnt1_i32_b64 s39, s[54:55]
	s_add_i32 s0, s0, s2
	s_add_i32 s1, s1, s28
	;; [unrolled: 1-line block ×8, first 2 shown]
	s_or_b64 s[8:9], vcc, s[8:9]
	v_mov_b32_e32 v2, s81
	v_mov_b32_e32 v3, s69
	;; [unrolled: 1-line block ×4, first 2 shown]
	s_andn2_b64 exec, exec, s[8:9]
	s_cbranch_execnz .LBB74_77
; %bb.78:                               ;   in Loop: Header=BB74_11 Depth=1
	s_or_b64 exec, exec, s[8:9]
	s_mov_b32 s81, s24
	s_mov_b32 s91, s25
	;; [unrolled: 1-line block ×7, first 2 shown]
.LBB74_79:                              ;   in Loop: Header=BB74_11 Depth=1
	s_or_b64 exec, exec, s[86:87]
	v_add_u32_e32 v6, s90, v0
	v_cmp_gt_u32_e32 vcc, s21, v6
	s_and_saveexec_b64 s[8:9], vcc
	s_mov_b32 s90, s96
	s_cbranch_execz .LBB74_83
; %bb.80:                               ;   in Loop: Header=BB74_11 Depth=1
	s_mov_b64 s[34:35], 0
.LBB74_81:                              ;   Parent Loop BB74_11 Depth=1
                                        ; =>  This Inner Loop Header: Depth=2
	ds_read_u8 v7, v6
	v_add_u32_e32 v6, s67, v6
	v_cmp_le_u32_e32 vcc, s21, v6
	s_waitcnt lgkmcnt(0)
	v_and_b32_e32 v8, v44, v7
	v_bfe_u32 v7, v7, v41, 2
	v_cmp_eq_u32_e64 s[0:1], v8, v38
	v_cmp_eq_u32_e64 s[2:3], 0, v7
	;; [unrolled: 1-line block ×3, first 2 shown]
	s_and_b64 s[2:3], s[0:1], s[2:3]
	v_cmp_eq_u32_e64 s[28:29], 2, v7
	v_cmp_eq_u32_e64 s[30:31], 3, v7
	v_cndmask_b32_e64 v7, 0, 1, s[2:3]
	s_and_b64 s[2:3], s[0:1], s[26:27]
	v_cndmask_b32_e64 v8, 0, 1, s[2:3]
	s_and_b64 s[2:3], s[0:1], s[28:29]
	s_and_b64 s[0:1], s[0:1], s[30:31]
	v_cndmask_b32_e64 v9, 0, 1, s[2:3]
	v_cndmask_b32_e64 v10, 0, 1, s[0:1]
	v_cmp_ne_u32_e64 s[0:1], 0, v7
	v_cmp_ne_u32_e64 s[2:3], 0, v8
	;; [unrolled: 1-line block ×4, first 2 shown]
	s_bcnt1_i32_b64 s0, s[0:1]
	s_bcnt1_i32_b64 s1, s[2:3]
	s_bcnt1_i32_b64 s2, s[26:27]
	s_bcnt1_i32_b64 s3, s[28:29]
	v_add_u32_e32 v2, s0, v2
	v_add_u32_e32 v3, s1, v3
	;; [unrolled: 1-line block ×3, first 2 shown]
	s_or_b64 s[34:35], vcc, s[34:35]
	v_add_u32_e32 v5, s3, v5
	s_andn2_b64 exec, exec, s[34:35]
	s_cbranch_execnz .LBB74_81
; %bb.82:                               ;   in Loop: Header=BB74_11 Depth=1
	s_or_b64 exec, exec, s[34:35]
.LBB74_83:                              ;   in Loop: Header=BB74_11 Depth=1
	s_or_b64 exec, exec, s[8:9]
	s_lshl_b32 s8, s20, 6
	s_and_saveexec_b64 s[0:1], s[4:5]
	s_cbranch_execnz .LBB74_57
	s_branch .LBB74_58
.LBB74_84:                              ;   in Loop: Header=BB74_11 Depth=1
	v_mov_b32_e32 v2, 0
	s_mov_b32 s9, 0
	s_cbranch_execnz .LBB74_89
	s_branch .LBB74_91
.LBB74_85:                              ;   in Loop: Header=BB74_11 Depth=1
	v_mov_b32_e32 v20, v21
	s_mov_b32 s2, 0
	v_mov_b64_e32 v[2:3], v[20:21]
	s_mov_b32 s3, 1
.LBB74_86:                              ;   in Loop: Header=BB74_11 Depth=1
	v_readlane_b32 s26, v81, 44
	v_readlane_b32 s27, v81, 45
	s_andn2_b64 vcc, exec, s[26:27]
	v_readlane_b32 s9, v81, 43
	s_cbranch_vccnz .LBB74_88
.LBB74_87:                              ;   Parent Loop BB74_11 Depth=1
                                        ; =>  This Inner Loop Header: Depth=2
	v_lshl_add_u32 v6, s2, 4, v5
	v_lshl_add_u32 v7, s3, 4, v5
	ds_read_b32 v7, v7
	ds_read_b32 v6, v6
	s_add_i32 s3, s3, 2
	s_add_i32 s2, s2, 2
	s_add_i32 s9, s9, -1
	s_cmp_lg_u32 s9, 0
	s_waitcnt lgkmcnt(1)
	v_add_u32_e32 v3, v7, v3
	s_waitcnt lgkmcnt(0)
	v_add_u32_e32 v2, v6, v2
	s_cbranch_scc1 .LBB74_87
.LBB74_88:                              ;   in Loop: Header=BB74_11 Depth=1
	v_readlane_b32 s2, v81, 48
	v_add_u32_e32 v2, v2, v3
	v_readlane_b32 s9, v81, 47
	v_readlane_b32 s3, v81, 49
	s_and_b64 vcc, exec, s[2:3]
	s_cbranch_vccz .LBB74_91
.LBB74_89:                              ;   in Loop: Header=BB74_11 Depth=1
	s_lshl_b32 s2, s20, 8
	s_lshl_b32 s3, s9, 4
	s_add_i32 s2, s2, s3
	v_add_u32_e32 v3, s2, v40
	v_readlane_b32 s2, v81, 46
	s_sub_i32 s2, s2, s9
.LBB74_90:                              ;   Parent Loop BB74_11 Depth=1
                                        ; =>  This Inner Loop Header: Depth=2
	ds_read_b32 v5, v3
	s_add_i32 s2, s2, -1
	v_add_u32_e32 v3, 16, v3
	s_cmp_eq_u32 s2, 0
	s_waitcnt lgkmcnt(0)
	v_add_u32_e32 v2, v5, v2
	s_cbranch_scc0 .LBB74_90
.LBB74_91:                              ;   in Loop: Header=BB74_11 Depth=1
	v_lshlrev_b32_e32 v3, 2, v4
	ds_write_b32 v3, v2 offset:3072
.LBB74_92:                              ;   in Loop: Header=BB74_11 Depth=1
	s_or_b64 exec, exec, s[0:1]
	s_lshl_b32 s0, s8, 2
	v_mov_b32_e32 v2, s0
	s_waitcnt lgkmcnt(0)
	s_barrier
	ds_read_b128 v[2:5], v2 offset:3072
	v_cmp_eq_u32_e32 vcc, 1, v46
	s_mov_b64 s[2:3], -1
	s_mov_b64 s[30:31], -1
                                        ; implicit-def: $sgpr28_sgpr29
                                        ; implicit-def: $sgpr8_sgpr9
	s_waitcnt lgkmcnt(0)
	v_readfirstlane_b32 s44, v2
	s_cmp_eq_u32 s44, 1
	v_lshlrev_b32_e64 v2, v41, 3
	s_cselect_b64 s[0:1], -1, 0
	v_readfirstlane_b32 s48, v3
	v_readfirstlane_b32 s56, v4
	;; [unrolled: 1-line block ×3, first 2 shown]
	v_not_b32_e32 v4, v2
	s_and_b64 s[26:27], s[0:1], vcc
	s_and_saveexec_b64 s[0:1], s[26:27]
	s_cbranch_execz .LBB74_118
; %bb.93:                               ;   in Loop: Header=BB74_11 Depth=1
	ds_read_b32 v3, v21 offset:4104
	s_waitcnt lgkmcnt(0)
	s_barrier
	v_readfirstlane_b32 s45, v3
	s_and_saveexec_b64 s[8:9], s[6:7]
; %bb.94:                               ;   in Loop: Header=BB74_11 Depth=1
	ds_write_b8 v0, v21 offset:3072
; %bb.95:                               ;   in Loop: Header=BB74_11 Depth=1
	s_or_b64 exec, exec, s[8:9]
	v_and_b32_e32 v38, v38, v4
	v_or_b32_e32 v44, v44, v2
	s_mov_b64 s[8:9], -1
	s_mov_b64 s[28:29], 0
	s_cmp_eq_u32 s45, 0
	s_mov_b64 s[30:31], 0
	s_mov_b64 s[34:35], -1
	s_waitcnt lgkmcnt(0)
	s_barrier
                                        ; implicit-def: $vgpr45
	s_cbranch_scc1 .LBB74_106
; %bb.96:                               ;   in Loop: Header=BB74_11 Depth=1
	v_readlane_b32 s30, v81, 25
	s_add_i32 s30, s45, s30
	v_readlane_b32 s31, v81, 50
	s_mul_hi_u32 s31, s30, s31
	s_mul_i32 s31, s31, s67
	s_sub_i32 s31, s30, s31
	s_sub_i32 s34, s31, s67
	s_cmp_ge_u32 s31, s67
	s_cselect_b32 s31, s34, s31
	s_sub_i32 s34, s31, s67
	s_cmp_ge_u32 s31, s67
	s_cselect_b32 s31, s34, s31
	s_sub_i32 s46, s30, s31
	v_cmp_gt_u32_e32 vcc, s46, v0
	s_mov_b64 s[34:35], 0
	s_mov_b64 s[30:31], 0
                                        ; implicit-def: $vgpr45
	s_and_saveexec_b64 s[36:37], vcc
	s_cbranch_execz .LBB74_105
; %bb.97:                               ;   in Loop: Header=BB74_11 Depth=1
	v_mov_b32_e32 v3, v0
                                        ; implicit-def: $sgpr38_sgpr39
	s_branch .LBB74_100
.LBB74_98:                              ;   in Loop: Header=BB74_100 Depth=2
	s_or_b64 exec, exec, s[40:41]
	s_waitcnt lgkmcnt(0)
	s_barrier
	ds_read_u16 v5, v21 offset:3072
	s_mov_b64 s[40:41], -1
	s_waitcnt lgkmcnt(0)
	s_barrier
	v_cmp_ne_u32_sdwa s[42:43], v5, v21 src0_sel:BYTE_0 src1_sel:DWORD
	s_and_b64 vcc, exec, s[42:43]
	s_mov_b64 s[42:43], -1
	s_cbranch_vccz .LBB74_103
.LBB74_99:                              ;   in Loop: Header=BB74_100 Depth=2
	s_and_b64 s[40:41], exec, s[40:41]
	s_or_b64 s[30:31], s[40:41], s[30:31]
	s_andn2_b64 s[38:39], s[38:39], exec
	s_and_b64 s[40:41], s[42:43], exec
	s_or_b64 s[38:39], s[38:39], s[40:41]
	s_andn2_b64 exec, exec, s[30:31]
	s_cbranch_execz .LBB74_104
.LBB74_100:                             ;   Parent Loop BB74_11 Depth=1
                                        ; =>  This Inner Loop Header: Depth=2
	v_cmp_gt_u32_e32 vcc, s45, v3
	s_and_saveexec_b64 s[40:41], vcc
	s_cbranch_execz .LBB74_98
; %bb.101:                              ;   in Loop: Header=BB74_100 Depth=2
	ds_read_u8 v5, v3
	s_waitcnt lgkmcnt(0)
	v_bitop3_b32 v6, v5, s79, v44 bitop3:0x80
	v_cmp_eq_u32_e32 vcc, v6, v38
	s_and_b64 exec, exec, vcc
	s_cbranch_execz .LBB74_98
; %bb.102:                              ;   in Loop: Header=BB74_100 Depth=2
	v_lshlrev_b16_e32 v5, 8, v5
	v_or_b32_e32 v5, 1, v5
	ds_write_b16 v21, v5 offset:3072
	s_branch .LBB74_98
.LBB74_103:                             ;   in Loop: Header=BB74_100 Depth=2
	v_add_u32_e32 v3, s67, v3
	v_cmp_le_u32_e32 vcc, s46, v3
	s_mov_b64 s[42:43], 0
	s_orn2_b64 s[40:41], vcc, exec
	s_branch .LBB74_99
.LBB74_104:                             ;   in Loop: Header=BB74_11 Depth=1
	s_or_b64 exec, exec, s[30:31]
	v_lshrrev_b32_sdwa v45, v43, v5 dst_sel:DWORD dst_unused:UNUSED_PAD src0_sel:DWORD src1_sel:WORD_0
	s_and_b64 s[30:31], s[38:39], exec
.LBB74_105:                             ;   in Loop: Header=BB74_11 Depth=1
	s_or_b64 exec, exec, s[36:37]
.LBB74_106:                             ;   in Loop: Header=BB74_11 Depth=1
	s_and_b64 vcc, exec, s[34:35]
	s_cbranch_vccz .LBB74_117
; %bb.107:                              ;   in Loop: Header=BB74_11 Depth=1
                                        ; implicit-def: $vgpr45
	s_mov_b64 s[8:9], exec
	v_readlane_b32 s28, v81, 51
	v_readlane_b32 s29, v81, 52
	s_and_b64 s[28:29], s[8:9], s[28:29]
	s_mov_b64 exec, s[28:29]
	s_cbranch_execz .LBB74_116
; %bb.108:                              ;   in Loop: Header=BB74_11 Depth=1
	s_mov_b64 s[28:29], 0
	v_mov_b32_e32 v3, v18
	v_mov_b32_e32 v5, v0
                                        ; implicit-def: $sgpr34_sgpr35
	s_branch .LBB74_111
.LBB74_109:                             ;   in Loop: Header=BB74_111 Depth=2
	s_or_b64 exec, exec, s[36:37]
	s_waitcnt lgkmcnt(0)
	s_barrier
	ds_read_u16 v6, v21 offset:3072
	s_mov_b64 s[36:37], -1
	s_waitcnt lgkmcnt(0)
	s_barrier
	v_cmp_ne_u32_sdwa s[38:39], v6, v21 src0_sel:BYTE_0 src1_sel:DWORD
	s_and_b64 vcc, exec, s[38:39]
	s_mov_b64 s[38:39], -1
	s_cbranch_vccz .LBB74_114
.LBB74_110:                             ;   in Loop: Header=BB74_111 Depth=2
	s_and_b64 s[36:37], exec, s[36:37]
	s_or_b64 s[28:29], s[36:37], s[28:29]
	s_andn2_b64 s[34:35], s[34:35], exec
	s_and_b64 s[36:37], s[38:39], exec
	s_or_b64 s[34:35], s[34:35], s[36:37]
	s_andn2_b64 exec, exec, s[28:29]
	s_cbranch_execz .LBB74_115
.LBB74_111:                             ;   Parent Loop BB74_11 Depth=1
                                        ; =>  This Inner Loop Header: Depth=2
	v_cmp_gt_u32_e32 vcc, s64, v5
	s_and_saveexec_b64 s[36:37], vcc
	s_cbranch_execz .LBB74_109
; %bb.112:                              ;   in Loop: Header=BB74_111 Depth=2
	global_load_ubyte v6, v3, s[82:83]
	s_waitcnt vmcnt(0)
	v_bitop3_b32 v7, v6, s79, v44 bitop3:0x80
	v_cmp_eq_u32_e32 vcc, v7, v38
	s_and_b64 exec, exec, vcc
	s_cbranch_execz .LBB74_109
; %bb.113:                              ;   in Loop: Header=BB74_111 Depth=2
	v_lshlrev_b16_e32 v6, 8, v6
	v_or_b32_e32 v6, 1, v6
	ds_write_b16 v21, v6 offset:3072
	s_branch .LBB74_109
.LBB74_114:                             ;   in Loop: Header=BB74_111 Depth=2
	v_add_u32_e32 v5, s67, v5
	v_cmp_le_u32_e32 vcc, s97, v5
	v_add_u32_e32 v3, s99, v3
	s_mov_b64 s[38:39], 0
	s_orn2_b64 s[36:37], vcc, exec
	s_branch .LBB74_110
.LBB74_115:                             ;   in Loop: Header=BB74_11 Depth=1
	s_or_b64 exec, exec, s[28:29]
	s_andn2_b64 s[28:29], s[30:31], exec
	s_and_b64 s[30:31], s[34:35], exec
	v_lshrrev_b32_sdwa v45, v43, v6 dst_sel:DWORD dst_unused:UNUSED_PAD src0_sel:DWORD src1_sel:WORD_0
	s_or_b64 s[30:31], s[28:29], s[30:31]
.LBB74_116:                             ;   in Loop: Header=BB74_11 Depth=1
	s_or_b64 exec, exec, s[8:9]
	s_mov_b64 s[8:9], 0
	s_mov_b64 s[28:29], -1
.LBB74_117:                             ;   in Loop: Header=BB74_11 Depth=1
	s_orn2_b64 s[30:31], s[30:31], exec
.LBB74_118:                             ;   in Loop: Header=BB74_11 Depth=1
	s_or_b64 exec, exec, s[0:1]
	s_andn2_b64 s[0:1], s[74:75], exec
	s_and_b64 s[28:29], s[28:29], exec
	s_or_b64 s[74:75], s[0:1], s[28:29]
	s_andn2_b64 s[0:1], s[72:73], exec
	s_and_b64 s[8:9], s[8:9], exec
	v_readfirstlane_b32 s36, v0
	s_andn2_b64 s[14:15], s[14:15], exec
	s_or_b64 s[72:73], s[0:1], s[8:9]
                                        ; implicit-def: $vgpr5
	s_and_saveexec_b64 s[0:1], s[30:31]
	s_cbranch_execz .LBB74_10
; %bb.119:                              ;   in Loop: Header=BB74_11 Depth=1
	s_xor_b64 s[8:9], s[26:27], -1
	s_mov_b64 s[26:27], 0
	v_mov_b32_e32 v5, 1
	v_mov_b32_e32 v3, 1
	s_and_saveexec_b64 s[2:3], s[8:9]
	s_cbranch_execz .LBB74_128
; %bb.120:                              ;   in Loop: Header=BB74_11 Depth=1
	v_cmp_ge_u32_e32 vcc, s44, v46
	s_and_saveexec_b64 s[8:9], vcc
	s_xor_b64 s[8:9], exec, s[8:9]
	s_cbranch_execz .LBB74_125
; %bb.121:                              ;   in Loop: Header=BB74_11 Depth=1
	ds_read_b32 v3, v21 offset:4104
	v_and_b32_e32 v38, v38, v4
	v_or_b32_e32 v44, v44, v2
	s_waitcnt lgkmcnt(0)
	v_cmp_ne_u32_e32 vcc, 0, v3
	s_cbranch_vccnz .LBB74_125
; %bb.122:                              ;   in Loop: Header=BB74_11 Depth=1
	s_mov_b64 s[26:27], exec
	v_readlane_b32 s28, v81, 6
	v_readlane_b32 s29, v81, 7
	s_and_b64 s[28:29], s[26:27], s[28:29]
	s_mov_b64 exec, s[28:29]
; %bb.123:                              ;   in Loop: Header=BB74_11 Depth=1
	v_mov_b32_e32 v3, s44
	ds_write_b32 v21, v3 offset:4108
; %bb.124:                              ;   in Loop: Header=BB74_11 Depth=1
	s_or_b64 exec, exec, s[26:27]
	s_waitcnt lgkmcnt(0)
	s_barrier
.LBB74_125:                             ;   in Loop: Header=BB74_11 Depth=1
	s_or_saveexec_b64 s[8:9], s[8:9]
	s_mov_b64 s[26:27], 0
	v_mov_b32_e32 v3, 8
	s_xor_b64 exec, exec, s[8:9]
; %bb.126:                              ;   in Loop: Header=BB74_11 Depth=1
	s_mov_b64 s[26:27], exec
	v_subrev_u32_e32 v46, s44, v46
	v_mov_b32_e32 v3, 0
; %bb.127:                              ;   in Loop: Header=BB74_11 Depth=1
	s_or_b64 exec, exec, s[8:9]
	s_and_b64 s[26:27], s[26:27], exec
	v_mov_b32_e32 v5, v46
.LBB74_128:                             ;   in Loop: Header=BB74_11 Depth=1
	s_or_b64 exec, exec, s[2:3]
	s_mov_b64 s[2:3], -1
	s_mov_b64 s[8:9], -1
                                        ; implicit-def: $sgpr28_sgpr29
                                        ; implicit-def: $sgpr30_sgpr31
	s_and_saveexec_b64 s[34:35], s[26:27]
	s_xor_b64 s[26:27], exec, s[34:35]
	s_cbranch_execz .LBB74_245
; %bb.129:                              ;   in Loop: Header=BB74_11 Depth=1
	s_cmp_eq_u32 s48, 1
	s_cselect_b64 s[8:9], -1, 0
	v_cmp_eq_u32_e32 vcc, 1, v5
	s_and_b64 s[36:37], s[8:9], vcc
	s_mov_b64 s[38:39], -1
                                        ; implicit-def: $sgpr30_sgpr31
                                        ; implicit-def: $sgpr28_sgpr29
	s_and_saveexec_b64 s[8:9], s[36:37]
	s_cbranch_execz .LBB74_155
; %bb.130:                              ;   in Loop: Header=BB74_11 Depth=1
	ds_read_b32 v6, v21 offset:4104
	s_waitcnt lgkmcnt(0)
	s_barrier
	v_readfirstlane_b32 s49, v6
	s_and_saveexec_b64 s[28:29], s[6:7]
; %bb.131:                              ;   in Loop: Header=BB74_11 Depth=1
	ds_write_b8 v0, v21 offset:3072
; %bb.132:                              ;   in Loop: Header=BB74_11 Depth=1
	s_or_b64 exec, exec, s[28:29]
	v_and_b32_e32 v6, v38, v4
	v_lshl_or_b32 v38, 1, v41, v6
	v_or_b32_e32 v44, v44, v2
	s_mov_b64 s[28:29], -1
	s_mov_b64 s[30:31], 0
	s_cmp_eq_u32 s49, 0
	s_mov_b64 s[34:35], 0
	s_waitcnt lgkmcnt(0)
	s_barrier
                                        ; implicit-def: $vgpr45
	s_cbranch_scc1 .LBB74_143
; %bb.133:                              ;   in Loop: Header=BB74_11 Depth=1
	v_readlane_b32 s34, v81, 25
	s_add_i32 s34, s49, s34
	v_readlane_b32 s35, v81, 50
	s_mul_hi_u32 s35, s34, s35
	s_mul_i32 s35, s35, s67
	s_sub_i32 s35, s34, s35
	s_sub_i32 s38, s35, s67
	s_cmp_ge_u32 s35, s67
	s_cselect_b32 s35, s38, s35
	s_sub_i32 s38, s35, s67
	s_cmp_ge_u32 s35, s67
	s_cselect_b32 s35, s38, s35
	s_sub_i32 s50, s34, s35
	v_cmp_gt_u32_e32 vcc, s50, v0
	s_mov_b64 s[38:39], 0
	s_mov_b64 s[34:35], 0
                                        ; implicit-def: $vgpr45
	s_and_saveexec_b64 s[40:41], vcc
	s_cbranch_execz .LBB74_142
; %bb.134:                              ;   in Loop: Header=BB74_11 Depth=1
	v_mov_b32_e32 v6, v0
                                        ; implicit-def: $sgpr42_sgpr43
	s_branch .LBB74_137
.LBB74_135:                             ;   in Loop: Header=BB74_137 Depth=2
	s_or_b64 exec, exec, s[44:45]
	s_waitcnt lgkmcnt(0)
	s_barrier
	ds_read_u16 v7, v21 offset:3072
	s_mov_b64 s[44:45], -1
	s_waitcnt lgkmcnt(0)
	s_barrier
	v_cmp_ne_u32_sdwa s[46:47], v7, v21 src0_sel:BYTE_0 src1_sel:DWORD
	s_and_b64 vcc, exec, s[46:47]
	s_mov_b64 s[46:47], -1
	s_cbranch_vccz .LBB74_140
.LBB74_136:                             ;   in Loop: Header=BB74_137 Depth=2
	s_and_b64 s[44:45], exec, s[44:45]
	s_or_b64 s[34:35], s[44:45], s[34:35]
	s_andn2_b64 s[42:43], s[42:43], exec
	s_and_b64 s[44:45], s[46:47], exec
	s_or_b64 s[42:43], s[42:43], s[44:45]
	s_andn2_b64 exec, exec, s[34:35]
	s_cbranch_execz .LBB74_141
.LBB74_137:                             ;   Parent Loop BB74_11 Depth=1
                                        ; =>  This Inner Loop Header: Depth=2
	v_cmp_gt_u32_e32 vcc, s49, v6
	s_and_saveexec_b64 s[44:45], vcc
	s_cbranch_execz .LBB74_135
; %bb.138:                              ;   in Loop: Header=BB74_137 Depth=2
	ds_read_u8 v7, v6
	s_waitcnt lgkmcnt(0)
	v_bitop3_b32 v8, v7, s79, v44 bitop3:0x80
	v_cmp_eq_u32_e32 vcc, v8, v38
	s_and_b64 exec, exec, vcc
	s_cbranch_execz .LBB74_135
; %bb.139:                              ;   in Loop: Header=BB74_137 Depth=2
	v_lshlrev_b16_e32 v7, 8, v7
	v_or_b32_e32 v7, 1, v7
	ds_write_b16 v21, v7 offset:3072
	s_branch .LBB74_135
.LBB74_140:                             ;   in Loop: Header=BB74_137 Depth=2
	v_add_u32_e32 v6, s67, v6
	v_cmp_le_u32_e32 vcc, s50, v6
	s_mov_b64 s[46:47], 0
	s_orn2_b64 s[44:45], vcc, exec
	s_branch .LBB74_136
.LBB74_141:                             ;   in Loop: Header=BB74_11 Depth=1
	s_or_b64 exec, exec, s[34:35]
	v_lshrrev_b32_sdwa v45, v43, v7 dst_sel:DWORD dst_unused:UNUSED_PAD src0_sel:DWORD src1_sel:WORD_0
	s_and_b64 s[34:35], s[42:43], exec
.LBB74_142:                             ;   in Loop: Header=BB74_11 Depth=1
	s_or_b64 exec, exec, s[40:41]
.LBB74_143:                             ;   in Loop: Header=BB74_11 Depth=1
	s_and_b64 vcc, exec, s[38:39]
	s_cbranch_vccz .LBB74_154
; %bb.144:                              ;   in Loop: Header=BB74_11 Depth=1
                                        ; implicit-def: $vgpr45
	s_mov_b64 s[28:29], exec
	v_readlane_b32 s30, v81, 51
	v_readlane_b32 s31, v81, 52
	s_and_b64 s[30:31], s[28:29], s[30:31]
	s_mov_b64 exec, s[30:31]
	s_cbranch_execz .LBB74_153
; %bb.145:                              ;   in Loop: Header=BB74_11 Depth=1
	s_mov_b64 s[30:31], 0
	v_mov_b32_e32 v6, v18
	v_mov_b32_e32 v7, v0
                                        ; implicit-def: $sgpr38_sgpr39
	s_branch .LBB74_148
.LBB74_146:                             ;   in Loop: Header=BB74_148 Depth=2
	s_or_b64 exec, exec, s[40:41]
	s_waitcnt lgkmcnt(0)
	s_barrier
	ds_read_u16 v8, v21 offset:3072
	s_mov_b64 s[40:41], -1
	s_waitcnt lgkmcnt(0)
	s_barrier
	v_cmp_eq_u32_sdwa s[42:43], v8, v21 src0_sel:BYTE_0 src1_sel:DWORD
	s_and_b64 vcc, exec, s[42:43]
	s_mov_b64 s[42:43], -1
	s_cbranch_vccnz .LBB74_151
.LBB74_147:                             ;   in Loop: Header=BB74_148 Depth=2
	s_and_b64 s[40:41], exec, s[40:41]
	s_or_b64 s[30:31], s[40:41], s[30:31]
	s_andn2_b64 s[38:39], s[38:39], exec
	s_and_b64 s[40:41], s[42:43], exec
	s_or_b64 s[38:39], s[38:39], s[40:41]
	s_andn2_b64 exec, exec, s[30:31]
	s_cbranch_execz .LBB74_152
.LBB74_148:                             ;   Parent Loop BB74_11 Depth=1
                                        ; =>  This Inner Loop Header: Depth=2
	v_cmp_gt_u32_e32 vcc, s64, v7
	s_and_saveexec_b64 s[40:41], vcc
	s_cbranch_execz .LBB74_146
; %bb.149:                              ;   in Loop: Header=BB74_148 Depth=2
	global_load_ubyte v8, v6, s[82:83]
	s_waitcnt vmcnt(0)
	v_bitop3_b32 v9, v8, s79, v44 bitop3:0x80
	v_cmp_eq_u32_e32 vcc, v9, v38
	s_and_b64 exec, exec, vcc
	s_cbranch_execz .LBB74_146
; %bb.150:                              ;   in Loop: Header=BB74_148 Depth=2
	v_lshlrev_b16_e32 v8, 8, v8
	v_or_b32_e32 v8, 1, v8
	ds_write_b16 v21, v8 offset:3072
	s_branch .LBB74_146
.LBB74_151:                             ;   in Loop: Header=BB74_148 Depth=2
	v_add_u32_e32 v7, s67, v7
	v_cmp_le_u32_e32 vcc, s97, v7
	v_add_u32_e32 v6, s99, v6
	s_mov_b64 s[42:43], 0
	s_orn2_b64 s[40:41], vcc, exec
	s_branch .LBB74_147
.LBB74_152:                             ;   in Loop: Header=BB74_11 Depth=1
	s_or_b64 exec, exec, s[30:31]
	s_andn2_b64 s[30:31], s[34:35], exec
	s_and_b64 s[34:35], s[38:39], exec
	v_lshrrev_b32_sdwa v45, v43, v8 dst_sel:DWORD dst_unused:UNUSED_PAD src0_sel:DWORD src1_sel:WORD_0
	s_or_b64 s[34:35], s[30:31], s[34:35]
.LBB74_153:                             ;   in Loop: Header=BB74_11 Depth=1
	s_or_b64 exec, exec, s[28:29]
	s_mov_b64 s[28:29], 0
	s_mov_b64 s[30:31], -1
.LBB74_154:                             ;   in Loop: Header=BB74_11 Depth=1
	s_orn2_b64 s[38:39], s[34:35], exec
.LBB74_155:                             ;   in Loop: Header=BB74_11 Depth=1
	s_or_b64 exec, exec, s[8:9]
	s_mov_b64 s[8:9], 0
	s_and_saveexec_b64 s[34:35], s[38:39]
	s_cbranch_execz .LBB74_244
; %bb.156:                              ;   in Loop: Header=BB74_11 Depth=1
	s_xor_b64 s[36:37], s[36:37], -1
	s_mov_b64 s[42:43], 0
	v_mov_b32_e32 v6, 1
	v_mov_b32_e32 v3, 1
	s_and_saveexec_b64 s[8:9], s[36:37]
	s_cbranch_execz .LBB74_165
; %bb.157:                              ;   in Loop: Header=BB74_11 Depth=1
	v_cmp_ge_u32_e32 vcc, s48, v5
	s_and_saveexec_b64 s[36:37], vcc
	s_xor_b64 s[36:37], exec, s[36:37]
	s_cbranch_execz .LBB74_162
; %bb.158:                              ;   in Loop: Header=BB74_11 Depth=1
	ds_read_b32 v3, v21 offset:4104
	v_and_b32_e32 v6, v38, v4
	v_lshl_or_b32 v38, 1, v41, v6
	v_or_b32_e32 v44, v44, v2
	s_waitcnt lgkmcnt(0)
	v_cmp_ne_u32_e32 vcc, 0, v3
	s_cbranch_vccnz .LBB74_162
; %bb.159:                              ;   in Loop: Header=BB74_11 Depth=1
	s_mov_b64 s[38:39], exec
	v_readlane_b32 s40, v81, 6
	v_readlane_b32 s41, v81, 7
	s_and_b64 s[40:41], s[38:39], s[40:41]
	s_mov_b64 exec, s[40:41]
; %bb.160:                              ;   in Loop: Header=BB74_11 Depth=1
	v_mov_b32_e32 v3, s48
	ds_write_b32 v21, v3 offset:4108
; %bb.161:                              ;   in Loop: Header=BB74_11 Depth=1
	s_or_b64 exec, exec, s[38:39]
	s_waitcnt lgkmcnt(0)
	s_barrier
.LBB74_162:                             ;   in Loop: Header=BB74_11 Depth=1
	s_or_saveexec_b64 s[36:37], s[36:37]
	s_mov_b64 s[38:39], 0
	v_mov_b32_e32 v3, 8
	s_xor_b64 exec, exec, s[36:37]
; %bb.163:                              ;   in Loop: Header=BB74_11 Depth=1
	s_mov_b64 s[38:39], exec
	v_subrev_u32_e32 v5, s48, v5
	v_mov_b32_e32 v3, 0
; %bb.164:                              ;   in Loop: Header=BB74_11 Depth=1
	s_or_b64 exec, exec, s[36:37]
	s_and_b64 s[42:43], s[38:39], exec
	v_mov_b32_e32 v6, v5
.LBB74_165:                             ;   in Loop: Header=BB74_11 Depth=1
	s_or_b64 exec, exec, s[8:9]
	s_mov_b64 s[8:9], -1
                                        ; implicit-def: $sgpr38_sgpr39
                                        ; implicit-def: $sgpr40_sgpr41
	s_and_saveexec_b64 s[36:37], s[42:43]
	s_cbranch_execz .LBB74_243
; %bb.166:                              ;   in Loop: Header=BB74_11 Depth=1
	s_cmp_eq_u32 s56, 1
	s_cselect_b64 s[8:9], -1, 0
	v_cmp_eq_u32_e32 vcc, 1, v6
	s_and_b64 s[44:45], s[8:9], vcc
	s_mov_b64 s[46:47], -1
                                        ; implicit-def: $sgpr40_sgpr41
                                        ; implicit-def: $sgpr38_sgpr39
	s_and_saveexec_b64 s[8:9], s[44:45]
	s_cbranch_execz .LBB74_192
; %bb.167:                              ;   in Loop: Header=BB74_11 Depth=1
	ds_read_b32 v5, v21 offset:4104
	s_waitcnt lgkmcnt(0)
	s_barrier
	v_readfirstlane_b32 s57, v5
	s_and_saveexec_b64 s[38:39], s[6:7]
; %bb.168:                              ;   in Loop: Header=BB74_11 Depth=1
	ds_write_b8 v0, v21 offset:3072
; %bb.169:                              ;   in Loop: Header=BB74_11 Depth=1
	s_or_b64 exec, exec, s[38:39]
	v_and_b32_e32 v5, v38, v4
	v_lshl_or_b32 v38, 2, v41, v5
	v_or_b32_e32 v44, v44, v2
	s_mov_b64 s[38:39], -1
	s_mov_b64 s[40:41], 0
	s_cmp_eq_u32 s57, 0
	s_mov_b64 s[42:43], 0
	s_waitcnt lgkmcnt(0)
	s_barrier
                                        ; implicit-def: $vgpr45
	s_cbranch_scc1 .LBB74_180
; %bb.170:                              ;   in Loop: Header=BB74_11 Depth=1
	v_readlane_b32 s42, v81, 25
	s_add_i32 s42, s57, s42
	v_readlane_b32 s43, v81, 50
	s_mul_hi_u32 s43, s42, s43
	s_mul_i32 s43, s43, s67
	s_sub_i32 s43, s42, s43
	s_sub_i32 s46, s43, s67
	s_cmp_ge_u32 s43, s67
	s_cselect_b32 s43, s46, s43
	s_sub_i32 s46, s43, s67
	s_cmp_ge_u32 s43, s67
	s_cselect_b32 s43, s46, s43
	s_sub_i32 s58, s42, s43
	v_cmp_gt_u32_e32 vcc, s58, v0
	s_mov_b64 s[46:47], 0
	s_mov_b64 s[42:43], 0
                                        ; implicit-def: $vgpr45
	s_and_saveexec_b64 s[48:49], vcc
	s_cbranch_execz .LBB74_179
; %bb.171:                              ;   in Loop: Header=BB74_11 Depth=1
	v_mov_b32_e32 v5, v0
                                        ; implicit-def: $sgpr50_sgpr51
	s_branch .LBB74_174
.LBB74_172:                             ;   in Loop: Header=BB74_174 Depth=2
	s_or_b64 exec, exec, s[52:53]
	s_waitcnt lgkmcnt(0)
	s_barrier
	ds_read_u16 v7, v21 offset:3072
	s_mov_b64 s[52:53], -1
	s_waitcnt lgkmcnt(0)
	s_barrier
	v_cmp_ne_u32_sdwa s[54:55], v7, v21 src0_sel:BYTE_0 src1_sel:DWORD
	s_and_b64 vcc, exec, s[54:55]
	s_mov_b64 s[54:55], -1
	s_cbranch_vccz .LBB74_177
.LBB74_173:                             ;   in Loop: Header=BB74_174 Depth=2
	s_and_b64 s[52:53], exec, s[52:53]
	s_or_b64 s[42:43], s[52:53], s[42:43]
	s_andn2_b64 s[50:51], s[50:51], exec
	s_and_b64 s[52:53], s[54:55], exec
	s_or_b64 s[50:51], s[50:51], s[52:53]
	s_andn2_b64 exec, exec, s[42:43]
	s_cbranch_execz .LBB74_178
.LBB74_174:                             ;   Parent Loop BB74_11 Depth=1
                                        ; =>  This Inner Loop Header: Depth=2
	v_cmp_gt_u32_e32 vcc, s57, v5
	s_and_saveexec_b64 s[52:53], vcc
	s_cbranch_execz .LBB74_172
; %bb.175:                              ;   in Loop: Header=BB74_174 Depth=2
	ds_read_u8 v7, v5
	s_waitcnt lgkmcnt(0)
	v_bitop3_b32 v8, v7, s79, v44 bitop3:0x80
	v_cmp_eq_u32_e32 vcc, v8, v38
	s_and_b64 exec, exec, vcc
	s_cbranch_execz .LBB74_172
; %bb.176:                              ;   in Loop: Header=BB74_174 Depth=2
	v_lshlrev_b16_e32 v7, 8, v7
	v_or_b32_e32 v7, 1, v7
	ds_write_b16 v21, v7 offset:3072
	s_branch .LBB74_172
.LBB74_177:                             ;   in Loop: Header=BB74_174 Depth=2
	v_add_u32_e32 v5, s67, v5
	v_cmp_le_u32_e32 vcc, s58, v5
	s_mov_b64 s[54:55], 0
	s_orn2_b64 s[52:53], vcc, exec
	s_branch .LBB74_173
.LBB74_178:                             ;   in Loop: Header=BB74_11 Depth=1
	s_or_b64 exec, exec, s[42:43]
	v_lshrrev_b32_sdwa v45, v43, v7 dst_sel:DWORD dst_unused:UNUSED_PAD src0_sel:DWORD src1_sel:WORD_0
	s_and_b64 s[42:43], s[50:51], exec
.LBB74_179:                             ;   in Loop: Header=BB74_11 Depth=1
	s_or_b64 exec, exec, s[48:49]
.LBB74_180:                             ;   in Loop: Header=BB74_11 Depth=1
	s_and_b64 vcc, exec, s[46:47]
	s_cbranch_vccz .LBB74_191
; %bb.181:                              ;   in Loop: Header=BB74_11 Depth=1
                                        ; implicit-def: $vgpr45
	s_mov_b64 s[38:39], exec
	v_readlane_b32 s40, v81, 51
	v_readlane_b32 s41, v81, 52
	s_and_b64 s[40:41], s[38:39], s[40:41]
	s_mov_b64 exec, s[40:41]
	s_cbranch_execz .LBB74_190
; %bb.182:                              ;   in Loop: Header=BB74_11 Depth=1
	s_mov_b64 s[40:41], 0
	v_mov_b32_e32 v5, v18
	v_mov_b32_e32 v7, v0
                                        ; implicit-def: $sgpr46_sgpr47
	s_branch .LBB74_185
.LBB74_183:                             ;   in Loop: Header=BB74_185 Depth=2
	s_or_b64 exec, exec, s[48:49]
	s_waitcnt lgkmcnt(0)
	s_barrier
	ds_read_u16 v8, v21 offset:3072
	s_mov_b64 s[48:49], -1
	s_waitcnt lgkmcnt(0)
	s_barrier
	v_cmp_eq_u32_sdwa s[50:51], v8, v21 src0_sel:BYTE_0 src1_sel:DWORD
	s_and_b64 vcc, exec, s[50:51]
	s_mov_b64 s[50:51], -1
	s_cbranch_vccnz .LBB74_188
.LBB74_184:                             ;   in Loop: Header=BB74_185 Depth=2
	s_and_b64 s[48:49], exec, s[48:49]
	s_or_b64 s[40:41], s[48:49], s[40:41]
	s_andn2_b64 s[46:47], s[46:47], exec
	s_and_b64 s[48:49], s[50:51], exec
	s_or_b64 s[46:47], s[46:47], s[48:49]
	s_andn2_b64 exec, exec, s[40:41]
	s_cbranch_execz .LBB74_189
.LBB74_185:                             ;   Parent Loop BB74_11 Depth=1
                                        ; =>  This Inner Loop Header: Depth=2
	v_cmp_gt_u32_e32 vcc, s64, v7
	s_and_saveexec_b64 s[48:49], vcc
	s_cbranch_execz .LBB74_183
; %bb.186:                              ;   in Loop: Header=BB74_185 Depth=2
	global_load_ubyte v8, v5, s[82:83]
	s_waitcnt vmcnt(0)
	v_bitop3_b32 v9, v8, s79, v44 bitop3:0x80
	v_cmp_eq_u32_e32 vcc, v9, v38
	s_and_b64 exec, exec, vcc
	s_cbranch_execz .LBB74_183
; %bb.187:                              ;   in Loop: Header=BB74_185 Depth=2
	v_lshlrev_b16_e32 v8, 8, v8
	v_or_b32_e32 v8, 1, v8
	ds_write_b16 v21, v8 offset:3072
	s_branch .LBB74_183
.LBB74_188:                             ;   in Loop: Header=BB74_185 Depth=2
	v_add_u32_e32 v7, s67, v7
	v_cmp_le_u32_e32 vcc, s97, v7
	v_add_u32_e32 v5, s99, v5
	s_mov_b64 s[50:51], 0
	s_orn2_b64 s[48:49], vcc, exec
	s_branch .LBB74_184
.LBB74_189:                             ;   in Loop: Header=BB74_11 Depth=1
	s_or_b64 exec, exec, s[40:41]
	s_andn2_b64 s[40:41], s[42:43], exec
	s_and_b64 s[42:43], s[46:47], exec
	v_lshrrev_b32_sdwa v45, v43, v8 dst_sel:DWORD dst_unused:UNUSED_PAD src0_sel:DWORD src1_sel:WORD_0
	s_or_b64 s[42:43], s[40:41], s[42:43]
.LBB74_190:                             ;   in Loop: Header=BB74_11 Depth=1
	s_or_b64 exec, exec, s[38:39]
	s_mov_b64 s[38:39], 0
	s_mov_b64 s[40:41], -1
.LBB74_191:                             ;   in Loop: Header=BB74_11 Depth=1
	s_orn2_b64 s[46:47], s[42:43], exec
.LBB74_192:                             ;   in Loop: Header=BB74_11 Depth=1
	s_or_b64 exec, exec, s[8:9]
	s_mov_b64 s[8:9], 0
	s_and_saveexec_b64 s[42:43], s[46:47]
	s_cbranch_execz .LBB74_242
; %bb.193:                              ;   in Loop: Header=BB74_11 Depth=1
	s_xor_b64 s[44:45], s[44:45], -1
	s_mov_b64 s[50:51], 0
	v_mov_b32_e32 v5, 1
	v_mov_b32_e32 v3, 1
	s_and_saveexec_b64 s[8:9], s[44:45]
	s_cbranch_execz .LBB74_202
; %bb.194:                              ;   in Loop: Header=BB74_11 Depth=1
	v_cmp_ge_u32_e32 vcc, s56, v6
	s_and_saveexec_b64 s[44:45], vcc
	s_xor_b64 s[44:45], exec, s[44:45]
	s_cbranch_execz .LBB74_199
; %bb.195:                              ;   in Loop: Header=BB74_11 Depth=1
	ds_read_b32 v3, v21 offset:4104
	v_and_b32_e32 v4, v38, v4
	v_lshl_or_b32 v38, 2, v41, v4
	v_or_b32_e32 v44, v44, v2
	s_waitcnt lgkmcnt(0)
	v_cmp_ne_u32_e32 vcc, 0, v3
	s_cbranch_vccnz .LBB74_199
; %bb.196:                              ;   in Loop: Header=BB74_11 Depth=1
	s_mov_b64 s[46:47], exec
	v_readlane_b32 s48, v81, 6
	v_readlane_b32 s49, v81, 7
	s_and_b64 s[48:49], s[46:47], s[48:49]
	s_mov_b64 exec, s[48:49]
; %bb.197:                              ;   in Loop: Header=BB74_11 Depth=1
	v_mov_b32_e32 v3, s56
	ds_write_b32 v21, v3 offset:4108
; %bb.198:                              ;   in Loop: Header=BB74_11 Depth=1
	s_or_b64 exec, exec, s[46:47]
	s_waitcnt lgkmcnt(0)
	s_barrier
.LBB74_199:                             ;   in Loop: Header=BB74_11 Depth=1
	s_or_saveexec_b64 s[44:45], s[44:45]
	s_mov_b64 s[46:47], 0
	v_mov_b32_e32 v3, 8
	s_xor_b64 exec, exec, s[44:45]
; %bb.200:                              ;   in Loop: Header=BB74_11 Depth=1
	s_mov_b64 s[46:47], exec
	v_subrev_u32_e32 v6, s56, v6
	v_mov_b32_e32 v3, 0
; %bb.201:                              ;   in Loop: Header=BB74_11 Depth=1
	s_or_b64 exec, exec, s[44:45]
	s_and_b64 s[50:51], s[46:47], exec
	v_mov_b32_e32 v5, v6
.LBB74_202:                             ;   in Loop: Header=BB74_11 Depth=1
	s_or_b64 exec, exec, s[8:9]
	s_mov_b64 s[8:9], -1
                                        ; implicit-def: $sgpr48_sgpr49
                                        ; implicit-def: $sgpr46_sgpr47
	s_and_saveexec_b64 s[44:45], s[50:51]
	s_cbranch_execz .LBB74_241
; %bb.203:                              ;   in Loop: Header=BB74_11 Depth=1
	s_cmp_eq_u32 s21, 1
	s_cselect_b64 s[8:9], -1, 0
	v_cmp_eq_u32_e32 vcc, 1, v5
	s_and_b64 s[50:51], s[8:9], vcc
	s_mov_b64 s[52:53], -1
                                        ; implicit-def: $sgpr48_sgpr49
                                        ; implicit-def: $sgpr46_sgpr47
	s_and_saveexec_b64 s[8:9], s[50:51]
	s_cbranch_execz .LBB74_229
; %bb.204:                              ;   in Loop: Header=BB74_11 Depth=1
	ds_read_b32 v4, v21 offset:4104
	s_waitcnt lgkmcnt(0)
	s_barrier
	v_readfirstlane_b32 s68, v4
	s_and_saveexec_b64 s[46:47], s[6:7]
; %bb.205:                              ;   in Loop: Header=BB74_11 Depth=1
	ds_write_b8 v0, v21 offset:3072
; %bb.206:                              ;   in Loop: Header=BB74_11 Depth=1
	s_or_b64 exec, exec, s[46:47]
	v_or_b32_e32 v38, v38, v2
	v_or_b32_e32 v44, v44, v2
	s_mov_b64 s[46:47], -1
	s_mov_b64 s[48:49], 0
	s_cmp_eq_u32 s68, 0
	s_mov_b64 s[52:53], 0
	s_mov_b64 s[54:55], -1
	s_waitcnt lgkmcnt(0)
	s_barrier
                                        ; implicit-def: $vgpr45
	s_cbranch_scc1 .LBB74_217
; %bb.207:                              ;   in Loop: Header=BB74_11 Depth=1
	v_readlane_b32 s52, v81, 25
	s_add_i32 s52, s68, s52
	v_readlane_b32 s53, v81, 50
	s_mul_hi_u32 s53, s52, s53
	s_mul_i32 s53, s53, s67
	s_sub_i32 s53, s52, s53
	s_sub_i32 s54, s53, s67
	s_cmp_ge_u32 s53, s67
	s_cselect_b32 s53, s54, s53
	s_sub_i32 s54, s53, s67
	s_cmp_ge_u32 s53, s67
	s_cselect_b32 s53, s54, s53
	s_sub_i32 s69, s52, s53
	v_cmp_gt_u32_e32 vcc, s69, v0
	s_mov_b64 s[54:55], 0
	s_mov_b64 s[52:53], 0
                                        ; implicit-def: $vgpr45
	s_and_saveexec_b64 s[56:57], vcc
	s_cbranch_execz .LBB74_216
; %bb.208:                              ;   in Loop: Header=BB74_11 Depth=1
	v_mov_b32_e32 v4, v0
                                        ; implicit-def: $sgpr58_sgpr59
	s_branch .LBB74_211
.LBB74_209:                             ;   in Loop: Header=BB74_211 Depth=2
	s_or_b64 exec, exec, s[60:61]
	s_waitcnt lgkmcnt(0)
	s_barrier
	ds_read_u16 v6, v21 offset:3072
	s_mov_b64 s[60:61], -1
	s_waitcnt lgkmcnt(0)
	s_barrier
	v_cmp_ne_u32_sdwa s[62:63], v6, v21 src0_sel:BYTE_0 src1_sel:DWORD
	s_and_b64 vcc, exec, s[62:63]
	s_mov_b64 s[62:63], -1
	s_cbranch_vccz .LBB74_214
.LBB74_210:                             ;   in Loop: Header=BB74_211 Depth=2
	s_and_b64 s[60:61], exec, s[60:61]
	s_or_b64 s[52:53], s[60:61], s[52:53]
	s_andn2_b64 s[58:59], s[58:59], exec
	s_and_b64 s[60:61], s[62:63], exec
	s_or_b64 s[58:59], s[58:59], s[60:61]
	s_andn2_b64 exec, exec, s[52:53]
	s_cbranch_execz .LBB74_215
.LBB74_211:                             ;   Parent Loop BB74_11 Depth=1
                                        ; =>  This Inner Loop Header: Depth=2
	v_cmp_gt_u32_e32 vcc, s68, v4
	s_and_saveexec_b64 s[60:61], vcc
	s_cbranch_execz .LBB74_209
; %bb.212:                              ;   in Loop: Header=BB74_211 Depth=2
	ds_read_u8 v6, v4
	s_waitcnt lgkmcnt(0)
	v_bitop3_b32 v7, v6, s79, v44 bitop3:0x80
	v_cmp_eq_u32_e32 vcc, v7, v38
	s_and_b64 exec, exec, vcc
	s_cbranch_execz .LBB74_209
; %bb.213:                              ;   in Loop: Header=BB74_211 Depth=2
	v_lshlrev_b16_e32 v6, 8, v6
	v_or_b32_e32 v6, 1, v6
	ds_write_b16 v21, v6 offset:3072
	s_branch .LBB74_209
.LBB74_214:                             ;   in Loop: Header=BB74_211 Depth=2
	v_add_u32_e32 v4, s67, v4
	v_cmp_le_u32_e32 vcc, s69, v4
	s_mov_b64 s[62:63], 0
	s_orn2_b64 s[60:61], vcc, exec
	s_branch .LBB74_210
.LBB74_215:                             ;   in Loop: Header=BB74_11 Depth=1
	s_or_b64 exec, exec, s[52:53]
	v_lshrrev_b32_sdwa v45, v43, v6 dst_sel:DWORD dst_unused:UNUSED_PAD src0_sel:DWORD src1_sel:WORD_0
	s_and_b64 s[52:53], s[58:59], exec
	s_mov_b32 s60, s80
	s_mov_b32 s61, s76
	;; [unrolled: 1-line block ×5, first 2 shown]
.LBB74_216:                             ;   in Loop: Header=BB74_11 Depth=1
	s_or_b64 exec, exec, s[56:57]
.LBB74_217:                             ;   in Loop: Header=BB74_11 Depth=1
	s_and_b64 vcc, exec, s[54:55]
	s_cbranch_vccz .LBB74_228
; %bb.218:                              ;   in Loop: Header=BB74_11 Depth=1
                                        ; implicit-def: $vgpr45
	s_mov_b64 s[46:47], exec
	v_readlane_b32 s48, v81, 51
	v_readlane_b32 s49, v81, 52
	s_and_b64 s[48:49], s[46:47], s[48:49]
	s_mov_b64 exec, s[48:49]
	s_cbranch_execz .LBB74_227
; %bb.219:                              ;   in Loop: Header=BB74_11 Depth=1
	s_mov_b64 s[48:49], 0
	v_mov_b32_e32 v4, v18
	v_mov_b32_e32 v6, v0
                                        ; implicit-def: $sgpr54_sgpr55
	s_branch .LBB74_222
.LBB74_220:                             ;   in Loop: Header=BB74_222 Depth=2
	s_or_b64 exec, exec, s[56:57]
	s_waitcnt lgkmcnt(0)
	s_barrier
	ds_read_u16 v7, v21 offset:3072
	s_mov_b64 s[56:57], -1
	s_waitcnt lgkmcnt(0)
	s_barrier
	v_cmp_eq_u32_sdwa s[58:59], v7, v21 src0_sel:BYTE_0 src1_sel:DWORD
	s_and_b64 vcc, exec, s[58:59]
	s_mov_b64 s[58:59], -1
	s_cbranch_vccnz .LBB74_225
.LBB74_221:                             ;   in Loop: Header=BB74_222 Depth=2
	s_and_b64 s[56:57], exec, s[56:57]
	s_or_b64 s[48:49], s[56:57], s[48:49]
	s_andn2_b64 s[54:55], s[54:55], exec
	s_and_b64 s[56:57], s[58:59], exec
	s_or_b64 s[54:55], s[54:55], s[56:57]
	s_andn2_b64 exec, exec, s[48:49]
	s_cbranch_execz .LBB74_226
.LBB74_222:                             ;   Parent Loop BB74_11 Depth=1
                                        ; =>  This Inner Loop Header: Depth=2
	v_cmp_gt_u32_e32 vcc, s64, v6
	s_and_saveexec_b64 s[56:57], vcc
	s_cbranch_execz .LBB74_220
; %bb.223:                              ;   in Loop: Header=BB74_222 Depth=2
	global_load_ubyte v7, v4, s[82:83]
	s_waitcnt vmcnt(0)
	v_bitop3_b32 v8, v7, s79, v44 bitop3:0x80
	v_cmp_eq_u32_e32 vcc, v8, v38
	s_and_b64 exec, exec, vcc
	s_cbranch_execz .LBB74_220
; %bb.224:                              ;   in Loop: Header=BB74_222 Depth=2
	v_lshlrev_b16_e32 v7, 8, v7
	v_or_b32_e32 v7, 1, v7
	ds_write_b16 v21, v7 offset:3072
	s_branch .LBB74_220
.LBB74_225:                             ;   in Loop: Header=BB74_222 Depth=2
	v_add_u32_e32 v6, s67, v6
	v_cmp_le_u32_e32 vcc, s97, v6
	v_add_u32_e32 v4, s99, v4
	s_mov_b64 s[58:59], 0
	s_orn2_b64 s[56:57], vcc, exec
	s_branch .LBB74_221
.LBB74_226:                             ;   in Loop: Header=BB74_11 Depth=1
	s_or_b64 exec, exec, s[48:49]
	s_andn2_b64 s[48:49], s[52:53], exec
	s_and_b64 s[52:53], s[54:55], exec
	v_lshrrev_b32_sdwa v45, v43, v7 dst_sel:DWORD dst_unused:UNUSED_PAD src0_sel:DWORD src1_sel:WORD_0
	s_or_b64 s[52:53], s[48:49], s[52:53]
.LBB74_227:                             ;   in Loop: Header=BB74_11 Depth=1
	s_or_b64 exec, exec, s[46:47]
	s_mov_b64 s[46:47], 0
	s_mov_b64 s[48:49], -1
.LBB74_228:                             ;   in Loop: Header=BB74_11 Depth=1
	s_orn2_b64 s[52:53], s[52:53], exec
.LBB74_229:                             ;   in Loop: Header=BB74_11 Depth=1
	s_or_b64 exec, exec, s[8:9]
	s_mov_b64 s[54:55], 0
	s_and_saveexec_b64 s[8:9], s[52:53]
	s_cbranch_execz .LBB74_240
; %bb.230:                              ;   in Loop: Header=BB74_11 Depth=1
	s_xor_b64 s[52:53], s[50:51], -1
	v_mov_b32_e32 v3, 1
	v_mov_b32_e32 v4, 1
	s_and_saveexec_b64 s[50:51], s[52:53]
	s_cbranch_execz .LBB74_239
; %bb.231:                              ;   in Loop: Header=BB74_11 Depth=1
	v_cmp_ge_u32_e32 vcc, s21, v5
	s_and_saveexec_b64 s[52:53], vcc
	s_xor_b64 s[52:53], exec, s[52:53]
	s_cbranch_execz .LBB74_236
; %bb.232:                              ;   in Loop: Header=BB74_11 Depth=1
	ds_read_b32 v3, v21 offset:4104
	v_or_b32_e32 v38, v38, v2
	v_or_b32_e32 v44, v44, v2
	s_waitcnt lgkmcnt(0)
	v_cmp_ne_u32_e32 vcc, 0, v3
	s_cbranch_vccnz .LBB74_236
; %bb.233:                              ;   in Loop: Header=BB74_11 Depth=1
	s_mov_b64 s[54:55], exec
	v_readlane_b32 s56, v81, 6
	v_readlane_b32 s57, v81, 7
	s_and_b64 s[56:57], s[54:55], s[56:57]
	s_mov_b64 exec, s[56:57]
; %bb.234:                              ;   in Loop: Header=BB74_11 Depth=1
	v_mov_b32_e32 v2, s21
	ds_write_b32 v21, v2 offset:4108
; %bb.235:                              ;   in Loop: Header=BB74_11 Depth=1
	s_or_b64 exec, exec, s[54:55]
	s_waitcnt lgkmcnt(0)
	s_barrier
.LBB74_236:                             ;   in Loop: Header=BB74_11 Depth=1
	s_andn2_saveexec_b64 s[52:53], s[52:53]
; %bb.237:                              ;   in Loop: Header=BB74_11 Depth=1
	v_subrev_u32_e32 v5, s21, v5
; %bb.238:                              ;   in Loop: Header=BB74_11 Depth=1
	s_or_b64 exec, exec, s[52:53]
	v_mov_b32_e32 v3, 8
	v_mov_b32_e32 v4, v5
.LBB74_239:                             ;   in Loop: Header=BB74_11 Depth=1
	s_or_b64 exec, exec, s[50:51]
	s_mov_b64 s[54:55], exec
	v_mov_b32_e32 v5, v4
.LBB74_240:                             ;   in Loop: Header=BB74_11 Depth=1
	s_or_b64 exec, exec, s[8:9]
	s_orn2_b64 s[8:9], s[54:55], exec
.LBB74_241:                             ;   in Loop: Header=BB74_11 Depth=1
	s_or_b64 exec, exec, s[44:45]
	s_andn2_b64 s[40:41], s[40:41], exec
	s_and_b64 s[44:45], s[48:49], exec
	s_or_b64 s[40:41], s[40:41], s[44:45]
	s_andn2_b64 s[38:39], s[38:39], exec
	s_and_b64 s[44:45], s[46:47], exec
	s_or_b64 s[38:39], s[38:39], s[44:45]
	s_and_b64 s[8:9], s[8:9], exec
	v_mov_b32_e32 v6, v5
.LBB74_242:                             ;   in Loop: Header=BB74_11 Depth=1
	s_or_b64 exec, exec, s[42:43]
	s_orn2_b64 s[8:9], s[8:9], exec
.LBB74_243:                             ;   in Loop: Header=BB74_11 Depth=1
	s_or_b64 exec, exec, s[36:37]
	s_andn2_b64 s[30:31], s[30:31], exec
	s_and_b64 s[36:37], s[40:41], exec
	s_or_b64 s[30:31], s[30:31], s[36:37]
	s_andn2_b64 s[28:29], s[28:29], exec
	s_and_b64 s[36:37], s[38:39], exec
	s_or_b64 s[28:29], s[28:29], s[36:37]
	s_and_b64 s[8:9], s[8:9], exec
	v_mov_b32_e32 v5, v6
.LBB74_244:                             ;   in Loop: Header=BB74_11 Depth=1
	s_or_b64 exec, exec, s[34:35]
	s_orn2_b64 s[8:9], s[8:9], exec
.LBB74_245:                             ;   in Loop: Header=BB74_11 Depth=1
	s_or_b64 exec, exec, s[26:27]
	s_mov_b64 s[26:27], 0
                                        ; implicit-def: $sgpr36
	s_and_saveexec_b64 s[34:35], s[8:9]
	s_xor_b64 s[8:9], exec, s[34:35]
	s_cbranch_execz .LBB74_9
; %bb.246:                              ;   in Loop: Header=BB74_11 Depth=1
	v_and_b32_e32 v2, 7, v3
	v_cmp_eq_u32_e32 vcc, 0, v2
	s_mov_b64 s[2:3], -1
	s_mov_b64 s[26:27], -1
                                        ; implicit-def: $sgpr36
	s_and_saveexec_b64 s[34:35], vcc
	s_cbranch_execz .LBB74_8
; %bb.247:                              ;   in Loop: Header=BB74_11 Depth=1
	v_add_u32_e32 v2, -2, v41
	v_cmp_eq_u32_e32 vcc, 0, v41
	s_xor_b32 s36, s20, 1
	s_xor_b64 s[26:27], exec, -1
	s_orn2_b64 s[2:3], vcc, exec
	v_mov_b32_e32 v41, v2
	s_branch .LBB74_8
.LBB74_248:
	s_or_b64 exec, exec, s[70:71]
	s_xor_b64 s[6:7], s[10:11], -1
	s_xor_b64 s[0:1], s[84:85], -1
	;; [unrolled: 1-line block ×3, first 2 shown]
	s_mov_b64 s[2:3], 0
	s_and_saveexec_b64 s[8:9], s[0:1]
	s_xor_b64 s[0:1], exec, s[8:9]
	s_cbranch_execnz .LBB74_253
; %bb.249:
	s_andn2_saveexec_b64 s[0:1], s[0:1]
	s_cbranch_execnz .LBB74_266
.LBB74_250:
	s_or_b64 exec, exec, s[0:1]
	s_and_saveexec_b64 s[0:1], s[2:3]
.LBB74_251:
	; divergent unreachable
.LBB74_252:
	s_endpgm
.LBB74_253:
	s_and_saveexec_b64 s[2:3], s[6:7]
	s_xor_b64 s[2:3], exec, s[2:3]
	s_cbranch_execz .LBB74_264
; %bb.254:
	s_and_saveexec_b64 s[6:7], s[4:5]
	s_xor_b64 s[4:5], exec, s[6:7]
; %bb.255:
	v_mov_b32_e32 v45, v38
; %bb.256:
	s_or_b64 exec, exec, s[4:5]
	v_readlane_b32 s8, v81, 1
	v_readlane_b32 s9, v81, 2
	;; [unrolled: 1-line block ×3, first 2 shown]
	s_mul_i32 s4, s10, s9
	v_readlane_b32 s9, v81, 20
	s_mul_i32 s5, s9, s8
	v_readlane_b32 s18, v81, 22
	s_sub_i32 s5, s10, s5
	s_sub_i32 s4, s18, s4
	s_add_i32 s6, s9, 1
	s_sub_i32 s7, s5, s8
	s_cmp_ge_u32 s5, s8
	s_cselect_b32 s6, s6, s9
	s_cselect_b32 s5, s7, s5
	s_add_i32 s7, s6, 1
	s_cmp_ge_u32 s5, s8
	s_cselect_b32 s5, s7, s6
	v_readlane_b32 s12, v81, 12
	s_mul_i32 s6, s5, s8
	v_readlane_b32 s13, v81, 13
	v_readlane_b32 s14, v81, 14
	s_sub_i32 s6, s10, s6
	s_mul_i32 s4, s4, s14
	s_mul_i32 s6, s6, s13
	s_add_i32 s4, s6, s4
	s_mul_i32 s5, s5, s12
	s_add_i32 s4, s4, s5
	v_mov_b32_e32 v1, s4
	v_readlane_b32 s4, v81, 18
	v_readlane_b32 s5, v81, 19
	;; [unrolled: 1-line block ×3, first 2 shown]
	s_nop 3
	global_store_byte v1, v45, s[4:5]
	s_mov_b64 s[4:5], exec
	v_readlane_b32 s6, v81, 23
	v_readlane_b32 s7, v81, 24
	s_and_b64 s[6:7], s[4:5], s[6:7]
	s_mov_b64 exec, s[6:7]
	s_cbranch_execz .LBB74_263
; %bb.257:
	s_mov_b64 s[6:7], 0
                                        ; implicit-def: $sgpr8_sgpr9
                                        ; implicit-def: $sgpr12_sgpr13
                                        ; implicit-def: $sgpr10_sgpr11
	s_branch .LBB74_259
.LBB74_258:                             ;   in Loop: Header=BB74_259 Depth=1
	s_or_b64 exec, exec, s[14:15]
	s_and_b64 s[14:15], exec, s[12:13]
	s_or_b64 s[6:7], s[14:15], s[6:7]
	s_andn2_b64 s[8:9], s[8:9], exec
	s_and_b64 s[14:15], s[10:11], exec
	s_or_b64 s[8:9], s[8:9], s[14:15]
	s_andn2_b64 exec, exec, s[6:7]
	s_cbranch_execz .LBB74_261
.LBB74_259:                             ; =>This Inner Loop Header: Depth=1
	global_load_ubyte v1, v18, s[82:83]
	v_mov_b32_e32 v2, v0
	s_or_b64 s[10:11], s[10:11], exec
	s_or_b64 s[12:13], s[12:13], exec
                                        ; implicit-def: $vgpr0
	s_waitcnt vmcnt(0)
	v_cmp_ne_u16_sdwa s[16:17], v1, v45 src0_sel:DWORD src1_sel:BYTE_0
	s_and_saveexec_b64 s[14:15], s[16:17]
	s_cbranch_execz .LBB74_258
; %bb.260:                              ;   in Loop: Header=BB74_259 Depth=1
	v_add_u32_e32 v0, s67, v2
	v_cmp_le_u32_e32 vcc, s64, v0
	s_andn2_b64 s[12:13], s[12:13], exec
	s_and_b64 s[16:17], vcc, exec
	v_add_u32_e32 v18, s99, v18
	s_andn2_b64 s[10:11], s[10:11], exec
	s_or_b64 s[12:13], s[12:13], s[16:17]
	s_branch .LBB74_258
.LBB74_261:
	s_or_b64 exec, exec, s[6:7]
	s_and_saveexec_b64 s[6:7], s[8:9]
	s_xor_b64 s[6:7], exec, s[6:7]
	s_cbranch_execz .LBB74_263
; %bb.262:
	v_readlane_b32 s10, v81, 4
	v_readlane_b32 s11, v81, 5
	;; [unrolled: 1-line block ×3, first 2 shown]
	s_mul_i32 s6, s12, s11
	v_readlane_b32 s11, v81, 21
	s_mul_i32 s7, s11, s10
	s_sub_i32 s7, s12, s7
	s_sub_i32 s6, s18, s6
	s_add_i32 s8, s11, 1
	s_sub_i32 s9, s7, s10
	s_cmp_ge_u32 s7, s10
	s_cselect_b32 s8, s8, s11
	s_cselect_b32 s7, s9, s7
	s_add_i32 s9, s8, 1
	s_cmp_ge_u32 s7, s10
	s_cselect_b32 s7, s9, s8
	v_readlane_b32 s16, v81, 8
	s_mul_i32 s8, s7, s10
	v_readlane_b32 s17, v81, 9
	v_readlane_b32 s18, v81, 10
	s_sub_i32 s8, s12, s8
	s_mul_i32 s6, s6, s18
	s_mul_i32 s8, s8, s17
	s_add_i32 s6, s8, s6
	s_mul_i32 s7, s7, s16
	s_add_i32 s6, s6, s7
	s_mov_b32 s7, 0
	s_lshl_b64 s[6:7], s[6:7], 3
	v_readlane_b32 s8, v81, 16
	v_readlane_b32 s9, v81, 17
	s_add_u32 s6, s8, s6
	s_addc_u32 s7, s9, s7
	v_mov_b32_e32 v3, 0
	v_readlane_b32 s19, v81, 11
	global_store_dwordx2 v3, v[2:3], s[6:7]
.LBB74_263:
	s_or_b64 exec, exec, s[4:5]
.LBB74_264:
	s_or_saveexec_b64 s[2:3], s[2:3]
	s_mov_b64 s[4:5], 0
	s_xor_b64 exec, exec, s[2:3]
	s_cbranch_execnz .LBB74_267
.LBB74_265:
	s_or_b64 exec, exec, s[2:3]
	s_and_b64 s[2:3], s[4:5], exec
	s_andn2_saveexec_b64 s[0:1], s[0:1]
	s_cbranch_execz .LBB74_250
.LBB74_266:
	s_or_b64 s[2:3], s[2:3], exec
	s_trap 2
	s_or_b64 exec, exec, s[0:1]
	s_and_saveexec_b64 s[0:1], s[2:3]
	s_cbranch_execnz .LBB74_251
	s_branch .LBB74_252
.LBB74_267:
	s_mov_b64 s[4:5], exec
	s_trap 2
	s_branch .LBB74_265
	.section	.rodata,"a",@progbits
	.p2align	6, 0x0
	.amdhsa_kernel _ZN2at6native12_GLOBAL__N_112gatherMedianIhjLi3EEEvNS_4cuda6detail10TensorInfoIT_T0_EENS5_IlS7_EENS5_IKS6_S7_EES7_S7_S7_b
		.amdhsa_group_segment_fixed_size 4120
		.amdhsa_private_segment_fixed_size 0
		.amdhsa_kernarg_size 920
		.amdhsa_user_sgpr_count 2
		.amdhsa_user_sgpr_dispatch_ptr 0
		.amdhsa_user_sgpr_queue_ptr 0
		.amdhsa_user_sgpr_kernarg_segment_ptr 1
		.amdhsa_user_sgpr_dispatch_id 0
		.amdhsa_user_sgpr_kernarg_preload_length 0
		.amdhsa_user_sgpr_kernarg_preload_offset 0
		.amdhsa_user_sgpr_private_segment_size 0
		.amdhsa_uses_dynamic_stack 0
		.amdhsa_enable_private_segment 0
		.amdhsa_system_sgpr_workgroup_id_x 1
		.amdhsa_system_sgpr_workgroup_id_y 1
		.amdhsa_system_sgpr_workgroup_id_z 1
		.amdhsa_system_sgpr_workgroup_info 0
		.amdhsa_system_vgpr_workitem_id 0
		.amdhsa_next_free_vgpr 82
		.amdhsa_next_free_sgpr 100
		.amdhsa_accum_offset 84
		.amdhsa_reserve_vcc 1
		.amdhsa_float_round_mode_32 0
		.amdhsa_float_round_mode_16_64 0
		.amdhsa_float_denorm_mode_32 3
		.amdhsa_float_denorm_mode_16_64 3
		.amdhsa_dx10_clamp 1
		.amdhsa_ieee_mode 1
		.amdhsa_fp16_overflow 0
		.amdhsa_tg_split 0
		.amdhsa_exception_fp_ieee_invalid_op 0
		.amdhsa_exception_fp_denorm_src 0
		.amdhsa_exception_fp_ieee_div_zero 0
		.amdhsa_exception_fp_ieee_overflow 0
		.amdhsa_exception_fp_ieee_underflow 0
		.amdhsa_exception_fp_ieee_inexact 0
		.amdhsa_exception_int_div_zero 0
	.end_amdhsa_kernel
	.section	.text._ZN2at6native12_GLOBAL__N_112gatherMedianIhjLi3EEEvNS_4cuda6detail10TensorInfoIT_T0_EENS5_IlS7_EENS5_IKS6_S7_EES7_S7_S7_b,"axG",@progbits,_ZN2at6native12_GLOBAL__N_112gatherMedianIhjLi3EEEvNS_4cuda6detail10TensorInfoIT_T0_EENS5_IlS7_EENS5_IKS6_S7_EES7_S7_S7_b,comdat
.Lfunc_end74:
	.size	_ZN2at6native12_GLOBAL__N_112gatherMedianIhjLi3EEEvNS_4cuda6detail10TensorInfoIT_T0_EENS5_IlS7_EENS5_IKS6_S7_EES7_S7_S7_b, .Lfunc_end74-_ZN2at6native12_GLOBAL__N_112gatherMedianIhjLi3EEEvNS_4cuda6detail10TensorInfoIT_T0_EENS5_IlS7_EENS5_IKS6_S7_EES7_S7_S7_b
                                        ; -- End function
	.set _ZN2at6native12_GLOBAL__N_112gatherMedianIhjLi3EEEvNS_4cuda6detail10TensorInfoIT_T0_EENS5_IlS7_EENS5_IKS6_S7_EES7_S7_S7_b.num_vgpr, 82
	.set _ZN2at6native12_GLOBAL__N_112gatherMedianIhjLi3EEEvNS_4cuda6detail10TensorInfoIT_T0_EENS5_IlS7_EENS5_IKS6_S7_EES7_S7_S7_b.num_agpr, 0
	.set _ZN2at6native12_GLOBAL__N_112gatherMedianIhjLi3EEEvNS_4cuda6detail10TensorInfoIT_T0_EENS5_IlS7_EENS5_IKS6_S7_EES7_S7_S7_b.numbered_sgpr, 100
	.set _ZN2at6native12_GLOBAL__N_112gatherMedianIhjLi3EEEvNS_4cuda6detail10TensorInfoIT_T0_EENS5_IlS7_EENS5_IKS6_S7_EES7_S7_S7_b.num_named_barrier, 0
	.set _ZN2at6native12_GLOBAL__N_112gatherMedianIhjLi3EEEvNS_4cuda6detail10TensorInfoIT_T0_EENS5_IlS7_EENS5_IKS6_S7_EES7_S7_S7_b.private_seg_size, 0
	.set _ZN2at6native12_GLOBAL__N_112gatherMedianIhjLi3EEEvNS_4cuda6detail10TensorInfoIT_T0_EENS5_IlS7_EENS5_IKS6_S7_EES7_S7_S7_b.uses_vcc, 1
	.set _ZN2at6native12_GLOBAL__N_112gatherMedianIhjLi3EEEvNS_4cuda6detail10TensorInfoIT_T0_EENS5_IlS7_EENS5_IKS6_S7_EES7_S7_S7_b.uses_flat_scratch, 0
	.set _ZN2at6native12_GLOBAL__N_112gatherMedianIhjLi3EEEvNS_4cuda6detail10TensorInfoIT_T0_EENS5_IlS7_EENS5_IKS6_S7_EES7_S7_S7_b.has_dyn_sized_stack, 0
	.set _ZN2at6native12_GLOBAL__N_112gatherMedianIhjLi3EEEvNS_4cuda6detail10TensorInfoIT_T0_EENS5_IlS7_EENS5_IKS6_S7_EES7_S7_S7_b.has_recursion, 0
	.set _ZN2at6native12_GLOBAL__N_112gatherMedianIhjLi3EEEvNS_4cuda6detail10TensorInfoIT_T0_EENS5_IlS7_EENS5_IKS6_S7_EES7_S7_S7_b.has_indirect_call, 0
	.section	.AMDGPU.csdata,"",@progbits
; Kernel info:
; codeLenInByte = 11748
; TotalNumSgprs: 106
; NumVgprs: 82
; NumAgprs: 0
; TotalNumVgprs: 82
; ScratchSize: 0
; MemoryBound: 0
; FloatMode: 240
; IeeeMode: 1
; LDSByteSize: 4120 bytes/workgroup (compile time only)
; SGPRBlocks: 13
; VGPRBlocks: 10
; NumSGPRsForWavesPerEU: 106
; NumVGPRsForWavesPerEU: 82
; AccumOffset: 84
; Occupancy: 5
; WaveLimiterHint : 1
; COMPUTE_PGM_RSRC2:SCRATCH_EN: 0
; COMPUTE_PGM_RSRC2:USER_SGPR: 2
; COMPUTE_PGM_RSRC2:TRAP_HANDLER: 0
; COMPUTE_PGM_RSRC2:TGID_X_EN: 1
; COMPUTE_PGM_RSRC2:TGID_Y_EN: 1
; COMPUTE_PGM_RSRC2:TGID_Z_EN: 1
; COMPUTE_PGM_RSRC2:TIDIG_COMP_CNT: 0
; COMPUTE_PGM_RSRC3_GFX90A:ACCUM_OFFSET: 20
; COMPUTE_PGM_RSRC3_GFX90A:TG_SPLIT: 0
	.section	.text._ZN2at6native12_GLOBAL__N_112gatherMedianIhjLin1EEEvNS_4cuda6detail10TensorInfoIT_T0_EENS5_IlS7_EENS5_IKS6_S7_EES7_S7_S7_b,"axG",@progbits,_ZN2at6native12_GLOBAL__N_112gatherMedianIhjLin1EEEvNS_4cuda6detail10TensorInfoIT_T0_EENS5_IlS7_EENS5_IKS6_S7_EES7_S7_S7_b,comdat
	.globl	_ZN2at6native12_GLOBAL__N_112gatherMedianIhjLin1EEEvNS_4cuda6detail10TensorInfoIT_T0_EENS5_IlS7_EENS5_IKS6_S7_EES7_S7_S7_b ; -- Begin function _ZN2at6native12_GLOBAL__N_112gatherMedianIhjLin1EEEvNS_4cuda6detail10TensorInfoIT_T0_EENS5_IlS7_EENS5_IKS6_S7_EES7_S7_S7_b
	.p2align	8
	.type	_ZN2at6native12_GLOBAL__N_112gatherMedianIhjLin1EEEvNS_4cuda6detail10TensorInfoIT_T0_EENS5_IlS7_EENS5_IKS6_S7_EES7_S7_S7_b,@function
_ZN2at6native12_GLOBAL__N_112gatherMedianIhjLin1EEEvNS_4cuda6detail10TensorInfoIT_T0_EENS5_IlS7_EENS5_IKS6_S7_EES7_S7_S7_b: ; @_ZN2at6native12_GLOBAL__N_112gatherMedianIhjLin1EEEvNS_4cuda6detail10TensorInfoIT_T0_EENS5_IlS7_EENS5_IKS6_S7_EES7_S7_S7_b
; %bb.0:
	s_load_dwordx2 s[10:11], s[0:1], 0x298
	s_load_dwordx4 s[64:67], s[0:1], 0x288
	s_add_u32 s8, s0, 0x298
	s_addc_u32 s9, s1, 0
	s_waitcnt lgkmcnt(0)
	s_mul_i32 s4, s11, s4
	s_add_i32 s3, s4, s3
	s_mul_i32 s3, s3, s10
	s_add_i32 s3, s3, s2
	s_cmp_ge_u32 s3, s65
	s_cbranch_scc1 .LBB75_261
; %bb.1:
	s_load_dword s4, s[0:1], 0xd0
	s_mov_b32 s69, 0
	s_mov_b32 s33, s3
	s_waitcnt lgkmcnt(0)
	s_cmp_lt_i32 s4, 2
	s_cbranch_scc1 .LBB75_4
; %bb.2:
	s_add_i32 s68, s4, -1
	s_add_i32 s6, s4, 1
	s_lshl_b64 s[4:5], s[68:69], 2
	s_add_u32 s4, s0, s4
	s_addc_u32 s5, s1, s5
	s_add_u32 s4, s4, 8
	s_addc_u32 s5, s5, 0
	s_mov_b32 s33, s3
.LBB75_3:                               ; =>This Inner Loop Header: Depth=1
	s_load_dword s7, s[4:5], 0x0
	s_load_dword s12, s[4:5], 0x64
	s_mov_b32 s11, s33
	s_waitcnt lgkmcnt(0)
	v_cvt_f32_u32_e32 v1, s7
	s_sub_i32 s13, 0, s7
	v_rcp_iflag_f32_e32 v1, v1
	s_nop 0
	v_mul_f32_e32 v1, 0x4f7ffffe, v1
	v_cvt_u32_f32_e32 v1, v1
	s_nop 0
	v_readfirstlane_b32 s14, v1
	s_mul_i32 s13, s13, s14
	s_mul_hi_u32 s13, s14, s13
	s_add_i32 s14, s14, s13
	s_mul_hi_u32 s13, s33, s14
	s_mul_i32 s14, s13, s7
	s_sub_i32 s14, s33, s14
	s_add_i32 s15, s13, 1
	s_sub_i32 s16, s14, s7
	s_cmp_ge_u32 s14, s7
	s_cselect_b32 s13, s15, s13
	s_cselect_b32 s14, s16, s14
	s_add_i32 s15, s13, 1
	s_cmp_ge_u32 s14, s7
	s_cselect_b32 s33, s15, s13
	s_mul_i32 s7, s33, s7
	s_sub_i32 s7, s11, s7
	s_mul_i32 s7, s12, s7
	s_add_i32 s6, s6, -1
	s_add_i32 s69, s7, s69
	s_add_u32 s4, s4, -4
	s_addc_u32 s5, s5, -1
	s_cmp_gt_u32 s6, 2
	s_cbranch_scc1 .LBB75_3
.LBB75_4:
	s_load_dword s6, s[0:1], 0x1a8
	s_add_u32 s4, s0, 0xd8
	s_addc_u32 s5, s1, 0
	s_mov_b32 s71, 0
	s_mov_b32 s65, s3
	s_waitcnt lgkmcnt(0)
	s_cmp_lt_i32 s6, 2
	s_cbranch_scc1 .LBB75_7
; %bb.5:
	s_add_i32 s70, s6, -1
	s_add_i32 s11, s6, 1
	s_lshl_b64 s[6:7], s[70:71], 2
	s_add_u32 s6, s4, s6
	s_addc_u32 s7, s5, s7
	s_add_u32 s6, s6, 8
	s_addc_u32 s7, s7, 0
	s_mov_b32 s65, s3
.LBB75_6:                               ; =>This Inner Loop Header: Depth=1
	s_load_dword s12, s[6:7], 0x0
	s_load_dword s14, s[6:7], 0x64
	s_mov_b32 s13, s65
	s_waitcnt lgkmcnt(0)
	v_cvt_f32_u32_e32 v1, s12
	s_sub_i32 s15, 0, s12
	v_rcp_iflag_f32_e32 v1, v1
	s_nop 0
	v_mul_f32_e32 v1, 0x4f7ffffe, v1
	v_cvt_u32_f32_e32 v1, v1
	s_nop 0
	v_readfirstlane_b32 s16, v1
	s_mul_i32 s15, s15, s16
	s_mul_hi_u32 s15, s16, s15
	s_add_i32 s16, s16, s15
	s_mul_hi_u32 s15, s65, s16
	s_mul_i32 s16, s15, s12
	s_sub_i32 s16, s65, s16
	s_add_i32 s17, s15, 1
	s_sub_i32 s18, s16, s12
	s_cmp_ge_u32 s16, s12
	s_cselect_b32 s15, s17, s15
	s_cselect_b32 s16, s18, s16
	s_add_i32 s17, s15, 1
	s_cmp_ge_u32 s16, s12
	s_cselect_b32 s65, s17, s15
	s_mul_i32 s12, s65, s12
	s_sub_i32 s12, s13, s12
	s_mul_i32 s12, s14, s12
	s_add_i32 s11, s11, -1
	s_add_i32 s71, s12, s71
	s_add_u32 s6, s6, -4
	s_addc_u32 s7, s7, -1
	s_cmp_gt_u32 s11, 2
	s_cbranch_scc1 .LBB75_6
.LBB75_7:
	s_load_dword s6, s[0:1], 0x6c
                                        ; implicit-def: $vgpr81 : SGPR spill to VGPR lane
	s_add_u32 s12, s0, 0x1b0
	s_addc_u32 s13, s1, 0
	s_mov_b32 s7, 0
	s_waitcnt lgkmcnt(0)
	v_writelane_b32 v81, s6, 0
	s_load_dword s6, s[0:1], 0x280
	s_waitcnt lgkmcnt(0)
	s_cmp_lt_i32 s6, 2
	s_cbranch_scc1 .LBB75_10
; %bb.8:
	s_add_i32 s11, s6, 1
	s_add_i32 s6, s6, -1
	s_lshl_b64 s[14:15], s[6:7], 2
	s_add_u32 s6, s12, s14
	s_addc_u32 s13, s13, s15
	s_add_u32 s12, s6, 8
	s_addc_u32 s13, s13, 0
.LBB75_9:                               ; =>This Inner Loop Header: Depth=1
	s_load_dword s6, s[12:13], 0x0
	s_load_dword s15, s[12:13], 0x64
	s_mov_b32 s14, s3
	s_waitcnt lgkmcnt(0)
	v_cvt_f32_u32_e32 v1, s6
	s_sub_i32 s3, 0, s6
	v_rcp_iflag_f32_e32 v1, v1
	s_nop 0
	v_mul_f32_e32 v1, 0x4f7ffffe, v1
	v_cvt_u32_f32_e32 v1, v1
	s_nop 0
	v_readfirstlane_b32 s16, v1
	s_mul_i32 s3, s3, s16
	s_mul_hi_u32 s3, s16, s3
	s_add_i32 s16, s16, s3
	s_mul_hi_u32 s3, s14, s16
	s_mul_i32 s16, s3, s6
	s_sub_i32 s16, s14, s16
	s_add_i32 s17, s3, 1
	s_sub_i32 s18, s16, s6
	s_cmp_ge_u32 s16, s6
	s_cselect_b32 s3, s17, s3
	s_cselect_b32 s16, s18, s16
	s_add_i32 s17, s3, 1
	s_cmp_ge_u32 s16, s6
	s_cselect_b32 s3, s17, s3
	s_mul_i32 s6, s3, s6
	s_sub_i32 s6, s14, s6
	s_mul_i32 s6, s15, s6
	s_add_i32 s11, s11, -1
	s_add_i32 s7, s6, s7
	s_add_u32 s12, s12, -4
	s_addc_u32 s13, s13, -1
	s_cmp_gt_u32 s11, 2
	s_cbranch_scc1 .LBB75_9
.LBB75_10:
	s_load_dword s4, s[4:5], 0x6c
	v_cmp_eq_u32_e64 s[12:13], 0, v0
	s_waitcnt lgkmcnt(0)
	v_writelane_b32 v81, s4, 1
	s_mov_b64 s[4:5], exec
	v_writelane_b32 v81, s12, 2
	s_nop 1
	v_writelane_b32 v81, s13, 3
	s_and_b64 s[12:13], s[4:5], s[12:13]
	s_mov_b64 exec, s[12:13]
; %bb.11:
	v_mov_b32_e32 v2, 0
	v_mov_b32_e32 v3, v2
	ds_write_b64 v2, v[2:3] offset:4096
; %bb.12:
	s_or_b64 exec, exec, s[4:5]
	v_mov_b32_e32 v1, 0
	s_waitcnt lgkmcnt(0)
	s_barrier
	s_barrier
	ds_read_b64 v[2:3], v1 offset:4096
	s_load_dwordx2 s[4:5], s[0:1], 0x1b0
	s_bitcmp1_b32 s67, 0
	s_cselect_b64 s[14:15], -1, 0
	s_mov_b32 s11, s64
	s_waitcnt lgkmcnt(0)
	v_readfirstlane_b32 s12, v2
	v_readfirstlane_b32 s13, v3
	s_nop 1
	v_cmp_lt_i64_e64 s[16:17], s[12:13], 1
	s_or_b64 s[14:15], s[14:15], s[16:17]
	s_andn2_b64 vcc, exec, s[14:15]
	s_cbranch_vccnz .LBB75_14
; %bb.13:
	s_not_b64 s[12:13], s[12:13]
	s_add_u32 s6, s12, s64
	s_addc_u32 s11, s13, 0
	s_lshr_b32 s12, s11, 31
	s_add_u32 s12, s6, s12
	s_addc_u32 s13, s11, 0
	s_lshr_b64 s[12:13], s[12:13], 1
	s_add_i32 s11, s12, 1
.LBB75_14:
	s_load_dwordx2 s[12:13], s[0:1], 0x0
	s_load_dword s6, s[0:1], 0x21c
                                        ; kill: killed $sgpr0 killed $sgpr1
	s_waitcnt lgkmcnt(0)
	v_writelane_b32 v81, s12, 4
	s_nop 1
	v_writelane_b32 v81, s13, 5
	s_load_dwordx2 s[12:13], s[0:1], 0xd8
	s_waitcnt lgkmcnt(0)
	v_writelane_b32 v81, s12, 6
	s_nop 1
	v_writelane_b32 v81, s13, 7
	s_mov_b64 s[0:1], exec
	v_readlane_b32 s12, v81, 2
	v_readlane_b32 s13, v81, 3
	s_and_b64 s[12:13], s[0:1], s[12:13]
	s_mov_b64 exec, s[12:13]
	s_cbranch_execz .LBB75_16
; %bb.15:
	v_mov_b32_e32 v2, 0
	v_mov_b32_e32 v3, s64
	ds_write_b32 v2, v2 offset:4112
	ds_write_b64 v2, v[2:3] offset:4104
.LBB75_16:
	s_or_b64 exec, exec, s[0:1]
	s_mul_i32 s0, s6, s3
	s_waitcnt lgkmcnt(0)
	s_barrier
	s_load_dword s3, s[8:9], 0xc
	s_add_i32 s0, s0, s7
	s_add_u32 s74, s4, s0
	v_cmp_gt_u32_e64 s[0:1], s64, v0
	v_mbcnt_lo_u32_b32 v1, -1, 0
	v_mbcnt_hi_u32_b32 v28, -1, v1
	v_writelane_b32 v81, s0, 8
	s_addc_u32 s75, s5, 0
	s_waitcnt lgkmcnt(0)
	s_and_b32 s67, s3, 0xffff
	v_writelane_b32 v81, s1, 9
	v_cmp_gt_u32_e32 vcc, 64, v0
	v_cmp_gt_i32_e64 s[0:1], 4, v28
	s_and_b64 s[80:81], vcc, s[0:1]
	s_add_i32 s0, s67, -1
	s_lshl_b32 s70, s67, 2
	v_writelane_b32 v81, s0, 10
	s_add_i32 s0, s0, s64
	s_cmpk_gt_u32 s64, 0xc00
	s_cselect_b64 s[14:15], -1, 0
	v_writelane_b32 v81, s14, 11
	s_cmp_gt_u32 s67, 63
	v_lshlrev_b64 v[2:3], v28, -1
	v_writelane_b32 v81, s15, 12
	s_cselect_b64 s[14:15], -1, 0
	v_not_b32_e32 v24, v2
	v_lshrrev_b32_e32 v2, 2, v0
	s_cmp_lt_u32 s2, s10
	v_and_b32_e32 v2, 0xf0, v2
	s_cselect_b32 s1, 12, 18
	v_writelane_b32 v81, s14, 13
	v_or_b32_e32 v29, 0xc00, v2
	s_add_u32 s8, s8, s1
	v_add_u32_e32 v2, 2, v0
	v_writelane_b32 v81, s15, 14
	s_addc_u32 s9, s9, 0
	v_max_u32_e32 v2, s64, v2
	v_writelane_b32 v81, s8, 15
	v_xad_u32 v2, v0, -1, v2
	v_not_b32_e32 v1, v3
	v_writelane_b32 v81, s9, 16
	v_cmp_lt_u32_e64 s[8:9], 31, v2
	v_add_u32_e32 v3, -8, v2
	v_lshrrev_b32_e32 v5, 3, v3
	v_writelane_b32 v81, s8, 17
	s_bfe_u32 s3, s3, 0xa0006
	s_add_i32 s1, s3, -2
	v_writelane_b32 v81, s9, 18
	v_cmp_lt_u32_e64 s[8:9], 7, v3
	v_and_b32_e32 v3, 8, v3
	s_lshr_b32 s2, s1, 1
	v_writelane_b32 v81, s8, 19
	v_and_b32_e32 v30, -8, v2
	s_add_i32 s2, s2, 1
	v_writelane_b32 v81, s9, 20
	v_cmp_eq_u32_e64 s[8:9], 0, v3
	s_cmpk_gt_u32 s67, 0x7f
	v_lshlrev_b32_e32 v25, 2, v0
	v_writelane_b32 v81, s8, 21
	v_mov_b32_e32 v21, 0
	s_mov_b32 s12, 0
	v_writelane_b32 v81, s9, 22
	v_cmp_ne_u32_e64 s[8:9], v2, v30
	v_cvt_f32_u32_e32 v2, s70
	v_mul_lo_u32 v18, s66, v0
	v_writelane_b32 v81, s8, 23
	v_mov_b32_e32 v19, v21
	v_rcp_iflag_f32_e32 v2, v2
	v_writelane_b32 v81, s9, 24
	s_cselect_b64 s[8:9], -1, 0
	v_writelane_b32 v81, s8, 25
	v_mul_f32_e32 v2, 0x4f7ffffe, v2
	v_cvt_u32_f32_e32 v2, v2
	v_writelane_b32 v81, s9, 26
	s_and_b32 s8, s3, 0x3fe
	s_and_b32 s9, s2, 7
	s_cmp_gt_u32 s1, 13
	s_cselect_b64 s[14:15], -1, 0
	v_writelane_b32 v81, s14, 27
	s_and_b32 s1, s2, -8
	s_cmp_lg_u32 s9, 0
	v_writelane_b32 v81, s15, 28
	v_writelane_b32 v81, s1, 29
	v_writelane_b32 v81, s9, 30
	s_cselect_b64 s[14:15], -1, 0
	v_writelane_b32 v81, s14, 31
	s_cmp_lg_u32 s8, s3
	v_lshlrev_b32_e32 v4, 2, v28
	v_writelane_b32 v81, s15, 32
	v_writelane_b32 v81, s3, 33
	;; [unrolled: 1-line block ×3, first 2 shown]
	s_cselect_b64 s[2:3], -1, 0
	v_writelane_b32 v81, s2, 35
	s_sub_i32 s1, 0, s70
	v_add_u32_e32 v5, 1, v5
	v_writelane_b32 v81, s3, 36
	v_readfirstlane_b32 s2, v2
	s_mul_i32 s1, s1, s2
	s_mul_hi_u32 s1, s2, s1
	s_add_i32 s87, s2, s1
	s_mul_hi_u32 s1, s64, s87
	s_mul_i32 s1, s1, s70
	v_cvt_f32_u32_e32 v2, s67
	s_sub_i32 s1, s64, s1
	s_sub_i32 s2, s1, s70
	s_cmp_ge_u32 s1, s70
	s_cselect_b32 s1, s2, s1
	v_rcp_iflag_f32_e32 v2, v2
	s_sub_i32 s2, s1, s70
	s_cmp_ge_u32 s1, s70
	s_cselect_b32 s1, s2, s1
	s_sub_i32 s88, s64, s1
	v_mul_f32_e32 v2, 0x4f7ffffe, v2
	v_cmp_gt_u32_e64 s[2:3], s88, v25
	v_cvt_u32_f32_e32 v2, v2
	v_add_u32_e32 v33, s88, v0
	v_writelane_b32 v81, s2, 37
	v_mul_lo_u32 v20, v33, s66
	s_mul_i32 s90, s66, s67
	v_writelane_b32 v81, s3, 38
	v_cmp_gt_u32_e64 s[2:3], s64, v33
	s_mov_b32 s13, 1
	v_cmp_eq_u32_e64 s[4:5], 0, v28
	v_writelane_b32 v81, s2, 39
	v_cmp_gt_u32_e64 s[6:7], 2, v0
	v_lshl_add_u64 v[22:23], s[74:75], 0, v[18:19]
	v_writelane_b32 v81, s3, 40
	s_sub_i32 s2, 0, s67
	v_readfirstlane_b32 s3, v2
	s_mul_i32 s2, s2, s3
	s_mul_hi_u32 s2, s3, s2
	s_add_i32 s2, s3, s2
	v_writelane_b32 v81, s2, 41
	s_mul_hi_u32 s2, s0, s2
	s_mul_i32 s2, s2, s67
	s_sub_i32 s2, s0, s2
	s_sub_i32 s3, s2, s67
	s_cmp_ge_u32 s2, s67
	s_cselect_b32 s2, s3, s2
	s_sub_i32 s3, s2, s67
	s_cmp_ge_u32 s2, s67
	v_mul_lo_u32 v2, s66, v25
	s_cselect_b32 s2, s3, s2
	v_add_u32_e32 v34, s66, v2
	v_or_b32_e32 v2, 2, v25
	s_sub_i32 s20, s0, s2
	v_mul_lo_u32 v35, s66, v2
	v_or_b32_e32 v2, 3, v25
	s_add_i32 s0, s67, s64
	v_mul_lo_u32 v36, s66, v2
	v_add_u32_e32 v2, s0, v0
	v_cmp_gt_u32_e64 s[2:3], s20, v0
	v_subrev_u32_e32 v2, s1, v2
	v_and_b32_e32 v19, 0x100, v4
	v_add_u32_e32 v31, v0, v30
	s_mov_b32 s91, s66
	s_mov_b32 s23, s66
	;; [unrolled: 1-line block ×8, first 2 shown]
	v_and_b32_e32 v32, 0x3ffffffe, v5
	v_lshl_add_u64 v[26:27], s[74:75], 0, v[20:21]
	v_writelane_b32 v81, s2, 42
	s_lshl_b32 s21, s90, 2
	v_lshlrev_b32_e32 v37, 2, v18
	v_mul_lo_u32 v39, s66, v2
	v_or_b32_e32 v40, 0xc00, v4
	s_mov_b64 s[96:97], 0
	v_mov_b32_e32 v41, 6
	v_mov_b32_e32 v46, s11
	s_movk_i32 s82, 0xff
	s_mov_b32 s83, 0xc0c0004
	s_mov_b32 s63, 0xc0c0007
	v_mov_b32_e32 v50, s64
	v_mov_b32_e32 v42, 0xc00
	;; [unrolled: 1-line block ×4, first 2 shown]
	s_mov_b32 s92, s12
	v_mov_b32_e32 v38, 0
	v_mov_b32_e32 v44, 0
	s_mov_b32 s86, s66
	s_mov_b32 s22, s66
	;; [unrolled: 1-line block ×8, first 2 shown]
	v_writelane_b32 v81, s3, 43
                                        ; implicit-def: $sgpr98_sgpr99
                                        ; implicit-def: $sgpr72_sgpr73
                                        ; implicit-def: $sgpr76_sgpr77
                                        ; implicit-def: $sgpr12_sgpr13
                                        ; implicit-def: $sgpr14_sgpr15
                                        ; implicit-def: $sgpr10_sgpr11
	s_branch .LBB75_20
.LBB75_17:                              ;   in Loop: Header=BB75_20 Depth=1
	s_or_b64 exec, exec, s[34:35]
	s_and_b64 s[26:27], s[26:27], exec
	s_andn2_b64 s[30:31], s[30:31], exec
	s_andn2_b64 s[28:29], s[28:29], exec
	s_orn2_b64 s[2:3], s[2:3], exec
.LBB75_18:                              ;   in Loop: Header=BB75_20 Depth=1
	s_or_b64 exec, exec, s[8:9]
	s_andn2_b64 s[8:9], s[10:11], exec
	s_and_b64 s[10:11], s[26:27], exec
	s_or_b64 s[10:11], s[8:9], s[10:11]
	s_andn2_b64 s[8:9], s[14:15], exec
	s_and_b64 s[14:15], s[30:31], exec
	s_or_b64 s[14:15], s[8:9], s[14:15]
	;; [unrolled: 3-line block ×3, first 2 shown]
	s_orn2_b64 s[2:3], s[2:3], exec
.LBB75_19:                              ;   in Loop: Header=BB75_20 Depth=1
	s_or_b64 exec, exec, s[0:1]
	s_and_b64 s[0:1], exec, s[2:3]
	s_or_b64 s[96:97], s[0:1], s[96:97]
	s_andn2_b64 s[0:1], s[76:77], exec
	s_and_b64 s[2:3], s[10:11], exec
	s_or_b64 s[76:77], s[0:1], s[2:3]
	s_andn2_b64 s[0:1], s[72:73], exec
	s_and_b64 s[2:3], s[14:15], exec
	;; [unrolled: 3-line block ×3, first 2 shown]
	s_or_b64 s[98:99], s[0:1], s[2:3]
	s_mov_b32 s92, s24
	v_mov_b32_e32 v46, v5
	s_andn2_b64 exec, exec, s[96:97]
	s_cbranch_execz .LBB75_257
.LBB75_20:                              ; =>This Loop Header: Depth=1
                                        ;     Child Loop BB75_25 Depth 2
                                        ;     Child Loop BB75_46 Depth 2
	;; [unrolled: 1-line block ×18, first 2 shown]
	ds_read_b64 v[2:3], v21 offset:4104
	s_waitcnt lgkmcnt(0)
	v_readfirstlane_b32 s93, v2
	s_cmp_lg_u32 s93, 0
	s_cbranch_scc1 .LBB75_63
; %bb.21:                               ;   in Loop: Header=BB75_20 Depth=1
	v_readlane_b32 s0, v81, 11
	v_readlane_b32 s1, v81, 12
	s_and_b64 vcc, exec, s[0:1]
	s_cbranch_vccz .LBB75_33
; %bb.22:                               ;   in Loop: Header=BB75_20 Depth=1
	s_movk_i32 s0, 0xc01
	v_cmp_gt_u32_e32 vcc, s0, v3
	s_mov_b64 s[8:9], 0
	s_mov_b64 s[0:1], 0
	s_cbranch_vccz .LBB75_34
; %bb.23:                               ;   in Loop: Header=BB75_20 Depth=1
	v_readlane_b32 s0, v81, 15
	v_readlane_b32 s1, v81, 16
	s_nop 4
	global_load_ushort v2, v21, s[0:1]
	global_load_ubyte v4, v[22:23], off
	s_mov_b64 s[26:27], 0
	v_mov_b32_e32 v6, v0
	s_waitcnt vmcnt(1)
	v_add_u32_e32 v5, v0, v2
	v_mul_lo_u32 v3, s66, v2
	v_mul_lo_u32 v5, s66, v5
	s_branch .LBB75_25
.LBB75_24:                              ;   in Loop: Header=BB75_25 Depth=2
	s_or_b64 exec, exec, s[2:3]
	v_add_u32_e32 v5, v5, v3
	v_mov_b32_e32 v4, v7
	s_andn2_b64 exec, exec, s[26:27]
	s_cbranch_execz .LBB75_40
.LBB75_25:                              ;   Parent Loop BB75_20 Depth=1
                                        ; =>  This Inner Loop Header: Depth=2
	v_add_u32_e32 v6, v6, v2
	v_cmp_gt_u32_e64 s[0:1], s64, v6
	v_cmp_le_u32_e32 vcc, s64, v6
	s_waitcnt lgkmcnt(0)
	v_mov_b32_e32 v8, 0
	v_mov_b32_e32 v7, 0
	s_and_saveexec_b64 s[2:3], s[0:1]
	s_cbranch_execz .LBB75_27
; %bb.26:                               ;   in Loop: Header=BB75_25 Depth=2
	global_load_ubyte v7, v5, s[74:75]
.LBB75_27:                              ;   in Loop: Header=BB75_25 Depth=2
	s_or_b64 exec, exec, s[2:3]
	s_waitcnt vmcnt(0)
	v_bitop3_b32 v9, v4, s82, v44 bitop3:0x80
	v_cmp_eq_u32_e64 s[0:1], v9, v38
	s_cmp_lg_u64 s[0:1], 0
	s_cselect_b64 s[2:3], -1, 0
	s_and_b64 s[2:3], s[4:5], s[2:3]
	s_and_saveexec_b64 s[28:29], s[2:3]
	s_cbranch_execz .LBB75_31
; %bb.28:                               ;   in Loop: Header=BB75_25 Depth=2
	s_mov_b64 s[34:35], exec
	v_mbcnt_lo_u32_b32 v8, s34, 0
	v_mbcnt_hi_u32_b32 v8, s35, v8
	s_bcnt1_i32_b64 s24, s[0:1]
	v_cmp_eq_u32_e64 s[2:3], 0, v8
                                        ; implicit-def: $vgpr9
	s_and_saveexec_b64 s[30:31], s[2:3]
; %bb.29:                               ;   in Loop: Header=BB75_25 Depth=2
	s_bcnt1_i32_b64 s2, s[34:35]
	s_mul_i32 s2, s24, s2
	v_mov_b32_e32 v9, s2
	ds_add_rtn_u32 v9, v21, v9 offset:4112
; %bb.30:                               ;   in Loop: Header=BB75_25 Depth=2
	s_or_b64 exec, exec, s[30:31]
	s_waitcnt lgkmcnt(0)
	v_readfirstlane_b32 s2, v9
	s_nop 1
	v_mov_b32_e32 v9, s2
	v_mad_u32_u24 v8, s24, v8, v9
.LBB75_31:                              ;   in Loop: Header=BB75_25 Depth=2
	s_or_b64 exec, exec, s[28:29]
	ds_bpermute_b32 v8, v19, v8
	s_and_b64 s[2:3], exec, vcc
	s_or_b64 s[26:27], s[2:3], s[26:27]
	s_and_saveexec_b64 s[2:3], s[0:1]
	s_cbranch_execz .LBB75_24
; %bb.32:                               ;   in Loop: Header=BB75_25 Depth=2
	v_and_b32_e32 v10, s0, v24
	v_and_b32_e32 v9, s1, v1
	v_bcnt_u32_b32 v10, v10, 0
	v_bcnt_u32_b32 v9, v9, v10
	s_waitcnt lgkmcnt(0)
	v_add_u32_e32 v8, v8, v9
	ds_write_b8 v8, v4
	s_branch .LBB75_24
.LBB75_33:                              ;   in Loop: Header=BB75_20 Depth=1
	s_mov_b64 s[8:9], -1
	s_mov_b64 s[0:1], 0
.LBB75_34:                              ;   in Loop: Header=BB75_20 Depth=1
	s_and_b64 vcc, exec, s[8:9]
	s_cbranch_vccz .LBB75_61
.LBB75_35:                              ;   in Loop: Header=BB75_20 Depth=1
	s_mov_b64 s[2:3], exec
	v_readlane_b32 s0, v81, 8
	v_readlane_b32 s1, v81, 9
	s_and_b64 s[0:1], s[2:3], s[0:1]
	s_mov_b64 exec, s[0:1]
	s_cbranch_execz .LBB75_58
; %bb.36:                               ;   in Loop: Header=BB75_20 Depth=1
	v_readlane_b32 s0, v81, 15
	v_readlane_b32 s1, v81, 16
	s_nop 4
	global_load_ushort v2, v21, s[0:1]
	global_load_ubyte v20, v[22:23], off
	v_mov_b32_e32 v3, v0
	s_waitcnt vmcnt(1)
	v_readfirstlane_b32 s34, v2
	v_add_u32_e32 v2, v0, v2
	v_cmp_gt_u32_e32 vcc, s64, v2
	s_and_saveexec_b64 s[26:27], vcc
	s_cbranch_execz .LBB75_57
; %bb.37:                               ;   in Loop: Header=BB75_20 Depth=1
	s_mov_b64 s[0:1], 0
	s_mul_i32 s35, s66, s34
                                        ; implicit-def: $vgpr3
                                        ; implicit-def: $vgpr4
                                        ; implicit-def: $vgpr5
	s_mov_b64 s[8:9], exec
	v_readlane_b32 s24, v81, 17
	v_readlane_b32 s25, v81, 18
	s_and_b64 s[24:25], s[8:9], s[24:25]
	s_xor_b64 s[28:29], s[24:25], s[8:9]
	s_mov_b64 exec, s[24:25]
	s_cbranch_execnz .LBB75_43
; %bb.38:                               ;   in Loop: Header=BB75_20 Depth=1
	s_andn2_saveexec_b64 s[8:9], s[28:29]
	s_cbranch_execnz .LBB75_52
.LBB75_39:                              ;   in Loop: Header=BB75_20 Depth=1
	s_or_b64 exec, exec, s[8:9]
	s_and_saveexec_b64 s[8:9], s[0:1]
	s_cbranch_execnz .LBB75_53
	s_branch .LBB75_56
.LBB75_40:                              ;   in Loop: Header=BB75_20 Depth=1
	s_or_b64 exec, exec, s[26:27]
	s_waitcnt lgkmcnt(0)
	s_barrier
	s_mov_b64 s[0:1], exec
	v_readlane_b32 s2, v81, 2
	v_readlane_b32 s3, v81, 3
	s_and_b64 s[2:3], s[0:1], s[2:3]
	s_mov_b64 exec, s[2:3]
	s_cbranch_execz .LBB75_42
; %bb.41:                               ;   in Loop: Header=BB75_20 Depth=1
	ds_read_b32 v2, v21 offset:4112
	s_waitcnt lgkmcnt(0)
	ds_write_b32 v21, v2 offset:4104
.LBB75_42:                              ;   in Loop: Header=BB75_20 Depth=1
	s_or_b64 exec, exec, s[0:1]
	s_waitcnt lgkmcnt(0)
	s_barrier
	s_mov_b64 s[0:1], -1
	s_and_b64 vcc, exec, s[8:9]
	s_cbranch_vccnz .LBB75_35
	s_branch .LBB75_61
.LBB75_43:                              ;   in Loop: Header=BB75_20 Depth=1
	v_cvt_f32_u32_e32 v3, s34
	v_add_u32_e32 v4, s34, v2
	v_max_u32_e32 v4, s64, v4
	s_lshl_b32 s0, s34, 1
	v_rcp_iflag_f32_e32 v3, v3
	v_sub_u32_e32 v4, v4, v0
	v_cmp_ne_u32_e32 vcc, s0, v4
	s_sub_i32 s1, 0, s34
	v_mul_f32_e32 v3, 0x4f7ffffe, v3
	v_cvt_u32_f32_e32 v3, v3
	v_cndmask_b32_e64 v5, 0, 1, vcc
	v_or_b32_e32 v5, s0, v5
	v_sub_u32_e32 v4, v4, v5
	v_mul_lo_u32 v5, s1, v3
	v_mul_hi_u32 v5, v3, v5
	v_add_u32_e32 v3, v3, v5
	v_mul_hi_u32 v3, v4, v3
	v_mul_lo_u32 v5, v3, s34
	v_sub_u32_e32 v4, v4, v5
	v_add_u32_e32 v5, 1, v3
	v_cmp_le_u32_e64 s[0:1], s34, v4
	s_nop 1
	v_cndmask_b32_e64 v3, v3, v5, s[0:1]
	v_subrev_u32_e32 v5, s34, v4
	v_cndmask_b32_e64 v4, v4, v5, s[0:1]
	v_add_u32_e32 v5, 1, v3
	v_cmp_le_u32_e64 s[0:1], s34, v4
	v_mul_lo_u32 v4, s66, v2
	s_nop 0
	v_cndmask_b32_e64 v3, v3, v5, s[0:1]
	v_addc_co_u32_e32 v3, vcc, 0, v3, vcc
	s_abs_i32 s0, s35
	v_mul_hi_u32 v5, s0, v3
	v_mul_lo_u32 v3, s0, v3
	s_not_b32 s0, s35
	s_ashr_i32 s0, s0, 31
	s_cmp_eq_u32 s34, 1
	v_cmp_eq_u32_e32 vcc, 0, v5
	v_xor_b32_e32 v4, s0, v4
	s_cselect_b64 s[8:9], -1, 0
	v_cmp_le_u32_e64 s[0:1], v3, v4
	s_and_b64 s[8:9], vcc, s[8:9]
	s_and_b64 s[24:25], s[8:9], s[0:1]
	s_mov_b64 s[8:9], -1
	v_mov_b32_e32 v4, v0
                                        ; implicit-def: $vgpr3
	s_and_saveexec_b64 s[0:1], s[24:25]
	s_cbranch_execz .LBB75_51
; %bb.44:                               ;   in Loop: Header=BB75_20 Depth=1
	v_add_u32_e32 v9, 7, v2
	v_add_u32_e32 v8, 6, v2
	v_add_u32_e32 v7, 5, v2
	v_add_u32_e32 v6, 4, v2
	v_add_u32_e32 v5, 3, v2
	v_add_u32_e32 v4, 2, v2
	v_add_u32_e32 v3, 1, v2
	v_mov_b64_e32 v[16:17], v[8:9]
	s_waitcnt vmcnt(0)
	v_lshlrev_b32_e32 v47, 24, v20
	v_mov_b32_e32 v49, 0
	v_mov_b64_e32 v[14:15], v[6:7]
	v_mov_b64_e32 v[12:13], v[4:5]
	;; [unrolled: 1-line block ×3, first 2 shown]
                                        ; implicit-def: $vgpr20
	s_mov_b64 s[8:9], exec
	v_readlane_b32 s24, v81, 19
	v_readlane_b32 s25, v81, 20
	s_and_b64 s[24:25], s[8:9], s[24:25]
	s_mov_b64 exec, s[24:25]
	s_cbranch_execz .LBB75_48
; %bb.45:                               ;   in Loop: Header=BB75_20 Depth=1
	v_mov_b64_e32 v[16:17], v[8:9]
	s_mov_b32 s24, 0
	s_mov_b64 s[30:31], 0
	v_mov_b32_e32 v48, v32
	v_mov_b64_e32 v[14:15], v[6:7]
	v_mov_b64_e32 v[12:13], v[4:5]
	;; [unrolled: 1-line block ×3, first 2 shown]
.LBB75_46:                              ;   Parent Loop BB75_20 Depth=1
                                        ; =>  This Inner Loop Header: Depth=2
	v_mul_lo_u32 v6, v16, s62
	v_mul_lo_u32 v8, v15, s17
	;; [unrolled: 1-line block ×6, first 2 shown]
	v_mov_b32_e32 v57, v21
	v_mov_b32_e32 v55, v21
	;; [unrolled: 1-line block ×5, first 2 shown]
	v_add_u32_e32 v49, 8, v11
	v_add_u32_e32 v51, 8, v12
	;; [unrolled: 1-line block ×7, first 2 shown]
	v_mul_lo_u32 v4, v17, s19
	v_mul_lo_u32 v58, v11, s23
	v_mov_b32_e32 v59, v21
	v_mov_b32_e32 v5, v21
	v_add_u32_e32 v3, 8, v10
	v_mov_b32_e32 v61, v21
	v_mov_b32_e32 v63, v21
	;; [unrolled: 1-line block ×5, first 2 shown]
	v_lshl_add_u64 v[74:75], s[74:75], 0, v[20:21]
	v_lshl_add_u64 v[56:57], s[74:75], 0, v[56:57]
	;; [unrolled: 1-line block ×6, first 2 shown]
	v_mul_lo_u32 v72, v68, s19
	v_mul_lo_u32 v70, v66, s62
	;; [unrolled: 1-line block ×7, first 2 shown]
	v_mov_b32_e32 v71, v21
	v_mov_b32_e32 v73, v21
	v_lshl_add_u64 v[58:59], s[74:75], 0, v[58:59]
	v_lshl_add_u64 v[4:5], s[74:75], 0, v[4:5]
	v_mul_lo_u32 v20, v3, s91
	global_load_ubyte v3, v[52:53], off
	global_load_ubyte v51, v[6:7], off
	;; [unrolled: 1-line block ×7, first 2 shown]
	s_nop 0
	global_load_ubyte v74, v[74:75], off
	v_lshl_add_u64 v[6:7], s[74:75], 0, v[60:61]
	v_lshl_add_u64 v[8:9], s[74:75], 0, v[62:63]
	;; [unrolled: 1-line block ×8, first 2 shown]
	global_load_ubyte v52, v[52:53], off
	s_nop 0
	global_load_ubyte v53, v[54:55], off
	s_nop 0
	global_load_ubyte v54, v[58:59], off
	global_load_ubyte v20, v[60:61], off
	;; [unrolled: 1-line block ×3, first 2 shown]
	s_nop 0
	global_load_ubyte v56, v[4:5], off
	s_nop 0
	global_load_ubyte v8, v[8:9], off
	;; [unrolled: 2-line block ×3, first 2 shown]
	v_add_u32_e32 v48, -2, v48
	v_add_u32_e32 v9, s24, v0
	s_add_i32 s24, s24, 16
	v_cmp_eq_u32_e32 vcc, 0, v48
	v_add_u32_e32 v17, 16, v17
	v_add_u32_e32 v16, 16, v16
	;; [unrolled: 1-line block ×8, first 2 shown]
	v_mov_b32_e32 v49, s24
	s_or_b64 s[30:31], vcc, s[30:31]
	s_waitcnt vmcnt(12)
	v_perm_b32 v4, v77, v51, s83
	s_waitcnt vmcnt(11)
	v_perm_b32 v3, v78, v3, s83
	v_lshl_or_b32 v5, v4, 16, v3
	s_waitcnt vmcnt(9)
	v_perm_b32 v7, v80, v79, s83
	s_waitcnt vmcnt(8)
	v_perm_b32 v47, v47, v74, s63
	v_lshl_or_b32 v4, v7, 16, v47
	s_waitcnt vmcnt(6)
	v_perm_b32 v3, v52, v53, s83
	s_waitcnt vmcnt(4)
	v_perm_b32 v51, v54, v20, s83
	;; [unrolled: 2-line block ×4, first 2 shown]
	v_lshl_or_b32 v7, v7, 16, v3
	s_waitcnt vmcnt(0)
	v_perm_b32 v6, v6, v8, s83
	v_perm_b32 v8, v53, v55, s83
	v_lshl_or_b32 v6, v6, 16, v47
	v_lshl_or_b32 v47, v51, 16, v8
	ds_write_b128 v9, v[4:7]
	s_andn2_b64 exec, exec, s[30:31]
	s_cbranch_execnz .LBB75_46
; %bb.47:                               ;   in Loop: Header=BB75_20 Depth=1
	s_or_b64 exec, exec, s[30:31]
.LBB75_48:                              ;   in Loop: Header=BB75_20 Depth=1
	s_or_b64 exec, exec, s[8:9]
	s_mov_b64 s[8:9], exec
	v_readlane_b32 s24, v81, 21
	v_readlane_b32 s25, v81, 22
	s_and_b64 s[24:25], s[8:9], s[24:25]
	s_mov_b64 exec, s[24:25]
	s_cbranch_execz .LBB75_50
; %bb.49:                               ;   in Loop: Header=BB75_20 Depth=1
	v_mul_lo_u32 v4, v16, s62
	v_mul_lo_u32 v6, v15, s17
	;; [unrolled: 1-line block ×3, first 2 shown]
	v_mov_b32_e32 v9, v21
	v_mov_b32_e32 v7, v21
	;; [unrolled: 1-line block ×3, first 2 shown]
	v_mul_lo_u32 v14, v13, s60
	v_mul_lo_u32 v12, v12, s95
	;; [unrolled: 1-line block ×4, first 2 shown]
	v_mov_b32_e32 v53, v21
	v_mov_b32_e32 v13, v21
	;; [unrolled: 1-line block ×3, first 2 shown]
	v_lshl_add_u64 v[8:9], s[74:75], 0, v[8:9]
	v_lshl_add_u64 v[6:7], s[74:75], 0, v[6:7]
	;; [unrolled: 1-line block ×3, first 2 shown]
	v_mul_lo_u32 v16, v17, s19
	v_mov_b32_e32 v17, v21
	v_lshl_add_u64 v[10:11], s[74:75], 0, v[20:21]
	v_lshl_add_u64 v[52:53], s[74:75], 0, v[52:53]
	;; [unrolled: 1-line block ×5, first 2 shown]
	global_load_ubyte v3, v[8:9], off
	s_nop 0
	global_load_ubyte v4, v[4:5], off
	s_nop 0
	global_load_ubyte v20, v[16:17], off
	global_load_ubyte v5, v[6:7], off
	s_nop 0
	global_load_ubyte v6, v[14:15], off
	global_load_ubyte v7, v[12:13], off
	;; [unrolled: 1-line block ×4, first 2 shown]
	s_waitcnt vmcnt(4)
	v_perm_b32 v4, v5, v4, s83
	s_waitcnt vmcnt(3)
	v_perm_b32 v3, v6, v3, s83
	v_lshl_or_b32 v5, v4, 16, v3
	s_waitcnt vmcnt(1)
	v_perm_b32 v6, v8, v7, s83
	s_waitcnt vmcnt(0)
	v_perm_b32 v7, v47, v9, s63
	v_lshl_or_b32 v4, v6, 16, v7
	v_add_u32_e32 v3, v0, v49
	ds_write_b64 v3, v[4:5]
.LBB75_50:                              ;   in Loop: Header=BB75_20 Depth=1
	s_or_b64 exec, exec, s[8:9]
	v_readlane_b32 s8, v81, 23
	v_add_u32_e32 v2, v2, v30
	v_readlane_b32 s9, v81, 24
	v_add_u32_e32 v3, -1, v2
	s_orn2_b64 s[8:9], s[8:9], exec
	v_mov_b32_e32 v4, v31
.LBB75_51:                              ;   in Loop: Header=BB75_20 Depth=1
	s_or_b64 exec, exec, s[0:1]
	v_mov_b32_e32 v5, s35
	s_and_b64 s[0:1], s[8:9], exec
	s_andn2_saveexec_b64 s[8:9], s[28:29]
	s_cbranch_execz .LBB75_39
.LBB75_52:                              ;   in Loop: Header=BB75_20 Depth=1
	v_mov_b32_e32 v5, s35
	s_or_b64 s[0:1], s[0:1], exec
	v_mov_b32_e32 v4, v0
	s_or_b64 exec, exec, s[8:9]
	s_and_saveexec_b64 s[8:9], s[0:1]
	s_cbranch_execz .LBB75_56
.LBB75_53:                              ;   in Loop: Header=BB75_20 Depth=1
	s_sub_i32 s24, 0, s34
	v_mul_lo_u32 v3, s66, v2
	s_mov_b64 s[0:1], 0
.LBB75_54:                              ;   Parent Loop BB75_20 Depth=1
                                        ; =>  This Inner Loop Header: Depth=2
	global_load_ubyte v6, v3, s[74:75]
	v_mov_b32_e32 v7, v2
	v_add_u32_e32 v2, s34, v7
	v_cmp_le_u32_e32 vcc, s64, v2
	s_waitcnt vmcnt(1)
	ds_write_b8 v4, v20
	v_add_u32_e32 v3, v3, v5
	v_mov_b32_e32 v4, v7
	s_or_b64 s[0:1], vcc, s[0:1]
	s_waitcnt vmcnt(0)
	v_mov_b32_e32 v20, v6
	s_andn2_b64 exec, exec, s[0:1]
	s_cbranch_execnz .LBB75_54
; %bb.55:                               ;   in Loop: Header=BB75_20 Depth=1
	s_or_b64 exec, exec, s[0:1]
	v_add_u32_e32 v3, s24, v2
	v_mov_b32_e32 v20, v6
.LBB75_56:                              ;   in Loop: Header=BB75_20 Depth=1
	s_or_b64 exec, exec, s[8:9]
.LBB75_57:                              ;   in Loop: Header=BB75_20 Depth=1
	s_or_b64 exec, exec, s[26:27]
	s_waitcnt vmcnt(0)
	ds_write_b8 v3, v20
.LBB75_58:                              ;   in Loop: Header=BB75_20 Depth=1
	s_or_b64 exec, exec, s[2:3]
	s_waitcnt lgkmcnt(0)
	s_barrier
	s_mov_b64 s[0:1], exec
	v_readlane_b32 s2, v81, 2
	v_readlane_b32 s3, v81, 3
	s_and_b64 s[2:3], s[0:1], s[2:3]
	s_mov_b64 exec, s[2:3]
; %bb.59:                               ;   in Loop: Header=BB75_20 Depth=1
	ds_write_b32 v21, v50 offset:4104
; %bb.60:                               ;   in Loop: Header=BB75_20 Depth=1
	s_or_b64 exec, exec, s[0:1]
	s_mov_b64 s[0:1], -1
	s_waitcnt lgkmcnt(0)
	s_barrier
.LBB75_61:                              ;   in Loop: Header=BB75_20 Depth=1
	s_mov_b32 s93, 0
	s_and_b64 vcc, exec, s[0:1]
	s_cbranch_vccz .LBB75_63
; %bb.62:                               ;   in Loop: Header=BB75_20 Depth=1
	ds_read_b32 v2, v21 offset:4104
	s_waitcnt lgkmcnt(0)
	v_readfirstlane_b32 s93, v2
.LBB75_63:                              ;   in Loop: Header=BB75_20 Depth=1
	s_cmp_lt_i32 s93, 1
	s_mov_b64 s[0:1], -1
                                        ; implicit-def: $vgpr5
	s_cbranch_scc1 .LBB75_73
; %bb.64:                               ;   in Loop: Header=BB75_20 Depth=1
	s_and_b64 vcc, exec, s[0:1]
	s_cbranch_vccnz .LBB75_84
.LBB75_65:                              ;   in Loop: Header=BB75_20 Depth=1
	s_lshl_b32 s8, s92, 6
	s_and_saveexec_b64 s[0:1], s[4:5]
.LBB75_66:                              ;   in Loop: Header=BB75_20 Depth=1
	v_lshl_add_u32 v6, s8, 2, v29
	ds_write_b128 v6, v[2:5]
.LBB75_67:                              ;   in Loop: Header=BB75_20 Depth=1
	s_or_b64 exec, exec, s[0:1]
	s_waitcnt lgkmcnt(0)
	s_barrier
	s_and_saveexec_b64 s[0:1], s[80:81]
	s_cbranch_execz .LBB75_101
; %bb.68:                               ;   in Loop: Header=BB75_20 Depth=1
	v_readlane_b32 s2, v81, 13
	v_readlane_b32 s3, v81, 14
	v_add_u32_e32 v4, s8, v28
	s_andn2_b64 vcc, exec, s[2:3]
	v_mov_b32_e32 v2, 0
	s_cbranch_vccnz .LBB75_100
; %bb.69:                               ;   in Loop: Header=BB75_20 Depth=1
	v_readlane_b32 s2, v81, 25
	v_readlane_b32 s3, v81, 26
	s_andn2_b64 vcc, exec, s[2:3]
	s_cbranch_vccnz .LBB75_93
; %bb.70:                               ;   in Loop: Header=BB75_20 Depth=1
	v_readlane_b32 s2, v81, 27
	v_readlane_b32 s3, v81, 28
	s_andn2_b64 vcc, exec, s[2:3]
	v_lshl_add_u32 v5, v4, 2, v42
	s_cbranch_vccnz .LBB75_94
; %bb.71:                               ;   in Loop: Header=BB75_20 Depth=1
	s_mov_b32 s3, 1
	s_mov_b32 s2, 0
	v_mov_b32_e32 v2, 0
	v_mov_b32_e32 v3, 0
	v_readlane_b32 s9, v81, 29
.LBB75_72:                              ;   Parent Loop BB75_20 Depth=1
                                        ; =>  This Inner Loop Header: Depth=2
	v_lshl_add_u32 v20, s2, 4, v5
	v_lshl_add_u32 v47, s3, 4, v5
	ds_read2_b32 v[6:7], v20 offset1:8
	ds_read2_b32 v[8:9], v47 offset1:8
	ds_read2_b32 v[10:11], v20 offset0:16 offset1:24
	ds_read2_b32 v[12:13], v47 offset0:16 offset1:24
	;; [unrolled: 1-line block ×6, first 2 shown]
	s_waitcnt lgkmcnt(7)
	v_add3_u32 v2, v6, v2, v7
	s_waitcnt lgkmcnt(6)
	v_add3_u32 v3, v8, v3, v9
	;; [unrolled: 2-line block ×3, first 2 shown]
	v_add3_u32 v2, v10, v2, v11
	s_add_i32 s3, s3, 16
	s_add_i32 s2, s2, 16
	s_add_i32 s9, s9, -8
	s_waitcnt lgkmcnt(3)
	v_add3_u32 v2, v14, v2, v15
	s_waitcnt lgkmcnt(2)
	v_add3_u32 v3, v16, v3, v17
	s_cmp_lg_u32 s9, 0
	s_waitcnt lgkmcnt(0)
	v_add3_u32 v3, v52, v3, v53
	v_add3_u32 v2, v48, v2, v49
	s_cbranch_scc1 .LBB75_72
	s_branch .LBB75_95
.LBB75_73:                              ;   in Loop: Header=BB75_20 Depth=1
	v_mov_b32_e32 v2, 0
	v_mov_b32_e32 v3, 0
	;; [unrolled: 1-line block ×4, first 2 shown]
	s_mov_b64 s[78:79], exec
	v_readlane_b32 s0, v81, 37
	v_readlane_b32 s1, v81, 38
	s_and_b64 s[0:1], s[78:79], s[0:1]
	s_mov_b64 exec, s[0:1]
	s_cbranch_execz .LBB75_77
; %bb.74:                               ;   in Loop: Header=BB75_20 Depth=1
	s_mov_b32 s94, 0
	s_mov_b64 s[8:9], 0
	s_mov_b32 s95, 0
	s_mov_b32 s24, 0
	;; [unrolled: 1-line block ×4, first 2 shown]
	v_mov_b32_e32 v6, v25
.LBB75_75:                              ;   Parent Loop BB75_20 Depth=1
                                        ; =>  This Inner Loop Header: Depth=2
	v_add_u32_e32 v2, s94, v37
	v_add_u32_e32 v3, s94, v34
	;; [unrolled: 1-line block ×4, first 2 shown]
	global_load_ubyte v2, v2, s[74:75]
	s_nop 0
	global_load_ubyte v3, v3, s[74:75]
	s_nop 0
	;; [unrolled: 2-line block ×3, first 2 shown]
	global_load_ubyte v5, v5, s[74:75]
	v_add_u32_e32 v6, s70, v6
	s_add_i32 s94, s94, s21
	v_cmp_le_u32_e32 vcc, s88, v6
	s_waitcnt vmcnt(3)
	v_and_b32_e32 v7, v44, v2
	v_bfe_u32 v2, v2, v41, 2
	s_waitcnt vmcnt(2)
	v_and_b32_e32 v8, v44, v3
	v_bfe_u32 v3, v3, v41, 2
	v_cmp_eq_u32_e64 s[0:1], v7, v38
	v_cmp_eq_u32_e64 s[30:31], 0, v2
	s_waitcnt vmcnt(1)
	v_and_b32_e32 v9, v44, v4
	v_bfe_u32 v4, v4, v41, 2
	v_cmp_eq_u32_e64 s[2:3], v8, v38
	v_cmp_eq_u32_e64 s[34:35], 0, v3
	s_and_b64 s[30:31], s[0:1], s[30:31]
	s_waitcnt vmcnt(0)
	v_and_b32_e32 v10, v44, v5
	v_bfe_u32 v5, v5, v41, 2
	v_cmp_eq_u32_e64 s[26:27], v9, v38
	v_cmp_eq_u32_e64 s[36:37], 0, v4
	;; [unrolled: 1-line block ×5, first 2 shown]
	v_cndmask_b32_e64 v2, 0, 1, s[30:31]
	s_and_b64 s[30:31], s[2:3], s[34:35]
	v_cmp_eq_u32_e64 s[28:29], v10, v38
	v_cmp_eq_u32_e64 s[38:39], 0, v5
	;; [unrolled: 1-line block ×5, first 2 shown]
	v_cndmask_b32_e64 v3, 0, 1, s[30:31]
	s_and_b64 s[30:31], s[26:27], s[36:37]
	v_cmp_eq_u32_e64 s[44:45], 1, v4
	v_cmp_eq_u32_e64 s[52:53], 2, v4
	;; [unrolled: 1-line block ×3, first 2 shown]
	v_cndmask_b32_e64 v4, 0, 1, s[30:31]
	s_and_b64 s[30:31], s[28:29], s[38:39]
	v_cmp_eq_u32_e64 s[46:47], 1, v5
	v_cmp_eq_u32_e64 s[54:55], 2, v5
	;; [unrolled: 1-line block ×3, first 2 shown]
	v_cndmask_b32_e64 v5, 0, 1, s[30:31]
	s_and_b64 s[30:31], s[0:1], s[40:41]
	v_cndmask_b32_e64 v7, 0, 1, s[30:31]
	s_and_b64 s[30:31], s[2:3], s[42:43]
	;; [unrolled: 2-line block ×5, first 2 shown]
	s_and_b64 s[0:1], s[0:1], s[56:57]
	v_cndmask_b32_e64 v11, 0, 1, s[30:31]
	s_and_b64 s[30:31], s[2:3], s[50:51]
	v_cndmask_b32_e64 v15, 0, 1, s[0:1]
	;; [unrolled: 2-line block ×7, first 2 shown]
	v_cndmask_b32_e64 v20, 0, 1, s[0:1]
	v_cmp_ne_u32_e64 s[0:1], 0, v2
	v_cmp_ne_u32_e64 s[2:3], 0, v3
	;; [unrolled: 1-line block ×11, first 2 shown]
	s_bcnt1_i32_b64 s0, s[0:1]
	s_bcnt1_i32_b64 s1, s[2:3]
	;; [unrolled: 1-line block ×8, first 2 shown]
	v_cmp_ne_u32_e64 s[38:39], 0, v10
	v_cmp_ne_u32_e64 s[44:45], 0, v13
	;; [unrolled: 1-line block ×3, first 2 shown]
	s_bcnt1_i32_b64 s27, s[34:35]
	s_bcnt1_i32_b64 s31, s[42:43]
	;; [unrolled: 1-line block ×3, first 2 shown]
	s_add_i32 s0, s91, s0
	s_add_i32 s25, s25, s26
	;; [unrolled: 1-line block ×4, first 2 shown]
	v_cmp_ne_u32_e64 s[46:47], 0, v14
	v_cmp_ne_u32_e64 s[54:55], 0, v20
	s_bcnt1_i32_b64 s29, s[38:39]
	s_bcnt1_i32_b64 s34, s[44:45]
	;; [unrolled: 1-line block ×3, first 2 shown]
	s_add_i32 s0, s0, s1
	s_add_i32 s1, s25, s27
	;; [unrolled: 1-line block ×4, first 2 shown]
	s_bcnt1_i32_b64 s35, s[46:47]
	s_bcnt1_i32_b64 s39, s[54:55]
	s_add_i32 s0, s0, s2
	s_add_i32 s1, s1, s28
	;; [unrolled: 1-line block ×8, first 2 shown]
	s_or_b64 s[8:9], vcc, s[8:9]
	v_mov_b32_e32 v2, s91
	v_mov_b32_e32 v3, s25
	;; [unrolled: 1-line block ×4, first 2 shown]
	s_andn2_b64 exec, exec, s[8:9]
	s_cbranch_execnz .LBB75_75
; %bb.76:                               ;   in Loop: Header=BB75_20 Depth=1
	s_or_b64 exec, exec, s[8:9]
	s_mov_b32 s91, s86
	s_mov_b32 s23, s22
	;; [unrolled: 1-line block ×9, first 2 shown]
.LBB75_77:                              ;   in Loop: Header=BB75_20 Depth=1
	s_or_b64 exec, exec, s[78:79]
	s_mov_b64 s[2:3], exec
	v_readlane_b32 s0, v81, 39
	v_readlane_b32 s1, v81, 40
	s_and_b64 s[0:1], s[2:3], s[0:1]
	s_mov_b64 exec, s[0:1]
	s_cbranch_execz .LBB75_83
; %bb.78:                               ;   in Loop: Header=BB75_20 Depth=1
	global_load_ubyte v9, v[26:27], off
	s_mov_b64 s[8:9], 0
	v_mov_b32_e32 v6, v39
	v_mov_b32_e32 v7, v33
	s_branch .LBB75_80
.LBB75_79:                              ;   in Loop: Header=BB75_80 Depth=2
	s_or_b64 exec, exec, s[26:27]
	s_waitcnt vmcnt(0)
	v_and_b32_e32 v10, 0xff, v9
	v_bitop3_b32 v9, v44, v9, s82 bitop3:0x80
	s_and_b64 s[0:1], exec, vcc
	v_cmp_eq_u32_e32 vcc, v9, v38
	v_bfe_u32 v9, v10, v41, 2
	s_or_b64 s[8:9], s[0:1], s[8:9]
	v_cmp_eq_u32_e64 s[0:1], 0, v9
	s_and_b64 s[0:1], vcc, s[0:1]
	v_add_u32_e32 v6, s90, v6
	v_cndmask_b32_e64 v10, 0, 1, s[0:1]
	v_cmp_ne_u32_e64 s[0:1], 0, v10
	s_bcnt1_i32_b64 s0, s[0:1]
	s_nop 0
	v_add_u32_e32 v2, s0, v2
	v_cmp_eq_u32_e64 s[0:1], 1, v9
	s_and_b64 s[0:1], vcc, s[0:1]
	s_nop 0
	v_cndmask_b32_e64 v10, 0, 1, s[0:1]
	v_cmp_ne_u32_e64 s[0:1], 0, v10
	s_bcnt1_i32_b64 s0, s[0:1]
	s_nop 0
	v_add_u32_e32 v3, s0, v3
	v_cmp_eq_u32_e64 s[0:1], 2, v9
	s_and_b64 s[0:1], vcc, s[0:1]
	s_nop 0
	;; [unrolled: 8-line block ×3, first 2 shown]
	v_cndmask_b32_e64 v9, 0, 1, s[0:1]
	v_cmp_ne_u32_e32 vcc, 0, v9
	s_bcnt1_i32_b64 s0, vcc
	v_add_u32_e32 v5, s0, v5
	v_mov_b32_e32 v9, v8
	s_andn2_b64 exec, exec, s[8:9]
	s_cbranch_execz .LBB75_82
.LBB75_80:                              ;   Parent Loop BB75_20 Depth=1
                                        ; =>  This Inner Loop Header: Depth=2
	v_add_u32_e32 v7, s67, v7
	v_cmp_gt_u32_e64 s[0:1], s64, v7
	v_cmp_le_u32_e32 vcc, s64, v7
	v_mov_b32_e32 v8, 0
	s_and_saveexec_b64 s[26:27], s[0:1]
	s_cbranch_execz .LBB75_79
; %bb.81:                               ;   in Loop: Header=BB75_80 Depth=2
	global_load_ubyte v8, v6, s[74:75]
	s_branch .LBB75_79
.LBB75_82:                              ;   in Loop: Header=BB75_20 Depth=1
	s_or_b64 exec, exec, s[8:9]
.LBB75_83:                              ;   in Loop: Header=BB75_20 Depth=1
	s_or_b64 exec, exec, s[2:3]
	s_branch .LBB75_65
.LBB75_84:                              ;   in Loop: Header=BB75_20 Depth=1
	s_mul_hi_u32 s0, s93, s87
	s_mul_i32 s0, s0, s70
	s_sub_i32 s0, s93, s0
	s_sub_i32 s1, s0, s70
	s_cmp_ge_u32 s0, s70
	s_cselect_b32 s0, s1, s0
	s_sub_i32 s1, s0, s70
	s_cmp_ge_u32 s0, s70
	s_cselect_b32 s0, s1, s0
	s_sub_i32 s94, s93, s0
	v_cmp_gt_u32_e32 vcc, s94, v25
	v_mov_b32_e32 v2, 0
	v_mov_b32_e32 v3, 0
	v_mov_b32_e32 v4, 0
	v_mov_b32_e32 v5, 0
	s_and_saveexec_b64 s[78:79], vcc
	s_cbranch_execz .LBB75_88
; %bb.85:                               ;   in Loop: Header=BB75_20 Depth=1
	s_mov_b32 s95, 0
	s_mov_b64 s[8:9], 0
	s_mov_b32 s24, 0
	s_mov_b32 s25, 0
	s_mov_b32 s91, 0
	v_mov_b32_e32 v6, v25
.LBB75_86:                              ;   Parent Loop BB75_20 Depth=1
                                        ; =>  This Inner Loop Header: Depth=2
	ds_read_b32 v2, v6
	v_add_u32_e32 v6, s70, v6
	v_cmp_le_u32_e32 vcc, s94, v6
	s_waitcnt lgkmcnt(0)
	v_and_b32_e32 v7, 0xff, v2
	v_lshrrev_b32_e32 v3, 16, v2
	v_lshrrev_b32_e32 v4, 8, v2
	v_lshrrev_b32_e32 v5, 24, v2
	v_bfe_u32 v8, v2, 8, 8
	v_bfe_u32 v9, v2, 16, 8
	v_bitop3_b32 v2, v44, v2, s82 bitop3:0x80
	v_bfe_u32 v7, v7, v41, 2
	v_cmp_eq_u32_e64 s[0:1], v2, v38
	v_bitop3_b32 v2, v44, v4, s82 bitop3:0x80
	v_bfe_u32 v8, v8, v41, 2
	v_cmp_eq_u32_e64 s[30:31], 0, v7
	;; [unrolled: 3-line block ×3, first 2 shown]
	v_cmp_eq_u32_e64 s[34:35], 0, v8
	s_and_b64 s[30:31], s[0:1], s[30:31]
	v_and_b32_e32 v4, v44, v5
	v_bfe_u32 v5, v5, v41, 2
	v_cmp_eq_u32_e64 s[26:27], v3, v38
	v_cmp_eq_u32_e64 s[36:37], 0, v9
	v_cndmask_b32_e64 v2, 0, 1, s[30:31]
	s_and_b64 s[30:31], s[2:3], s[34:35]
	v_cmp_eq_u32_e64 s[28:29], v4, v38
	v_cmp_eq_u32_e64 s[38:39], 0, v5
	v_cndmask_b32_e64 v3, 0, 1, s[30:31]
	s_and_b64 s[30:31], s[26:27], s[36:37]
	v_cmp_eq_u32_e64 s[40:41], 1, v7
	v_cndmask_b32_e64 v4, 0, 1, s[30:31]
	s_and_b64 s[30:31], s[28:29], s[38:39]
	v_cmp_eq_u32_e64 s[42:43], 1, v8
	v_cmp_eq_u32_e64 s[46:47], 1, v5
	;; [unrolled: 1-line block ×4, first 2 shown]
	v_cndmask_b32_e64 v5, 0, 1, s[30:31]
	s_and_b64 s[30:31], s[0:1], s[40:41]
	v_cmp_eq_u32_e64 s[44:45], 1, v9
	v_cmp_eq_u32_e64 s[48:49], 2, v7
	v_cmp_eq_u32_e64 s[56:57], 3, v7
	v_cndmask_b32_e64 v7, 0, 1, s[30:31]
	s_and_b64 s[30:31], s[2:3], s[42:43]
	v_cmp_eq_u32_e64 s[50:51], 2, v8
	v_cmp_eq_u32_e64 s[58:59], 3, v8
	v_cndmask_b32_e64 v8, 0, 1, s[30:31]
	s_and_b64 s[30:31], s[26:27], s[44:45]
	v_cmp_eq_u32_e64 s[52:53], 2, v9
	v_cmp_eq_u32_e64 s[60:61], 3, v9
	v_cndmask_b32_e64 v9, 0, 1, s[30:31]
	s_and_b64 s[30:31], s[28:29], s[46:47]
	v_cndmask_b32_e64 v10, 0, 1, s[30:31]
	s_and_b64 s[30:31], s[0:1], s[48:49]
	s_and_b64 s[0:1], s[0:1], s[56:57]
	v_cndmask_b32_e64 v11, 0, 1, s[30:31]
	s_and_b64 s[30:31], s[2:3], s[50:51]
	v_cndmask_b32_e64 v15, 0, 1, s[0:1]
	;; [unrolled: 2-line block ×7, first 2 shown]
	v_cndmask_b32_e64 v20, 0, 1, s[0:1]
	v_cmp_ne_u32_e64 s[0:1], 0, v2
	v_cmp_ne_u32_e64 s[2:3], 0, v3
	;; [unrolled: 1-line block ×11, first 2 shown]
	s_bcnt1_i32_b64 s0, s[0:1]
	s_bcnt1_i32_b64 s1, s[2:3]
	;; [unrolled: 1-line block ×8, first 2 shown]
	v_cmp_ne_u32_e64 s[38:39], 0, v10
	v_cmp_ne_u32_e64 s[44:45], 0, v13
	;; [unrolled: 1-line block ×3, first 2 shown]
	s_bcnt1_i32_b64 s27, s[34:35]
	s_bcnt1_i32_b64 s31, s[42:43]
	;; [unrolled: 1-line block ×3, first 2 shown]
	s_add_i32 s0, s91, s0
	s_add_i32 s25, s25, s26
	s_add_i32 s24, s24, s30
	s_add_i32 s26, s95, s36
	v_cmp_ne_u32_e64 s[46:47], 0, v14
	v_cmp_ne_u32_e64 s[54:55], 0, v20
	s_bcnt1_i32_b64 s29, s[38:39]
	s_bcnt1_i32_b64 s34, s[44:45]
	;; [unrolled: 1-line block ×3, first 2 shown]
	s_add_i32 s0, s0, s1
	s_add_i32 s1, s25, s27
	;; [unrolled: 1-line block ×4, first 2 shown]
	s_bcnt1_i32_b64 s35, s[46:47]
	s_bcnt1_i32_b64 s39, s[54:55]
	s_add_i32 s0, s0, s2
	s_add_i32 s1, s1, s28
	;; [unrolled: 1-line block ×8, first 2 shown]
	s_or_b64 s[8:9], vcc, s[8:9]
	v_mov_b32_e32 v2, s91
	v_mov_b32_e32 v3, s25
	v_mov_b32_e32 v4, s24
	v_mov_b32_e32 v5, s95
	s_andn2_b64 exec, exec, s[8:9]
	s_cbranch_execnz .LBB75_86
; %bb.87:                               ;   in Loop: Header=BB75_20 Depth=1
	s_or_b64 exec, exec, s[8:9]
	s_mov_b32 s91, s86
	s_mov_b32 s23, s22
	;; [unrolled: 1-line block ×9, first 2 shown]
.LBB75_88:                              ;   in Loop: Header=BB75_20 Depth=1
	s_or_b64 exec, exec, s[78:79]
	v_add_u32_e32 v6, s94, v0
	v_cmp_gt_u32_e32 vcc, s93, v6
	s_and_saveexec_b64 s[8:9], vcc
	s_cbranch_execz .LBB75_92
; %bb.89:                               ;   in Loop: Header=BB75_20 Depth=1
	s_mov_b64 s[34:35], 0
.LBB75_90:                              ;   Parent Loop BB75_20 Depth=1
                                        ; =>  This Inner Loop Header: Depth=2
	ds_read_u8 v7, v6
	v_add_u32_e32 v6, s67, v6
	v_cmp_le_u32_e32 vcc, s93, v6
	s_waitcnt lgkmcnt(0)
	v_and_b32_e32 v8, v44, v7
	v_bfe_u32 v7, v7, v41, 2
	v_cmp_eq_u32_e64 s[0:1], v8, v38
	v_cmp_eq_u32_e64 s[2:3], 0, v7
	;; [unrolled: 1-line block ×3, first 2 shown]
	s_and_b64 s[2:3], s[0:1], s[2:3]
	v_cmp_eq_u32_e64 s[28:29], 2, v7
	v_cmp_eq_u32_e64 s[30:31], 3, v7
	v_cndmask_b32_e64 v7, 0, 1, s[2:3]
	s_and_b64 s[2:3], s[0:1], s[26:27]
	v_cndmask_b32_e64 v8, 0, 1, s[2:3]
	s_and_b64 s[2:3], s[0:1], s[28:29]
	s_and_b64 s[0:1], s[0:1], s[30:31]
	v_cndmask_b32_e64 v9, 0, 1, s[2:3]
	v_cndmask_b32_e64 v10, 0, 1, s[0:1]
	v_cmp_ne_u32_e64 s[0:1], 0, v7
	v_cmp_ne_u32_e64 s[2:3], 0, v8
	;; [unrolled: 1-line block ×4, first 2 shown]
	s_bcnt1_i32_b64 s0, s[0:1]
	s_bcnt1_i32_b64 s1, s[2:3]
	;; [unrolled: 1-line block ×4, first 2 shown]
	v_add_u32_e32 v2, s0, v2
	v_add_u32_e32 v3, s1, v3
	;; [unrolled: 1-line block ×3, first 2 shown]
	s_or_b64 s[34:35], vcc, s[34:35]
	v_add_u32_e32 v5, s3, v5
	s_andn2_b64 exec, exec, s[34:35]
	s_cbranch_execnz .LBB75_90
; %bb.91:                               ;   in Loop: Header=BB75_20 Depth=1
	s_or_b64 exec, exec, s[34:35]
.LBB75_92:                              ;   in Loop: Header=BB75_20 Depth=1
	s_or_b64 exec, exec, s[8:9]
	s_lshl_b32 s8, s92, 6
	s_and_saveexec_b64 s[0:1], s[4:5]
	s_cbranch_execnz .LBB75_66
	s_branch .LBB75_67
.LBB75_93:                              ;   in Loop: Header=BB75_20 Depth=1
	v_mov_b32_e32 v2, 0
	s_mov_b32 s9, 0
	s_cbranch_execnz .LBB75_98
	s_branch .LBB75_100
.LBB75_94:                              ;   in Loop: Header=BB75_20 Depth=1
	v_mov_b32_e32 v20, v21
	s_mov_b32 s2, 0
	v_mov_b64_e32 v[2:3], v[20:21]
	s_mov_b32 s3, 1
.LBB75_95:                              ;   in Loop: Header=BB75_20 Depth=1
	v_readlane_b32 s24, v81, 31
	v_readlane_b32 s25, v81, 32
	s_andn2_b64 vcc, exec, s[24:25]
	v_readlane_b32 s9, v81, 30
	s_cbranch_vccnz .LBB75_97
.LBB75_96:                              ;   Parent Loop BB75_20 Depth=1
                                        ; =>  This Inner Loop Header: Depth=2
	v_lshl_add_u32 v6, s2, 4, v5
	v_lshl_add_u32 v7, s3, 4, v5
	ds_read_b32 v7, v7
	ds_read_b32 v6, v6
	s_add_i32 s3, s3, 2
	s_add_i32 s2, s2, 2
	s_add_i32 s9, s9, -1
	s_cmp_lg_u32 s9, 0
	s_waitcnt lgkmcnt(1)
	v_add_u32_e32 v3, v7, v3
	s_waitcnt lgkmcnt(0)
	v_add_u32_e32 v2, v6, v2
	s_cbranch_scc1 .LBB75_96
.LBB75_97:                              ;   in Loop: Header=BB75_20 Depth=1
	v_readlane_b32 s2, v81, 35
	v_add_u32_e32 v2, v2, v3
	v_readlane_b32 s9, v81, 34
	v_readlane_b32 s3, v81, 36
	s_and_b64 vcc, exec, s[2:3]
	s_cbranch_vccz .LBB75_100
.LBB75_98:                              ;   in Loop: Header=BB75_20 Depth=1
	s_lshl_b32 s2, s92, 8
	s_lshl_b32 s3, s9, 4
	s_add_i32 s2, s2, s3
	v_add_u32_e32 v3, s2, v40
	v_readlane_b32 s2, v81, 33
	s_sub_i32 s2, s2, s9
.LBB75_99:                              ;   Parent Loop BB75_20 Depth=1
                                        ; =>  This Inner Loop Header: Depth=2
	ds_read_b32 v5, v3
	s_add_i32 s2, s2, -1
	v_add_u32_e32 v3, 16, v3
	s_cmp_eq_u32 s2, 0
	s_waitcnt lgkmcnt(0)
	v_add_u32_e32 v2, v5, v2
	s_cbranch_scc0 .LBB75_99
.LBB75_100:                             ;   in Loop: Header=BB75_20 Depth=1
	v_lshlrev_b32_e32 v3, 2, v4
	ds_write_b32 v3, v2 offset:3072
.LBB75_101:                             ;   in Loop: Header=BB75_20 Depth=1
	s_or_b64 exec, exec, s[0:1]
	s_lshl_b32 s0, s8, 2
	v_mov_b32_e32 v2, s0
	s_waitcnt lgkmcnt(0)
	s_barrier
	ds_read_b128 v[2:5], v2 offset:3072
	v_cmp_eq_u32_e32 vcc, 1, v46
	s_mov_b64 s[2:3], -1
	s_mov_b64 s[30:31], -1
                                        ; implicit-def: $sgpr28_sgpr29
                                        ; implicit-def: $sgpr8_sgpr9
	s_waitcnt lgkmcnt(0)
	v_readfirstlane_b32 s44, v2
	s_cmp_eq_u32 s44, 1
	v_lshlrev_b32_e64 v2, v41, 3
	s_cselect_b64 s[0:1], -1, 0
	v_readfirstlane_b32 s48, v3
	v_readfirstlane_b32 s56, v4
	;; [unrolled: 1-line block ×3, first 2 shown]
	v_not_b32_e32 v4, v2
	s_and_b64 s[26:27], s[0:1], vcc
	s_and_saveexec_b64 s[0:1], s[26:27]
	s_cbranch_execz .LBB75_127
; %bb.102:                              ;   in Loop: Header=BB75_20 Depth=1
	ds_read_b32 v3, v21 offset:4104
	s_waitcnt lgkmcnt(0)
	s_barrier
	v_readfirstlane_b32 s24, v3
	s_and_saveexec_b64 s[8:9], s[6:7]
; %bb.103:                              ;   in Loop: Header=BB75_20 Depth=1
	ds_write_b8 v0, v21 offset:3072
; %bb.104:                              ;   in Loop: Header=BB75_20 Depth=1
	s_or_b64 exec, exec, s[8:9]
	v_and_b32_e32 v38, v38, v4
	v_or_b32_e32 v44, v44, v2
	s_mov_b64 s[8:9], -1
	s_mov_b64 s[28:29], 0
	s_cmp_eq_u32 s24, 0
	s_mov_b64 s[30:31], 0
	s_mov_b64 s[34:35], -1
	s_waitcnt lgkmcnt(0)
	s_barrier
                                        ; implicit-def: $vgpr45
	s_cbranch_scc1 .LBB75_115
; %bb.105:                              ;   in Loop: Header=BB75_20 Depth=1
	v_readlane_b32 s25, v81, 10
	s_add_i32 s25, s24, s25
	v_readlane_b32 s30, v81, 41
	s_mul_hi_u32 s30, s25, s30
	s_mul_i32 s30, s30, s67
	s_sub_i32 s30, s25, s30
	s_sub_i32 s31, s30, s67
	s_cmp_ge_u32 s30, s67
	s_cselect_b32 s30, s31, s30
	s_sub_i32 s31, s30, s67
	s_cmp_ge_u32 s30, s67
	s_cselect_b32 s30, s31, s30
	s_sub_i32 s25, s25, s30
	v_cmp_gt_u32_e32 vcc, s25, v0
	s_mov_b64 s[34:35], 0
	s_mov_b64 s[30:31], 0
                                        ; implicit-def: $vgpr45
	s_and_saveexec_b64 s[36:37], vcc
	s_cbranch_execz .LBB75_114
; %bb.106:                              ;   in Loop: Header=BB75_20 Depth=1
	v_mov_b32_e32 v3, v0
                                        ; implicit-def: $sgpr38_sgpr39
	s_branch .LBB75_109
.LBB75_107:                             ;   in Loop: Header=BB75_109 Depth=2
	s_or_b64 exec, exec, s[40:41]
	s_waitcnt lgkmcnt(0)
	s_barrier
	ds_read_u16 v5, v21 offset:3072
	s_mov_b64 s[40:41], -1
	s_waitcnt lgkmcnt(0)
	s_barrier
	v_cmp_ne_u32_sdwa s[42:43], v5, v21 src0_sel:BYTE_0 src1_sel:DWORD
	s_and_b64 vcc, exec, s[42:43]
	s_mov_b64 s[42:43], -1
	s_cbranch_vccz .LBB75_112
.LBB75_108:                             ;   in Loop: Header=BB75_109 Depth=2
	s_and_b64 s[40:41], exec, s[40:41]
	s_or_b64 s[30:31], s[40:41], s[30:31]
	s_andn2_b64 s[38:39], s[38:39], exec
	s_and_b64 s[40:41], s[42:43], exec
	s_or_b64 s[38:39], s[38:39], s[40:41]
	s_andn2_b64 exec, exec, s[30:31]
	s_cbranch_execz .LBB75_113
.LBB75_109:                             ;   Parent Loop BB75_20 Depth=1
                                        ; =>  This Inner Loop Header: Depth=2
	v_cmp_gt_u32_e32 vcc, s24, v3
	s_and_saveexec_b64 s[40:41], vcc
	s_cbranch_execz .LBB75_107
; %bb.110:                              ;   in Loop: Header=BB75_109 Depth=2
	ds_read_u8 v5, v3
	s_waitcnt lgkmcnt(0)
	v_bitop3_b32 v6, v5, s82, v44 bitop3:0x80
	v_cmp_eq_u32_e32 vcc, v6, v38
	s_and_b64 exec, exec, vcc
	s_cbranch_execz .LBB75_107
; %bb.111:                              ;   in Loop: Header=BB75_109 Depth=2
	v_lshlrev_b16_e32 v5, 8, v5
	v_or_b32_e32 v5, 1, v5
	ds_write_b16 v21, v5 offset:3072
	s_branch .LBB75_107
.LBB75_112:                             ;   in Loop: Header=BB75_109 Depth=2
	v_add_u32_e32 v3, s67, v3
	v_cmp_le_u32_e32 vcc, s25, v3
	s_mov_b64 s[42:43], 0
	s_orn2_b64 s[40:41], vcc, exec
	s_branch .LBB75_108
.LBB75_113:                             ;   in Loop: Header=BB75_20 Depth=1
	s_or_b64 exec, exec, s[30:31]
	v_lshrrev_b32_sdwa v45, v43, v5 dst_sel:DWORD dst_unused:UNUSED_PAD src0_sel:DWORD src1_sel:WORD_0
	s_and_b64 s[30:31], s[38:39], exec
.LBB75_114:                             ;   in Loop: Header=BB75_20 Depth=1
	s_or_b64 exec, exec, s[36:37]
.LBB75_115:                             ;   in Loop: Header=BB75_20 Depth=1
	s_and_b64 vcc, exec, s[34:35]
	s_cbranch_vccz .LBB75_126
; %bb.116:                              ;   in Loop: Header=BB75_20 Depth=1
                                        ; implicit-def: $vgpr45
	s_mov_b64 s[8:9], exec
	v_readlane_b32 s24, v81, 42
	v_readlane_b32 s25, v81, 43
	s_and_b64 s[24:25], s[8:9], s[24:25]
	s_mov_b64 exec, s[24:25]
	s_cbranch_execz .LBB75_125
; %bb.117:                              ;   in Loop: Header=BB75_20 Depth=1
	s_mov_b64 s[28:29], 0
	v_mov_b32_e32 v3, v18
	v_mov_b32_e32 v5, v0
                                        ; implicit-def: $sgpr34_sgpr35
	s_branch .LBB75_120
.LBB75_118:                             ;   in Loop: Header=BB75_120 Depth=2
	s_or_b64 exec, exec, s[36:37]
	s_waitcnt lgkmcnt(0)
	s_barrier
	ds_read_u16 v6, v21 offset:3072
	s_mov_b64 s[36:37], -1
	s_mov_b64 s[38:39], -1
	s_waitcnt lgkmcnt(0)
	s_barrier
	v_cmp_ne_u32_sdwa s[24:25], v6, v21 src0_sel:BYTE_0 src1_sel:DWORD
	s_and_b64 vcc, exec, s[24:25]
	s_cbranch_vccz .LBB75_123
.LBB75_119:                             ;   in Loop: Header=BB75_120 Depth=2
	s_and_b64 s[24:25], exec, s[36:37]
	s_or_b64 s[28:29], s[24:25], s[28:29]
	s_andn2_b64 s[24:25], s[34:35], exec
	s_and_b64 s[34:35], s[38:39], exec
	s_or_b64 s[34:35], s[24:25], s[34:35]
	s_andn2_b64 exec, exec, s[28:29]
	s_cbranch_execz .LBB75_124
.LBB75_120:                             ;   Parent Loop BB75_20 Depth=1
                                        ; =>  This Inner Loop Header: Depth=2
	v_cmp_gt_u32_e32 vcc, s64, v5
	s_and_saveexec_b64 s[36:37], vcc
	s_cbranch_execz .LBB75_118
; %bb.121:                              ;   in Loop: Header=BB75_120 Depth=2
	global_load_ubyte v6, v3, s[74:75]
	s_waitcnt vmcnt(0)
	v_bitop3_b32 v7, v6, s82, v44 bitop3:0x80
	v_cmp_eq_u32_e32 vcc, v7, v38
	s_and_b64 exec, exec, vcc
	s_cbranch_execz .LBB75_118
; %bb.122:                              ;   in Loop: Header=BB75_120 Depth=2
	v_lshlrev_b16_e32 v6, 8, v6
	v_or_b32_e32 v6, 1, v6
	ds_write_b16 v21, v6 offset:3072
	s_branch .LBB75_118
.LBB75_123:                             ;   in Loop: Header=BB75_120 Depth=2
	v_add_u32_e32 v5, s67, v5
	v_cmp_le_u32_e32 vcc, s20, v5
	v_add_u32_e32 v3, s90, v3
	s_mov_b64 s[38:39], 0
	s_orn2_b64 s[36:37], vcc, exec
	s_branch .LBB75_119
.LBB75_124:                             ;   in Loop: Header=BB75_20 Depth=1
	s_or_b64 exec, exec, s[28:29]
	s_andn2_b64 s[24:25], s[30:31], exec
	s_and_b64 s[28:29], s[34:35], exec
	v_lshrrev_b32_sdwa v45, v43, v6 dst_sel:DWORD dst_unused:UNUSED_PAD src0_sel:DWORD src1_sel:WORD_0
	s_or_b64 s[30:31], s[24:25], s[28:29]
.LBB75_125:                             ;   in Loop: Header=BB75_20 Depth=1
	s_or_b64 exec, exec, s[8:9]
	s_mov_b64 s[8:9], 0
	s_mov_b64 s[28:29], -1
.LBB75_126:                             ;   in Loop: Header=BB75_20 Depth=1
	s_orn2_b64 s[30:31], s[30:31], exec
.LBB75_127:                             ;   in Loop: Header=BB75_20 Depth=1
	s_or_b64 exec, exec, s[0:1]
	s_andn2_b64 s[0:1], s[14:15], exec
	s_and_b64 s[14:15], s[28:29], exec
	s_or_b64 s[14:15], s[0:1], s[14:15]
	s_andn2_b64 s[0:1], s[12:13], exec
	s_and_b64 s[8:9], s[8:9], exec
	v_readfirstlane_b32 s24, v0
	s_andn2_b64 s[10:11], s[10:11], exec
	s_or_b64 s[12:13], s[0:1], s[8:9]
                                        ; implicit-def: $vgpr5
	s_and_saveexec_b64 s[0:1], s[30:31]
	s_cbranch_execz .LBB75_19
; %bb.128:                              ;   in Loop: Header=BB75_20 Depth=1
	s_xor_b64 s[8:9], s[26:27], -1
	s_mov_b64 s[26:27], 0
	v_mov_b32_e32 v5, 1
	v_mov_b32_e32 v3, 1
	s_and_saveexec_b64 s[2:3], s[8:9]
	s_cbranch_execz .LBB75_137
; %bb.129:                              ;   in Loop: Header=BB75_20 Depth=1
	v_cmp_ge_u32_e32 vcc, s44, v46
	s_and_saveexec_b64 s[8:9], vcc
	s_xor_b64 s[8:9], exec, s[8:9]
	s_cbranch_execz .LBB75_134
; %bb.130:                              ;   in Loop: Header=BB75_20 Depth=1
	ds_read_b32 v3, v21 offset:4104
	v_and_b32_e32 v38, v38, v4
	v_or_b32_e32 v44, v44, v2
	s_waitcnt lgkmcnt(0)
	v_cmp_ne_u32_e32 vcc, 0, v3
	s_cbranch_vccnz .LBB75_134
; %bb.131:                              ;   in Loop: Header=BB75_20 Depth=1
	s_mov_b64 s[26:27], exec
	v_readlane_b32 s24, v81, 2
	v_readlane_b32 s25, v81, 3
	s_and_b64 s[24:25], s[26:27], s[24:25]
	s_mov_b64 exec, s[24:25]
; %bb.132:                              ;   in Loop: Header=BB75_20 Depth=1
	v_mov_b32_e32 v3, s44
	ds_write_b32 v21, v3 offset:4108
; %bb.133:                              ;   in Loop: Header=BB75_20 Depth=1
	s_or_b64 exec, exec, s[26:27]
	s_waitcnt lgkmcnt(0)
	s_barrier
.LBB75_134:                             ;   in Loop: Header=BB75_20 Depth=1
	s_or_saveexec_b64 s[8:9], s[8:9]
	s_mov_b64 s[26:27], 0
	v_mov_b32_e32 v3, 8
	s_xor_b64 exec, exec, s[8:9]
; %bb.135:                              ;   in Loop: Header=BB75_20 Depth=1
	s_mov_b64 s[26:27], exec
	v_subrev_u32_e32 v46, s44, v46
	v_mov_b32_e32 v3, 0
; %bb.136:                              ;   in Loop: Header=BB75_20 Depth=1
	s_or_b64 exec, exec, s[8:9]
	s_and_b64 s[26:27], s[26:27], exec
	v_mov_b32_e32 v5, v46
.LBB75_137:                             ;   in Loop: Header=BB75_20 Depth=1
	s_or_b64 exec, exec, s[2:3]
	s_mov_b64 s[2:3], -1
	s_mov_b64 s[8:9], -1
                                        ; implicit-def: $sgpr28_sgpr29
                                        ; implicit-def: $sgpr30_sgpr31
	s_and_saveexec_b64 s[24:25], s[26:27]
	s_xor_b64 s[26:27], exec, s[24:25]
	s_cbranch_execz .LBB75_254
; %bb.138:                              ;   in Loop: Header=BB75_20 Depth=1
	s_cmp_eq_u32 s48, 1
	s_cselect_b64 s[8:9], -1, 0
	v_cmp_eq_u32_e32 vcc, 1, v5
	s_and_b64 s[36:37], s[8:9], vcc
	s_mov_b64 s[38:39], -1
                                        ; implicit-def: $sgpr30_sgpr31
                                        ; implicit-def: $sgpr28_sgpr29
	s_and_saveexec_b64 s[8:9], s[36:37]
	s_cbranch_execz .LBB75_164
; %bb.139:                              ;   in Loop: Header=BB75_20 Depth=1
	ds_read_b32 v6, v21 offset:4104
	s_waitcnt lgkmcnt(0)
	s_barrier
	v_readfirstlane_b32 s24, v6
	s_and_saveexec_b64 s[28:29], s[6:7]
; %bb.140:                              ;   in Loop: Header=BB75_20 Depth=1
	ds_write_b8 v0, v21 offset:3072
; %bb.141:                              ;   in Loop: Header=BB75_20 Depth=1
	s_or_b64 exec, exec, s[28:29]
	v_and_b32_e32 v6, v38, v4
	v_lshl_or_b32 v38, 1, v41, v6
	v_or_b32_e32 v44, v44, v2
	s_mov_b64 s[28:29], -1
	s_mov_b64 s[30:31], 0
	s_cmp_eq_u32 s24, 0
	s_mov_b64 s[34:35], 0
	s_waitcnt lgkmcnt(0)
	s_barrier
                                        ; implicit-def: $vgpr45
	s_cbranch_scc1 .LBB75_152
; %bb.142:                              ;   in Loop: Header=BB75_20 Depth=1
	v_readlane_b32 s25, v81, 10
	s_add_i32 s25, s24, s25
	v_readlane_b32 s34, v81, 41
	s_mul_hi_u32 s34, s25, s34
	s_mul_i32 s34, s34, s67
	s_sub_i32 s34, s25, s34
	s_sub_i32 s35, s34, s67
	s_cmp_ge_u32 s34, s67
	s_cselect_b32 s34, s35, s34
	s_sub_i32 s35, s34, s67
	s_cmp_ge_u32 s34, s67
	s_cselect_b32 s34, s35, s34
	s_sub_i32 s25, s25, s34
	v_cmp_gt_u32_e32 vcc, s25, v0
	s_mov_b64 s[38:39], 0
	s_mov_b64 s[34:35], 0
                                        ; implicit-def: $vgpr45
	s_and_saveexec_b64 s[40:41], vcc
	s_cbranch_execz .LBB75_151
; %bb.143:                              ;   in Loop: Header=BB75_20 Depth=1
	v_mov_b32_e32 v6, v0
                                        ; implicit-def: $sgpr42_sgpr43
	s_branch .LBB75_146
.LBB75_144:                             ;   in Loop: Header=BB75_146 Depth=2
	s_or_b64 exec, exec, s[44:45]
	s_waitcnt lgkmcnt(0)
	s_barrier
	ds_read_u16 v7, v21 offset:3072
	s_mov_b64 s[44:45], -1
	s_waitcnt lgkmcnt(0)
	s_barrier
	v_cmp_ne_u32_sdwa s[46:47], v7, v21 src0_sel:BYTE_0 src1_sel:DWORD
	s_and_b64 vcc, exec, s[46:47]
	s_mov_b64 s[46:47], -1
	s_cbranch_vccz .LBB75_149
.LBB75_145:                             ;   in Loop: Header=BB75_146 Depth=2
	s_and_b64 s[44:45], exec, s[44:45]
	s_or_b64 s[34:35], s[44:45], s[34:35]
	s_andn2_b64 s[42:43], s[42:43], exec
	s_and_b64 s[44:45], s[46:47], exec
	s_or_b64 s[42:43], s[42:43], s[44:45]
	s_andn2_b64 exec, exec, s[34:35]
	s_cbranch_execz .LBB75_150
.LBB75_146:                             ;   Parent Loop BB75_20 Depth=1
                                        ; =>  This Inner Loop Header: Depth=2
	v_cmp_gt_u32_e32 vcc, s24, v6
	s_and_saveexec_b64 s[44:45], vcc
	s_cbranch_execz .LBB75_144
; %bb.147:                              ;   in Loop: Header=BB75_146 Depth=2
	ds_read_u8 v7, v6
	s_waitcnt lgkmcnt(0)
	v_bitop3_b32 v8, v7, s82, v44 bitop3:0x80
	v_cmp_eq_u32_e32 vcc, v8, v38
	s_and_b64 exec, exec, vcc
	s_cbranch_execz .LBB75_144
; %bb.148:                              ;   in Loop: Header=BB75_146 Depth=2
	v_lshlrev_b16_e32 v7, 8, v7
	v_or_b32_e32 v7, 1, v7
	ds_write_b16 v21, v7 offset:3072
	s_branch .LBB75_144
.LBB75_149:                             ;   in Loop: Header=BB75_146 Depth=2
	v_add_u32_e32 v6, s67, v6
	v_cmp_le_u32_e32 vcc, s25, v6
	s_mov_b64 s[46:47], 0
	s_orn2_b64 s[44:45], vcc, exec
	s_branch .LBB75_145
.LBB75_150:                             ;   in Loop: Header=BB75_20 Depth=1
	s_or_b64 exec, exec, s[34:35]
	v_lshrrev_b32_sdwa v45, v43, v7 dst_sel:DWORD dst_unused:UNUSED_PAD src0_sel:DWORD src1_sel:WORD_0
	s_and_b64 s[34:35], s[42:43], exec
.LBB75_151:                             ;   in Loop: Header=BB75_20 Depth=1
	s_or_b64 exec, exec, s[40:41]
.LBB75_152:                             ;   in Loop: Header=BB75_20 Depth=1
	s_and_b64 vcc, exec, s[38:39]
	s_cbranch_vccz .LBB75_163
; %bb.153:                              ;   in Loop: Header=BB75_20 Depth=1
                                        ; implicit-def: $vgpr45
	s_mov_b64 s[28:29], exec
	v_readlane_b32 s24, v81, 42
	v_readlane_b32 s25, v81, 43
	s_and_b64 s[24:25], s[28:29], s[24:25]
	s_mov_b64 exec, s[24:25]
	s_cbranch_execz .LBB75_162
; %bb.154:                              ;   in Loop: Header=BB75_20 Depth=1
	s_mov_b64 s[30:31], 0
	v_mov_b32_e32 v6, v18
	v_mov_b32_e32 v7, v0
                                        ; implicit-def: $sgpr38_sgpr39
	s_branch .LBB75_157
.LBB75_155:                             ;   in Loop: Header=BB75_157 Depth=2
	s_or_b64 exec, exec, s[40:41]
	s_waitcnt lgkmcnt(0)
	s_barrier
	ds_read_u16 v8, v21 offset:3072
	s_mov_b64 s[40:41], -1
	s_mov_b64 s[42:43], -1
	s_waitcnt lgkmcnt(0)
	s_barrier
	v_cmp_eq_u32_sdwa s[24:25], v8, v21 src0_sel:BYTE_0 src1_sel:DWORD
	s_and_b64 vcc, exec, s[24:25]
	s_cbranch_vccnz .LBB75_160
.LBB75_156:                             ;   in Loop: Header=BB75_157 Depth=2
	s_and_b64 s[24:25], exec, s[40:41]
	s_or_b64 s[30:31], s[24:25], s[30:31]
	s_andn2_b64 s[24:25], s[38:39], exec
	s_and_b64 s[38:39], s[42:43], exec
	s_or_b64 s[38:39], s[24:25], s[38:39]
	s_andn2_b64 exec, exec, s[30:31]
	s_cbranch_execz .LBB75_161
.LBB75_157:                             ;   Parent Loop BB75_20 Depth=1
                                        ; =>  This Inner Loop Header: Depth=2
	v_cmp_gt_u32_e32 vcc, s64, v7
	s_and_saveexec_b64 s[40:41], vcc
	s_cbranch_execz .LBB75_155
; %bb.158:                              ;   in Loop: Header=BB75_157 Depth=2
	global_load_ubyte v8, v6, s[74:75]
	s_waitcnt vmcnt(0)
	v_bitop3_b32 v9, v8, s82, v44 bitop3:0x80
	v_cmp_eq_u32_e32 vcc, v9, v38
	s_and_b64 exec, exec, vcc
	s_cbranch_execz .LBB75_155
; %bb.159:                              ;   in Loop: Header=BB75_157 Depth=2
	v_lshlrev_b16_e32 v8, 8, v8
	v_or_b32_e32 v8, 1, v8
	ds_write_b16 v21, v8 offset:3072
	s_branch .LBB75_155
.LBB75_160:                             ;   in Loop: Header=BB75_157 Depth=2
	v_add_u32_e32 v7, s67, v7
	v_cmp_le_u32_e32 vcc, s20, v7
	v_add_u32_e32 v6, s90, v6
	s_mov_b64 s[42:43], 0
	s_orn2_b64 s[40:41], vcc, exec
	s_branch .LBB75_156
.LBB75_161:                             ;   in Loop: Header=BB75_20 Depth=1
	s_or_b64 exec, exec, s[30:31]
	s_andn2_b64 s[24:25], s[34:35], exec
	s_and_b64 s[30:31], s[38:39], exec
	v_lshrrev_b32_sdwa v45, v43, v8 dst_sel:DWORD dst_unused:UNUSED_PAD src0_sel:DWORD src1_sel:WORD_0
	s_or_b64 s[34:35], s[24:25], s[30:31]
.LBB75_162:                             ;   in Loop: Header=BB75_20 Depth=1
	s_or_b64 exec, exec, s[28:29]
	s_mov_b64 s[28:29], 0
	s_mov_b64 s[30:31], -1
.LBB75_163:                             ;   in Loop: Header=BB75_20 Depth=1
	s_orn2_b64 s[38:39], s[34:35], exec
.LBB75_164:                             ;   in Loop: Header=BB75_20 Depth=1
	s_or_b64 exec, exec, s[8:9]
	s_mov_b64 s[8:9], 0
	s_and_saveexec_b64 s[34:35], s[38:39]
	s_cbranch_execz .LBB75_253
; %bb.165:                              ;   in Loop: Header=BB75_20 Depth=1
	s_xor_b64 s[24:25], s[36:37], -1
	s_mov_b64 s[42:43], 0
	v_mov_b32_e32 v6, 1
	v_mov_b32_e32 v3, 1
	s_and_saveexec_b64 s[8:9], s[24:25]
	s_cbranch_execz .LBB75_174
; %bb.166:                              ;   in Loop: Header=BB75_20 Depth=1
	v_cmp_ge_u32_e32 vcc, s48, v5
	s_and_saveexec_b64 s[24:25], vcc
	s_xor_b64 s[36:37], exec, s[24:25]
	s_cbranch_execz .LBB75_171
; %bb.167:                              ;   in Loop: Header=BB75_20 Depth=1
	ds_read_b32 v3, v21 offset:4104
	v_and_b32_e32 v6, v38, v4
	v_lshl_or_b32 v38, 1, v41, v6
	v_or_b32_e32 v44, v44, v2
	s_waitcnt lgkmcnt(0)
	v_cmp_ne_u32_e32 vcc, 0, v3
	s_cbranch_vccnz .LBB75_171
; %bb.168:                              ;   in Loop: Header=BB75_20 Depth=1
	s_mov_b64 s[38:39], exec
	v_readlane_b32 s24, v81, 2
	v_readlane_b32 s25, v81, 3
	s_and_b64 s[24:25], s[38:39], s[24:25]
	s_mov_b64 exec, s[24:25]
; %bb.169:                              ;   in Loop: Header=BB75_20 Depth=1
	v_mov_b32_e32 v3, s48
	ds_write_b32 v21, v3 offset:4108
; %bb.170:                              ;   in Loop: Header=BB75_20 Depth=1
	s_or_b64 exec, exec, s[38:39]
	s_waitcnt lgkmcnt(0)
	s_barrier
.LBB75_171:                             ;   in Loop: Header=BB75_20 Depth=1
	s_or_saveexec_b64 s[36:37], s[36:37]
	s_mov_b64 s[38:39], 0
	v_mov_b32_e32 v3, 8
	s_xor_b64 exec, exec, s[36:37]
; %bb.172:                              ;   in Loop: Header=BB75_20 Depth=1
	s_mov_b64 s[38:39], exec
	v_subrev_u32_e32 v5, s48, v5
	v_mov_b32_e32 v3, 0
; %bb.173:                              ;   in Loop: Header=BB75_20 Depth=1
	s_or_b64 exec, exec, s[36:37]
	s_and_b64 s[42:43], s[38:39], exec
	v_mov_b32_e32 v6, v5
.LBB75_174:                             ;   in Loop: Header=BB75_20 Depth=1
	s_or_b64 exec, exec, s[8:9]
	s_mov_b64 s[8:9], -1
                                        ; implicit-def: $sgpr38_sgpr39
                                        ; implicit-def: $sgpr40_sgpr41
	s_and_saveexec_b64 s[36:37], s[42:43]
	s_cbranch_execz .LBB75_252
; %bb.175:                              ;   in Loop: Header=BB75_20 Depth=1
	s_cmp_eq_u32 s56, 1
	s_cselect_b64 s[8:9], -1, 0
	v_cmp_eq_u32_e32 vcc, 1, v6
	s_and_b64 s[44:45], s[8:9], vcc
	s_mov_b64 s[46:47], -1
                                        ; implicit-def: $sgpr40_sgpr41
                                        ; implicit-def: $sgpr38_sgpr39
	s_and_saveexec_b64 s[8:9], s[44:45]
	s_cbranch_execz .LBB75_201
; %bb.176:                              ;   in Loop: Header=BB75_20 Depth=1
	ds_read_b32 v5, v21 offset:4104
	s_waitcnt lgkmcnt(0)
	s_barrier
	v_readfirstlane_b32 s24, v5
	s_and_saveexec_b64 s[38:39], s[6:7]
; %bb.177:                              ;   in Loop: Header=BB75_20 Depth=1
	ds_write_b8 v0, v21 offset:3072
; %bb.178:                              ;   in Loop: Header=BB75_20 Depth=1
	s_or_b64 exec, exec, s[38:39]
	v_and_b32_e32 v5, v38, v4
	v_lshl_or_b32 v38, 2, v41, v5
	v_or_b32_e32 v44, v44, v2
	s_mov_b64 s[38:39], -1
	s_mov_b64 s[40:41], 0
	s_cmp_eq_u32 s24, 0
	s_mov_b64 s[42:43], 0
	s_waitcnt lgkmcnt(0)
	s_barrier
                                        ; implicit-def: $vgpr45
	s_cbranch_scc1 .LBB75_189
; %bb.179:                              ;   in Loop: Header=BB75_20 Depth=1
	v_readlane_b32 s25, v81, 10
	s_add_i32 s25, s24, s25
	v_readlane_b32 s42, v81, 41
	s_mul_hi_u32 s42, s25, s42
	s_mul_i32 s42, s42, s67
	s_sub_i32 s42, s25, s42
	s_sub_i32 s43, s42, s67
	s_cmp_ge_u32 s42, s67
	s_cselect_b32 s42, s43, s42
	s_sub_i32 s43, s42, s67
	s_cmp_ge_u32 s42, s67
	s_cselect_b32 s42, s43, s42
	s_sub_i32 s25, s25, s42
	v_cmp_gt_u32_e32 vcc, s25, v0
	s_mov_b64 s[46:47], 0
	s_mov_b64 s[42:43], 0
                                        ; implicit-def: $vgpr45
	s_and_saveexec_b64 s[48:49], vcc
	s_cbranch_execz .LBB75_188
; %bb.180:                              ;   in Loop: Header=BB75_20 Depth=1
	v_mov_b32_e32 v5, v0
                                        ; implicit-def: $sgpr50_sgpr51
	s_branch .LBB75_183
.LBB75_181:                             ;   in Loop: Header=BB75_183 Depth=2
	s_or_b64 exec, exec, s[52:53]
	s_waitcnt lgkmcnt(0)
	s_barrier
	ds_read_u16 v7, v21 offset:3072
	s_mov_b64 s[52:53], -1
	s_waitcnt lgkmcnt(0)
	s_barrier
	v_cmp_ne_u32_sdwa s[54:55], v7, v21 src0_sel:BYTE_0 src1_sel:DWORD
	s_and_b64 vcc, exec, s[54:55]
	s_mov_b64 s[54:55], -1
	s_cbranch_vccz .LBB75_186
.LBB75_182:                             ;   in Loop: Header=BB75_183 Depth=2
	s_and_b64 s[52:53], exec, s[52:53]
	s_or_b64 s[42:43], s[52:53], s[42:43]
	s_andn2_b64 s[50:51], s[50:51], exec
	s_and_b64 s[52:53], s[54:55], exec
	s_or_b64 s[50:51], s[50:51], s[52:53]
	s_andn2_b64 exec, exec, s[42:43]
	s_cbranch_execz .LBB75_187
.LBB75_183:                             ;   Parent Loop BB75_20 Depth=1
                                        ; =>  This Inner Loop Header: Depth=2
	v_cmp_gt_u32_e32 vcc, s24, v5
	s_and_saveexec_b64 s[52:53], vcc
	s_cbranch_execz .LBB75_181
; %bb.184:                              ;   in Loop: Header=BB75_183 Depth=2
	ds_read_u8 v7, v5
	s_waitcnt lgkmcnt(0)
	v_bitop3_b32 v8, v7, s82, v44 bitop3:0x80
	v_cmp_eq_u32_e32 vcc, v8, v38
	s_and_b64 exec, exec, vcc
	s_cbranch_execz .LBB75_181
; %bb.185:                              ;   in Loop: Header=BB75_183 Depth=2
	v_lshlrev_b16_e32 v7, 8, v7
	v_or_b32_e32 v7, 1, v7
	ds_write_b16 v21, v7 offset:3072
	s_branch .LBB75_181
.LBB75_186:                             ;   in Loop: Header=BB75_183 Depth=2
	v_add_u32_e32 v5, s67, v5
	v_cmp_le_u32_e32 vcc, s25, v5
	s_mov_b64 s[54:55], 0
	s_orn2_b64 s[52:53], vcc, exec
	s_branch .LBB75_182
.LBB75_187:                             ;   in Loop: Header=BB75_20 Depth=1
	s_or_b64 exec, exec, s[42:43]
	v_lshrrev_b32_sdwa v45, v43, v7 dst_sel:DWORD dst_unused:UNUSED_PAD src0_sel:DWORD src1_sel:WORD_0
	s_and_b64 s[42:43], s[50:51], exec
.LBB75_188:                             ;   in Loop: Header=BB75_20 Depth=1
	s_or_b64 exec, exec, s[48:49]
.LBB75_189:                             ;   in Loop: Header=BB75_20 Depth=1
	s_and_b64 vcc, exec, s[46:47]
	s_cbranch_vccz .LBB75_200
; %bb.190:                              ;   in Loop: Header=BB75_20 Depth=1
                                        ; implicit-def: $vgpr45
	s_mov_b64 s[38:39], exec
	v_readlane_b32 s24, v81, 42
	v_readlane_b32 s25, v81, 43
	s_and_b64 s[24:25], s[38:39], s[24:25]
	s_mov_b64 exec, s[24:25]
	s_cbranch_execz .LBB75_199
; %bb.191:                              ;   in Loop: Header=BB75_20 Depth=1
	s_mov_b64 s[40:41], 0
	v_mov_b32_e32 v5, v18
	v_mov_b32_e32 v7, v0
                                        ; implicit-def: $sgpr46_sgpr47
	s_branch .LBB75_194
.LBB75_192:                             ;   in Loop: Header=BB75_194 Depth=2
	s_or_b64 exec, exec, s[48:49]
	s_waitcnt lgkmcnt(0)
	s_barrier
	ds_read_u16 v8, v21 offset:3072
	s_mov_b64 s[48:49], -1
	s_mov_b64 s[50:51], -1
	s_waitcnt lgkmcnt(0)
	s_barrier
	v_cmp_eq_u32_sdwa s[24:25], v8, v21 src0_sel:BYTE_0 src1_sel:DWORD
	s_and_b64 vcc, exec, s[24:25]
	s_cbranch_vccnz .LBB75_197
.LBB75_193:                             ;   in Loop: Header=BB75_194 Depth=2
	s_and_b64 s[24:25], exec, s[48:49]
	s_or_b64 s[40:41], s[24:25], s[40:41]
	s_andn2_b64 s[24:25], s[46:47], exec
	s_and_b64 s[46:47], s[50:51], exec
	s_or_b64 s[46:47], s[24:25], s[46:47]
	s_andn2_b64 exec, exec, s[40:41]
	s_cbranch_execz .LBB75_198
.LBB75_194:                             ;   Parent Loop BB75_20 Depth=1
                                        ; =>  This Inner Loop Header: Depth=2
	v_cmp_gt_u32_e32 vcc, s64, v7
	s_and_saveexec_b64 s[48:49], vcc
	s_cbranch_execz .LBB75_192
; %bb.195:                              ;   in Loop: Header=BB75_194 Depth=2
	global_load_ubyte v8, v5, s[74:75]
	s_waitcnt vmcnt(0)
	v_bitop3_b32 v9, v8, s82, v44 bitop3:0x80
	v_cmp_eq_u32_e32 vcc, v9, v38
	s_and_b64 exec, exec, vcc
	s_cbranch_execz .LBB75_192
; %bb.196:                              ;   in Loop: Header=BB75_194 Depth=2
	v_lshlrev_b16_e32 v8, 8, v8
	v_or_b32_e32 v8, 1, v8
	ds_write_b16 v21, v8 offset:3072
	s_branch .LBB75_192
.LBB75_197:                             ;   in Loop: Header=BB75_194 Depth=2
	v_add_u32_e32 v7, s67, v7
	v_cmp_le_u32_e32 vcc, s20, v7
	v_add_u32_e32 v5, s90, v5
	s_mov_b64 s[50:51], 0
	s_orn2_b64 s[48:49], vcc, exec
	s_branch .LBB75_193
.LBB75_198:                             ;   in Loop: Header=BB75_20 Depth=1
	s_or_b64 exec, exec, s[40:41]
	s_andn2_b64 s[24:25], s[42:43], exec
	s_and_b64 s[40:41], s[46:47], exec
	v_lshrrev_b32_sdwa v45, v43, v8 dst_sel:DWORD dst_unused:UNUSED_PAD src0_sel:DWORD src1_sel:WORD_0
	s_or_b64 s[42:43], s[24:25], s[40:41]
.LBB75_199:                             ;   in Loop: Header=BB75_20 Depth=1
	s_or_b64 exec, exec, s[38:39]
	s_mov_b64 s[38:39], 0
	s_mov_b64 s[40:41], -1
.LBB75_200:                             ;   in Loop: Header=BB75_20 Depth=1
	s_orn2_b64 s[46:47], s[42:43], exec
.LBB75_201:                             ;   in Loop: Header=BB75_20 Depth=1
	s_or_b64 exec, exec, s[8:9]
	s_mov_b64 s[8:9], 0
	s_and_saveexec_b64 s[42:43], s[46:47]
	s_cbranch_execz .LBB75_251
; %bb.202:                              ;   in Loop: Header=BB75_20 Depth=1
	s_xor_b64 s[24:25], s[44:45], -1
	s_mov_b64 s[50:51], 0
	v_mov_b32_e32 v5, 1
	v_mov_b32_e32 v3, 1
	s_and_saveexec_b64 s[8:9], s[24:25]
	s_cbranch_execz .LBB75_211
; %bb.203:                              ;   in Loop: Header=BB75_20 Depth=1
	v_cmp_ge_u32_e32 vcc, s56, v6
	s_and_saveexec_b64 s[24:25], vcc
	s_xor_b64 s[44:45], exec, s[24:25]
	s_cbranch_execz .LBB75_208
; %bb.204:                              ;   in Loop: Header=BB75_20 Depth=1
	ds_read_b32 v3, v21 offset:4104
	v_and_b32_e32 v4, v38, v4
	v_lshl_or_b32 v38, 2, v41, v4
	v_or_b32_e32 v44, v44, v2
	s_waitcnt lgkmcnt(0)
	v_cmp_ne_u32_e32 vcc, 0, v3
	s_cbranch_vccnz .LBB75_208
; %bb.205:                              ;   in Loop: Header=BB75_20 Depth=1
	s_mov_b64 s[46:47], exec
	v_readlane_b32 s24, v81, 2
	v_readlane_b32 s25, v81, 3
	s_and_b64 s[24:25], s[46:47], s[24:25]
	s_mov_b64 exec, s[24:25]
; %bb.206:                              ;   in Loop: Header=BB75_20 Depth=1
	v_mov_b32_e32 v3, s56
	ds_write_b32 v21, v3 offset:4108
; %bb.207:                              ;   in Loop: Header=BB75_20 Depth=1
	s_or_b64 exec, exec, s[46:47]
	s_waitcnt lgkmcnt(0)
	s_barrier
.LBB75_208:                             ;   in Loop: Header=BB75_20 Depth=1
	s_or_saveexec_b64 s[44:45], s[44:45]
	s_mov_b64 s[46:47], 0
	v_mov_b32_e32 v3, 8
	s_xor_b64 exec, exec, s[44:45]
; %bb.209:                              ;   in Loop: Header=BB75_20 Depth=1
	s_mov_b64 s[46:47], exec
	v_subrev_u32_e32 v6, s56, v6
	v_mov_b32_e32 v3, 0
; %bb.210:                              ;   in Loop: Header=BB75_20 Depth=1
	s_or_b64 exec, exec, s[44:45]
	s_and_b64 s[50:51], s[46:47], exec
	v_mov_b32_e32 v5, v6
.LBB75_211:                             ;   in Loop: Header=BB75_20 Depth=1
	s_or_b64 exec, exec, s[8:9]
	s_mov_b64 s[8:9], -1
                                        ; implicit-def: $sgpr48_sgpr49
                                        ; implicit-def: $sgpr46_sgpr47
	s_and_saveexec_b64 s[44:45], s[50:51]
	s_cbranch_execz .LBB75_250
; %bb.212:                              ;   in Loop: Header=BB75_20 Depth=1
	s_cmp_eq_u32 s78, 1
	s_cselect_b64 s[8:9], -1, 0
	v_cmp_eq_u32_e32 vcc, 1, v5
	s_and_b64 s[50:51], s[8:9], vcc
	s_mov_b64 s[52:53], -1
                                        ; implicit-def: $sgpr48_sgpr49
                                        ; implicit-def: $sgpr46_sgpr47
	s_and_saveexec_b64 s[8:9], s[50:51]
	s_cbranch_execz .LBB75_238
; %bb.213:                              ;   in Loop: Header=BB75_20 Depth=1
	ds_read_b32 v4, v21 offset:4104
	s_waitcnt lgkmcnt(0)
	s_barrier
	v_readfirstlane_b32 s24, v4
	s_and_saveexec_b64 s[46:47], s[6:7]
; %bb.214:                              ;   in Loop: Header=BB75_20 Depth=1
	ds_write_b8 v0, v21 offset:3072
; %bb.215:                              ;   in Loop: Header=BB75_20 Depth=1
	s_or_b64 exec, exec, s[46:47]
	v_or_b32_e32 v38, v38, v2
	v_or_b32_e32 v44, v44, v2
	s_mov_b64 s[46:47], -1
	s_mov_b64 s[48:49], 0
	s_cmp_eq_u32 s24, 0
	s_mov_b64 s[52:53], 0
	s_mov_b64 s[54:55], -1
	s_waitcnt lgkmcnt(0)
	s_barrier
                                        ; implicit-def: $vgpr45
	s_cbranch_scc1 .LBB75_226
; %bb.216:                              ;   in Loop: Header=BB75_20 Depth=1
	v_readlane_b32 s25, v81, 10
	s_add_i32 s25, s24, s25
	v_readlane_b32 s52, v81, 41
	s_mul_hi_u32 s52, s25, s52
	s_mul_i32 s52, s52, s67
	s_sub_i32 s52, s25, s52
	s_sub_i32 s53, s52, s67
	s_cmp_ge_u32 s52, s67
	s_cselect_b32 s52, s53, s52
	s_sub_i32 s53, s52, s67
	s_cmp_ge_u32 s52, s67
	s_cselect_b32 s52, s53, s52
	s_sub_i32 s25, s25, s52
	v_cmp_gt_u32_e32 vcc, s25, v0
	s_mov_b64 s[54:55], 0
	s_mov_b64 s[52:53], 0
                                        ; implicit-def: $vgpr45
	s_and_saveexec_b64 s[56:57], vcc
	s_cbranch_execz .LBB75_225
; %bb.217:                              ;   in Loop: Header=BB75_20 Depth=1
	v_mov_b32_e32 v4, v0
                                        ; implicit-def: $sgpr58_sgpr59
	s_branch .LBB75_220
.LBB75_218:                             ;   in Loop: Header=BB75_220 Depth=2
	s_or_b64 exec, exec, s[60:61]
	s_waitcnt lgkmcnt(0)
	s_barrier
	ds_read_u16 v6, v21 offset:3072
	s_mov_b64 s[60:61], -1
	s_waitcnt lgkmcnt(0)
	s_barrier
	v_cmp_ne_u32_sdwa s[62:63], v6, v21 src0_sel:BYTE_0 src1_sel:DWORD
	s_and_b64 vcc, exec, s[62:63]
	s_mov_b64 s[62:63], -1
	s_cbranch_vccz .LBB75_223
.LBB75_219:                             ;   in Loop: Header=BB75_220 Depth=2
	s_and_b64 s[60:61], exec, s[60:61]
	s_or_b64 s[52:53], s[60:61], s[52:53]
	s_andn2_b64 s[58:59], s[58:59], exec
	s_and_b64 s[60:61], s[62:63], exec
	s_or_b64 s[58:59], s[58:59], s[60:61]
	s_andn2_b64 exec, exec, s[52:53]
	s_cbranch_execz .LBB75_224
.LBB75_220:                             ;   Parent Loop BB75_20 Depth=1
                                        ; =>  This Inner Loop Header: Depth=2
	v_cmp_gt_u32_e32 vcc, s24, v4
	s_and_saveexec_b64 s[60:61], vcc
	s_cbranch_execz .LBB75_218
; %bb.221:                              ;   in Loop: Header=BB75_220 Depth=2
	ds_read_u8 v6, v4
	s_waitcnt lgkmcnt(0)
	v_bitop3_b32 v7, v6, s82, v44 bitop3:0x80
	v_cmp_eq_u32_e32 vcc, v7, v38
	s_and_b64 exec, exec, vcc
	s_cbranch_execz .LBB75_218
; %bb.222:                              ;   in Loop: Header=BB75_220 Depth=2
	v_lshlrev_b16_e32 v6, 8, v6
	v_or_b32_e32 v6, 1, v6
	ds_write_b16 v21, v6 offset:3072
	s_branch .LBB75_218
.LBB75_223:                             ;   in Loop: Header=BB75_220 Depth=2
	v_add_u32_e32 v4, s67, v4
	v_cmp_le_u32_e32 vcc, s25, v4
	s_mov_b64 s[62:63], 0
	s_orn2_b64 s[60:61], vcc, exec
	s_branch .LBB75_219
.LBB75_224:                             ;   in Loop: Header=BB75_20 Depth=1
	s_or_b64 exec, exec, s[52:53]
	v_lshrrev_b32_sdwa v45, v43, v6 dst_sel:DWORD dst_unused:UNUSED_PAD src0_sel:DWORD src1_sel:WORD_0
	s_and_b64 s[52:53], s[58:59], exec
	s_mov_b32 s60, s89
	s_mov_b32 s61, s84
	;; [unrolled: 1-line block ×6, first 2 shown]
.LBB75_225:                             ;   in Loop: Header=BB75_20 Depth=1
	s_or_b64 exec, exec, s[56:57]
.LBB75_226:                             ;   in Loop: Header=BB75_20 Depth=1
	s_and_b64 vcc, exec, s[54:55]
	s_cbranch_vccz .LBB75_237
; %bb.227:                              ;   in Loop: Header=BB75_20 Depth=1
                                        ; implicit-def: $vgpr45
	s_mov_b64 s[46:47], exec
	v_readlane_b32 s24, v81, 42
	v_readlane_b32 s25, v81, 43
	s_and_b64 s[24:25], s[46:47], s[24:25]
	s_mov_b64 exec, s[24:25]
	s_cbranch_execz .LBB75_236
; %bb.228:                              ;   in Loop: Header=BB75_20 Depth=1
	s_mov_b64 s[48:49], 0
	v_mov_b32_e32 v4, v18
	v_mov_b32_e32 v6, v0
                                        ; implicit-def: $sgpr54_sgpr55
	s_branch .LBB75_231
.LBB75_229:                             ;   in Loop: Header=BB75_231 Depth=2
	s_or_b64 exec, exec, s[56:57]
	s_waitcnt lgkmcnt(0)
	s_barrier
	ds_read_u16 v7, v21 offset:3072
	s_mov_b64 s[56:57], -1
	s_mov_b64 s[58:59], -1
	s_waitcnt lgkmcnt(0)
	s_barrier
	v_cmp_eq_u32_sdwa s[24:25], v7, v21 src0_sel:BYTE_0 src1_sel:DWORD
	s_and_b64 vcc, exec, s[24:25]
	s_cbranch_vccnz .LBB75_234
.LBB75_230:                             ;   in Loop: Header=BB75_231 Depth=2
	s_and_b64 s[24:25], exec, s[56:57]
	s_or_b64 s[48:49], s[24:25], s[48:49]
	s_andn2_b64 s[24:25], s[54:55], exec
	s_and_b64 s[54:55], s[58:59], exec
	s_or_b64 s[54:55], s[24:25], s[54:55]
	s_andn2_b64 exec, exec, s[48:49]
	s_cbranch_execz .LBB75_235
.LBB75_231:                             ;   Parent Loop BB75_20 Depth=1
                                        ; =>  This Inner Loop Header: Depth=2
	v_cmp_gt_u32_e32 vcc, s64, v6
	s_and_saveexec_b64 s[56:57], vcc
	s_cbranch_execz .LBB75_229
; %bb.232:                              ;   in Loop: Header=BB75_231 Depth=2
	global_load_ubyte v7, v4, s[74:75]
	s_waitcnt vmcnt(0)
	v_bitop3_b32 v8, v7, s82, v44 bitop3:0x80
	v_cmp_eq_u32_e32 vcc, v8, v38
	s_and_b64 exec, exec, vcc
	s_cbranch_execz .LBB75_229
; %bb.233:                              ;   in Loop: Header=BB75_231 Depth=2
	v_lshlrev_b16_e32 v7, 8, v7
	v_or_b32_e32 v7, 1, v7
	ds_write_b16 v21, v7 offset:3072
	s_branch .LBB75_229
.LBB75_234:                             ;   in Loop: Header=BB75_231 Depth=2
	v_add_u32_e32 v6, s67, v6
	v_cmp_le_u32_e32 vcc, s20, v6
	v_add_u32_e32 v4, s90, v4
	s_mov_b64 s[58:59], 0
	s_orn2_b64 s[56:57], vcc, exec
	s_branch .LBB75_230
.LBB75_235:                             ;   in Loop: Header=BB75_20 Depth=1
	s_or_b64 exec, exec, s[48:49]
	s_andn2_b64 s[24:25], s[52:53], exec
	s_and_b64 s[48:49], s[54:55], exec
	v_lshrrev_b32_sdwa v45, v43, v7 dst_sel:DWORD dst_unused:UNUSED_PAD src0_sel:DWORD src1_sel:WORD_0
	s_or_b64 s[52:53], s[24:25], s[48:49]
.LBB75_236:                             ;   in Loop: Header=BB75_20 Depth=1
	s_or_b64 exec, exec, s[46:47]
	s_mov_b64 s[46:47], 0
	s_mov_b64 s[48:49], -1
.LBB75_237:                             ;   in Loop: Header=BB75_20 Depth=1
	s_orn2_b64 s[52:53], s[52:53], exec
.LBB75_238:                             ;   in Loop: Header=BB75_20 Depth=1
	s_or_b64 exec, exec, s[8:9]
	s_mov_b64 s[54:55], 0
	s_and_saveexec_b64 s[8:9], s[52:53]
	s_cbranch_execz .LBB75_249
; %bb.239:                              ;   in Loop: Header=BB75_20 Depth=1
	s_xor_b64 s[24:25], s[50:51], -1
	v_mov_b32_e32 v3, 1
	v_mov_b32_e32 v4, 1
	s_and_saveexec_b64 s[50:51], s[24:25]
	s_cbranch_execz .LBB75_248
; %bb.240:                              ;   in Loop: Header=BB75_20 Depth=1
	v_cmp_ge_u32_e32 vcc, s78, v5
	s_and_saveexec_b64 s[24:25], vcc
	s_xor_b64 s[52:53], exec, s[24:25]
	s_cbranch_execz .LBB75_245
; %bb.241:                              ;   in Loop: Header=BB75_20 Depth=1
	ds_read_b32 v3, v21 offset:4104
	v_or_b32_e32 v38, v38, v2
	v_or_b32_e32 v44, v44, v2
	s_waitcnt lgkmcnt(0)
	v_cmp_ne_u32_e32 vcc, 0, v3
	s_cbranch_vccnz .LBB75_245
; %bb.242:                              ;   in Loop: Header=BB75_20 Depth=1
	s_mov_b64 s[54:55], exec
	v_readlane_b32 s24, v81, 2
	v_readlane_b32 s25, v81, 3
	s_and_b64 s[24:25], s[54:55], s[24:25]
	s_mov_b64 exec, s[24:25]
; %bb.243:                              ;   in Loop: Header=BB75_20 Depth=1
	v_mov_b32_e32 v2, s78
	ds_write_b32 v21, v2 offset:4108
; %bb.244:                              ;   in Loop: Header=BB75_20 Depth=1
	s_or_b64 exec, exec, s[54:55]
	s_waitcnt lgkmcnt(0)
	s_barrier
.LBB75_245:                             ;   in Loop: Header=BB75_20 Depth=1
	s_andn2_saveexec_b64 s[52:53], s[52:53]
; %bb.246:                              ;   in Loop: Header=BB75_20 Depth=1
	v_subrev_u32_e32 v5, s78, v5
; %bb.247:                              ;   in Loop: Header=BB75_20 Depth=1
	s_or_b64 exec, exec, s[52:53]
	v_mov_b32_e32 v3, 8
	v_mov_b32_e32 v4, v5
.LBB75_248:                             ;   in Loop: Header=BB75_20 Depth=1
	s_or_b64 exec, exec, s[50:51]
	s_mov_b64 s[54:55], exec
	v_mov_b32_e32 v5, v4
.LBB75_249:                             ;   in Loop: Header=BB75_20 Depth=1
	s_or_b64 exec, exec, s[8:9]
	s_orn2_b64 s[8:9], s[54:55], exec
.LBB75_250:                             ;   in Loop: Header=BB75_20 Depth=1
	s_or_b64 exec, exec, s[44:45]
	s_andn2_b64 s[24:25], s[40:41], exec
	s_and_b64 s[40:41], s[48:49], exec
	s_or_b64 s[40:41], s[24:25], s[40:41]
	s_andn2_b64 s[24:25], s[38:39], exec
	s_and_b64 s[38:39], s[46:47], exec
	s_or_b64 s[38:39], s[24:25], s[38:39]
	s_and_b64 s[8:9], s[8:9], exec
	v_mov_b32_e32 v6, v5
.LBB75_251:                             ;   in Loop: Header=BB75_20 Depth=1
	s_or_b64 exec, exec, s[42:43]
	s_orn2_b64 s[8:9], s[8:9], exec
.LBB75_252:                             ;   in Loop: Header=BB75_20 Depth=1
	s_or_b64 exec, exec, s[36:37]
	s_andn2_b64 s[24:25], s[30:31], exec
	s_and_b64 s[30:31], s[40:41], exec
	s_or_b64 s[30:31], s[24:25], s[30:31]
	s_andn2_b64 s[24:25], s[28:29], exec
	s_and_b64 s[28:29], s[38:39], exec
	s_or_b64 s[28:29], s[24:25], s[28:29]
	s_and_b64 s[8:9], s[8:9], exec
	v_mov_b32_e32 v5, v6
.LBB75_253:                             ;   in Loop: Header=BB75_20 Depth=1
	s_or_b64 exec, exec, s[34:35]
	s_orn2_b64 s[8:9], s[8:9], exec
.LBB75_254:                             ;   in Loop: Header=BB75_20 Depth=1
	s_or_b64 exec, exec, s[26:27]
	s_mov_b64 s[26:27], 0
                                        ; implicit-def: $sgpr24
	s_and_saveexec_b64 s[34:35], s[8:9]
	s_xor_b64 s[8:9], exec, s[34:35]
	s_cbranch_execz .LBB75_18
; %bb.255:                              ;   in Loop: Header=BB75_20 Depth=1
	v_and_b32_e32 v2, 7, v3
	v_cmp_eq_u32_e32 vcc, 0, v2
	s_mov_b64 s[2:3], -1
	s_mov_b64 s[26:27], -1
                                        ; implicit-def: $sgpr24
	s_and_saveexec_b64 s[34:35], vcc
	s_cbranch_execz .LBB75_17
; %bb.256:                              ;   in Loop: Header=BB75_20 Depth=1
	v_add_u32_e32 v2, -2, v41
	v_cmp_eq_u32_e32 vcc, 0, v41
	s_xor_b32 s24, s92, 1
	s_xor_b64 s[26:27], exec, -1
	s_orn2_b64 s[2:3], vcc, exec
	v_mov_b32_e32 v41, v2
	s_branch .LBB75_17
.LBB75_257:
	s_or_b64 exec, exec, s[96:97]
	s_xor_b64 s[6:7], s[72:73], -1
	s_xor_b64 s[0:1], s[98:99], -1
	;; [unrolled: 1-line block ×3, first 2 shown]
	s_mov_b64 s[2:3], 0
	s_and_saveexec_b64 s[8:9], s[0:1]
	s_xor_b64 s[0:1], exec, s[8:9]
	s_cbranch_execnz .LBB75_262
; %bb.258:
	s_andn2_saveexec_b64 s[0:1], s[0:1]
	s_cbranch_execnz .LBB75_275
.LBB75_259:
	s_or_b64 exec, exec, s[0:1]
	s_and_saveexec_b64 s[0:1], s[2:3]
.LBB75_260:
	; divergent unreachable
.LBB75_261:
	s_endpgm
.LBB75_262:
	s_and_saveexec_b64 s[2:3], s[6:7]
	s_xor_b64 s[2:3], exec, s[2:3]
	s_cbranch_execz .LBB75_273
; %bb.263:
	s_and_saveexec_b64 s[6:7], s[4:5]
	s_xor_b64 s[4:5], exec, s[6:7]
; %bb.264:
	v_mov_b32_e32 v45, v38
; %bb.265:
	s_or_b64 exec, exec, s[4:5]
	v_readlane_b32 s4, v81, 0
	s_mul_i32 s4, s4, s33
	s_add_i32 s4, s4, s69
	v_mov_b32_e32 v1, s4
	v_readlane_b32 s4, v81, 4
	v_readlane_b32 s5, v81, 5
	s_nop 4
	global_store_byte v1, v45, s[4:5]
	s_mov_b64 s[4:5], exec
	v_readlane_b32 s6, v81, 8
	v_readlane_b32 s7, v81, 9
	s_and_b64 s[6:7], s[4:5], s[6:7]
	s_mov_b64 exec, s[6:7]
	s_cbranch_execz .LBB75_272
; %bb.266:
	s_mov_b64 s[6:7], 0
                                        ; implicit-def: $sgpr8_sgpr9
                                        ; implicit-def: $sgpr12_sgpr13
                                        ; implicit-def: $sgpr10_sgpr11
	s_branch .LBB75_268
.LBB75_267:                             ;   in Loop: Header=BB75_268 Depth=1
	s_or_b64 exec, exec, s[14:15]
	s_and_b64 s[14:15], exec, s[12:13]
	s_or_b64 s[6:7], s[14:15], s[6:7]
	s_andn2_b64 s[8:9], s[8:9], exec
	s_and_b64 s[14:15], s[10:11], exec
	s_or_b64 s[8:9], s[8:9], s[14:15]
	s_andn2_b64 exec, exec, s[6:7]
	s_cbranch_execz .LBB75_270
.LBB75_268:                             ; =>This Inner Loop Header: Depth=1
	global_load_ubyte v1, v18, s[74:75]
	v_mov_b32_e32 v2, v0
	s_or_b64 s[10:11], s[10:11], exec
	s_or_b64 s[12:13], s[12:13], exec
                                        ; implicit-def: $vgpr0
	s_waitcnt vmcnt(0)
	v_cmp_ne_u16_sdwa s[16:17], v1, v45 src0_sel:DWORD src1_sel:BYTE_0
	s_and_saveexec_b64 s[14:15], s[16:17]
	s_cbranch_execz .LBB75_267
; %bb.269:                              ;   in Loop: Header=BB75_268 Depth=1
	v_add_u32_e32 v0, s67, v2
	v_cmp_le_u32_e32 vcc, s64, v0
	s_andn2_b64 s[12:13], s[12:13], exec
	s_and_b64 s[16:17], vcc, exec
	v_add_u32_e32 v18, s90, v18
	s_andn2_b64 s[10:11], s[10:11], exec
	s_or_b64 s[12:13], s[12:13], s[16:17]
	s_branch .LBB75_267
.LBB75_270:
	s_or_b64 exec, exec, s[6:7]
	s_and_saveexec_b64 s[6:7], s[8:9]
	s_xor_b64 s[6:7], exec, s[6:7]
	s_cbranch_execz .LBB75_272
; %bb.271:
	v_readlane_b32 s6, v81, 1
	s_mul_i32 s6, s6, s65
	s_add_i32 s6, s6, s71
	s_mov_b32 s7, 0
	s_lshl_b64 s[6:7], s[6:7], 3
	v_readlane_b32 s8, v81, 6
	v_readlane_b32 s9, v81, 7
	s_add_u32 s6, s8, s6
	s_addc_u32 s7, s9, s7
	v_mov_b32_e32 v3, 0
	global_store_dwordx2 v3, v[2:3], s[6:7]
.LBB75_272:
	s_or_b64 exec, exec, s[4:5]
.LBB75_273:
	s_or_saveexec_b64 s[2:3], s[2:3]
	s_mov_b64 s[4:5], 0
	s_xor_b64 exec, exec, s[2:3]
	s_cbranch_execnz .LBB75_276
.LBB75_274:
	s_or_b64 exec, exec, s[2:3]
	s_and_b64 s[2:3], s[4:5], exec
	s_andn2_saveexec_b64 s[0:1], s[0:1]
	s_cbranch_execz .LBB75_259
.LBB75_275:
	s_or_b64 s[2:3], s[2:3], exec
	s_trap 2
	s_or_b64 exec, exec, s[0:1]
	s_and_saveexec_b64 s[0:1], s[2:3]
	s_cbranch_execnz .LBB75_260
	s_branch .LBB75_261
.LBB75_276:
	s_mov_b64 s[4:5], exec
	s_trap 2
	s_branch .LBB75_274
	.section	.rodata,"a",@progbits
	.p2align	6, 0x0
	.amdhsa_kernel _ZN2at6native12_GLOBAL__N_112gatherMedianIhjLin1EEEvNS_4cuda6detail10TensorInfoIT_T0_EENS5_IlS7_EENS5_IKS6_S7_EES7_S7_S7_b
		.amdhsa_group_segment_fixed_size 4120
		.amdhsa_private_segment_fixed_size 0
		.amdhsa_kernarg_size 920
		.amdhsa_user_sgpr_count 2
		.amdhsa_user_sgpr_dispatch_ptr 0
		.amdhsa_user_sgpr_queue_ptr 0
		.amdhsa_user_sgpr_kernarg_segment_ptr 1
		.amdhsa_user_sgpr_dispatch_id 0
		.amdhsa_user_sgpr_kernarg_preload_length 0
		.amdhsa_user_sgpr_kernarg_preload_offset 0
		.amdhsa_user_sgpr_private_segment_size 0
		.amdhsa_uses_dynamic_stack 0
		.amdhsa_enable_private_segment 0
		.amdhsa_system_sgpr_workgroup_id_x 1
		.amdhsa_system_sgpr_workgroup_id_y 1
		.amdhsa_system_sgpr_workgroup_id_z 1
		.amdhsa_system_sgpr_workgroup_info 0
		.amdhsa_system_vgpr_workitem_id 0
		.amdhsa_next_free_vgpr 82
		.amdhsa_next_free_sgpr 100
		.amdhsa_accum_offset 84
		.amdhsa_reserve_vcc 1
		.amdhsa_float_round_mode_32 0
		.amdhsa_float_round_mode_16_64 0
		.amdhsa_float_denorm_mode_32 3
		.amdhsa_float_denorm_mode_16_64 3
		.amdhsa_dx10_clamp 1
		.amdhsa_ieee_mode 1
		.amdhsa_fp16_overflow 0
		.amdhsa_tg_split 0
		.amdhsa_exception_fp_ieee_invalid_op 0
		.amdhsa_exception_fp_denorm_src 0
		.amdhsa_exception_fp_ieee_div_zero 0
		.amdhsa_exception_fp_ieee_overflow 0
		.amdhsa_exception_fp_ieee_underflow 0
		.amdhsa_exception_fp_ieee_inexact 0
		.amdhsa_exception_int_div_zero 0
	.end_amdhsa_kernel
	.section	.text._ZN2at6native12_GLOBAL__N_112gatherMedianIhjLin1EEEvNS_4cuda6detail10TensorInfoIT_T0_EENS5_IlS7_EENS5_IKS6_S7_EES7_S7_S7_b,"axG",@progbits,_ZN2at6native12_GLOBAL__N_112gatherMedianIhjLin1EEEvNS_4cuda6detail10TensorInfoIT_T0_EENS5_IlS7_EENS5_IKS6_S7_EES7_S7_S7_b,comdat
.Lfunc_end75:
	.size	_ZN2at6native12_GLOBAL__N_112gatherMedianIhjLin1EEEvNS_4cuda6detail10TensorInfoIT_T0_EENS5_IlS7_EENS5_IKS6_S7_EES7_S7_S7_b, .Lfunc_end75-_ZN2at6native12_GLOBAL__N_112gatherMedianIhjLin1EEEvNS_4cuda6detail10TensorInfoIT_T0_EENS5_IlS7_EENS5_IKS6_S7_EES7_S7_S7_b
                                        ; -- End function
	.set _ZN2at6native12_GLOBAL__N_112gatherMedianIhjLin1EEEvNS_4cuda6detail10TensorInfoIT_T0_EENS5_IlS7_EENS5_IKS6_S7_EES7_S7_S7_b.num_vgpr, 82
	.set _ZN2at6native12_GLOBAL__N_112gatherMedianIhjLin1EEEvNS_4cuda6detail10TensorInfoIT_T0_EENS5_IlS7_EENS5_IKS6_S7_EES7_S7_S7_b.num_agpr, 0
	.set _ZN2at6native12_GLOBAL__N_112gatherMedianIhjLin1EEEvNS_4cuda6detail10TensorInfoIT_T0_EENS5_IlS7_EENS5_IKS6_S7_EES7_S7_S7_b.numbered_sgpr, 100
	.set _ZN2at6native12_GLOBAL__N_112gatherMedianIhjLin1EEEvNS_4cuda6detail10TensorInfoIT_T0_EENS5_IlS7_EENS5_IKS6_S7_EES7_S7_S7_b.num_named_barrier, 0
	.set _ZN2at6native12_GLOBAL__N_112gatherMedianIhjLin1EEEvNS_4cuda6detail10TensorInfoIT_T0_EENS5_IlS7_EENS5_IKS6_S7_EES7_S7_S7_b.private_seg_size, 0
	.set _ZN2at6native12_GLOBAL__N_112gatherMedianIhjLin1EEEvNS_4cuda6detail10TensorInfoIT_T0_EENS5_IlS7_EENS5_IKS6_S7_EES7_S7_S7_b.uses_vcc, 1
	.set _ZN2at6native12_GLOBAL__N_112gatherMedianIhjLin1EEEvNS_4cuda6detail10TensorInfoIT_T0_EENS5_IlS7_EENS5_IKS6_S7_EES7_S7_S7_b.uses_flat_scratch, 0
	.set _ZN2at6native12_GLOBAL__N_112gatherMedianIhjLin1EEEvNS_4cuda6detail10TensorInfoIT_T0_EENS5_IlS7_EENS5_IKS6_S7_EES7_S7_S7_b.has_dyn_sized_stack, 0
	.set _ZN2at6native12_GLOBAL__N_112gatherMedianIhjLin1EEEvNS_4cuda6detail10TensorInfoIT_T0_EENS5_IlS7_EENS5_IKS6_S7_EES7_S7_S7_b.has_recursion, 0
	.set _ZN2at6native12_GLOBAL__N_112gatherMedianIhjLin1EEEvNS_4cuda6detail10TensorInfoIT_T0_EENS5_IlS7_EENS5_IKS6_S7_EES7_S7_S7_b.has_indirect_call, 0
	.section	.AMDGPU.csdata,"",@progbits
; Kernel info:
; codeLenInByte = 11656
; TotalNumSgprs: 106
; NumVgprs: 82
; NumAgprs: 0
; TotalNumVgprs: 82
; ScratchSize: 0
; MemoryBound: 0
; FloatMode: 240
; IeeeMode: 1
; LDSByteSize: 4120 bytes/workgroup (compile time only)
; SGPRBlocks: 13
; VGPRBlocks: 10
; NumSGPRsForWavesPerEU: 106
; NumVGPRsForWavesPerEU: 82
; AccumOffset: 84
; Occupancy: 5
; WaveLimiterHint : 1
; COMPUTE_PGM_RSRC2:SCRATCH_EN: 0
; COMPUTE_PGM_RSRC2:USER_SGPR: 2
; COMPUTE_PGM_RSRC2:TRAP_HANDLER: 0
; COMPUTE_PGM_RSRC2:TGID_X_EN: 1
; COMPUTE_PGM_RSRC2:TGID_Y_EN: 1
; COMPUTE_PGM_RSRC2:TGID_Z_EN: 1
; COMPUTE_PGM_RSRC2:TIDIG_COMP_CNT: 0
; COMPUTE_PGM_RSRC3_GFX90A:ACCUM_OFFSET: 20
; COMPUTE_PGM_RSRC3_GFX90A:TG_SPLIT: 0
	.section	.text._ZN2at6native12_GLOBAL__N_112gatherMedianIhmLi1EEEvNS_4cuda6detail10TensorInfoIT_T0_EENS5_IlS7_EENS5_IKS6_S7_EES7_S7_S7_b,"axG",@progbits,_ZN2at6native12_GLOBAL__N_112gatherMedianIhmLi1EEEvNS_4cuda6detail10TensorInfoIT_T0_EENS5_IlS7_EENS5_IKS6_S7_EES7_S7_S7_b,comdat
	.globl	_ZN2at6native12_GLOBAL__N_112gatherMedianIhmLi1EEEvNS_4cuda6detail10TensorInfoIT_T0_EENS5_IlS7_EENS5_IKS6_S7_EES7_S7_S7_b ; -- Begin function _ZN2at6native12_GLOBAL__N_112gatherMedianIhmLi1EEEvNS_4cuda6detail10TensorInfoIT_T0_EENS5_IlS7_EENS5_IKS6_S7_EES7_S7_S7_b
	.p2align	8
	.type	_ZN2at6native12_GLOBAL__N_112gatherMedianIhmLi1EEEvNS_4cuda6detail10TensorInfoIT_T0_EENS5_IlS7_EENS5_IKS6_S7_EES7_S7_S7_b,@function
_ZN2at6native12_GLOBAL__N_112gatherMedianIhmLi1EEEvNS_4cuda6detail10TensorInfoIT_T0_EENS5_IlS7_EENS5_IKS6_S7_EES7_S7_S7_b: ; @_ZN2at6native12_GLOBAL__N_112gatherMedianIhmLi1EEEvNS_4cuda6detail10TensorInfoIT_T0_EENS5_IlS7_EENS5_IKS6_S7_EES7_S7_S7_b
; %bb.0:
	s_load_dwordx2 s[8:9], s[0:1], 0x500
	s_load_dwordx4 s[56:59], s[0:1], 0x4e0
	s_add_u32 s10, s0, 0x500
	s_addc_u32 s11, s1, 0
	s_mov_b32 s19, 0
	s_waitcnt lgkmcnt(0)
	s_mul_i32 s4, s9, s4
	s_add_i32 s3, s4, s3
	s_mul_i32 s3, s3, s8
	s_add_i32 s18, s3, s2
	v_mov_b64_e32 v[2:3], s[18:19]
	v_cmp_le_u64_e32 vcc, s[58:59], v[2:3]
	s_cbranch_vccnz .LBB76_276
; %bb.1:
	s_load_dwordx2 s[68:69], s[0:1], 0x4f0
	s_load_dwordx2 s[6:7], s[0:1], 0x410
	;; [unrolled: 1-line block ×3, first 2 shown]
	v_cmp_eq_u32_e64 s[14:15], 0, v0
	s_mov_b64 s[12:13], exec
                                        ; implicit-def: $vgpr63 : SGPR spill to VGPR lane
	s_nop 0
	v_writelane_b32 v63, s14, 0
	s_nop 1
	v_writelane_b32 v63, s15, 1
	s_and_b64 s[14:15], s[12:13], s[14:15]
	s_mov_b64 exec, s[14:15]
; %bb.2:
	v_mov_b32_e32 v2, 0
	v_mov_b32_e32 v3, v2
	ds_write_b64 v2, v[2:3] offset:5136
; %bb.3:
	s_or_b64 exec, exec, s[12:13]
	s_load_dwordx2 s[12:13], s[0:1], 0x270
	v_mov_b32_e32 v3, 0
	s_waitcnt lgkmcnt(0)
	s_barrier
	v_writelane_b32 v63, s12, 2
	s_barrier
	s_nop 0
	v_writelane_b32 v63, s13, 3
	s_load_dwordx2 s[12:13], s[0:1], 0x1a0
	s_waitcnt lgkmcnt(0)
	ds_read_b64 v[4:5], v3 offset:5136
	v_writelane_b32 v63, s12, 4
	s_nop 1
	v_writelane_b32 v63, s13, 5
	s_load_dwordx2 s[12:13], s[0:1], 0xd0
	s_waitcnt lgkmcnt(0)
	v_writelane_b32 v63, s12, 6
	s_nop 1
	v_writelane_b32 v63, s13, 7
	s_load_dwordx2 s[12:13], s[0:1], 0x0
	s_waitcnt lgkmcnt(0)
	v_writelane_b32 v63, s12, 8
	s_nop 1
	v_writelane_b32 v63, s13, 9
	v_readfirstlane_b32 s12, v4
	v_readfirstlane_b32 s13, v5
	s_mov_b64 s[14:15], exec
	v_readlane_b32 s16, v63, 0
	v_readlane_b32 s17, v63, 1
	s_and_b64 s[16:17], s[14:15], s[16:17]
	s_mov_b64 exec, s[16:17]
	s_cbranch_execz .LBB76_5
; %bb.4:
	v_mov_b32_e32 v4, 0
	v_mov_b32_e32 v6, s56
	;; [unrolled: 1-line block ×4, first 2 shown]
	ds_write_b32 v4, v4 offset:5144
	ds_write_b128 v4, v[4:7] offset:5120
.LBB76_5:
	s_or_b64 exec, exec, s[14:15]
	s_load_dword s3, s[0:1], 0x4f8
	v_cmp_lt_i64_e64 s[0:1], s[12:13], 1
	s_mul_i32 s7, s7, s18
	v_mov_b32_e32 v1, v3
	v_mbcnt_lo_u32_b32 v2, -1, 0
	s_waitcnt lgkmcnt(0)
	s_bitcmp1_b32 s3, 0
	s_cselect_b64 s[14:15], -1, 0
	s_not_b64 s[12:13], s[12:13]
	s_or_b64 s[0:1], s[14:15], s[0:1]
	s_add_u32 s12, s56, s12
	s_addc_u32 s13, s57, s13
	s_lshr_b64 s[12:13], s[12:13], 1
	s_add_u32 s3, s12, 1
	s_addc_u32 s9, s13, 0
	s_and_b64 s[0:1], s[0:1], exec
	s_mul_hi_u32 s0, s6, s18
	s_cselect_b32 s13, s9, s57
	s_cselect_b32 s12, s3, s56
	s_add_i32 s0, s0, s7
	s_mov_b32 s14, s18
	s_mul_i32 s1, s6, s18
	v_writelane_b32 v63, s14, 10
	s_add_u32 s88, s4, s1
	s_addc_u32 s89, s5, s0
	v_writelane_b32 v63, s15, 11
	v_cmp_gt_u64_e64 s[0:1], s[56:57], v[0:1]
	v_mbcnt_hi_u32_b32 v34, -1, v2
	v_cmp_gt_u32_e32 vcc, 64, v0
	v_writelane_b32 v63, s0, 12
	v_mov_b64_e32 v[4:5], 0xc00
	v_mov_b64_e32 v[6:7], s[88:89]
	v_writelane_b32 v63, s1, 13
	v_cmp_gt_i32_e64 s[0:1], 4, v34
	s_and_b64 s[60:61], vcc, s[0:1]
	v_cmp_gt_u32_e64 s[0:1], 2, v0
	s_barrier
	s_nop 0
	v_writelane_b32 v63, s0, 14
	v_mul_lo_u32 v2, s69, v0
	s_nop 0
	v_writelane_b32 v63, s1, 15
	v_cmp_gt_u64_e64 s[0:1], s[56:57], v[4:5]
	v_mov_b32_e32 v9, -1
	v_not_b32_e32 v8, v0
	v_writelane_b32 v63, s0, 16
	v_lshlrev_b32_e32 v14, 2, v0
	s_mov_b32 s55, s69
	v_writelane_b32 v63, s1, 17
	v_mad_u64_u32 v[4:5], s[0:1], s68, v0, 0
	v_mad_u64_u32 v[12:13], s[0:1], s68, v0, v[6:7]
	s_load_dword s0, s[10:11], 0xc
	v_add_u32_e32 v5, v5, v2
	v_add_u32_e32 v13, v2, v13
	v_lshlrev_b32_e32 v2, 2, v34
	v_and_b32_e32 v35, 0x100, v2
	s_waitcnt lgkmcnt(0)
	s_and_b32 s70, s0, 0xffff
	s_bfe_u32 s0, s0, 0xa0006
	v_lshrrev_b32_e32 v2, 1, v0
	s_cmp_gt_u32 s70, 63
	v_and_b32_e32 v2, 0x1e0, v2
	v_lshlrev_b64 v[6:7], v34, -1
	s_cselect_b64 s[6:7], -1, 0
	v_or_b32_e32 v36, 0xc00, v2
	v_add_u32_e32 v2, 2, v0
	v_not_b32_e32 v16, v6
	v_writelane_b32 v63, s6, 18
	s_add_u32 s1, s70, -1
	v_mov_b32_e32 v6, s57
	v_cmp_gt_u64_e32 vcc, s[56:57], v[2:3]
	v_not_b32_e32 v17, v7
	v_writelane_b32 v63, s7, 19
	s_addc_u32 s3, 0, -1
	v_cndmask_b32_e32 v7, 0, v6, vcc
	v_mov_b32_e32 v6, s56
	v_writelane_b32 v63, s1, 20
	s_add_u32 s1, s1, s56
	v_cndmask_b32_e32 v6, v2, v6, vcc
	v_writelane_b32 v63, s1, 21
	s_addc_u32 s83, s3, s57
	v_lshl_add_u64 v[6:7], v[6:7], 0, v[8:9]
	v_writelane_b32 v63, s3, 22
	s_cmp_lt_u32 s2, s8
	v_cmp_lt_u64_e64 s[2:3], 3, v[6:7]
	s_cselect_b32 s1, 12, 18
	v_and_b32_e32 v18, -4, v6
	v_writelane_b32 v63, s2, 23
	v_mov_b32_e32 v19, v7
	s_add_u32 s72, s10, s1
	v_writelane_b32 v63, s3, 24
	v_cmp_ne_u64_e64 s[2:3], v[6:7], v[18:19]
	s_addc_u32 s73, s11, 0
	s_add_i32 s1, s0, -1
	v_writelane_b32 v63, s2, 25
	s_and_b32 s1, s1, 0xffff
	v_or_b32_e32 v6, 3, v14
	v_writelane_b32 v63, s3, 26
	s_bfe_u32 s2, s70, 0x30006
	s_cmp_gt_u32 s1, 6
	s_cselect_b64 s[8:9], -1, 0
	v_writelane_b32 v63, s8, 27
	s_and_b32 s77, s0, 0x3f8
	s_cmp_lg_u32 s2, 0
	v_writelane_b32 v63, s9, 28
	v_writelane_b32 v63, s2, 29
	s_cselect_b64 s[0:1], -1, 0
	v_writelane_b32 v63, s0, 30
	s_mov_b32 s75, 0
	s_mov_b32 s80, s69
	v_writelane_b32 v63, s1, 31
	v_mad_u64_u32 v[22:23], s[0:1], s68, v6, 0
	v_mov_b32_e32 v2, v23
	v_mad_u64_u32 v[6:7], s[0:1], s69, v6, v[2:3]
	v_mov_b32_e32 v23, v6
	v_or_b32_e32 v6, 2, v14
	v_mad_u64_u32 v[24:25], s[0:1], s68, v6, 0
	v_mov_b32_e32 v2, v25
	v_mad_u64_u32 v[6:7], s[0:1], s69, v6, v[2:3]
	v_mov_b32_e32 v25, v6
	v_mov_b64_e32 v[6:7], s[68:69]
	v_writelane_b32 v63, s60, 32
	v_mad_u64_u32 v[26:27], s[0:1], s68, v14, v[6:7]
	s_nop 0
	v_writelane_b32 v63, s61, 33
	v_mov_b32_e32 v2, v27
	v_writelane_b32 v63, s72, 34
	v_mad_u64_u32 v[6:7], s[0:1], s69, v14, v[2:3]
	s_nop 0
	v_writelane_b32 v63, s73, 35
	v_mov_b32_e32 v2, 0xc00
	s_mul_i32 s0, s69, s70
	s_mul_hi_u32 s1, s68, s70
	v_writelane_b32 v63, s55, 36
	v_cmp_eq_u32_e64 s[4:5], 0, v34
	v_mov_b32_e32 v15, v3
	s_mov_b32 s71, s75
	v_lshl_add_u64 v[20:21], v[18:19], 0, v[0:1]
	s_mov_b32 s6, s68
	s_mov_b32 s7, s68
	;; [unrolled: 1-line block ×5, first 2 shown]
	s_lshl_b64 s[90:91], s[68:69], 2
	v_mov_b32_e32 v27, v6
	v_lshlrev_b64 v[28:29], 2, v[4:5]
	v_lshl_or_b32 v37, v34, 3, v2
	s_add_i32 s79, s1, s0
	s_mul_i32 s78, s68, s70
	s_mov_b64 s[92:93], 0
	v_mov_b64_e32 v[30:31], s[12:13]
	s_movk_i32 s85, 0xff
	s_mov_b32 s52, 0xc0c0004
	v_mov_b64_e32 v[46:47], s[56:57]
	v_mov_b32_e32 v39, 0x4f800000
	v_mov_b32_e32 v40, 8
	;; [unrolled: 1-line block ×3, first 2 shown]
	s_mov_b32 s33, 0
	v_mov_b32_e32 v38, 0
	v_mov_b32_e32 v41, 0
	v_writelane_b32 v63, s80, 37
                                        ; implicit-def: $sgpr94_sgpr95
                                        ; implicit-def: $sgpr98_sgpr99
                                        ; implicit-def: $sgpr96_sgpr97
                                        ; implicit-def: $sgpr62_sgpr63
                                        ; implicit-def: $sgpr64_sgpr65
                                        ; implicit-def: $sgpr58_sgpr59
	v_writelane_b32 v63, s81, 38
	s_branch .LBB76_9
.LBB76_6:                               ;   in Loop: Header=BB76_9 Depth=1
	s_or_b64 exec, exec, s[12:13]
	s_and_b64 s[10:11], s[10:11], exec
	s_andn2_b64 s[22:23], s[22:23], exec
	s_andn2_b64 s[0:1], s[0:1], exec
	s_orn2_b64 s[16:17], s[8:9], exec
.LBB76_7:                               ;   in Loop: Header=BB76_9 Depth=1
	s_or_b64 exec, exec, s[2:3]
	s_andn2_b64 s[2:3], s[58:59], exec
	s_and_b64 s[8:9], s[10:11], exec
	s_or_b64 s[58:59], s[2:3], s[8:9]
	s_andn2_b64 s[2:3], s[64:65], exec
	s_and_b64 s[8:9], s[22:23], exec
	s_or_b64 s[64:65], s[2:3], s[8:9]
	;; [unrolled: 3-line block ×3, first 2 shown]
	s_orn2_b64 s[0:1], s[16:17], exec
.LBB76_8:                               ;   in Loop: Header=BB76_9 Depth=1
	s_or_b64 exec, exec, s[14:15]
	s_and_b64 s[0:1], exec, s[0:1]
	s_or_b64 s[92:93], s[0:1], s[92:93]
	s_andn2_b64 s[0:1], s[96:97], exec
	s_and_b64 s[2:3], s[58:59], exec
	s_or_b64 s[96:97], s[0:1], s[2:3]
	s_andn2_b64 s[0:1], s[98:99], exec
	s_and_b64 s[2:3], s[64:65], exec
	s_or_b64 s[98:99], s[0:1], s[2:3]
	s_andn2_b64 s[0:1], s[94:95], exec
	s_and_b64 s[2:3], s[62:63], exec
	s_or_b64 s[94:95], s[0:1], s[2:3]
	v_mov_b64_e32 v[30:31], v[8:9]
	s_andn2_b64 exec, exec, s[92:93]
	s_cbranch_execz .LBB76_272
.LBB76_9:                               ; =>This Loop Header: Depth=1
                                        ;     Child Loop BB76_14 Depth 2
                                        ;     Child Loop BB76_28 Depth 2
	;; [unrolled: 1-line block ×17, first 2 shown]
	ds_read_b128 v[4:7], v3 offset:5120
	s_waitcnt lgkmcnt(0)
	v_readfirstlane_b32 s67, v5
	v_readfirstlane_b32 s66, v4
	s_cmp_lg_u64 s[66:67], 0
	s_cbranch_scc1 .LBB76_41
; %bb.10:                               ;   in Loop: Header=BB76_9 Depth=1
	v_readlane_b32 s0, v63, 16
	v_readlane_b32 s1, v63, 17
	s_and_b64 vcc, exec, s[0:1]
	s_cbranch_vccz .LBB76_22
; %bb.11:                               ;   in Loop: Header=BB76_9 Depth=1
	s_mov_b64 s[0:1], 0xc01
	v_cmp_gt_u64_e32 vcc, s[0:1], v[6:7]
	s_mov_b64 s[8:9], 0
	s_mov_b64 s[0:1], 0
	s_cbranch_vccz .LBB76_23
; %bb.12:                               ;   in Loop: Header=BB76_9 Depth=1
	global_load_ushort v6, v3, s[72:73]
	global_load_ubyte v8, v[12:13], off
	v_mov_b64_e32 v[4:5], s[88:89]
	s_mov_b64 s[10:11], 0
	s_waitcnt vmcnt(1)
	v_and_b32_e32 v2, 0xffff, v6
	v_readfirstlane_b32 s0, v6
	v_lshl_add_u64 v[6:7], v[0:1], 0, v[2:3]
	s_and_b32 s2, 0xffff, s0
	v_mad_u64_u32 v[4:5], s[0:1], s68, v6, v[4:5]
	v_mul_lo_u32 v7, s68, v7
	v_mul_lo_u32 v9, s69, v6
	s_mul_i32 s0, s69, s2
	s_mul_hi_u32 s1, s68, s2
	s_mul_i32 s12, s68, s2
	v_add3_u32 v5, v9, v5, v7
	s_add_i32 s13, s1, s0
	v_mov_b64_e32 v[6:7], v[0:1]
	s_branch .LBB76_14
.LBB76_13:                              ;   in Loop: Header=BB76_14 Depth=2
	s_or_b64 exec, exec, s[2:3]
	v_lshl_add_u64 v[4:5], v[4:5], 0, s[12:13]
	v_mov_b32_e32 v8, v9
	s_andn2_b64 exec, exec, s[10:11]
	s_cbranch_execz .LBB76_139
.LBB76_14:                              ;   Parent Loop BB76_9 Depth=1
                                        ; =>  This Inner Loop Header: Depth=2
	v_lshl_add_u64 v[6:7], v[6:7], 0, v[2:3]
	v_cmp_gt_u64_e64 s[0:1], s[56:57], v[6:7]
	v_cmp_le_u64_e32 vcc, s[56:57], v[6:7]
	s_waitcnt lgkmcnt(0)
	v_mov_b32_e32 v10, 0
	v_mov_b32_e32 v9, 0
	s_and_saveexec_b64 s[2:3], s[0:1]
	s_cbranch_execz .LBB76_16
; %bb.15:                               ;   in Loop: Header=BB76_14 Depth=2
	global_load_ubyte v9, v[4:5], off
.LBB76_16:                              ;   in Loop: Header=BB76_14 Depth=2
	s_or_b64 exec, exec, s[2:3]
	s_waitcnt vmcnt(0)
	v_bitop3_b32 v11, v8, s85, v41 bitop3:0x80
	v_cmp_eq_u32_e64 s[0:1], v11, v38
	s_cmp_lg_u64 s[0:1], 0
	s_cselect_b64 s[2:3], -1, 0
	s_and_b64 s[2:3], s[4:5], s[2:3]
	s_and_saveexec_b64 s[14:15], s[2:3]
	s_cbranch_execz .LBB76_20
; %bb.17:                               ;   in Loop: Header=BB76_14 Depth=2
	s_mov_b64 s[18:19], exec
	v_mbcnt_lo_u32_b32 v10, s18, 0
	v_mbcnt_hi_u32_b32 v10, s19, v10
	s_bcnt1_i32_b64 s20, s[0:1]
	v_cmp_eq_u32_e64 s[2:3], 0, v10
                                        ; implicit-def: $vgpr11
	s_and_saveexec_b64 s[16:17], s[2:3]
; %bb.18:                               ;   in Loop: Header=BB76_14 Depth=2
	s_bcnt1_i32_b64 s2, s[18:19]
	s_mul_i32 s2, s20, s2
	v_mov_b32_e32 v11, s2
	ds_add_rtn_u32 v11, v3, v11 offset:5144
; %bb.19:                               ;   in Loop: Header=BB76_14 Depth=2
	s_or_b64 exec, exec, s[16:17]
	s_waitcnt lgkmcnt(0)
	v_readfirstlane_b32 s2, v11
	s_nop 1
	v_mov_b32_e32 v11, s2
	v_mad_u32_u24 v10, s20, v10, v11
.LBB76_20:                              ;   in Loop: Header=BB76_14 Depth=2
	s_or_b64 exec, exec, s[14:15]
	ds_bpermute_b32 v10, v35, v10
	s_and_b64 s[2:3], exec, vcc
	s_or_b64 s[10:11], s[2:3], s[10:11]
	s_and_saveexec_b64 s[2:3], s[0:1]
	s_cbranch_execz .LBB76_13
; %bb.21:                               ;   in Loop: Header=BB76_14 Depth=2
	v_and_b32_e32 v32, s0, v16
	v_and_b32_e32 v11, s1, v17
	v_bcnt_u32_b32 v32, v32, 0
	v_bcnt_u32_b32 v11, v11, v32
	s_waitcnt lgkmcnt(0)
	v_add_u32_e32 v10, v10, v11
	ds_write_b8 v10, v8
	s_branch .LBB76_13
.LBB76_22:                              ;   in Loop: Header=BB76_9 Depth=1
	s_mov_b64 s[8:9], -1
	s_mov_b64 s[0:1], 0
.LBB76_23:                              ;   in Loop: Header=BB76_9 Depth=1
	s_and_b64 vcc, exec, s[8:9]
	s_cbranch_vccz .LBB76_39
.LBB76_24:                              ;   in Loop: Header=BB76_9 Depth=1
	s_mov_b64 s[0:1], exec
	v_readlane_b32 s2, v63, 12
	v_readlane_b32 s3, v63, 13
	s_and_b64 s[2:3], s[0:1], s[2:3]
	s_mov_b64 exec, s[2:3]
	s_cbranch_execz .LBB76_36
; %bb.25:                               ;   in Loop: Header=BB76_9 Depth=1
	global_load_ushort v2, v3, s[72:73]
	global_load_ubyte v43, v[12:13], off
	v_mov_b32_e32 v8, v0
	s_waitcnt vmcnt(1)
	v_readfirstlane_b32 s8, v2
	v_add_u32_sdwa v2, v2, v0 dst_sel:DWORD dst_unused:UNUSED_PAD src0_sel:WORD_0 src1_sel:DWORD
	v_cmp_gt_u64_e32 vcc, s[56:57], v[2:3]
	s_and_saveexec_b64 s[2:3], vcc
	s_cbranch_execz .LBB76_35
; %bb.26:                               ;   in Loop: Header=BB76_9 Depth=1
	s_and_b32 s74, s8, 0xffff
	s_cmp_eq_u32 s74, 1
	v_readlane_b32 s10, v63, 23
	s_cselect_b64 s[8:9], -1, 0
	v_readlane_b32 s11, v63, 24
	s_and_b64 s[12:13], s[10:11], s[8:9]
	s_mov_b64 s[10:11], -1
	v_mov_b64_e32 v[6:7], v[0:1]
	v_mov_b64_e32 v[4:5], v[2:3]
                                        ; implicit-def: $vgpr8_vgpr9
	s_and_saveexec_b64 s[8:9], s[12:13]
	s_cbranch_execz .LBB76_30
; %bb.27:                               ;   in Loop: Header=BB76_9 Depth=1
	v_lshl_add_u64 v[8:9], v[2:3], 0, 3
	v_lshl_add_u64 v[6:7], v[2:3], 0, 2
	;; [unrolled: 1-line block ×3, first 2 shown]
	v_mov_b64_e32 v[10:11], v[8:9]
	s_waitcnt vmcnt(0)
	v_lshlrev_b32_e32 v45, 24, v43
	s_mov_b64 s[10:11], 0
	v_mov_b64_e32 v[32:33], v[18:19]
	v_mov_b32_e32 v44, v0
	v_mov_b64_e32 v[8:9], v[6:7]
	v_mov_b64_e32 v[6:7], v[4:5]
	;; [unrolled: 1-line block ×3, first 2 shown]
.LBB76_28:                              ;   Parent Loop BB76_9 Depth=1
                                        ; =>  This Inner Loop Header: Depth=2
	v_mov_b64_e32 v[48:49], s[88:89]
	v_mul_lo_u32 v61, v10, s81
	v_mul_lo_u32 v62, v11, s76
	v_mad_u64_u32 v[50:51], s[12:13], v4, s68, v[48:49]
	v_mad_u64_u32 v[52:53], s[12:13], v6, s6, v[48:49]
	;; [unrolled: 1-line block ×4, first 2 shown]
	v_mul_lo_u32 v43, v4, s69
	v_mul_lo_u32 v56, v5, s68
	;; [unrolled: 1-line block ×6, first 2 shown]
	v_add3_u32 v49, v62, v49, v61
	v_add3_u32 v51, v56, v51, v43
	;; [unrolled: 1-line block ×4, first 2 shown]
	global_load_ubyte v43, v[48:49], off
	s_nop 0
	global_load_ubyte v48, v[52:53], off
	global_load_ubyte v49, v[50:51], off
	s_nop 0
	global_load_ubyte v50, v[54:55], off
	s_mov_b32 s12, 0xc0c0007
	v_lshl_add_u64 v[32:33], v[32:33], 0, -4
	v_cmp_eq_u64_e32 vcc, 0, v[32:33]
	v_lshl_add_u64 v[10:11], v[10:11], 0, 4
	v_lshl_add_u64 v[8:9], v[8:9], 0, 4
	;; [unrolled: 1-line block ×4, first 2 shown]
	s_or_b64 s[10:11], vcc, s[10:11]
	s_waitcnt vmcnt(1)
	v_perm_b32 v51, v49, v48, s52
	s_waitcnt vmcnt(0)
	v_perm_b32 v52, v50, v43, s52
	v_perm_b32 v48, v48, v50, s52
	;; [unrolled: 1-line block ×3, first 2 shown]
	v_lshl_or_b32 v49, v52, 16, v51
	v_lshl_or_b32 v45, v48, 16, v45
	ds_write_b32 v44, v45
	v_add_u32_e32 v44, 4, v44
	v_mov_b32_e32 v45, v49
	s_andn2_b64 exec, exec, s[10:11]
	s_cbranch_execnz .LBB76_28
; %bb.29:                               ;   in Loop: Header=BB76_9 Depth=1
	s_or_b64 exec, exec, s[10:11]
	v_readlane_b32 s10, v63, 25
	v_lshl_add_u64 v[4:5], v[2:3], 0, v[18:19]
	v_readlane_b32 s11, v63, 26
	v_lshl_add_u64 v[8:9], v[4:5], 0, -1
	s_orn2_b64 s[10:11], s[10:11], exec
	v_mov_b64_e32 v[6:7], v[20:21]
.LBB76_30:                              ;   in Loop: Header=BB76_9 Depth=1
	s_or_b64 exec, exec, s[8:9]
	s_and_saveexec_b64 s[8:9], s[10:11]
	s_cbranch_execz .LBB76_34
; %bb.31:                               ;   in Loop: Header=BB76_9 Depth=1
	v_mov_b64_e32 v[8:9], s[88:89]
	v_mad_u64_u32 v[8:9], s[14:15], s68, v4, v[8:9]
	s_sub_u32 s10, 0, s74
	v_mul_lo_u32 v2, s68, v5
	v_mul_lo_u32 v7, s69, v4
	s_mul_i32 s14, s69, s74
	s_mul_hi_u32 s15, s68, s74
	s_mov_b64 s[12:13], 0
	s_subb_u32 s11, 0, 0
	v_add3_u32 v9, v7, v9, v2
	s_add_i32 s15, s15, s14
	s_mul_i32 s14, s68, s74
.LBB76_32:                              ;   Parent Loop BB76_9 Depth=1
                                        ; =>  This Inner Loop Header: Depth=2
	global_load_ubyte v2, v[8:9], off
	v_mov_b64_e32 v[10:11], v[4:5]
	v_lshl_add_u64 v[4:5], v[10:11], 0, s[74:75]
	v_cmp_le_u64_e32 vcc, s[56:57], v[4:5]
	s_waitcnt vmcnt(1)
	ds_write_b8 v6, v43
	v_lshl_add_u64 v[8:9], v[8:9], 0, s[14:15]
	v_mov_b64_e32 v[6:7], v[10:11]
	s_or_b64 s[12:13], vcc, s[12:13]
	s_waitcnt vmcnt(0)
	v_mov_b32_e32 v43, v2
	s_andn2_b64 exec, exec, s[12:13]
	s_cbranch_execnz .LBB76_32
; %bb.33:                               ;   in Loop: Header=BB76_9 Depth=1
	s_or_b64 exec, exec, s[12:13]
	v_lshl_add_u64 v[8:9], s[10:11], 0, v[4:5]
	v_mov_b32_e32 v43, v2
.LBB76_34:                              ;   in Loop: Header=BB76_9 Depth=1
	s_or_b64 exec, exec, s[8:9]
.LBB76_35:                              ;   in Loop: Header=BB76_9 Depth=1
	s_or_b64 exec, exec, s[2:3]
	s_waitcnt vmcnt(0)
	ds_write_b8 v8, v43
.LBB76_36:                              ;   in Loop: Header=BB76_9 Depth=1
	s_or_b64 exec, exec, s[0:1]
	s_waitcnt lgkmcnt(0)
	s_barrier
	s_mov_b64 s[0:1], exec
	v_readlane_b32 s2, v63, 0
	v_readlane_b32 s3, v63, 1
	s_and_b64 s[2:3], s[0:1], s[2:3]
	s_mov_b64 exec, s[2:3]
; %bb.37:                               ;   in Loop: Header=BB76_9 Depth=1
	ds_write_b64 v3, v[46:47] offset:5120
; %bb.38:                               ;   in Loop: Header=BB76_9 Depth=1
	s_or_b64 exec, exec, s[0:1]
	s_mov_b64 s[0:1], -1
	s_waitcnt lgkmcnt(0)
	s_barrier
.LBB76_39:                              ;   in Loop: Header=BB76_9 Depth=1
	s_mov_b64 s[66:67], 0
	s_and_b64 vcc, exec, s[0:1]
	s_cbranch_vccz .LBB76_41
; %bb.40:                               ;   in Loop: Header=BB76_9 Depth=1
	ds_read_b64 v[4:5], v3 offset:5120
	s_waitcnt lgkmcnt(0)
	v_readfirstlane_b32 s66, v4
.LBB76_41:                              ;   in Loop: Header=BB76_9 Depth=1
	s_cmp_lt_i32 s66, 1
	s_mov_b64 s[0:1], -1
                                        ; implicit-def: $vgpr10_vgpr11
                                        ; implicit-def: $vgpr6_vgpr7
	s_cbranch_scc1 .LBB76_51
; %bb.42:                               ;   in Loop: Header=BB76_9 Depth=1
	s_and_b64 vcc, exec, s[0:1]
	s_cbranch_vccnz .LBB76_65
.LBB76_43:                              ;   in Loop: Header=BB76_9 Depth=1
	s_lshl_b32 s2, s33, 6
	s_and_saveexec_b64 s[0:1], s[4:5]
	s_cbranch_execz .LBB76_45
.LBB76_44:                              ;   in Loop: Header=BB76_9 Depth=1
	v_lshl_add_u32 v2, s2, 3, v36
	ds_write_b128 v2, v[4:7]
	ds_write_b128 v2, v[8:11] offset:16
.LBB76_45:                              ;   in Loop: Header=BB76_9 Depth=1
	s_or_b64 exec, exec, s[0:1]
	s_waitcnt lgkmcnt(0)
	s_barrier
	s_and_saveexec_b64 s[0:1], s[60:61]
	s_cbranch_execz .LBB76_80
; %bb.46:                               ;   in Loop: Header=BB76_9 Depth=1
	v_readlane_b32 s8, v63, 18
	v_readlane_b32 s9, v63, 19
	s_andn2_b64 vcc, exec, s[8:9]
	v_mov_b64_e32 v[4:5], 0
	s_cbranch_vccnz .LBB76_79
; %bb.47:                               ;   in Loop: Header=BB76_9 Depth=1
	v_readlane_b32 s8, v63, 27
	v_readlane_b32 s9, v63, 28
	s_andn2_b64 vcc, exec, s[8:9]
	s_cbranch_vccnz .LBB76_75
; %bb.48:                               ;   in Loop: Header=BB76_9 Depth=1
	v_lshl_add_u32 v2, s33, 9, v37
	v_mov_b64_e32 v[4:5], 0
	s_mov_b32 s3, 0
.LBB76_49:                              ;   Parent Loop BB76_9 Depth=1
                                        ; =>  This Inner Loop Header: Depth=2
	ds_read2_b64 v[6:9], v2 offset1:4
	ds_read2_b64 v[48:51], v2 offset0:8 offset1:12
	ds_read2_b64 v[52:55], v2 offset0:16 offset1:20
	ds_read2_b64 v[56:59], v2 offset0:24 offset1:28
	s_add_i32 s3, s3, 8
	s_waitcnt lgkmcnt(3)
	v_lshl_add_u64 v[4:5], v[6:7], 0, v[4:5]
	v_lshl_add_u64 v[4:5], v[8:9], 0, v[4:5]
	s_waitcnt lgkmcnt(2)
	v_lshl_add_u64 v[4:5], v[48:49], 0, v[4:5]
	v_lshl_add_u64 v[4:5], v[50:51], 0, v[4:5]
	;; [unrolled: 3-line block ×3, first 2 shown]
	s_waitcnt lgkmcnt(0)
	v_lshl_add_u64 v[4:5], v[56:57], 0, v[4:5]
	v_add_u32_e32 v2, 0x100, v2
	s_cmp_eq_u32 s77, s3
	v_lshl_add_u64 v[4:5], v[58:59], 0, v[4:5]
	s_cbranch_scc0 .LBB76_49
; %bb.50:                               ;   in Loop: Header=BB76_9 Depth=1
	s_mov_b32 s3, s77
	s_branch .LBB76_76
.LBB76_51:                              ;   in Loop: Header=BB76_9 Depth=1
	global_load_ushort v2, v3, s[72:73]
	s_mov_b32 s0, s75
	s_waitcnt vmcnt(0)
	v_readfirstlane_b32 s1, v2
	s_and_b32 s12, s1, 0xffff
	s_lshl_b32 s74, s12, 2
	s_mov_b32 s1, s57
	s_cmp_lg_u64 s[0:1], 0
	s_cbranch_scc0 .LBB76_74
; %bb.52:                               ;   in Loop: Header=BB76_9 Depth=1
	v_cvt_f32_u32_e32 v2, s74
	s_sub_u32 s2, 0, s74
	s_subb_u32 s3, 0, 0
	v_fmac_f32_e32 v2, 0, v39
	v_rcp_f32_e32 v2, v2
	s_nop 0
	v_mul_f32_e32 v2, 0x5f7ffffc, v2
	v_mul_f32_e32 v4, 0x2f800000, v2
	v_trunc_f32_e32 v4, v4
	v_fmac_f32_e32 v2, 0xcf800000, v4
	v_cvt_u32_f32_e32 v4, v4
	v_cvt_u32_f32_e32 v2, v2
	v_readfirstlane_b32 s8, v4
	v_readfirstlane_b32 s0, v2
	s_mul_i32 s1, s2, s8
	s_mul_hi_u32 s10, s2, s0
	s_mul_i32 s9, s3, s0
	s_add_i32 s1, s10, s1
	s_mul_i32 s11, s2, s0
	s_add_i32 s1, s1, s9
	s_mul_hi_u32 s10, s0, s11
	s_mul_i32 s13, s0, s1
	s_mul_hi_u32 s9, s0, s1
	s_add_u32 s10, s10, s13
	s_addc_u32 s9, 0, s9
	s_mul_hi_u32 s14, s8, s11
	s_mul_i32 s11, s8, s11
	s_add_u32 s10, s10, s11
	s_mul_hi_u32 s13, s8, s1
	s_addc_u32 s9, s9, s14
	s_addc_u32 s10, s13, 0
	s_mul_i32 s1, s8, s1
	s_add_u32 s1, s9, s1
	s_addc_u32 s9, 0, s10
	s_add_u32 s10, s0, s1
	s_cselect_b64 s[0:1], -1, 0
	s_cmp_lg_u64 s[0:1], 0
	s_addc_u32 s8, s8, s9
	s_mul_i32 s0, s2, s8
	s_mul_hi_u32 s1, s2, s10
	s_add_i32 s0, s1, s0
	s_mul_i32 s3, s3, s10
	s_add_i32 s0, s0, s3
	s_mul_i32 s2, s2, s10
	s_mul_hi_u32 s3, s8, s2
	s_mul_i32 s9, s8, s2
	s_mul_i32 s13, s10, s0
	s_mul_hi_u32 s2, s10, s2
	s_mul_hi_u32 s11, s10, s0
	s_add_u32 s2, s2, s13
	s_addc_u32 s11, 0, s11
	s_add_u32 s2, s2, s9
	s_mul_hi_u32 s1, s8, s0
	s_addc_u32 s2, s11, s3
	s_addc_u32 s1, s1, 0
	s_mul_i32 s0, s8, s0
	s_add_u32 s0, s2, s0
	s_addc_u32 s2, 0, s1
	s_add_u32 s3, s10, s0
	s_cselect_b64 s[0:1], -1, 0
	s_cmp_lg_u64 s[0:1], 0
	s_addc_u32 s0, s8, s2
	s_mul_i32 s2, s56, s0
	s_mul_hi_u32 s8, s56, s3
	s_mul_hi_u32 s1, s56, s0
	s_add_u32 s2, s8, s2
	s_addc_u32 s1, 0, s1
	s_mul_hi_u32 s9, s57, s3
	s_mul_i32 s3, s57, s3
	s_add_u32 s2, s2, s3
	s_mul_hi_u32 s8, s57, s0
	s_addc_u32 s1, s1, s9
	s_addc_u32 s2, s8, 0
	s_mul_i32 s0, s57, s0
	s_add_u32 s0, s1, s0
	s_addc_u32 s1, 0, s2
	s_mul_i32 s1, s74, s1
	s_mul_hi_u32 s2, s74, s0
	s_add_i32 s2, s2, s1
	s_mul_i32 s0, s74, s0
	s_sub_u32 s3, s56, s0
	s_cselect_b64 s[0:1], -1, 0
	s_cmp_lg_u64 s[0:1], 0
	s_subb_u32 s2, s57, s2
	s_sub_u32 s8, s3, s74
	s_cselect_b64 s[0:1], -1, 0
	s_cmp_lg_u64 s[0:1], 0
	s_subb_u32 s9, s2, 0
	;; [unrolled: 4-line block ×3, first 2 shown]
	s_cmp_ge_u32 s8, s74
	s_cselect_b32 s1, -1, 0
	s_cmp_eq_u32 s9, 0
	s_cselect_b32 s1, s1, -1
	s_cmp_lg_u32 s1, 0
	s_cselect_b32 s0, s0, s9
	s_cselect_b32 s8, s10, s8
	s_cmp_ge_u32 s3, s74
	s_cselect_b32 s1, -1, 0
	s_cmp_eq_u32 s2, 0
	s_cselect_b32 s1, s1, -1
	s_cmp_lg_u32 s1, 0
	s_cselect_b32 s1, s0, s2
	s_cselect_b32 s0, s8, s3
	s_cbranch_execnz .LBB76_54
.LBB76_53:                              ;   in Loop: Header=BB76_9 Depth=1
	v_cvt_f32_u32_e32 v2, s74
	s_sub_i32 s0, 0, s74
	v_rcp_iflag_f32_e32 v2, v2
	s_nop 0
	v_mul_f32_e32 v2, 0x4f7ffffe, v2
	v_cvt_u32_f32_e32 v2, v2
	s_nop 0
	v_readfirstlane_b32 s1, v2
	s_mul_i32 s0, s0, s1
	s_mul_hi_u32 s0, s1, s0
	s_add_i32 s1, s1, s0
	s_mul_hi_u32 s0, s56, s1
	s_mul_i32 s0, s0, s74
	s_sub_i32 s0, s56, s0
	s_sub_i32 s1, s0, s74
	s_cmp_ge_u32 s0, s74
	s_cselect_b32 s0, s1, s0
	s_sub_i32 s1, s0, s74
	s_cmp_ge_u32 s0, s74
	s_cselect_b32 s0, s1, s0
	s_mov_b32 s1, s75
.LBB76_54:                              ;   in Loop: Header=BB76_9 Depth=1
	s_sub_u32 s10, s56, s0
	s_subb_u32 s11, s57, s1
	s_mov_b32 s13, s75
	v_cmp_gt_u64_e32 vcc, s[10:11], v[14:15]
	v_mov_b64_e32 v[4:5], 0
	v_mov_b64_e32 v[6:7], 0
	v_mov_b64_e32 v[8:9], 0
	v_mov_b64_e32 v[10:11], 0
	s_and_saveexec_b64 s[34:35], vcc
	s_cbranch_execz .LBB76_58
; %bb.55:                               ;   in Loop: Header=BB76_9 Depth=1
	s_mul_i32 s0, s91, s12
	s_mul_hi_u32 s1, s90, s12
	s_add_i32 s67, s1, s0
	s_mov_b64 s[86:87], 0
	s_mov_b64 s[72:73], s[88:89]
	;; [unrolled: 1-line block ×6, first 2 shown]
	v_mov_b64_e32 v[32:33], v[14:15]
.LBB76_56:                              ;   Parent Loop BB76_9 Depth=1
                                        ; =>  This Inner Loop Header: Depth=2
	v_lshl_add_u64 v[4:5], s[72:73], 0, v[28:29]
	v_lshl_add_u64 v[6:7], s[72:73], 0, v[26:27]
	;; [unrolled: 1-line block ×4, first 2 shown]
	global_load_ubyte v2, v[4:5], off
	s_nop 0
	global_load_ubyte v4, v[6:7], off
	global_load_ubyte v5, v[8:9], off
	s_nop 0
	global_load_ubyte v6, v[10:11], off
	s_mul_i32 s82, s90, s12
	v_lshl_add_u64 v[32:33], v[32:33], 0, s[74:75]
	v_cmp_le_u64_e32 vcc, s[10:11], v[32:33]
	s_waitcnt vmcnt(3)
	v_and_b32_e32 v7, v41, v2
	v_bfe_u32 v2, v2, s84, 2
	s_waitcnt vmcnt(2)
	v_and_b32_e32 v8, v41, v4
	v_bfe_u32 v4, v4, s84, 2
	v_cmp_eq_u32_e64 s[0:1], v7, v38
	v_cmp_eq_u32_e64 s[18:19], 0, v2
	s_waitcnt vmcnt(1)
	v_and_b32_e32 v9, v41, v5
	v_bfe_u32 v5, v5, s84, 2
	v_cmp_eq_u32_e64 s[2:3], v8, v38
	v_cmp_eq_u32_e64 s[20:21], 0, v4
	s_and_b64 s[18:19], s[0:1], s[18:19]
	s_waitcnt vmcnt(0)
	v_and_b32_e32 v10, v41, v6
	v_bfe_u32 v6, v6, s84, 2
	v_cmp_eq_u32_e64 s[14:15], v9, v38
	v_cmp_eq_u32_e64 s[22:23], 0, v5
	;; [unrolled: 1-line block ×5, first 2 shown]
	v_cndmask_b32_e64 v2, 0, 1, s[18:19]
	s_and_b64 s[18:19], s[2:3], s[20:21]
	v_cmp_eq_u32_e64 s[16:17], v10, v38
	v_cmp_eq_u32_e64 s[24:25], 0, v6
	;; [unrolled: 1-line block ×5, first 2 shown]
	v_cndmask_b32_e64 v4, 0, 1, s[18:19]
	s_and_b64 s[18:19], s[14:15], s[22:23]
	v_cmp_eq_u32_e64 s[36:37], 1, v5
	v_cmp_eq_u32_e64 s[44:45], 2, v5
	;; [unrolled: 1-line block ×3, first 2 shown]
	v_cndmask_b32_e64 v5, 0, 1, s[18:19]
	s_and_b64 s[18:19], s[16:17], s[24:25]
	v_cmp_eq_u32_e64 s[38:39], 1, v6
	v_cmp_eq_u32_e64 s[46:47], 2, v6
	;; [unrolled: 1-line block ×3, first 2 shown]
	v_cndmask_b32_e64 v6, 0, 1, s[18:19]
	v_cmp_ne_u32_e64 s[18:19], 0, v2
	v_cmp_ne_u32_e64 s[20:21], 0, v4
	v_cmp_ne_u32_e64 s[22:23], 0, v5
	v_cmp_ne_u32_e64 s[24:25], 0, v6
	s_bcnt1_i32_b64 s18, s[18:19]
	s_bcnt1_i32_b64 s19, s[20:21]
	s_bcnt1_i32_b64 s20, s[22:23]
	s_bcnt1_i32_b64 s21, s[24:25]
	s_add_u32 s18, s18, s80
	s_addc_u32 s22, 0, s81
	s_add_u32 s18, s18, s19
	s_addc_u32 s19, s22, 0
	s_add_u32 s18, s18, s20
	s_addc_u32 s19, s19, 0
	s_add_u32 s80, s18, s21
	s_addc_u32 s81, s19, 0
	s_and_b64 s[18:19], s[0:1], s[26:27]
	v_cndmask_b32_e64 v2, 0, 1, s[18:19]
	s_and_b64 s[18:19], s[2:3], s[28:29]
	v_cndmask_b32_e64 v6, 0, 1, s[18:19]
	s_and_b64 s[18:19], s[14:15], s[36:37]
	v_cndmask_b32_e64 v7, 0, 1, s[18:19]
	s_and_b64 s[18:19], s[16:17], s[38:39]
	v_cndmask_b32_e64 v8, 0, 1, s[18:19]
	v_cmp_ne_u32_e64 s[18:19], 0, v2
	v_cmp_ne_u32_e64 s[20:21], 0, v6
	v_cmp_ne_u32_e64 s[22:23], 0, v7
	v_cmp_ne_u32_e64 s[24:25], 0, v8
	s_bcnt1_i32_b64 s18, s[18:19]
	s_bcnt1_i32_b64 s19, s[20:21]
	s_bcnt1_i32_b64 s20, s[22:23]
	s_bcnt1_i32_b64 s21, s[24:25]
	s_add_u32 s18, s18, s30
	s_addc_u32 s22, 0, s31
	s_add_u32 s18, s18, s19
	s_addc_u32 s19, s22, 0
	s_add_u32 s18, s18, s20
	s_addc_u32 s19, s19, 0
	s_add_u32 s30, s18, s21
	s_addc_u32 s31, s19, 0
	s_and_b64 s[18:19], s[0:1], s[40:41]
	v_cndmask_b32_e64 v2, 0, 1, s[18:19]
	s_and_b64 s[18:19], s[2:3], s[42:43]
	v_cndmask_b32_e64 v8, 0, 1, s[18:19]
	s_and_b64 s[18:19], s[14:15], s[44:45]
	v_cndmask_b32_e64 v9, 0, 1, s[18:19]
	s_and_b64 s[18:19], s[16:17], s[46:47]
	;; [unrolled: 24-line block ×3, first 2 shown]
	v_cndmask_b32_e64 v43, 0, 1, s[0:1]
	v_cmp_ne_u32_e64 s[0:1], 0, v2
	v_cmp_ne_u32_e64 s[2:3], 0, v10
	;; [unrolled: 1-line block ×4, first 2 shown]
	s_bcnt1_i32_b64 s0, s[0:1]
	s_bcnt1_i32_b64 s1, s[2:3]
	;; [unrolled: 1-line block ×4, first 2 shown]
	s_add_u32 s0, s0, s60
	s_addc_u32 s14, 0, s61
	s_add_u32 s0, s0, s1
	s_addc_u32 s1, s14, 0
	;; [unrolled: 2-line block ×5, first 2 shown]
	v_mov_b64_e32 v[4:5], s[80:81]
	v_mov_b64_e32 v[6:7], s[30:31]
	;; [unrolled: 1-line block ×3, first 2 shown]
	s_or_b64 s[86:87], vcc, s[86:87]
	v_mov_b64_e32 v[10:11], s[60:61]
	s_andn2_b64 exec, exec, s[86:87]
	s_cbranch_execnz .LBB76_56
; %bb.57:                               ;   in Loop: Header=BB76_9 Depth=1
	s_or_b64 exec, exec, s[86:87]
	v_readlane_b32 s60, v63, 32
	v_readlane_b32 s72, v63, 34
	;; [unrolled: 1-line block ×7, first 2 shown]
	s_mov_b32 s52, 0xc0c0004
.LBB76_58:                              ;   in Loop: Header=BB76_9 Depth=1
	s_or_b64 exec, exec, s[34:35]
	v_lshl_add_u64 v[32:33], s[10:11], 0, v[0:1]
	v_cmp_gt_u64_e32 vcc, s[56:57], v[32:33]
	s_and_saveexec_b64 s[2:3], vcc
	s_cbranch_execz .LBB76_64
; %bb.59:                               ;   in Loop: Header=BB76_9 Depth=1
	v_mov_b64_e32 v[44:45], s[88:89]
	v_mad_u64_u32 v[44:45], s[0:1], v32, s68, v[44:45]
	v_mul_lo_u32 v2, v32, s69
	v_mul_lo_u32 v43, v33, s68
	v_add3_u32 v45, v43, v45, v2
	global_load_ubyte v43, v[44:45], off
	s_mov_b64 s[8:9], 0
	s_branch .LBB76_61
.LBB76_60:                              ;   in Loop: Header=BB76_61 Depth=2
	s_or_b64 exec, exec, s[10:11]
	s_waitcnt vmcnt(0)
	v_and_b32_e32 v44, 0xff, v43
	v_bitop3_b32 v43, v41, v43, s85 bitop3:0x80
	s_and_b64 s[0:1], exec, vcc
	v_cmp_eq_u32_e32 vcc, v43, v38
	v_bfe_u32 v43, v44, s84, 2
	s_or_b64 s[8:9], s[0:1], s[8:9]
	v_cmp_eq_u32_e64 s[0:1], 0, v43
	s_and_b64 s[0:1], vcc, s[0:1]
	s_nop 0
	v_cndmask_b32_e64 v44, 0, 1, s[0:1]
	v_cmp_ne_u32_e64 s[0:1], 0, v44
	s_bcnt1_i32_b64 s74, s[0:1]
	v_cmp_eq_u32_e64 s[0:1], 1, v43
	s_and_b64 s[0:1], vcc, s[0:1]
	v_lshl_add_u64 v[4:5], s[74:75], 0, v[4:5]
	v_cndmask_b32_e64 v44, 0, 1, s[0:1]
	v_cmp_ne_u32_e64 s[0:1], 0, v44
	s_bcnt1_i32_b64 s74, s[0:1]
	v_cmp_eq_u32_e64 s[0:1], 2, v43
	s_and_b64 s[0:1], vcc, s[0:1]
	v_lshl_add_u64 v[6:7], s[74:75], 0, v[6:7]
	v_cndmask_b32_e64 v44, 0, 1, s[0:1]
	v_cmp_ne_u32_e64 s[0:1], 0, v44
	s_bcnt1_i32_b64 s74, s[0:1]
	v_cmp_eq_u32_e64 s[0:1], 3, v43
	s_and_b64 s[0:1], vcc, s[0:1]
	v_lshl_add_u64 v[8:9], s[74:75], 0, v[8:9]
	v_cndmask_b32_e64 v43, 0, 1, s[0:1]
	v_cmp_ne_u32_e32 vcc, 0, v43
	s_bcnt1_i32_b64 s74, vcc
	v_lshl_add_u64 v[10:11], s[74:75], 0, v[10:11]
	v_mov_b32_e32 v43, v2
	s_andn2_b64 exec, exec, s[8:9]
	s_cbranch_execz .LBB76_63
.LBB76_61:                              ;   Parent Loop BB76_9 Depth=1
                                        ; =>  This Inner Loop Header: Depth=2
	v_lshl_add_u64 v[32:33], v[32:33], 0, s[12:13]
	v_cmp_gt_u64_e64 s[0:1], s[56:57], v[32:33]
	v_cmp_le_u64_e32 vcc, s[56:57], v[32:33]
	v_mov_b32_e32 v2, 0
	s_and_saveexec_b64 s[10:11], s[0:1]
	s_cbranch_execz .LBB76_60
; %bb.62:                               ;   in Loop: Header=BB76_61 Depth=2
	v_mov_b64_e32 v[44:45], s[88:89]
	v_mad_u64_u32 v[44:45], s[0:1], v32, s68, v[44:45]
	v_mul_lo_u32 v2, v32, s69
	v_mul_lo_u32 v48, v33, s68
	v_add3_u32 v45, v48, v45, v2
	global_load_ubyte v2, v[44:45], off
	s_branch .LBB76_60
.LBB76_63:                              ;   in Loop: Header=BB76_9 Depth=1
	s_or_b64 exec, exec, s[8:9]
.LBB76_64:                              ;   in Loop: Header=BB76_9 Depth=1
	s_or_b64 exec, exec, s[2:3]
	s_branch .LBB76_43
.LBB76_65:                              ;   in Loop: Header=BB76_9 Depth=1
	global_load_ushort v2, v3, s[72:73]
	v_mov_b64_e32 v[8:9], 0
	s_waitcnt vmcnt(0)
	v_readfirstlane_b32 s0, v2
	s_and_b32 s67, 0xffff, s0
	s_lshl_b32 s74, s67, 2
	v_cvt_f32_u32_e32 v4, s74
	s_sub_i32 s0, 0, s74
	v_rcp_iflag_f32_e32 v6, v4
	v_mov_b64_e32 v[4:5], 0
	v_mul_f32_e32 v6, 0x4f7ffffe, v6
	v_cvt_u32_f32_e32 v10, v6
	v_mov_b64_e32 v[6:7], 0
	v_readfirstlane_b32 s1, v10
	s_mul_i32 s0, s0, s1
	s_mul_hi_u32 s0, s1, s0
	s_add_i32 s1, s1, s0
	s_mul_hi_u32 s0, s66, s1
	s_mul_i32 s1, s0, s74
	s_sub_i32 s1, s66, s1
	s_add_i32 s2, s0, 1
	s_sub_i32 s3, s1, s74
	s_cmp_ge_u32 s1, s74
	s_cselect_b32 s0, s2, s0
	s_cselect_b32 s1, s3, s1
	s_add_i32 s2, s0, 1
	s_cmp_ge_u32 s1, s74
	s_cselect_b32 s0, s2, s0
	s_mul_hi_u32 s9, s67, s0
	s_mul_i32 s8, s67, s0
	s_lshl_b64 s[10:11], s[8:9], 2
	v_cmp_gt_u64_e32 vcc, s[10:11], v[14:15]
	v_mov_b64_e32 v[10:11], 0
	s_and_saveexec_b64 s[12:13], vcc
	s_cbranch_execz .LBB76_69
; %bb.66:                               ;   in Loop: Header=BB76_9 Depth=1
	s_mov_b64 s[30:31], 0
	v_mov_b32_e32 v43, v14
	s_mov_b64 s[34:35], 0
	s_mov_b64 s[60:61], 0
	;; [unrolled: 1-line block ×4, first 2 shown]
	v_mov_b64_e32 v[32:33], v[14:15]
.LBB76_67:                              ;   Parent Loop BB76_9 Depth=1
                                        ; =>  This Inner Loop Header: Depth=2
	ds_read_b32 v4, v43
	v_lshl_add_u64 v[32:33], v[32:33], 0, s[74:75]
	v_cmp_le_u64_e32 vcc, s[10:11], v[32:33]
	v_add_u32_e32 v43, s74, v43
	s_waitcnt lgkmcnt(0)
	v_and_b32_e32 v8, 0xff, v4
	v_lshrrev_b32_e32 v5, 16, v4
	v_lshrrev_b32_e32 v6, 8, v4
	;; [unrolled: 1-line block ×3, first 2 shown]
	v_bfe_u32 v9, v4, 8, 8
	v_bfe_u32 v10, v4, 16, 8
	v_bitop3_b32 v4, v41, v4, s85 bitop3:0x80
	v_bfe_u32 v8, v8, s84, 2
	v_cmp_eq_u32_e64 s[18:19], v4, v38
	v_bitop3_b32 v4, v41, v6, s85 bitop3:0x80
	v_bfe_u32 v9, v9, s84, 2
	v_cmp_eq_u32_e64 s[0:1], 0, v8
	v_bitop3_b32 v5, v41, v5, s85 bitop3:0x80
	v_bfe_u32 v10, v10, s84, 2
	v_cmp_eq_u32_e64 s[20:21], v4, v38
	v_cmp_eq_u32_e64 s[2:3], 0, v9
	s_and_b64 s[0:1], s[18:19], s[0:1]
	v_and_b32_e32 v6, v41, v7
	v_bfe_u32 v7, v7, s84, 2
	v_cmp_eq_u32_e64 s[16:17], v5, v38
	v_cmp_eq_u32_e64 s[36:37], 0, v10
	v_cndmask_b32_e64 v4, 0, 1, s[0:1]
	s_and_b64 s[0:1], s[20:21], s[2:3]
	v_cmp_eq_u32_e64 s[14:15], v6, v38
	v_cmp_eq_u32_e64 s[38:39], 0, v7
	v_cndmask_b32_e64 v5, 0, 1, s[0:1]
	s_and_b64 s[0:1], s[16:17], s[36:37]
	v_cndmask_b32_e64 v6, 0, 1, s[0:1]
	s_and_b64 s[0:1], s[14:15], s[38:39]
	v_cmp_eq_u32_e64 s[46:47], 1, v7
	v_cmp_eq_u32_e64 s[54:55], 2, v7
	v_cmp_eq_u32_e64 s[22:23], 3, v7
	v_cndmask_b32_e64 v7, 0, 1, s[0:1]
	v_cmp_ne_u32_e64 s[0:1], 0, v4
	v_cmp_ne_u32_e64 s[2:3], 0, v5
	;; [unrolled: 1-line block ×4, first 2 shown]
	s_bcnt1_i32_b64 s0, s[0:1]
	s_bcnt1_i32_b64 s1, s[2:3]
	;; [unrolled: 1-line block ×4, first 2 shown]
	s_add_u32 s0, s0, s80
	s_addc_u32 s9, 0, s81
	s_add_u32 s0, s0, s1
	s_addc_u32 s1, s9, 0
	;; [unrolled: 2-line block ×3, first 2 shown]
	v_cmp_eq_u32_e64 s[40:41], 1, v8
	s_add_u32 s80, s0, s3
	v_cmp_eq_u32_e64 s[42:43], 1, v9
	s_addc_u32 s81, s1, 0
	s_and_b64 s[0:1], s[18:19], s[40:41]
	v_cmp_eq_u32_e64 s[44:45], 1, v10
	v_cndmask_b32_e64 v6, 0, 1, s[0:1]
	s_and_b64 s[0:1], s[20:21], s[42:43]
	v_cndmask_b32_e64 v7, 0, 1, s[0:1]
	s_and_b64 s[0:1], s[16:17], s[44:45]
	v_cmp_eq_u32_e64 s[48:49], 2, v8
	v_cmp_eq_u32_e64 s[28:29], 3, v8
	v_cndmask_b32_e64 v8, 0, 1, s[0:1]
	s_and_b64 s[0:1], s[14:15], s[46:47]
	v_cmp_eq_u32_e64 s[50:51], 2, v9
	v_cmp_eq_u32_e64 s[26:27], 3, v9
	v_cndmask_b32_e64 v9, 0, 1, s[0:1]
	v_cmp_ne_u32_e64 s[0:1], 0, v6
	v_cmp_ne_u32_e64 s[2:3], 0, v7
	v_cmp_ne_u32_e64 s[36:37], 0, v8
	v_cmp_ne_u32_e64 s[38:39], 0, v9
	s_bcnt1_i32_b64 s0, s[0:1]
	s_bcnt1_i32_b64 s1, s[2:3]
	;; [unrolled: 1-line block ×4, first 2 shown]
	s_add_u32 s0, s0, s72
	s_addc_u32 s9, 0, s73
	s_add_u32 s0, s0, s1
	s_addc_u32 s1, s9, 0
	;; [unrolled: 2-line block ×4, first 2 shown]
	s_and_b64 s[0:1], s[18:19], s[48:49]
	v_cmp_eq_u32_e64 s[52:53], 2, v10
	v_cndmask_b32_e64 v8, 0, 1, s[0:1]
	s_and_b64 s[0:1], s[20:21], s[50:51]
	v_cndmask_b32_e64 v9, 0, 1, s[0:1]
	s_and_b64 s[0:1], s[16:17], s[52:53]
	v_cmp_eq_u32_e64 s[24:25], 3, v10
	v_cndmask_b32_e64 v10, 0, 1, s[0:1]
	s_and_b64 s[0:1], s[14:15], s[54:55]
	v_cndmask_b32_e64 v11, 0, 1, s[0:1]
	v_cmp_ne_u32_e64 s[0:1], 0, v8
	v_cmp_ne_u32_e64 s[2:3], 0, v9
	;; [unrolled: 1-line block ×4, first 2 shown]
	s_bcnt1_i32_b64 s0, s[0:1]
	s_bcnt1_i32_b64 s1, s[2:3]
	;; [unrolled: 1-line block ×4, first 2 shown]
	s_add_u32 s0, s0, s60
	s_addc_u32 s9, 0, s61
	s_add_u32 s0, s0, s1
	s_addc_u32 s1, s9, 0
	;; [unrolled: 2-line block ×4, first 2 shown]
	s_and_b64 s[0:1], s[18:19], s[28:29]
	v_cndmask_b32_e64 v10, 0, 1, s[0:1]
	s_and_b64 s[0:1], s[20:21], s[26:27]
	v_cndmask_b32_e64 v11, 0, 1, s[0:1]
	;; [unrolled: 2-line block ×4, first 2 shown]
	v_cmp_ne_u32_e64 s[0:1], 0, v10
	v_cmp_ne_u32_e64 s[2:3], 0, v11
	;; [unrolled: 1-line block ×4, first 2 shown]
	s_bcnt1_i32_b64 s0, s[0:1]
	s_bcnt1_i32_b64 s1, s[2:3]
	;; [unrolled: 1-line block ×4, first 2 shown]
	s_add_u32 s0, s0, s34
	s_addc_u32 s9, 0, s35
	s_add_u32 s0, s0, s1
	s_addc_u32 s1, s9, 0
	;; [unrolled: 2-line block ×4, first 2 shown]
	v_mov_b64_e32 v[4:5], s[80:81]
	v_mov_b64_e32 v[6:7], s[72:73]
	;; [unrolled: 1-line block ×3, first 2 shown]
	s_or_b64 s[30:31], vcc, s[30:31]
	v_mov_b64_e32 v[10:11], s[34:35]
	s_andn2_b64 exec, exec, s[30:31]
	s_cbranch_execnz .LBB76_67
; %bb.68:                               ;   in Loop: Header=BB76_9 Depth=1
	s_or_b64 exec, exec, s[30:31]
	v_readlane_b32 s60, v63, 32
	v_readlane_b32 s72, v63, 34
	;; [unrolled: 1-line block ×7, first 2 shown]
	s_mov_b32 s52, 0xc0c0004
.LBB76_69:                              ;   in Loop: Header=BB76_9 Depth=1
	s_or_b64 exec, exec, s[12:13]
	s_and_b32 s12, s66, 0x7fffffff
	s_mov_b32 s13, s75
	v_lshl_add_u64 v[32:33], s[10:11], 0, v[0:1]
	v_and_b32_e32 v2, 0xffff, v2
	v_cmp_gt_u64_e32 vcc, s[12:13], v[32:33]
	s_and_saveexec_b64 s[10:11], vcc
	s_cbranch_execz .LBB76_73
; %bb.70:                               ;   in Loop: Header=BB76_9 Depth=1
	v_lshl_add_u32 v43, s8, 2, v0
	s_mov_b64 s[8:9], 0
.LBB76_71:                              ;   Parent Loop BB76_9 Depth=1
                                        ; =>  This Inner Loop Header: Depth=2
	ds_read_u8 v44, v43
	v_lshl_add_u64 v[32:33], v[32:33], 0, v[2:3]
	v_cmp_le_u64_e32 vcc, s[12:13], v[32:33]
	v_add_u32_e32 v43, s67, v43
	s_waitcnt lgkmcnt(0)
	v_and_b32_e32 v45, v41, v44
	v_bfe_u32 v44, v44, s84, 2
	v_cmp_eq_u32_e64 s[0:1], v45, v38
	v_cmp_eq_u32_e64 s[2:3], 0, v44
	;; [unrolled: 1-line block ×3, first 2 shown]
	s_and_b64 s[2:3], s[0:1], s[2:3]
	v_cmp_eq_u32_e64 s[16:17], 2, v44
	v_cmp_eq_u32_e64 s[18:19], 3, v44
	v_cndmask_b32_e64 v44, 0, 1, s[2:3]
	s_and_b64 s[2:3], s[0:1], s[14:15]
	v_cndmask_b32_e64 v45, 0, 1, s[2:3]
	s_and_b64 s[2:3], s[0:1], s[16:17]
	s_and_b64 s[0:1], s[0:1], s[18:19]
	v_cndmask_b32_e64 v49, 0, 1, s[0:1]
	v_cmp_ne_u32_e64 s[0:1], 0, v44
	v_cndmask_b32_e64 v48, 0, 1, s[2:3]
	v_cmp_ne_u32_e64 s[2:3], 0, v45
	s_bcnt1_i32_b64 s74, s[0:1]
	v_cmp_ne_u32_e64 s[14:15], 0, v48
	v_lshl_add_u64 v[4:5], s[74:75], 0, v[4:5]
	s_bcnt1_i32_b64 s74, s[2:3]
	v_cmp_ne_u32_e64 s[16:17], 0, v49
	v_lshl_add_u64 v[6:7], s[74:75], 0, v[6:7]
	s_bcnt1_i32_b64 s74, s[14:15]
	v_lshl_add_u64 v[8:9], s[74:75], 0, v[8:9]
	s_bcnt1_i32_b64 s74, s[16:17]
	s_or_b64 s[8:9], vcc, s[8:9]
	v_lshl_add_u64 v[10:11], s[74:75], 0, v[10:11]
	s_andn2_b64 exec, exec, s[8:9]
	s_cbranch_execnz .LBB76_71
; %bb.72:                               ;   in Loop: Header=BB76_9 Depth=1
	s_or_b64 exec, exec, s[8:9]
.LBB76_73:                              ;   in Loop: Header=BB76_9 Depth=1
	s_or_b64 exec, exec, s[10:11]
	s_lshl_b32 s2, s33, 6
	s_and_saveexec_b64 s[0:1], s[4:5]
	s_cbranch_execnz .LBB76_44
	s_branch .LBB76_45
.LBB76_74:                              ;   in Loop: Header=BB76_9 Depth=1
                                        ; implicit-def: $sgpr0_sgpr1
	s_branch .LBB76_53
.LBB76_75:                              ;   in Loop: Header=BB76_9 Depth=1
	s_mov_b32 s3, 0
	v_mov_b64_e32 v[4:5], 0
.LBB76_76:                              ;   in Loop: Header=BB76_9 Depth=1
	v_readlane_b32 s8, v63, 30
	v_readlane_b32 s9, v63, 31
	s_andn2_b64 vcc, exec, s[8:9]
	s_cbranch_vccnz .LBB76_79
; %bb.77:                               ;   in Loop: Header=BB76_9 Depth=1
	s_lshl_b32 s8, s33, 9
	s_lshl_b32 s3, s3, 5
	s_add_i32 s8, s8, s3
	v_add_u32_e32 v2, s8, v37
	v_readlane_b32 s3, v63, 29
.LBB76_78:                              ;   Parent Loop BB76_9 Depth=1
                                        ; =>  This Inner Loop Header: Depth=2
	ds_read_b64 v[6:7], v2
	s_add_i32 s3, s3, -1
	v_add_u32_e32 v2, 32, v2
	s_cmp_lg_u32 s3, 0
	s_waitcnt lgkmcnt(0)
	v_lshl_add_u64 v[4:5], v[6:7], 0, v[4:5]
	s_cbranch_scc1 .LBB76_78
.LBB76_79:                              ;   in Loop: Header=BB76_9 Depth=1
	v_add_lshl_u32 v2, s2, v34, 3
	ds_write_b64 v2, v[4:5] offset:3072
.LBB76_80:                              ;   in Loop: Header=BB76_9 Depth=1
	s_or_b64 exec, exec, s[0:1]
	s_lshl_b32 s0, s2, 3
	v_mov_b32_e32 v2, s0
	s_waitcnt lgkmcnt(0)
	s_barrier
	ds_read_b128 v[8:11], v2 offset:3088
	ds_read_b128 v[4:7], v2 offset:3072
	s_lshl_b32 s54, 3, s84
	v_cmp_eq_u64_e64 s[0:1], 1, v[30:31]
	s_not_b32 s48, s54
	s_waitcnt lgkmcnt(1)
	v_readfirstlane_b32 s20, v8
	s_waitcnt lgkmcnt(0)
	v_cmp_eq_u64_e32 vcc, 1, v[4:5]
	v_readfirstlane_b32 s21, v9
	v_readfirstlane_b32 s2, v10
	v_readfirstlane_b32 s3, v11
	s_and_b64 s[12:13], vcc, s[0:1]
	s_mov_b64 s[0:1], -1
	s_mov_b64 s[16:17], -1
                                        ; implicit-def: $sgpr10_sgpr11
                                        ; implicit-def: $sgpr8_sgpr9
	s_and_saveexec_b64 s[14:15], s[12:13]
	s_cbranch_execz .LBB76_112
; %bb.81:                               ;   in Loop: Header=BB76_9 Depth=1
	ds_read_b64 v[8:9], v3 offset:5120
	s_waitcnt lgkmcnt(0)
	s_barrier
	v_readfirstlane_b32 s18, v8
	v_readfirstlane_b32 s19, v9
	s_mov_b64 s[8:9], exec
	v_readlane_b32 s10, v63, 14
	v_readlane_b32 s11, v63, 15
	s_and_b64 s[10:11], s[8:9], s[10:11]
	s_mov_b64 exec, s[10:11]
; %bb.82:                               ;   in Loop: Header=BB76_9 Depth=1
	ds_write_b8 v0, v3 offset:3072
; %bb.83:                               ;   in Loop: Header=BB76_9 Depth=1
	s_or_b64 exec, exec, s[8:9]
	v_and_b32_e32 v38, s48, v38
	v_or_b32_e32 v41, s54, v41
	s_mov_b64 s[8:9], -1
	s_mov_b64 s[10:11], 0
	s_cmp_eq_u64 s[18:19], 0
	s_mov_b64 s[16:17], 0
	s_mov_b64 s[22:23], -1
	s_waitcnt lgkmcnt(0)
	s_barrier
                                        ; implicit-def: $vgpr42
	s_cbranch_scc1 .LBB76_97
; %bb.84:                               ;   in Loop: Header=BB76_9 Depth=1
	v_readlane_b32 s16, v63, 20
	s_add_u32 s26, s18, s16
	v_readlane_b32 s16, v63, 22
	s_addc_u32 s17, s19, s16
	s_mov_b32 s16, s75
	s_cmp_lg_u64 s[16:17], 0
	s_cbranch_scc0 .LBB76_138
; %bb.85:                               ;   in Loop: Header=BB76_9 Depth=1
	v_cvt_f32_u32_e32 v2, s70
	s_sub_u32 s16, 0, s70
	s_subb_u32 s24, 0, 0
	v_fmac_f32_e32 v2, 0, v39
	v_rcp_f32_e32 v2, v2
	s_nop 0
	v_mul_f32_e32 v2, 0x5f7ffffc, v2
	v_mul_f32_e32 v8, 0x2f800000, v2
	v_trunc_f32_e32 v8, v8
	v_fmac_f32_e32 v2, 0xcf800000, v8
	v_cvt_u32_f32_e32 v8, v8
	v_cvt_u32_f32_e32 v2, v2
	v_readfirstlane_b32 s25, v8
	v_readfirstlane_b32 s22, v2
	s_mul_i32 s23, s16, s25
	s_mul_hi_u32 s28, s16, s22
	s_mul_i32 s27, s24, s22
	s_add_i32 s23, s28, s23
	s_mul_i32 s29, s16, s22
	s_add_i32 s23, s23, s27
	s_mul_hi_u32 s28, s22, s29
	s_mul_i32 s30, s22, s23
	s_mul_hi_u32 s27, s22, s23
	s_add_u32 s28, s28, s30
	s_addc_u32 s27, 0, s27
	s_mul_hi_u32 s31, s25, s29
	s_mul_i32 s29, s25, s29
	s_add_u32 s28, s28, s29
	s_mul_hi_u32 s30, s25, s23
	s_addc_u32 s27, s27, s31
	s_addc_u32 s28, s30, 0
	s_mul_i32 s23, s25, s23
	s_add_u32 s23, s27, s23
	s_addc_u32 s27, 0, s28
	s_add_u32 s28, s22, s23
	s_cselect_b64 s[22:23], -1, 0
	s_cmp_lg_u64 s[22:23], 0
	s_addc_u32 s25, s25, s27
	s_mul_i32 s22, s16, s25
	s_mul_hi_u32 s23, s16, s28
	s_add_i32 s22, s23, s22
	s_mul_i32 s24, s24, s28
	s_add_i32 s22, s22, s24
	s_mul_i32 s16, s16, s28
	s_mul_hi_u32 s24, s25, s16
	s_mul_i32 s27, s25, s16
	s_mul_i32 s30, s28, s22
	s_mul_hi_u32 s16, s28, s16
	s_mul_hi_u32 s29, s28, s22
	s_add_u32 s16, s16, s30
	s_addc_u32 s29, 0, s29
	s_add_u32 s16, s16, s27
	s_mul_hi_u32 s23, s25, s22
	s_addc_u32 s16, s29, s24
	s_addc_u32 s23, s23, 0
	s_mul_i32 s22, s25, s22
	s_add_u32 s16, s16, s22
	s_addc_u32 s24, 0, s23
	s_add_u32 s16, s28, s16
	s_cselect_b64 s[22:23], -1, 0
	s_cmp_lg_u64 s[22:23], 0
	s_addc_u32 s22, s25, s24
	s_mul_i32 s24, s26, s22
	s_mul_hi_u32 s25, s26, s16
	s_mul_hi_u32 s23, s26, s22
	s_add_u32 s24, s25, s24
	s_addc_u32 s23, 0, s23
	s_mul_hi_u32 s27, s17, s16
	s_mul_i32 s16, s17, s16
	s_add_u32 s16, s24, s16
	s_mul_hi_u32 s25, s17, s22
	s_addc_u32 s16, s23, s27
	s_addc_u32 s23, s25, 0
	s_mul_i32 s22, s17, s22
	s_add_u32 s16, s16, s22
	s_addc_u32 s22, 0, s23
	s_mul_i32 s22, s70, s22
	s_mul_hi_u32 s23, s70, s16
	s_add_i32 s24, s23, s22
	s_mul_i32 s16, s70, s16
	s_sub_u32 s16, s26, s16
	s_cselect_b64 s[22:23], -1, 0
	s_cmp_lg_u64 s[22:23], 0
	s_subb_u32 s24, s17, s24
	s_sub_u32 s25, s16, s70
	s_cselect_b64 s[22:23], -1, 0
	s_cmp_lg_u64 s[22:23], 0
	s_subb_u32 s27, s24, 0
	;; [unrolled: 4-line block ×3, first 2 shown]
	s_cmp_ge_u32 s25, s70
	s_cselect_b32 s23, -1, 0
	s_cmp_eq_u32 s27, 0
	s_cselect_b32 s23, s23, -1
	s_cmp_lg_u32 s23, 0
	s_cselect_b32 s22, s22, s27
	s_cselect_b32 s25, s28, s25
	s_cmp_ge_u32 s16, s70
	s_cselect_b32 s23, -1, 0
	s_cmp_eq_u32 s24, 0
	s_cselect_b32 s23, s23, -1
	s_cmp_lg_u32 s23, 0
	s_cselect_b32 s23, s22, s24
	s_cselect_b32 s22, s25, s16
	s_cbranch_execnz .LBB76_87
.LBB76_86:                              ;   in Loop: Header=BB76_9 Depth=1
	v_cvt_f32_u32_e32 v2, s70
	s_sub_i32 s16, 0, s70
	v_rcp_iflag_f32_e32 v2, v2
	s_nop 0
	v_mul_f32_e32 v2, 0x4f7ffffe, v2
	v_cvt_u32_f32_e32 v2, v2
	s_nop 0
	v_readfirstlane_b32 s22, v2
	s_mul_i32 s16, s16, s22
	s_mul_hi_u32 s16, s22, s16
	s_add_i32 s22, s22, s16
	s_mul_hi_u32 s16, s26, s22
	s_mul_i32 s16, s16, s70
	s_sub_i32 s16, s26, s16
	s_sub_i32 s22, s16, s70
	s_cmp_ge_u32 s16, s70
	s_cselect_b32 s16, s22, s16
	s_sub_i32 s22, s16, s70
	s_cmp_ge_u32 s16, s70
	s_cselect_b32 s74, s22, s16
	s_mov_b64 s[22:23], s[74:75]
.LBB76_87:                              ;   in Loop: Header=BB76_9 Depth=1
	s_sub_u32 s26, s26, s22
	s_subb_u32 s27, s17, s23
	v_cmp_gt_u64_e32 vcc, s[26:27], v[0:1]
	s_mov_b64 s[22:23], 0
	s_mov_b64 s[16:17], 0
                                        ; implicit-def: $vgpr42
	s_and_saveexec_b64 s[24:25], vcc
	s_cbranch_execz .LBB76_96
; %bb.88:                               ;   in Loop: Header=BB76_9 Depth=1
	v_mov_b32_e32 v2, v0
	v_mov_b64_e32 v[8:9], v[0:1]
                                        ; implicit-def: $sgpr28_sgpr29
	s_branch .LBB76_91
.LBB76_89:                              ;   in Loop: Header=BB76_91 Depth=2
	s_or_b64 exec, exec, s[30:31]
	s_waitcnt lgkmcnt(0)
	s_barrier
	ds_read_u16 v10, v3 offset:3072
	s_mov_b64 s[30:31], -1
	s_waitcnt lgkmcnt(0)
	s_barrier
	v_cmp_ne_u32_sdwa s[34:35], v10, v3 src0_sel:BYTE_0 src1_sel:DWORD
	s_and_b64 vcc, exec, s[34:35]
	s_mov_b64 s[34:35], -1
	s_cbranch_vccz .LBB76_94
.LBB76_90:                              ;   in Loop: Header=BB76_91 Depth=2
	s_and_b64 s[30:31], exec, s[30:31]
	s_or_b64 s[16:17], s[30:31], s[16:17]
	s_andn2_b64 s[28:29], s[28:29], exec
	s_and_b64 s[30:31], s[34:35], exec
	s_or_b64 s[28:29], s[28:29], s[30:31]
	s_andn2_b64 exec, exec, s[16:17]
	s_cbranch_execz .LBB76_95
.LBB76_91:                              ;   Parent Loop BB76_9 Depth=1
                                        ; =>  This Inner Loop Header: Depth=2
	v_cmp_gt_u64_e32 vcc, s[18:19], v[8:9]
	s_and_saveexec_b64 s[30:31], vcc
	s_cbranch_execz .LBB76_89
; %bb.92:                               ;   in Loop: Header=BB76_91 Depth=2
	ds_read_u8 v10, v2
	s_waitcnt lgkmcnt(0)
	v_bitop3_b32 v11, v10, s85, v41 bitop3:0x80
	v_cmp_eq_u32_e32 vcc, v11, v38
	s_and_b64 exec, exec, vcc
	s_cbranch_execz .LBB76_89
; %bb.93:                               ;   in Loop: Header=BB76_91 Depth=2
	v_lshlrev_b16_e32 v10, 8, v10
	v_or_b32_e32 v10, 1, v10
	ds_write_b16 v3, v10 offset:3072
	s_branch .LBB76_89
.LBB76_94:                              ;   in Loop: Header=BB76_91 Depth=2
	v_lshl_add_u64 v[8:9], v[8:9], 0, s[70:71]
	v_cmp_le_u64_e32 vcc, s[26:27], v[8:9]
	v_add_u32_e32 v2, s70, v2
	s_mov_b64 s[34:35], 0
	s_orn2_b64 s[30:31], vcc, exec
	s_branch .LBB76_90
.LBB76_95:                              ;   in Loop: Header=BB76_9 Depth=1
	s_or_b64 exec, exec, s[16:17]
	v_lshrrev_b32_sdwa v42, v40, v10 dst_sel:DWORD dst_unused:UNUSED_PAD src0_sel:DWORD src1_sel:WORD_0
	s_and_b64 s[16:17], s[28:29], exec
.LBB76_96:                              ;   in Loop: Header=BB76_9 Depth=1
	s_or_b64 exec, exec, s[24:25]
.LBB76_97:                              ;   in Loop: Header=BB76_9 Depth=1
	s_and_b64 vcc, exec, s[22:23]
	s_cbranch_vccz .LBB76_111
; %bb.98:                               ;   in Loop: Header=BB76_9 Depth=1
	s_mov_b32 s82, s75
	s_cmp_lg_u64 s[82:83], 0
	s_cbranch_scc0 .LBB76_142
; %bb.99:                               ;   in Loop: Header=BB76_9 Depth=1
	v_cvt_f32_u32_e32 v2, s70
	s_sub_u32 s10, 0, s70
	s_subb_u32 s11, 0, 0
	v_fmac_f32_e32 v2, 0, v39
	v_rcp_f32_e32 v2, v2
	s_nop 0
	v_mul_f32_e32 v2, 0x5f7ffffc, v2
	v_mul_f32_e32 v8, 0x2f800000, v2
	v_trunc_f32_e32 v8, v8
	v_fmac_f32_e32 v2, 0xcf800000, v8
	v_cvt_u32_f32_e32 v8, v8
	v_cvt_u32_f32_e32 v2, v2
	v_readfirstlane_b32 s18, v8
	v_readfirstlane_b32 s8, v2
	s_mul_i32 s9, s10, s18
	s_mul_hi_u32 s22, s10, s8
	s_mul_i32 s19, s11, s8
	s_add_i32 s9, s22, s9
	s_mul_i32 s23, s10, s8
	s_add_i32 s9, s9, s19
	s_mul_hi_u32 s22, s8, s23
	s_mul_i32 s24, s8, s9
	s_mul_hi_u32 s19, s8, s9
	s_add_u32 s22, s22, s24
	s_addc_u32 s19, 0, s19
	s_mul_hi_u32 s25, s18, s23
	s_mul_i32 s23, s18, s23
	s_add_u32 s22, s22, s23
	s_mul_hi_u32 s24, s18, s9
	s_addc_u32 s19, s19, s25
	s_addc_u32 s22, s24, 0
	s_mul_i32 s9, s18, s9
	s_add_u32 s9, s19, s9
	s_addc_u32 s19, 0, s22
	s_add_u32 s22, s8, s9
	s_cselect_b64 s[8:9], -1, 0
	s_cmp_lg_u64 s[8:9], 0
	s_addc_u32 s18, s18, s19
	s_mul_i32 s8, s10, s18
	s_mul_hi_u32 s9, s10, s22
	s_add_i32 s8, s9, s8
	s_mul_i32 s11, s11, s22
	s_add_i32 s8, s8, s11
	s_mul_i32 s10, s10, s22
	s_mul_hi_u32 s11, s18, s10
	s_mul_i32 s19, s18, s10
	s_mul_i32 s24, s22, s8
	s_mul_hi_u32 s10, s22, s10
	s_mul_hi_u32 s23, s22, s8
	s_add_u32 s10, s10, s24
	s_addc_u32 s23, 0, s23
	s_add_u32 s10, s10, s19
	s_mul_hi_u32 s9, s18, s8
	s_addc_u32 s10, s23, s11
	s_addc_u32 s9, s9, 0
	s_mul_i32 s8, s18, s8
	s_add_u32 s8, s10, s8
	s_addc_u32 s10, 0, s9
	s_add_u32 s11, s22, s8
	s_cselect_b64 s[8:9], -1, 0
	s_cmp_lg_u64 s[8:9], 0
	s_addc_u32 s8, s18, s10
	v_readlane_b32 s22, v63, 21
	s_mul_i32 s10, s22, s8
	s_mul_hi_u32 s18, s22, s11
	s_mul_hi_u32 s9, s22, s8
	s_add_u32 s10, s18, s10
	s_addc_u32 s9, 0, s9
	s_mul_hi_u32 s19, s83, s11
	s_mul_i32 s11, s83, s11
	s_add_u32 s10, s10, s11
	s_mul_hi_u32 s18, s83, s8
	s_addc_u32 s9, s9, s19
	s_addc_u32 s10, s18, 0
	s_mul_i32 s8, s83, s8
	s_add_u32 s8, s9, s8
	s_addc_u32 s9, 0, s10
	s_mul_i32 s9, s70, s9
	s_mul_hi_u32 s10, s70, s8
	s_add_i32 s10, s10, s9
	s_mul_i32 s8, s70, s8
	s_sub_u32 s11, s22, s8
	s_cselect_b64 s[8:9], -1, 0
	s_cmp_lg_u64 s[8:9], 0
	s_subb_u32 s10, s83, s10
	s_sub_u32 s18, s11, s70
	s_cselect_b64 s[8:9], -1, 0
	s_cmp_lg_u64 s[8:9], 0
	s_subb_u32 s19, s10, 0
	;; [unrolled: 4-line block ×3, first 2 shown]
	s_cmp_ge_u32 s18, s70
	s_cselect_b32 s9, -1, 0
	s_cmp_eq_u32 s19, 0
	s_cselect_b32 s9, s9, -1
	s_cmp_lg_u32 s9, 0
	s_cselect_b32 s8, s8, s19
	s_cselect_b32 s18, s22, s18
	s_cmp_ge_u32 s11, s70
	s_cselect_b32 s9, -1, 0
	s_cmp_eq_u32 s10, 0
	s_cselect_b32 s9, s9, -1
	s_cmp_lg_u32 s9, 0
	s_cselect_b32 s9, s8, s10
	s_cselect_b32 s8, s18, s11
	s_cbranch_execnz .LBB76_101
.LBB76_100:                             ;   in Loop: Header=BB76_9 Depth=1
	v_cvt_f32_u32_e32 v2, s70
	s_sub_i32 s8, 0, s70
	v_readlane_b32 s10, v63, 21
	v_rcp_iflag_f32_e32 v2, v2
	s_nop 0
	v_mul_f32_e32 v2, 0x4f7ffffe, v2
	v_cvt_u32_f32_e32 v2, v2
	s_nop 0
	v_readfirstlane_b32 s9, v2
	s_mul_i32 s8, s8, s9
	s_mul_hi_u32 s8, s9, s8
	s_add_i32 s9, s9, s8
	s_mul_hi_u32 s8, s10, s9
	s_mul_i32 s8, s8, s70
	s_sub_i32 s8, s10, s8
	s_sub_i32 s9, s8, s70
	s_cmp_ge_u32 s8, s70
	s_cselect_b32 s8, s9, s8
	s_sub_i32 s9, s8, s70
	s_cmp_ge_u32 s8, s70
	s_cselect_b32 s74, s9, s8
	s_mov_b64 s[8:9], s[74:75]
.LBB76_101:                             ;   in Loop: Header=BB76_9 Depth=1
	v_readlane_b32 s10, v63, 21
	s_sub_u32 s10, s10, s8
	s_subb_u32 s11, s83, s9
	v_cmp_gt_u64_e32 vcc, s[10:11], v[0:1]
                                        ; implicit-def: $vgpr42
	s_and_saveexec_b64 s[8:9], vcc
	s_cbranch_execz .LBB76_110
; %bb.102:                              ;   in Loop: Header=BB76_9 Depth=1
	s_mov_b64 s[18:19], 0
	v_mov_b64_e32 v[8:9], v[12:13]
	v_mov_b64_e32 v[10:11], v[0:1]
                                        ; implicit-def: $sgpr22_sgpr23
	s_branch .LBB76_105
.LBB76_103:                             ;   in Loop: Header=BB76_105 Depth=2
	s_or_b64 exec, exec, s[24:25]
	s_waitcnt lgkmcnt(0)
	s_barrier
	ds_read_u16 v2, v3 offset:3072
	s_mov_b64 s[24:25], -1
	s_waitcnt lgkmcnt(0)
	s_barrier
	v_cmp_ne_u32_sdwa s[26:27], v2, v3 src0_sel:BYTE_0 src1_sel:DWORD
	s_and_b64 vcc, exec, s[26:27]
	s_mov_b64 s[26:27], -1
	s_cbranch_vccz .LBB76_108
.LBB76_104:                             ;   in Loop: Header=BB76_105 Depth=2
	s_and_b64 s[24:25], exec, s[24:25]
	s_or_b64 s[18:19], s[24:25], s[18:19]
	s_andn2_b64 s[22:23], s[22:23], exec
	s_and_b64 s[24:25], s[26:27], exec
	s_or_b64 s[22:23], s[22:23], s[24:25]
	s_andn2_b64 exec, exec, s[18:19]
	s_cbranch_execz .LBB76_109
.LBB76_105:                             ;   Parent Loop BB76_9 Depth=1
                                        ; =>  This Inner Loop Header: Depth=2
	v_cmp_gt_u64_e32 vcc, s[56:57], v[10:11]
	s_and_saveexec_b64 s[24:25], vcc
	s_cbranch_execz .LBB76_103
; %bb.106:                              ;   in Loop: Header=BB76_105 Depth=2
	global_load_ubyte v2, v[8:9], off
	s_waitcnt vmcnt(0)
	v_bitop3_b32 v32, v2, s85, v41 bitop3:0x80
	v_cmp_eq_u32_e32 vcc, v32, v38
	s_and_b64 exec, exec, vcc
	s_cbranch_execz .LBB76_103
; %bb.107:                              ;   in Loop: Header=BB76_105 Depth=2
	v_lshlrev_b16_e32 v2, 8, v2
	v_or_b32_e32 v2, 1, v2
	ds_write_b16 v3, v2 offset:3072
	s_branch .LBB76_103
.LBB76_108:                             ;   in Loop: Header=BB76_105 Depth=2
	v_lshl_add_u64 v[10:11], v[10:11], 0, s[70:71]
	v_cmp_le_u64_e32 vcc, s[10:11], v[10:11]
	v_lshl_add_u64 v[8:9], v[8:9], 0, s[78:79]
	s_mov_b64 s[26:27], 0
	s_orn2_b64 s[24:25], vcc, exec
	s_branch .LBB76_104
.LBB76_109:                             ;   in Loop: Header=BB76_9 Depth=1
	s_or_b64 exec, exec, s[18:19]
	s_andn2_b64 s[10:11], s[16:17], exec
	s_and_b64 s[16:17], s[22:23], exec
	v_lshrrev_b32_sdwa v42, v40, v2 dst_sel:DWORD dst_unused:UNUSED_PAD src0_sel:DWORD src1_sel:WORD_0
	s_or_b64 s[16:17], s[10:11], s[16:17]
.LBB76_110:                             ;   in Loop: Header=BB76_9 Depth=1
	s_or_b64 exec, exec, s[8:9]
	s_mov_b64 s[8:9], 0
	s_mov_b64 s[10:11], -1
.LBB76_111:                             ;   in Loop: Header=BB76_9 Depth=1
	s_orn2_b64 s[16:17], s[16:17], exec
.LBB76_112:                             ;   in Loop: Header=BB76_9 Depth=1
	s_or_b64 exec, exec, s[14:15]
	s_andn2_b64 s[14:15], s[64:65], exec
	s_and_b64 s[10:11], s[10:11], exec
	s_or_b64 s[64:65], s[14:15], s[10:11]
	s_andn2_b64 s[10:11], s[62:63], exec
	s_and_b64 s[8:9], s[8:9], exec
	s_andn2_b64 s[58:59], s[58:59], exec
	s_or_b64 s[62:63], s[10:11], s[8:9]
                                        ; implicit-def: $vgpr8_vgpr9
	s_and_saveexec_b64 s[14:15], s[16:17]
	s_cbranch_execz .LBB76_8
; %bb.113:                              ;   in Loop: Header=BB76_9 Depth=1
	s_xor_b64 s[8:9], s[12:13], -1
	v_mov_b32_e32 v2, 1
	s_mov_b64 s[10:11], 0
	v_mov_b64_e32 v[8:9], 1
	s_and_saveexec_b64 s[0:1], s[8:9]
	s_cbranch_execz .LBB76_122
; %bb.114:                              ;   in Loop: Header=BB76_9 Depth=1
	v_cmp_le_u64_e32 vcc, v[30:31], v[4:5]
	s_and_saveexec_b64 s[8:9], vcc
	s_xor_b64 s[8:9], exec, s[8:9]
	s_cbranch_execz .LBB76_119
; %bb.115:                              ;   in Loop: Header=BB76_9 Depth=1
	ds_read_b64 v[8:9], v3 offset:5120
	v_and_b32_e32 v38, s48, v38
	v_or_b32_e32 v41, s54, v41
	s_waitcnt lgkmcnt(0)
	v_cmp_ne_u64_e32 vcc, 0, v[8:9]
	s_cbranch_vccnz .LBB76_119
; %bb.116:                              ;   in Loop: Header=BB76_9 Depth=1
	s_mov_b64 s[10:11], exec
	v_readlane_b32 s12, v63, 0
	v_readlane_b32 s13, v63, 1
	s_and_b64 s[12:13], s[10:11], s[12:13]
	s_mov_b64 exec, s[12:13]
; %bb.117:                              ;   in Loop: Header=BB76_9 Depth=1
	ds_write_b64 v3, v[4:5] offset:5128
; %bb.118:                              ;   in Loop: Header=BB76_9 Depth=1
	s_or_b64 exec, exec, s[10:11]
	s_waitcnt lgkmcnt(0)
	s_barrier
.LBB76_119:                             ;   in Loop: Header=BB76_9 Depth=1
	s_or_saveexec_b64 s[8:9], s[8:9]
	s_mov_b64 s[10:11], 0
	v_mov_b32_e32 v2, 8
	s_xor_b64 exec, exec, s[8:9]
; %bb.120:                              ;   in Loop: Header=BB76_9 Depth=1
	v_sub_co_u32_e32 v30, vcc, v30, v4
	s_mov_b64 s[10:11], exec
	s_nop 0
	v_subb_co_u32_e32 v31, vcc, v31, v5, vcc
	v_mov_b32_e32 v2, 0
; %bb.121:                              ;   in Loop: Header=BB76_9 Depth=1
	s_or_b64 exec, exec, s[8:9]
	s_and_b64 s[10:11], s[10:11], exec
	v_mov_b64_e32 v[8:9], v[30:31]
.LBB76_122:                             ;   in Loop: Header=BB76_9 Depth=1
	s_or_b64 exec, exec, s[0:1]
	s_mov_b64 s[16:17], -1
	s_mov_b64 s[8:9], -1
                                        ; implicit-def: $sgpr0_sgpr1
                                        ; implicit-def: $sgpr22_sgpr23
	s_and_saveexec_b64 s[12:13], s[10:11]
	s_xor_b64 s[18:19], exec, s[12:13]
	s_cbranch_execz .LBB76_267
; %bb.123:                              ;   in Loop: Header=BB76_9 Depth=1
	v_cmp_eq_u64_e32 vcc, 1, v[6:7]
	v_cmp_eq_u64_e64 s[0:1], 1, v[8:9]
	s_and_b64 s[12:13], vcc, s[0:1]
                                        ; implicit-def: $sgpr22_sgpr23
                                        ; implicit-def: $sgpr0_sgpr1
	s_and_saveexec_b64 s[24:25], s[12:13]
	s_cbranch_execz .LBB76_160
; %bb.124:                              ;   in Loop: Header=BB76_9 Depth=1
	ds_read_b64 v[4:5], v3 offset:5120
	s_waitcnt lgkmcnt(0)
	s_barrier
	v_readfirstlane_b32 s10, v4
	v_readfirstlane_b32 s11, v5
	s_mov_b64 s[0:1], exec
	v_readlane_b32 s8, v63, 14
	v_readlane_b32 s9, v63, 15
	s_and_b64 s[8:9], s[0:1], s[8:9]
	s_mov_b64 exec, s[8:9]
; %bb.125:                              ;   in Loop: Header=BB76_9 Depth=1
	ds_write_b8 v0, v3 offset:3072
; %bb.126:                              ;   in Loop: Header=BB76_9 Depth=1
	s_or_b64 exec, exec, s[0:1]
	v_and_b32_e32 v4, s48, v38
	v_lshl_or_b32 v38, 1, s84, v4
	v_or_b32_e32 v41, s54, v41
	s_mov_b64 s[0:1], -1
	s_mov_b64 s[22:23], 0
	s_cmp_eq_u64 s[10:11], 0
	s_mov_b64 s[8:9], 0
	s_mov_b64 s[26:27], -1
	s_waitcnt lgkmcnt(0)
	s_barrier
                                        ; implicit-def: $vgpr42
	s_cbranch_scc1 .LBB76_145
; %bb.127:                              ;   in Loop: Header=BB76_9 Depth=1
	v_readlane_b32 s8, v63, 20
	s_add_u32 s30, s10, s8
	v_readlane_b32 s8, v63, 22
	s_addc_u32 s9, s11, s8
	s_mov_b32 s8, s75
	s_cmp_lg_u64 s[8:9], 0
	s_cbranch_scc0 .LBB76_187
; %bb.128:                              ;   in Loop: Header=BB76_9 Depth=1
	v_cvt_f32_u32_e32 v4, s70
	s_sub_u32 s8, 0, s70
	s_subb_u32 s28, 0, 0
	v_fmac_f32_e32 v4, 0, v39
	v_rcp_f32_e32 v4, v4
	s_nop 0
	v_mul_f32_e32 v4, 0x5f7ffffc, v4
	v_mul_f32_e32 v5, 0x2f800000, v4
	v_trunc_f32_e32 v5, v5
	v_fmac_f32_e32 v4, 0xcf800000, v5
	v_cvt_u32_f32_e32 v5, v5
	v_cvt_u32_f32_e32 v4, v4
	v_readfirstlane_b32 s29, v5
	v_readfirstlane_b32 s26, v4
	s_mul_i32 s27, s8, s29
	s_mul_hi_u32 s34, s8, s26
	s_mul_i32 s31, s28, s26
	s_add_i32 s27, s34, s27
	s_mul_i32 s35, s8, s26
	s_add_i32 s27, s27, s31
	s_mul_hi_u32 s34, s26, s35
	s_mul_i32 s36, s26, s27
	s_mul_hi_u32 s31, s26, s27
	s_add_u32 s34, s34, s36
	s_addc_u32 s31, 0, s31
	s_mul_hi_u32 s37, s29, s35
	s_mul_i32 s35, s29, s35
	s_add_u32 s34, s34, s35
	s_mul_hi_u32 s36, s29, s27
	s_addc_u32 s31, s31, s37
	s_addc_u32 s34, s36, 0
	s_mul_i32 s27, s29, s27
	s_add_u32 s27, s31, s27
	s_addc_u32 s31, 0, s34
	s_add_u32 s34, s26, s27
	s_cselect_b64 s[26:27], -1, 0
	s_cmp_lg_u64 s[26:27], 0
	s_addc_u32 s29, s29, s31
	s_mul_i32 s26, s8, s29
	s_mul_hi_u32 s27, s8, s34
	s_add_i32 s26, s27, s26
	s_mul_i32 s28, s28, s34
	s_add_i32 s26, s26, s28
	s_mul_i32 s8, s8, s34
	s_mul_hi_u32 s28, s29, s8
	s_mul_i32 s31, s29, s8
	s_mul_i32 s36, s34, s26
	s_mul_hi_u32 s8, s34, s8
	s_mul_hi_u32 s35, s34, s26
	s_add_u32 s8, s8, s36
	s_addc_u32 s35, 0, s35
	s_add_u32 s8, s8, s31
	s_mul_hi_u32 s27, s29, s26
	s_addc_u32 s8, s35, s28
	s_addc_u32 s27, s27, 0
	s_mul_i32 s26, s29, s26
	s_add_u32 s8, s8, s26
	s_addc_u32 s28, 0, s27
	s_add_u32 s8, s34, s8
	s_cselect_b64 s[26:27], -1, 0
	s_cmp_lg_u64 s[26:27], 0
	s_addc_u32 s26, s29, s28
	s_mul_i32 s28, s30, s26
	s_mul_hi_u32 s29, s30, s8
	s_mul_hi_u32 s27, s30, s26
	s_add_u32 s28, s29, s28
	s_addc_u32 s27, 0, s27
	s_mul_hi_u32 s31, s9, s8
	s_mul_i32 s8, s9, s8
	s_add_u32 s8, s28, s8
	s_mul_hi_u32 s29, s9, s26
	s_addc_u32 s8, s27, s31
	s_addc_u32 s27, s29, 0
	s_mul_i32 s26, s9, s26
	s_add_u32 s8, s8, s26
	s_addc_u32 s26, 0, s27
	s_mul_i32 s26, s70, s26
	s_mul_hi_u32 s27, s70, s8
	s_add_i32 s28, s27, s26
	s_mul_i32 s8, s70, s8
	s_sub_u32 s8, s30, s8
	s_cselect_b64 s[26:27], -1, 0
	s_cmp_lg_u64 s[26:27], 0
	s_subb_u32 s28, s9, s28
	s_sub_u32 s29, s8, s70
	s_cselect_b64 s[26:27], -1, 0
	s_cmp_lg_u64 s[26:27], 0
	s_subb_u32 s31, s28, 0
	;; [unrolled: 4-line block ×3, first 2 shown]
	s_cmp_ge_u32 s29, s70
	s_cselect_b32 s27, -1, 0
	s_cmp_eq_u32 s31, 0
	s_cselect_b32 s27, s27, -1
	s_cmp_lg_u32 s27, 0
	s_cselect_b32 s26, s26, s31
	s_cselect_b32 s29, s34, s29
	s_cmp_ge_u32 s8, s70
	s_cselect_b32 s27, -1, 0
	s_cmp_eq_u32 s28, 0
	s_cselect_b32 s27, s27, -1
	s_cmp_lg_u32 s27, 0
	s_cselect_b32 s27, s26, s28
	s_cselect_b32 s26, s29, s8
	s_cbranch_execnz .LBB76_130
.LBB76_129:                             ;   in Loop: Header=BB76_9 Depth=1
	v_cvt_f32_u32_e32 v4, s70
	s_sub_i32 s8, 0, s70
	v_rcp_iflag_f32_e32 v4, v4
	s_nop 0
	v_mul_f32_e32 v4, 0x4f7ffffe, v4
	v_cvt_u32_f32_e32 v4, v4
	s_nop 0
	v_readfirstlane_b32 s26, v4
	s_mul_i32 s8, s8, s26
	s_mul_hi_u32 s8, s26, s8
	s_add_i32 s26, s26, s8
	s_mul_hi_u32 s8, s30, s26
	s_mul_i32 s8, s8, s70
	s_sub_i32 s8, s30, s8
	s_sub_i32 s26, s8, s70
	s_cmp_ge_u32 s8, s70
	s_cselect_b32 s8, s26, s8
	s_sub_i32 s26, s8, s70
	s_cmp_ge_u32 s8, s70
	s_cselect_b32 s74, s26, s8
	s_mov_b64 s[26:27], s[74:75]
.LBB76_130:                             ;   in Loop: Header=BB76_9 Depth=1
	s_sub_u32 s30, s30, s26
	s_subb_u32 s31, s9, s27
	v_cmp_gt_u64_e32 vcc, s[30:31], v[0:1]
	s_mov_b64 s[26:27], 0
	s_mov_b64 s[8:9], 0
                                        ; implicit-def: $vgpr42
	s_and_saveexec_b64 s[28:29], vcc
	s_cbranch_execz .LBB76_144
; %bb.131:                              ;   in Loop: Header=BB76_9 Depth=1
	v_mov_b32_e32 v10, v0
	v_mov_b64_e32 v[4:5], v[0:1]
                                        ; implicit-def: $sgpr34_sgpr35
	s_branch .LBB76_134
.LBB76_132:                             ;   in Loop: Header=BB76_134 Depth=2
	s_or_b64 exec, exec, s[36:37]
	s_waitcnt lgkmcnt(0)
	s_barrier
	ds_read_u16 v11, v3 offset:3072
	s_mov_b64 s[36:37], -1
	s_waitcnt lgkmcnt(0)
	s_barrier
	v_cmp_ne_u32_sdwa s[38:39], v11, v3 src0_sel:BYTE_0 src1_sel:DWORD
	s_and_b64 vcc, exec, s[38:39]
	s_mov_b64 s[38:39], -1
	s_cbranch_vccz .LBB76_137
.LBB76_133:                             ;   in Loop: Header=BB76_134 Depth=2
	s_and_b64 s[36:37], exec, s[36:37]
	s_or_b64 s[8:9], s[36:37], s[8:9]
	s_andn2_b64 s[34:35], s[34:35], exec
	s_and_b64 s[36:37], s[38:39], exec
	s_or_b64 s[34:35], s[34:35], s[36:37]
	s_andn2_b64 exec, exec, s[8:9]
	s_cbranch_execz .LBB76_143
.LBB76_134:                             ;   Parent Loop BB76_9 Depth=1
                                        ; =>  This Inner Loop Header: Depth=2
	v_cmp_gt_u64_e32 vcc, s[10:11], v[4:5]
	s_and_saveexec_b64 s[36:37], vcc
	s_cbranch_execz .LBB76_132
; %bb.135:                              ;   in Loop: Header=BB76_134 Depth=2
	ds_read_u8 v11, v10
	s_waitcnt lgkmcnt(0)
	v_bitop3_b32 v30, v11, s85, v41 bitop3:0x80
	v_cmp_eq_u32_e32 vcc, v30, v38
	s_and_b64 exec, exec, vcc
	s_cbranch_execz .LBB76_132
; %bb.136:                              ;   in Loop: Header=BB76_134 Depth=2
	v_lshlrev_b16_e32 v11, 8, v11
	v_or_b32_e32 v11, 1, v11
	ds_write_b16 v3, v11 offset:3072
	s_branch .LBB76_132
.LBB76_137:                             ;   in Loop: Header=BB76_134 Depth=2
	v_lshl_add_u64 v[4:5], v[4:5], 0, s[70:71]
	v_cmp_le_u64_e32 vcc, s[30:31], v[4:5]
	v_add_u32_e32 v10, s70, v10
	s_mov_b64 s[38:39], 0
	s_orn2_b64 s[36:37], vcc, exec
	s_branch .LBB76_133
.LBB76_138:                             ;   in Loop: Header=BB76_9 Depth=1
                                        ; implicit-def: $sgpr22_sgpr23
	s_branch .LBB76_86
.LBB76_139:                             ;   in Loop: Header=BB76_9 Depth=1
	s_or_b64 exec, exec, s[10:11]
	s_waitcnt lgkmcnt(0)
	s_barrier
	s_mov_b64 s[0:1], exec
	v_readlane_b32 s2, v63, 0
	v_readlane_b32 s3, v63, 1
	s_and_b64 s[2:3], s[0:1], s[2:3]
	s_mov_b64 exec, s[2:3]
	s_cbranch_execz .LBB76_141
; %bb.140:                              ;   in Loop: Header=BB76_9 Depth=1
	ds_read_b32 v4, v3 offset:5144
	s_waitcnt lgkmcnt(0)
	v_ashrrev_i32_e32 v5, 31, v4
	ds_write_b64 v3, v[4:5] offset:5120
.LBB76_141:                             ;   in Loop: Header=BB76_9 Depth=1
	s_or_b64 exec, exec, s[0:1]
	s_waitcnt lgkmcnt(0)
	s_barrier
	s_mov_b64 s[0:1], -1
	s_and_b64 vcc, exec, s[8:9]
	s_cbranch_vccnz .LBB76_24
	s_branch .LBB76_39
.LBB76_142:                             ;   in Loop: Header=BB76_9 Depth=1
                                        ; implicit-def: $sgpr8_sgpr9
	s_branch .LBB76_100
.LBB76_143:                             ;   in Loop: Header=BB76_9 Depth=1
	s_or_b64 exec, exec, s[8:9]
	v_lshrrev_b32_sdwa v42, v40, v11 dst_sel:DWORD dst_unused:UNUSED_PAD src0_sel:DWORD src1_sel:WORD_0
	s_and_b64 s[8:9], s[34:35], exec
.LBB76_144:                             ;   in Loop: Header=BB76_9 Depth=1
	s_or_b64 exec, exec, s[28:29]
.LBB76_145:                             ;   in Loop: Header=BB76_9 Depth=1
	s_and_b64 vcc, exec, s[26:27]
	s_cbranch_vccz .LBB76_159
; %bb.146:                              ;   in Loop: Header=BB76_9 Depth=1
	s_mov_b32 s82, s75
	s_cmp_lg_u64 s[82:83], 0
	s_cbranch_scc0 .LBB76_188
; %bb.147:                              ;   in Loop: Header=BB76_9 Depth=1
	v_cvt_f32_u32_e32 v4, s70
	s_sub_u32 s10, 0, s70
	s_subb_u32 s11, 0, 0
	v_fmac_f32_e32 v4, 0, v39
	v_rcp_f32_e32 v4, v4
	s_nop 0
	v_mul_f32_e32 v4, 0x5f7ffffc, v4
	v_mul_f32_e32 v5, 0x2f800000, v4
	v_trunc_f32_e32 v5, v5
	v_fmac_f32_e32 v4, 0xcf800000, v5
	v_cvt_u32_f32_e32 v5, v5
	v_cvt_u32_f32_e32 v4, v4
	v_readfirstlane_b32 s22, v5
	v_readfirstlane_b32 s0, v4
	s_mul_i32 s1, s10, s22
	s_mul_hi_u32 s26, s10, s0
	s_mul_i32 s23, s11, s0
	s_add_i32 s1, s26, s1
	s_mul_i32 s27, s10, s0
	s_add_i32 s1, s1, s23
	s_mul_hi_u32 s26, s0, s27
	s_mul_i32 s28, s0, s1
	s_mul_hi_u32 s23, s0, s1
	s_add_u32 s26, s26, s28
	s_addc_u32 s23, 0, s23
	s_mul_hi_u32 s29, s22, s27
	s_mul_i32 s27, s22, s27
	s_add_u32 s26, s26, s27
	s_mul_hi_u32 s28, s22, s1
	s_addc_u32 s23, s23, s29
	s_addc_u32 s26, s28, 0
	s_mul_i32 s1, s22, s1
	s_add_u32 s1, s23, s1
	s_addc_u32 s23, 0, s26
	s_add_u32 s26, s0, s1
	s_cselect_b64 s[0:1], -1, 0
	s_cmp_lg_u64 s[0:1], 0
	s_addc_u32 s22, s22, s23
	s_mul_i32 s0, s10, s22
	s_mul_hi_u32 s1, s10, s26
	s_add_i32 s0, s1, s0
	s_mul_i32 s11, s11, s26
	s_add_i32 s0, s0, s11
	s_mul_i32 s10, s10, s26
	s_mul_hi_u32 s11, s22, s10
	s_mul_i32 s23, s22, s10
	s_mul_i32 s28, s26, s0
	s_mul_hi_u32 s10, s26, s10
	s_mul_hi_u32 s27, s26, s0
	s_add_u32 s10, s10, s28
	s_addc_u32 s27, 0, s27
	s_add_u32 s10, s10, s23
	s_mul_hi_u32 s1, s22, s0
	s_addc_u32 s10, s27, s11
	s_addc_u32 s1, s1, 0
	s_mul_i32 s0, s22, s0
	s_add_u32 s0, s10, s0
	s_addc_u32 s10, 0, s1
	s_add_u32 s11, s26, s0
	s_cselect_b64 s[0:1], -1, 0
	s_cmp_lg_u64 s[0:1], 0
	s_addc_u32 s0, s22, s10
	v_readlane_b32 s26, v63, 21
	s_mul_i32 s10, s26, s0
	s_mul_hi_u32 s22, s26, s11
	s_mul_hi_u32 s1, s26, s0
	s_add_u32 s10, s22, s10
	s_addc_u32 s1, 0, s1
	s_mul_hi_u32 s23, s83, s11
	s_mul_i32 s11, s83, s11
	s_add_u32 s10, s10, s11
	s_mul_hi_u32 s22, s83, s0
	s_addc_u32 s1, s1, s23
	s_addc_u32 s10, s22, 0
	s_mul_i32 s0, s83, s0
	s_add_u32 s0, s1, s0
	s_addc_u32 s1, 0, s10
	s_mul_i32 s1, s70, s1
	s_mul_hi_u32 s10, s70, s0
	s_add_i32 s10, s10, s1
	s_mul_i32 s0, s70, s0
	s_sub_u32 s11, s26, s0
	s_cselect_b64 s[0:1], -1, 0
	s_cmp_lg_u64 s[0:1], 0
	s_subb_u32 s10, s83, s10
	s_sub_u32 s22, s11, s70
	s_cselect_b64 s[0:1], -1, 0
	s_cmp_lg_u64 s[0:1], 0
	s_subb_u32 s23, s10, 0
	;; [unrolled: 4-line block ×3, first 2 shown]
	s_cmp_ge_u32 s22, s70
	s_cselect_b32 s1, -1, 0
	s_cmp_eq_u32 s23, 0
	s_cselect_b32 s1, s1, -1
	s_cmp_lg_u32 s1, 0
	s_cselect_b32 s0, s0, s23
	s_cselect_b32 s22, s26, s22
	s_cmp_ge_u32 s11, s70
	s_cselect_b32 s1, -1, 0
	s_cmp_eq_u32 s10, 0
	s_cselect_b32 s1, s1, -1
	s_cmp_lg_u32 s1, 0
	s_cselect_b32 s1, s0, s10
	s_cselect_b32 s0, s22, s11
	s_cbranch_execnz .LBB76_149
.LBB76_148:                             ;   in Loop: Header=BB76_9 Depth=1
	v_cvt_f32_u32_e32 v4, s70
	s_sub_i32 s0, 0, s70
	v_readlane_b32 s10, v63, 21
	v_rcp_iflag_f32_e32 v4, v4
	s_nop 0
	v_mul_f32_e32 v4, 0x4f7ffffe, v4
	v_cvt_u32_f32_e32 v4, v4
	s_nop 0
	v_readfirstlane_b32 s1, v4
	s_mul_i32 s0, s0, s1
	s_mul_hi_u32 s0, s1, s0
	s_add_i32 s1, s1, s0
	s_mul_hi_u32 s0, s10, s1
	s_mul_i32 s0, s0, s70
	s_sub_i32 s0, s10, s0
	s_sub_i32 s1, s0, s70
	s_cmp_ge_u32 s0, s70
	s_cselect_b32 s0, s1, s0
	s_sub_i32 s1, s0, s70
	s_cmp_ge_u32 s0, s70
	s_cselect_b32 s74, s1, s0
	s_mov_b64 s[0:1], s[74:75]
.LBB76_149:                             ;   in Loop: Header=BB76_9 Depth=1
	v_readlane_b32 s10, v63, 21
	s_sub_u32 s10, s10, s0
	s_subb_u32 s11, s83, s1
	v_cmp_gt_u64_e32 vcc, s[10:11], v[0:1]
                                        ; implicit-def: $vgpr42
	s_and_saveexec_b64 s[0:1], vcc
	s_cbranch_execz .LBB76_158
; %bb.150:                              ;   in Loop: Header=BB76_9 Depth=1
	s_mov_b64 s[22:23], 0
	v_mov_b64_e32 v[4:5], v[12:13]
	v_mov_b64_e32 v[10:11], v[0:1]
                                        ; implicit-def: $sgpr26_sgpr27
	s_branch .LBB76_153
.LBB76_151:                             ;   in Loop: Header=BB76_153 Depth=2
	s_or_b64 exec, exec, s[28:29]
	s_waitcnt lgkmcnt(0)
	s_barrier
	ds_read_u16 v30, v3 offset:3072
	s_mov_b64 s[28:29], -1
	s_waitcnt lgkmcnt(0)
	s_barrier
	v_cmp_eq_u32_sdwa s[30:31], v30, v3 src0_sel:BYTE_0 src1_sel:DWORD
	s_and_b64 vcc, exec, s[30:31]
	s_mov_b64 s[30:31], -1
	s_cbranch_vccnz .LBB76_156
.LBB76_152:                             ;   in Loop: Header=BB76_153 Depth=2
	s_and_b64 s[28:29], exec, s[28:29]
	s_or_b64 s[22:23], s[28:29], s[22:23]
	s_andn2_b64 s[26:27], s[26:27], exec
	s_and_b64 s[28:29], s[30:31], exec
	s_or_b64 s[26:27], s[26:27], s[28:29]
	s_andn2_b64 exec, exec, s[22:23]
	s_cbranch_execz .LBB76_157
.LBB76_153:                             ;   Parent Loop BB76_9 Depth=1
                                        ; =>  This Inner Loop Header: Depth=2
	v_cmp_gt_u64_e32 vcc, s[56:57], v[10:11]
	s_and_saveexec_b64 s[28:29], vcc
	s_cbranch_execz .LBB76_151
; %bb.154:                              ;   in Loop: Header=BB76_153 Depth=2
	global_load_ubyte v30, v[4:5], off
	s_waitcnt vmcnt(0)
	v_bitop3_b32 v31, v30, s85, v41 bitop3:0x80
	v_cmp_eq_u32_e32 vcc, v31, v38
	s_and_b64 exec, exec, vcc
	s_cbranch_execz .LBB76_151
; %bb.155:                              ;   in Loop: Header=BB76_153 Depth=2
	v_lshlrev_b16_e32 v30, 8, v30
	v_or_b32_e32 v30, 1, v30
	ds_write_b16 v3, v30 offset:3072
	s_branch .LBB76_151
.LBB76_156:                             ;   in Loop: Header=BB76_153 Depth=2
	v_lshl_add_u64 v[10:11], v[10:11], 0, s[70:71]
	v_cmp_le_u64_e32 vcc, s[10:11], v[10:11]
	v_lshl_add_u64 v[4:5], v[4:5], 0, s[78:79]
	s_mov_b64 s[30:31], 0
	s_orn2_b64 s[28:29], vcc, exec
	s_branch .LBB76_152
.LBB76_157:                             ;   in Loop: Header=BB76_9 Depth=1
	s_or_b64 exec, exec, s[22:23]
	s_andn2_b64 s[8:9], s[8:9], exec
	s_and_b64 s[10:11], s[26:27], exec
	v_lshrrev_b32_sdwa v42, v40, v30 dst_sel:DWORD dst_unused:UNUSED_PAD src0_sel:DWORD src1_sel:WORD_0
	s_or_b64 s[8:9], s[8:9], s[10:11]
.LBB76_158:                             ;   in Loop: Header=BB76_9 Depth=1
	s_or_b64 exec, exec, s[0:1]
	s_mov_b64 s[0:1], 0
	s_mov_b64 s[22:23], -1
.LBB76_159:                             ;   in Loop: Header=BB76_9 Depth=1
	s_orn2_b64 s[8:9], s[8:9], exec
.LBB76_160:                             ;   in Loop: Header=BB76_9 Depth=1
	s_or_b64 exec, exec, s[24:25]
	s_mov_b64 s[10:11], 0
	s_and_saveexec_b64 s[24:25], s[8:9]
	s_cbranch_execz .LBB76_266
; %bb.161:                              ;   in Loop: Header=BB76_9 Depth=1
	s_xor_b64 s[12:13], s[12:13], -1
	v_mov_b32_e32 v2, 1
	v_mov_b64_e32 v[4:5], 1
	s_and_saveexec_b64 s[8:9], s[12:13]
	s_cbranch_execz .LBB76_171
; %bb.162:                              ;   in Loop: Header=BB76_9 Depth=1
	v_cmp_le_u64_e32 vcc, v[8:9], v[6:7]
	s_and_saveexec_b64 s[10:11], vcc
	s_xor_b64 s[10:11], exec, s[10:11]
	s_cbranch_execz .LBB76_168
; %bb.163:                              ;   in Loop: Header=BB76_9 Depth=1
	ds_read_b64 v[4:5], v3 offset:5120
	v_and_b32_e32 v2, s48, v38
	v_lshl_or_b32 v38, 1, s84, v2
	v_or_b32_e32 v41, s54, v41
	s_waitcnt lgkmcnt(0)
	v_cmp_ne_u64_e32 vcc, 0, v[4:5]
	s_cbranch_vccnz .LBB76_167
; %bb.164:                              ;   in Loop: Header=BB76_9 Depth=1
	s_mov_b64 s[12:13], exec
	v_readlane_b32 s26, v63, 0
	v_readlane_b32 s27, v63, 1
	s_and_b64 s[26:27], s[12:13], s[26:27]
	s_mov_b64 exec, s[26:27]
; %bb.165:                              ;   in Loop: Header=BB76_9 Depth=1
	ds_write_b64 v3, v[6:7] offset:5128
; %bb.166:                              ;   in Loop: Header=BB76_9 Depth=1
	s_or_b64 exec, exec, s[12:13]
	s_waitcnt lgkmcnt(0)
	s_barrier
.LBB76_167:                             ;   in Loop: Header=BB76_9 Depth=1
                                        ; implicit-def: $vgpr4_vgpr5_vgpr6_vgpr7
.LBB76_168:                             ;   in Loop: Header=BB76_9 Depth=1
	s_or_saveexec_b64 s[10:11], s[10:11]
	s_mov_b64 s[12:13], 0
	v_mov_b32_e32 v2, 8
	s_xor_b64 exec, exec, s[10:11]
; %bb.169:                              ;   in Loop: Header=BB76_9 Depth=1
	v_sub_co_u32_e32 v8, vcc, v8, v6
	s_mov_b64 s[12:13], exec
	s_nop 0
	v_subb_co_u32_e32 v9, vcc, v9, v7, vcc
	v_mov_b32_e32 v2, 0
; %bb.170:                              ;   in Loop: Header=BB76_9 Depth=1
	s_or_b64 exec, exec, s[10:11]
	s_and_b64 s[10:11], s[12:13], exec
	v_mov_b64_e32 v[4:5], v[8:9]
.LBB76_171:                             ;   in Loop: Header=BB76_9 Depth=1
	s_or_b64 exec, exec, s[8:9]
	s_mov_b64 s[8:9], -1
                                        ; implicit-def: $sgpr28_sgpr29
                                        ; implicit-def: $sgpr36_sgpr37
	s_and_saveexec_b64 s[26:27], s[10:11]
	s_cbranch_execz .LBB76_265
; %bb.172:                              ;   in Loop: Header=BB76_9 Depth=1
	s_cmp_eq_u64 s[20:21], 1
	s_cselect_b64 s[8:9], -1, 0
	v_cmp_eq_u64_e32 vcc, 1, v[4:5]
	s_and_b64 s[12:13], s[8:9], vcc
	s_mov_b64 s[8:9], -1
                                        ; implicit-def: $sgpr36_sgpr37
                                        ; implicit-def: $sgpr28_sgpr29
	s_and_saveexec_b64 s[38:39], s[12:13]
	s_cbranch_execz .LBB76_206
; %bb.173:                              ;   in Loop: Header=BB76_9 Depth=1
	ds_read_b64 v[6:7], v3 offset:5120
	s_waitcnt lgkmcnt(0)
	s_barrier
	v_readfirstlane_b32 s10, v6
	v_readfirstlane_b32 s11, v7
	s_mov_b64 s[8:9], exec
	v_readlane_b32 s28, v63, 14
	v_readlane_b32 s29, v63, 15
	s_and_b64 s[28:29], s[8:9], s[28:29]
	s_mov_b64 exec, s[28:29]
; %bb.174:                              ;   in Loop: Header=BB76_9 Depth=1
	ds_write_b8 v0, v3 offset:3072
; %bb.175:                              ;   in Loop: Header=BB76_9 Depth=1
	s_or_b64 exec, exec, s[8:9]
	v_and_b32_e32 v6, s48, v38
	v_lshl_or_b32 v38, 2, s84, v6
	v_or_b32_e32 v41, s54, v41
	s_mov_b64 s[28:29], -1
	s_mov_b64 s[36:37], 0
	s_cmp_eq_u64 s[10:11], 0
	s_mov_b64 s[8:9], 0
	s_mov_b64 s[30:31], -1
	s_waitcnt lgkmcnt(0)
	s_barrier
                                        ; implicit-def: $vgpr42
	s_cbranch_scc1 .LBB76_191
; %bb.176:                              ;   in Loop: Header=BB76_9 Depth=1
	v_readlane_b32 s8, v63, 20
	s_add_u32 s40, s10, s8
	v_readlane_b32 s8, v63, 22
	s_addc_u32 s9, s11, s8
	s_mov_b32 s8, s75
	s_cmp_lg_u64 s[8:9], 0
	s_cbranch_scc0 .LBB76_232
; %bb.177:                              ;   in Loop: Header=BB76_9 Depth=1
	v_cvt_f32_u32_e32 v6, s70
	s_sub_u32 s8, 0, s70
	s_subb_u32 s34, 0, 0
	v_fmac_f32_e32 v6, 0, v39
	v_rcp_f32_e32 v6, v6
	s_nop 0
	v_mul_f32_e32 v6, 0x5f7ffffc, v6
	v_mul_f32_e32 v7, 0x2f800000, v6
	v_trunc_f32_e32 v7, v7
	v_fmac_f32_e32 v6, 0xcf800000, v7
	v_cvt_u32_f32_e32 v7, v7
	v_cvt_u32_f32_e32 v6, v6
	v_readfirstlane_b32 s35, v7
	v_readfirstlane_b32 s30, v6
	s_mul_i32 s31, s8, s35
	s_mul_hi_u32 s42, s8, s30
	s_mul_i32 s41, s34, s30
	s_add_i32 s31, s42, s31
	s_mul_i32 s43, s8, s30
	s_add_i32 s31, s31, s41
	s_mul_hi_u32 s42, s30, s43
	s_mul_i32 s44, s30, s31
	s_mul_hi_u32 s41, s30, s31
	s_add_u32 s42, s42, s44
	s_addc_u32 s41, 0, s41
	s_mul_hi_u32 s45, s35, s43
	s_mul_i32 s43, s35, s43
	s_add_u32 s42, s42, s43
	s_mul_hi_u32 s44, s35, s31
	s_addc_u32 s41, s41, s45
	s_addc_u32 s42, s44, 0
	s_mul_i32 s31, s35, s31
	s_add_u32 s31, s41, s31
	s_addc_u32 s41, 0, s42
	s_add_u32 s42, s30, s31
	s_cselect_b64 s[30:31], -1, 0
	s_cmp_lg_u64 s[30:31], 0
	s_addc_u32 s35, s35, s41
	s_mul_i32 s30, s8, s35
	s_mul_hi_u32 s31, s8, s42
	s_add_i32 s30, s31, s30
	s_mul_i32 s34, s34, s42
	s_add_i32 s30, s30, s34
	s_mul_i32 s8, s8, s42
	s_mul_hi_u32 s34, s35, s8
	s_mul_i32 s41, s35, s8
	s_mul_i32 s44, s42, s30
	s_mul_hi_u32 s8, s42, s8
	s_mul_hi_u32 s43, s42, s30
	s_add_u32 s8, s8, s44
	s_addc_u32 s43, 0, s43
	s_add_u32 s8, s8, s41
	s_mul_hi_u32 s31, s35, s30
	s_addc_u32 s8, s43, s34
	s_addc_u32 s31, s31, 0
	s_mul_i32 s30, s35, s30
	s_add_u32 s8, s8, s30
	s_addc_u32 s34, 0, s31
	s_add_u32 s8, s42, s8
	s_cselect_b64 s[30:31], -1, 0
	s_cmp_lg_u64 s[30:31], 0
	s_addc_u32 s30, s35, s34
	s_mul_i32 s34, s40, s30
	s_mul_hi_u32 s35, s40, s8
	s_mul_hi_u32 s31, s40, s30
	s_add_u32 s34, s35, s34
	s_addc_u32 s31, 0, s31
	s_mul_hi_u32 s41, s9, s8
	s_mul_i32 s8, s9, s8
	s_add_u32 s8, s34, s8
	s_mul_hi_u32 s35, s9, s30
	s_addc_u32 s8, s31, s41
	s_addc_u32 s31, s35, 0
	s_mul_i32 s30, s9, s30
	s_add_u32 s8, s8, s30
	s_addc_u32 s30, 0, s31
	s_mul_i32 s30, s70, s30
	s_mul_hi_u32 s31, s70, s8
	s_add_i32 s34, s31, s30
	s_mul_i32 s8, s70, s8
	s_sub_u32 s8, s40, s8
	s_cselect_b64 s[30:31], -1, 0
	s_cmp_lg_u64 s[30:31], 0
	s_subb_u32 s34, s9, s34
	s_sub_u32 s35, s8, s70
	s_cselect_b64 s[30:31], -1, 0
	s_cmp_lg_u64 s[30:31], 0
	s_subb_u32 s41, s34, 0
	;; [unrolled: 4-line block ×3, first 2 shown]
	s_cmp_ge_u32 s35, s70
	s_cselect_b32 s31, -1, 0
	s_cmp_eq_u32 s41, 0
	s_cselect_b32 s31, s31, -1
	s_cmp_lg_u32 s31, 0
	s_cselect_b32 s30, s30, s41
	s_cselect_b32 s35, s42, s35
	s_cmp_ge_u32 s8, s70
	s_cselect_b32 s31, -1, 0
	s_cmp_eq_u32 s34, 0
	s_cselect_b32 s31, s31, -1
	s_cmp_lg_u32 s31, 0
	s_cselect_b32 s31, s30, s34
	s_cselect_b32 s30, s35, s8
	s_cbranch_execnz .LBB76_179
.LBB76_178:                             ;   in Loop: Header=BB76_9 Depth=1
	v_cvt_f32_u32_e32 v6, s70
	s_sub_i32 s8, 0, s70
	v_rcp_iflag_f32_e32 v6, v6
	s_nop 0
	v_mul_f32_e32 v6, 0x4f7ffffe, v6
	v_cvt_u32_f32_e32 v6, v6
	s_nop 0
	v_readfirstlane_b32 s30, v6
	s_mul_i32 s8, s8, s30
	s_mul_hi_u32 s8, s30, s8
	s_add_i32 s30, s30, s8
	s_mul_hi_u32 s8, s40, s30
	s_mul_i32 s8, s8, s70
	s_sub_i32 s8, s40, s8
	s_sub_i32 s30, s8, s70
	s_cmp_ge_u32 s8, s70
	s_cselect_b32 s8, s30, s8
	s_sub_i32 s30, s8, s70
	s_cmp_ge_u32 s8, s70
	s_cselect_b32 s74, s30, s8
	s_mov_b64 s[30:31], s[74:75]
.LBB76_179:                             ;   in Loop: Header=BB76_9 Depth=1
	s_sub_u32 s40, s40, s30
	s_subb_u32 s41, s9, s31
	v_cmp_gt_u64_e32 vcc, s[40:41], v[0:1]
	s_mov_b64 s[30:31], 0
	s_mov_b64 s[8:9], 0
                                        ; implicit-def: $vgpr42
	s_and_saveexec_b64 s[34:35], vcc
	s_cbranch_execz .LBB76_190
; %bb.180:                              ;   in Loop: Header=BB76_9 Depth=1
	v_mov_b32_e32 v8, v0
	v_mov_b64_e32 v[6:7], v[0:1]
                                        ; implicit-def: $sgpr42_sgpr43
	s_branch .LBB76_183
.LBB76_181:                             ;   in Loop: Header=BB76_183 Depth=2
	s_or_b64 exec, exec, s[44:45]
	s_waitcnt lgkmcnt(0)
	s_barrier
	ds_read_u16 v9, v3 offset:3072
	s_mov_b64 s[44:45], -1
	s_waitcnt lgkmcnt(0)
	s_barrier
	v_cmp_ne_u32_sdwa s[46:47], v9, v3 src0_sel:BYTE_0 src1_sel:DWORD
	s_and_b64 vcc, exec, s[46:47]
	s_mov_b64 s[46:47], -1
	s_cbranch_vccz .LBB76_186
.LBB76_182:                             ;   in Loop: Header=BB76_183 Depth=2
	s_and_b64 s[44:45], exec, s[44:45]
	s_or_b64 s[8:9], s[44:45], s[8:9]
	s_andn2_b64 s[42:43], s[42:43], exec
	s_and_b64 s[44:45], s[46:47], exec
	s_or_b64 s[42:43], s[42:43], s[44:45]
	s_andn2_b64 exec, exec, s[8:9]
	s_cbranch_execz .LBB76_189
.LBB76_183:                             ;   Parent Loop BB76_9 Depth=1
                                        ; =>  This Inner Loop Header: Depth=2
	v_cmp_gt_u64_e32 vcc, s[10:11], v[6:7]
	s_and_saveexec_b64 s[44:45], vcc
	s_cbranch_execz .LBB76_181
; %bb.184:                              ;   in Loop: Header=BB76_183 Depth=2
	ds_read_u8 v9, v8
	s_waitcnt lgkmcnt(0)
	v_bitop3_b32 v10, v9, s85, v41 bitop3:0x80
	v_cmp_eq_u32_e32 vcc, v10, v38
	s_and_b64 exec, exec, vcc
	s_cbranch_execz .LBB76_181
; %bb.185:                              ;   in Loop: Header=BB76_183 Depth=2
	v_lshlrev_b16_e32 v9, 8, v9
	v_or_b32_e32 v9, 1, v9
	ds_write_b16 v3, v9 offset:3072
	s_branch .LBB76_181
.LBB76_186:                             ;   in Loop: Header=BB76_183 Depth=2
	v_lshl_add_u64 v[6:7], v[6:7], 0, s[70:71]
	v_cmp_le_u64_e32 vcc, s[40:41], v[6:7]
	v_add_u32_e32 v8, s70, v8
	s_mov_b64 s[46:47], 0
	s_orn2_b64 s[44:45], vcc, exec
	s_branch .LBB76_182
.LBB76_187:                             ;   in Loop: Header=BB76_9 Depth=1
                                        ; implicit-def: $sgpr26_sgpr27
	s_branch .LBB76_129
.LBB76_188:                             ;   in Loop: Header=BB76_9 Depth=1
                                        ; implicit-def: $sgpr0_sgpr1
	s_branch .LBB76_148
.LBB76_189:                             ;   in Loop: Header=BB76_9 Depth=1
	s_or_b64 exec, exec, s[8:9]
	v_lshrrev_b32_sdwa v42, v40, v9 dst_sel:DWORD dst_unused:UNUSED_PAD src0_sel:DWORD src1_sel:WORD_0
	s_and_b64 s[8:9], s[42:43], exec
.LBB76_190:                             ;   in Loop: Header=BB76_9 Depth=1
	s_or_b64 exec, exec, s[34:35]
.LBB76_191:                             ;   in Loop: Header=BB76_9 Depth=1
	s_and_b64 vcc, exec, s[30:31]
	s_cbranch_vccz .LBB76_205
; %bb.192:                              ;   in Loop: Header=BB76_9 Depth=1
	s_mov_b32 s82, s75
	s_cmp_lg_u64 s[82:83], 0
	s_cbranch_scc0 .LBB76_233
; %bb.193:                              ;   in Loop: Header=BB76_9 Depth=1
	v_cvt_f32_u32_e32 v6, s70
	s_sub_u32 s28, 0, s70
	s_subb_u32 s29, 0, 0
	v_fmac_f32_e32 v6, 0, v39
	v_rcp_f32_e32 v6, v6
	s_nop 0
	v_mul_f32_e32 v6, 0x5f7ffffc, v6
	v_mul_f32_e32 v7, 0x2f800000, v6
	v_trunc_f32_e32 v7, v7
	v_fmac_f32_e32 v6, 0xcf800000, v7
	v_cvt_u32_f32_e32 v7, v7
	v_cvt_u32_f32_e32 v6, v6
	v_readfirstlane_b32 s30, v7
	v_readfirstlane_b32 s10, v6
	s_mul_i32 s11, s28, s30
	s_mul_hi_u32 s34, s28, s10
	s_mul_i32 s31, s29, s10
	s_add_i32 s11, s34, s11
	s_mul_i32 s35, s28, s10
	s_add_i32 s11, s11, s31
	s_mul_hi_u32 s34, s10, s35
	s_mul_i32 s36, s10, s11
	s_mul_hi_u32 s31, s10, s11
	s_add_u32 s34, s34, s36
	s_addc_u32 s31, 0, s31
	s_mul_hi_u32 s37, s30, s35
	s_mul_i32 s35, s30, s35
	s_add_u32 s34, s34, s35
	s_mul_hi_u32 s36, s30, s11
	s_addc_u32 s31, s31, s37
	s_addc_u32 s34, s36, 0
	s_mul_i32 s11, s30, s11
	s_add_u32 s11, s31, s11
	s_addc_u32 s31, 0, s34
	s_add_u32 s34, s10, s11
	s_cselect_b64 s[10:11], -1, 0
	s_cmp_lg_u64 s[10:11], 0
	s_addc_u32 s30, s30, s31
	s_mul_i32 s10, s28, s30
	s_mul_hi_u32 s11, s28, s34
	s_add_i32 s10, s11, s10
	s_mul_i32 s29, s29, s34
	s_add_i32 s10, s10, s29
	s_mul_i32 s28, s28, s34
	s_mul_hi_u32 s29, s30, s28
	s_mul_i32 s31, s30, s28
	s_mul_i32 s36, s34, s10
	s_mul_hi_u32 s28, s34, s28
	s_mul_hi_u32 s35, s34, s10
	s_add_u32 s28, s28, s36
	s_addc_u32 s35, 0, s35
	s_add_u32 s28, s28, s31
	s_mul_hi_u32 s11, s30, s10
	s_addc_u32 s28, s35, s29
	s_addc_u32 s11, s11, 0
	s_mul_i32 s10, s30, s10
	s_add_u32 s10, s28, s10
	s_addc_u32 s28, 0, s11
	s_add_u32 s29, s34, s10
	s_cselect_b64 s[10:11], -1, 0
	s_cmp_lg_u64 s[10:11], 0
	s_addc_u32 s10, s30, s28
	v_readlane_b32 s34, v63, 21
	s_mul_i32 s28, s34, s10
	s_mul_hi_u32 s30, s34, s29
	s_mul_hi_u32 s11, s34, s10
	s_add_u32 s28, s30, s28
	s_addc_u32 s11, 0, s11
	s_mul_hi_u32 s31, s83, s29
	s_mul_i32 s29, s83, s29
	s_add_u32 s28, s28, s29
	s_mul_hi_u32 s30, s83, s10
	s_addc_u32 s11, s11, s31
	s_addc_u32 s28, s30, 0
	s_mul_i32 s10, s83, s10
	s_add_u32 s10, s11, s10
	s_addc_u32 s11, 0, s28
	s_mul_i32 s11, s70, s11
	s_mul_hi_u32 s28, s70, s10
	s_add_i32 s28, s28, s11
	s_mul_i32 s10, s70, s10
	s_sub_u32 s29, s34, s10
	s_cselect_b64 s[10:11], -1, 0
	s_cmp_lg_u64 s[10:11], 0
	s_subb_u32 s28, s83, s28
	s_sub_u32 s30, s29, s70
	s_cselect_b64 s[10:11], -1, 0
	s_cmp_lg_u64 s[10:11], 0
	s_subb_u32 s31, s28, 0
	;; [unrolled: 4-line block ×3, first 2 shown]
	s_cmp_ge_u32 s30, s70
	s_cselect_b32 s11, -1, 0
	s_cmp_eq_u32 s31, 0
	s_cselect_b32 s11, s11, -1
	s_cmp_lg_u32 s11, 0
	s_cselect_b32 s10, s10, s31
	s_cselect_b32 s30, s34, s30
	s_cmp_ge_u32 s29, s70
	s_cselect_b32 s11, -1, 0
	s_cmp_eq_u32 s28, 0
	s_cselect_b32 s11, s11, -1
	s_cmp_lg_u32 s11, 0
	s_cselect_b32 s11, s10, s28
	s_cselect_b32 s10, s30, s29
	s_cbranch_execnz .LBB76_195
.LBB76_194:                             ;   in Loop: Header=BB76_9 Depth=1
	v_cvt_f32_u32_e32 v6, s70
	s_sub_i32 s10, 0, s70
	v_readlane_b32 s28, v63, 21
	v_rcp_iflag_f32_e32 v6, v6
	s_nop 0
	v_mul_f32_e32 v6, 0x4f7ffffe, v6
	v_cvt_u32_f32_e32 v6, v6
	s_nop 0
	v_readfirstlane_b32 s11, v6
	s_mul_i32 s10, s10, s11
	s_mul_hi_u32 s10, s11, s10
	s_add_i32 s11, s11, s10
	s_mul_hi_u32 s10, s28, s11
	s_mul_i32 s10, s10, s70
	s_sub_i32 s10, s28, s10
	s_sub_i32 s11, s10, s70
	s_cmp_ge_u32 s10, s70
	s_cselect_b32 s10, s11, s10
	s_sub_i32 s11, s10, s70
	s_cmp_ge_u32 s10, s70
	s_cselect_b32 s74, s11, s10
	s_mov_b64 s[10:11], s[74:75]
.LBB76_195:                             ;   in Loop: Header=BB76_9 Depth=1
	v_readlane_b32 s28, v63, 21
	s_sub_u32 s28, s28, s10
	s_subb_u32 s29, s83, s11
	v_cmp_gt_u64_e32 vcc, s[28:29], v[0:1]
                                        ; implicit-def: $vgpr42
	s_and_saveexec_b64 s[10:11], vcc
	s_cbranch_execz .LBB76_204
; %bb.196:                              ;   in Loop: Header=BB76_9 Depth=1
	s_mov_b64 s[30:31], 0
	v_mov_b64_e32 v[6:7], v[12:13]
	v_mov_b64_e32 v[8:9], v[0:1]
                                        ; implicit-def: $sgpr34_sgpr35
	s_branch .LBB76_199
.LBB76_197:                             ;   in Loop: Header=BB76_199 Depth=2
	s_or_b64 exec, exec, s[36:37]
	s_waitcnt lgkmcnt(0)
	s_barrier
	ds_read_u16 v10, v3 offset:3072
	s_mov_b64 s[36:37], -1
	s_waitcnt lgkmcnt(0)
	s_barrier
	v_cmp_eq_u32_sdwa s[40:41], v10, v3 src0_sel:BYTE_0 src1_sel:DWORD
	s_and_b64 vcc, exec, s[40:41]
	s_mov_b64 s[40:41], -1
	s_cbranch_vccnz .LBB76_202
.LBB76_198:                             ;   in Loop: Header=BB76_199 Depth=2
	s_and_b64 s[36:37], exec, s[36:37]
	s_or_b64 s[30:31], s[36:37], s[30:31]
	s_andn2_b64 s[34:35], s[34:35], exec
	s_and_b64 s[36:37], s[40:41], exec
	s_or_b64 s[34:35], s[34:35], s[36:37]
	s_andn2_b64 exec, exec, s[30:31]
	s_cbranch_execz .LBB76_203
.LBB76_199:                             ;   Parent Loop BB76_9 Depth=1
                                        ; =>  This Inner Loop Header: Depth=2
	v_cmp_gt_u64_e32 vcc, s[56:57], v[8:9]
	s_and_saveexec_b64 s[36:37], vcc
	s_cbranch_execz .LBB76_197
; %bb.200:                              ;   in Loop: Header=BB76_199 Depth=2
	global_load_ubyte v10, v[6:7], off
	s_waitcnt vmcnt(0)
	v_bitop3_b32 v11, v10, s85, v41 bitop3:0x80
	v_cmp_eq_u32_e32 vcc, v11, v38
	s_and_b64 exec, exec, vcc
	s_cbranch_execz .LBB76_197
; %bb.201:                              ;   in Loop: Header=BB76_199 Depth=2
	v_lshlrev_b16_e32 v10, 8, v10
	v_or_b32_e32 v10, 1, v10
	ds_write_b16 v3, v10 offset:3072
	s_branch .LBB76_197
.LBB76_202:                             ;   in Loop: Header=BB76_199 Depth=2
	v_lshl_add_u64 v[8:9], v[8:9], 0, s[70:71]
	v_cmp_le_u64_e32 vcc, s[28:29], v[8:9]
	v_lshl_add_u64 v[6:7], v[6:7], 0, s[78:79]
	s_mov_b64 s[40:41], 0
	s_orn2_b64 s[36:37], vcc, exec
	s_branch .LBB76_198
.LBB76_203:                             ;   in Loop: Header=BB76_9 Depth=1
	s_or_b64 exec, exec, s[30:31]
	s_andn2_b64 s[8:9], s[8:9], exec
	s_and_b64 s[28:29], s[34:35], exec
	v_lshrrev_b32_sdwa v42, v40, v10 dst_sel:DWORD dst_unused:UNUSED_PAD src0_sel:DWORD src1_sel:WORD_0
	s_or_b64 s[8:9], s[8:9], s[28:29]
.LBB76_204:                             ;   in Loop: Header=BB76_9 Depth=1
	s_or_b64 exec, exec, s[10:11]
	s_mov_b64 s[28:29], 0
	s_mov_b64 s[36:37], -1
.LBB76_205:                             ;   in Loop: Header=BB76_9 Depth=1
	s_orn2_b64 s[8:9], s[8:9], exec
.LBB76_206:                             ;   in Loop: Header=BB76_9 Depth=1
	s_or_b64 exec, exec, s[38:39]
	s_mov_b64 s[10:11], 0
	s_and_saveexec_b64 s[38:39], s[8:9]
	s_cbranch_execz .LBB76_264
; %bb.207:                              ;   in Loop: Header=BB76_9 Depth=1
	s_xor_b64 s[10:11], s[12:13], -1
	v_mov_b32_e32 v2, 1
	s_mov_b64 s[30:31], 0
	v_mov_b64_e32 v[6:7], 1
	s_and_saveexec_b64 s[8:9], s[10:11]
	s_cbranch_execz .LBB76_216
; %bb.208:                              ;   in Loop: Header=BB76_9 Depth=1
	v_cmp_ge_u64_e32 vcc, s[20:21], v[4:5]
	s_and_saveexec_b64 s[10:11], vcc
	s_xor_b64 s[10:11], exec, s[10:11]
	s_cbranch_execz .LBB76_213
; %bb.209:                              ;   in Loop: Header=BB76_9 Depth=1
	ds_read_b64 v[6:7], v3 offset:5120
	v_and_b32_e32 v2, s48, v38
	v_lshl_or_b32 v38, 2, s84, v2
	v_or_b32_e32 v41, s54, v41
	s_waitcnt lgkmcnt(0)
	v_cmp_ne_u64_e32 vcc, 0, v[6:7]
	s_cbranch_vccnz .LBB76_213
; %bb.210:                              ;   in Loop: Header=BB76_9 Depth=1
	s_mov_b64 s[12:13], exec
	v_readlane_b32 s30, v63, 0
	v_readlane_b32 s31, v63, 1
	s_and_b64 s[30:31], s[12:13], s[30:31]
	s_mov_b64 exec, s[30:31]
; %bb.211:                              ;   in Loop: Header=BB76_9 Depth=1
	v_mov_b64_e32 v[6:7], s[20:21]
	ds_write_b64 v3, v[6:7] offset:5128
; %bb.212:                              ;   in Loop: Header=BB76_9 Depth=1
	s_or_b64 exec, exec, s[12:13]
	s_waitcnt lgkmcnt(0)
	s_barrier
.LBB76_213:                             ;   in Loop: Header=BB76_9 Depth=1
	s_or_saveexec_b64 s[10:11], s[10:11]
	s_mov_b64 s[12:13], 0
	v_mov_b32_e32 v2, 8
	s_xor_b64 exec, exec, s[10:11]
; %bb.214:                              ;   in Loop: Header=BB76_9 Depth=1
	v_mov_b32_e32 v2, s21
	v_subrev_co_u32_e32 v4, vcc, s20, v4
	s_mov_b64 s[12:13], exec
	s_nop 0
	v_subb_co_u32_e32 v5, vcc, v5, v2, vcc
	v_mov_b32_e32 v2, 0
; %bb.215:                              ;   in Loop: Header=BB76_9 Depth=1
	s_or_b64 exec, exec, s[10:11]
	s_and_b64 s[30:31], s[12:13], exec
	v_mov_b64_e32 v[6:7], v[4:5]
.LBB76_216:                             ;   in Loop: Header=BB76_9 Depth=1
	s_or_b64 exec, exec, s[8:9]
	s_mov_b64 s[8:9], -1
                                        ; implicit-def: $sgpr34_sgpr35
                                        ; implicit-def: $sgpr10_sgpr11
	s_and_saveexec_b64 s[12:13], s[30:31]
	s_cbranch_execz .LBB76_263
; %bb.217:                              ;   in Loop: Header=BB76_9 Depth=1
	s_cmp_eq_u64 s[2:3], 1
	s_cselect_b64 s[8:9], -1, 0
	v_cmp_eq_u64_e32 vcc, 1, v[6:7]
	s_and_b64 s[20:21], s[8:9], vcc
	s_mov_b64 s[30:31], -1
                                        ; implicit-def: $sgpr34_sgpr35
                                        ; implicit-def: $sgpr10_sgpr11
	s_and_saveexec_b64 s[40:41], s[20:21]
	s_cbranch_execz .LBB76_251
; %bb.218:                              ;   in Loop: Header=BB76_9 Depth=1
	ds_read_b64 v[4:5], v3 offset:5120
	s_waitcnt lgkmcnt(0)
	s_barrier
	v_readfirstlane_b32 s30, v4
	v_readfirstlane_b32 s31, v5
	s_mov_b64 s[8:9], exec
	v_readlane_b32 s10, v63, 14
	v_readlane_b32 s11, v63, 15
	s_and_b64 s[10:11], s[8:9], s[10:11]
	s_mov_b64 exec, s[10:11]
; %bb.219:                              ;   in Loop: Header=BB76_9 Depth=1
	ds_write_b8 v0, v3 offset:3072
; %bb.220:                              ;   in Loop: Header=BB76_9 Depth=1
	s_or_b64 exec, exec, s[8:9]
	v_or_b32_e32 v38, s54, v38
	v_or_b32_e32 v41, s54, v41
	s_mov_b64 s[10:11], -1
	s_mov_b64 s[34:35], 0
	s_cmp_eq_u64 s[30:31], 0
	s_mov_b64 s[8:9], 0
	s_mov_b64 s[42:43], -1
	s_waitcnt lgkmcnt(0)
	s_barrier
                                        ; implicit-def: $vgpr42
	s_cbranch_scc1 .LBB76_236
; %bb.221:                              ;   in Loop: Header=BB76_9 Depth=1
	v_readlane_b32 s8, v63, 20
	s_add_u32 s46, s30, s8
	v_readlane_b32 s8, v63, 22
	s_addc_u32 s9, s31, s8
	s_mov_b32 s8, s75
	s_cmp_lg_u64 s[8:9], 0
	s_cbranch_scc0 .LBB76_270
; %bb.222:                              ;   in Loop: Header=BB76_9 Depth=1
	v_cvt_f32_u32_e32 v4, s70
	s_sub_u32 s8, 0, s70
	s_subb_u32 s44, 0, 0
	v_fmac_f32_e32 v4, 0, v39
	v_rcp_f32_e32 v4, v4
	s_nop 0
	v_mul_f32_e32 v4, 0x5f7ffffc, v4
	v_mul_f32_e32 v5, 0x2f800000, v4
	v_trunc_f32_e32 v5, v5
	v_fmac_f32_e32 v4, 0xcf800000, v5
	v_cvt_u32_f32_e32 v5, v5
	v_cvt_u32_f32_e32 v4, v4
	v_readfirstlane_b32 s45, v5
	v_readfirstlane_b32 s42, v4
	s_mul_i32 s43, s8, s45
	s_mul_hi_u32 s48, s8, s42
	s_mul_i32 s47, s44, s42
	s_add_i32 s43, s48, s43
	s_mul_i32 s49, s8, s42
	s_add_i32 s43, s43, s47
	s_mul_hi_u32 s48, s42, s49
	s_mul_i32 s50, s42, s43
	s_mul_hi_u32 s47, s42, s43
	s_add_u32 s48, s48, s50
	s_addc_u32 s47, 0, s47
	s_mul_hi_u32 s51, s45, s49
	s_mul_i32 s49, s45, s49
	s_add_u32 s48, s48, s49
	s_mul_hi_u32 s50, s45, s43
	s_addc_u32 s47, s47, s51
	s_addc_u32 s48, s50, 0
	s_mul_i32 s43, s45, s43
	s_add_u32 s43, s47, s43
	s_addc_u32 s47, 0, s48
	s_add_u32 s48, s42, s43
	s_cselect_b64 s[42:43], -1, 0
	s_cmp_lg_u64 s[42:43], 0
	s_addc_u32 s45, s45, s47
	s_mul_i32 s42, s8, s45
	s_mul_hi_u32 s43, s8, s48
	s_add_i32 s42, s43, s42
	s_mul_i32 s44, s44, s48
	s_add_i32 s42, s42, s44
	s_mul_i32 s8, s8, s48
	s_mul_hi_u32 s44, s45, s8
	s_mul_i32 s47, s45, s8
	s_mul_i32 s50, s48, s42
	s_mul_hi_u32 s8, s48, s8
	s_mul_hi_u32 s49, s48, s42
	s_add_u32 s8, s8, s50
	s_addc_u32 s49, 0, s49
	s_add_u32 s8, s8, s47
	s_mul_hi_u32 s43, s45, s42
	s_addc_u32 s8, s49, s44
	s_addc_u32 s43, s43, 0
	s_mul_i32 s42, s45, s42
	s_add_u32 s8, s8, s42
	s_addc_u32 s44, 0, s43
	s_add_u32 s8, s48, s8
	s_cselect_b64 s[42:43], -1, 0
	s_cmp_lg_u64 s[42:43], 0
	s_addc_u32 s42, s45, s44
	s_mul_i32 s44, s46, s42
	s_mul_hi_u32 s45, s46, s8
	s_mul_hi_u32 s43, s46, s42
	s_add_u32 s44, s45, s44
	s_addc_u32 s43, 0, s43
	s_mul_hi_u32 s47, s9, s8
	s_mul_i32 s8, s9, s8
	s_add_u32 s8, s44, s8
	s_mul_hi_u32 s45, s9, s42
	s_addc_u32 s8, s43, s47
	s_addc_u32 s43, s45, 0
	s_mul_i32 s42, s9, s42
	s_add_u32 s8, s8, s42
	s_addc_u32 s42, 0, s43
	s_mul_i32 s42, s70, s42
	s_mul_hi_u32 s43, s70, s8
	s_add_i32 s44, s43, s42
	s_mul_i32 s8, s70, s8
	s_sub_u32 s8, s46, s8
	s_cselect_b64 s[42:43], -1, 0
	s_cmp_lg_u64 s[42:43], 0
	s_subb_u32 s44, s9, s44
	s_sub_u32 s45, s8, s70
	s_cselect_b64 s[42:43], -1, 0
	s_cmp_lg_u64 s[42:43], 0
	s_subb_u32 s47, s44, 0
	;; [unrolled: 4-line block ×3, first 2 shown]
	s_cmp_ge_u32 s45, s70
	s_cselect_b32 s43, -1, 0
	s_cmp_eq_u32 s47, 0
	s_cselect_b32 s43, s43, -1
	s_cmp_lg_u32 s43, 0
	s_cselect_b32 s42, s42, s47
	s_cselect_b32 s45, s48, s45
	s_cmp_ge_u32 s8, s70
	s_cselect_b32 s43, -1, 0
	s_cmp_eq_u32 s44, 0
	s_cselect_b32 s43, s43, -1
	s_cmp_lg_u32 s43, 0
	s_cselect_b32 s43, s42, s44
	s_cselect_b32 s42, s45, s8
	s_cbranch_execnz .LBB76_224
.LBB76_223:                             ;   in Loop: Header=BB76_9 Depth=1
	v_cvt_f32_u32_e32 v4, s70
	s_sub_i32 s8, 0, s70
	v_rcp_iflag_f32_e32 v4, v4
	s_nop 0
	v_mul_f32_e32 v4, 0x4f7ffffe, v4
	v_cvt_u32_f32_e32 v4, v4
	s_nop 0
	v_readfirstlane_b32 s42, v4
	s_mul_i32 s8, s8, s42
	s_mul_hi_u32 s8, s42, s8
	s_add_i32 s42, s42, s8
	s_mul_hi_u32 s8, s46, s42
	s_mul_i32 s8, s8, s70
	s_sub_i32 s8, s46, s8
	s_sub_i32 s42, s8, s70
	s_cmp_ge_u32 s8, s70
	s_cselect_b32 s8, s42, s8
	s_sub_i32 s42, s8, s70
	s_cmp_ge_u32 s8, s70
	s_cselect_b32 s74, s42, s8
	s_mov_b64 s[42:43], s[74:75]
.LBB76_224:                             ;   in Loop: Header=BB76_9 Depth=1
	s_sub_u32 s46, s46, s42
	s_subb_u32 s47, s9, s43
	v_cmp_gt_u64_e32 vcc, s[46:47], v[0:1]
	s_mov_b64 s[42:43], 0
	s_mov_b64 s[8:9], 0
                                        ; implicit-def: $vgpr42
	s_and_saveexec_b64 s[44:45], vcc
	s_cbranch_execz .LBB76_235
; %bb.225:                              ;   in Loop: Header=BB76_9 Depth=1
	v_mov_b32_e32 v8, v0
	v_mov_b64_e32 v[4:5], v[0:1]
                                        ; implicit-def: $sgpr48_sgpr49
	s_branch .LBB76_228
.LBB76_226:                             ;   in Loop: Header=BB76_228 Depth=2
	s_or_b64 exec, exec, s[50:51]
	s_waitcnt lgkmcnt(0)
	s_barrier
	ds_read_u16 v9, v3 offset:3072
	s_mov_b64 s[50:51], -1
	s_waitcnt lgkmcnt(0)
	s_barrier
	v_cmp_ne_u32_sdwa s[52:53], v9, v3 src0_sel:BYTE_0 src1_sel:DWORD
	s_and_b64 vcc, exec, s[52:53]
	s_mov_b64 s[52:53], -1
	s_cbranch_vccz .LBB76_231
.LBB76_227:                             ;   in Loop: Header=BB76_228 Depth=2
	s_and_b64 s[50:51], exec, s[50:51]
	s_or_b64 s[8:9], s[50:51], s[8:9]
	s_andn2_b64 s[48:49], s[48:49], exec
	s_and_b64 s[50:51], s[52:53], exec
	s_or_b64 s[48:49], s[48:49], s[50:51]
	s_andn2_b64 exec, exec, s[8:9]
	s_cbranch_execz .LBB76_234
.LBB76_228:                             ;   Parent Loop BB76_9 Depth=1
                                        ; =>  This Inner Loop Header: Depth=2
	v_cmp_gt_u64_e32 vcc, s[30:31], v[4:5]
	s_and_saveexec_b64 s[50:51], vcc
	s_cbranch_execz .LBB76_226
; %bb.229:                              ;   in Loop: Header=BB76_228 Depth=2
	ds_read_u8 v9, v8
	s_waitcnt lgkmcnt(0)
	v_bitop3_b32 v10, v9, s85, v41 bitop3:0x80
	v_cmp_eq_u32_e32 vcc, v10, v38
	s_and_b64 exec, exec, vcc
	s_cbranch_execz .LBB76_226
; %bb.230:                              ;   in Loop: Header=BB76_228 Depth=2
	v_lshlrev_b16_e32 v9, 8, v9
	v_or_b32_e32 v9, 1, v9
	ds_write_b16 v3, v9 offset:3072
	s_branch .LBB76_226
.LBB76_231:                             ;   in Loop: Header=BB76_228 Depth=2
	v_lshl_add_u64 v[4:5], v[4:5], 0, s[70:71]
	v_cmp_le_u64_e32 vcc, s[46:47], v[4:5]
	v_add_u32_e32 v8, s70, v8
	s_mov_b64 s[52:53], 0
	s_orn2_b64 s[50:51], vcc, exec
	s_branch .LBB76_227
.LBB76_232:                             ;   in Loop: Header=BB76_9 Depth=1
                                        ; implicit-def: $sgpr30_sgpr31
	s_branch .LBB76_178
.LBB76_233:                             ;   in Loop: Header=BB76_9 Depth=1
                                        ; implicit-def: $sgpr10_sgpr11
	s_branch .LBB76_194
.LBB76_234:                             ;   in Loop: Header=BB76_9 Depth=1
	s_or_b64 exec, exec, s[8:9]
	v_lshrrev_b32_sdwa v42, v40, v9 dst_sel:DWORD dst_unused:UNUSED_PAD src0_sel:DWORD src1_sel:WORD_0
	s_and_b64 s[8:9], s[48:49], exec
	s_mov_b32 s52, 0xc0c0004
.LBB76_235:                             ;   in Loop: Header=BB76_9 Depth=1
	s_or_b64 exec, exec, s[44:45]
.LBB76_236:                             ;   in Loop: Header=BB76_9 Depth=1
	s_and_b64 vcc, exec, s[42:43]
	s_cbranch_vccz .LBB76_250
; %bb.237:                              ;   in Loop: Header=BB76_9 Depth=1
	s_mov_b32 s82, s75
	s_cmp_lg_u64 s[82:83], 0
	s_cbranch_scc0 .LBB76_271
; %bb.238:                              ;   in Loop: Header=BB76_9 Depth=1
	v_cvt_f32_u32_e32 v4, s70
	s_sub_u32 s30, 0, s70
	s_subb_u32 s31, 0, 0
	v_fmac_f32_e32 v4, 0, v39
	v_rcp_f32_e32 v4, v4
	s_nop 0
	v_mul_f32_e32 v4, 0x5f7ffffc, v4
	v_mul_f32_e32 v5, 0x2f800000, v4
	v_trunc_f32_e32 v5, v5
	v_fmac_f32_e32 v4, 0xcf800000, v5
	v_cvt_u32_f32_e32 v5, v5
	v_cvt_u32_f32_e32 v4, v4
	v_readfirstlane_b32 s34, v5
	v_readfirstlane_b32 s10, v4
	s_mul_i32 s11, s30, s34
	s_mul_hi_u32 s42, s30, s10
	s_mul_i32 s35, s31, s10
	s_add_i32 s11, s42, s11
	s_mul_i32 s43, s30, s10
	s_add_i32 s11, s11, s35
	s_mul_hi_u32 s42, s10, s43
	s_mul_i32 s44, s10, s11
	s_mul_hi_u32 s35, s10, s11
	s_add_u32 s42, s42, s44
	s_addc_u32 s35, 0, s35
	s_mul_hi_u32 s45, s34, s43
	s_mul_i32 s43, s34, s43
	s_add_u32 s42, s42, s43
	s_mul_hi_u32 s44, s34, s11
	s_addc_u32 s35, s35, s45
	s_addc_u32 s42, s44, 0
	s_mul_i32 s11, s34, s11
	s_add_u32 s11, s35, s11
	s_addc_u32 s35, 0, s42
	s_add_u32 s42, s10, s11
	s_cselect_b64 s[10:11], -1, 0
	s_cmp_lg_u64 s[10:11], 0
	s_addc_u32 s34, s34, s35
	s_mul_i32 s10, s30, s34
	s_mul_hi_u32 s11, s30, s42
	s_add_i32 s10, s11, s10
	s_mul_i32 s31, s31, s42
	s_add_i32 s10, s10, s31
	s_mul_i32 s30, s30, s42
	s_mul_hi_u32 s31, s34, s30
	s_mul_i32 s35, s34, s30
	s_mul_i32 s44, s42, s10
	s_mul_hi_u32 s30, s42, s30
	s_mul_hi_u32 s43, s42, s10
	s_add_u32 s30, s30, s44
	s_addc_u32 s43, 0, s43
	s_add_u32 s30, s30, s35
	s_mul_hi_u32 s11, s34, s10
	s_addc_u32 s30, s43, s31
	s_addc_u32 s11, s11, 0
	s_mul_i32 s10, s34, s10
	s_add_u32 s10, s30, s10
	s_addc_u32 s30, 0, s11
	s_add_u32 s31, s42, s10
	s_cselect_b64 s[10:11], -1, 0
	s_cmp_lg_u64 s[10:11], 0
	s_addc_u32 s10, s34, s30
	v_readlane_b32 s42, v63, 21
	s_mul_i32 s30, s42, s10
	s_mul_hi_u32 s34, s42, s31
	s_mul_hi_u32 s11, s42, s10
	s_add_u32 s30, s34, s30
	s_addc_u32 s11, 0, s11
	s_mul_hi_u32 s35, s83, s31
	s_mul_i32 s31, s83, s31
	s_add_u32 s30, s30, s31
	s_mul_hi_u32 s34, s83, s10
	s_addc_u32 s11, s11, s35
	s_addc_u32 s30, s34, 0
	s_mul_i32 s10, s83, s10
	s_add_u32 s10, s11, s10
	s_addc_u32 s11, 0, s30
	s_mul_i32 s11, s70, s11
	s_mul_hi_u32 s30, s70, s10
	s_add_i32 s30, s30, s11
	s_mul_i32 s10, s70, s10
	s_sub_u32 s31, s42, s10
	s_cselect_b64 s[10:11], -1, 0
	s_cmp_lg_u64 s[10:11], 0
	s_subb_u32 s30, s83, s30
	s_sub_u32 s34, s31, s70
	s_cselect_b64 s[10:11], -1, 0
	s_cmp_lg_u64 s[10:11], 0
	s_subb_u32 s35, s30, 0
	;; [unrolled: 4-line block ×3, first 2 shown]
	s_cmp_ge_u32 s34, s70
	s_cselect_b32 s11, -1, 0
	s_cmp_eq_u32 s35, 0
	s_cselect_b32 s11, s11, -1
	s_cmp_lg_u32 s11, 0
	s_cselect_b32 s10, s10, s35
	s_cselect_b32 s34, s42, s34
	s_cmp_ge_u32 s31, s70
	s_cselect_b32 s11, -1, 0
	s_cmp_eq_u32 s30, 0
	s_cselect_b32 s11, s11, -1
	s_cmp_lg_u32 s11, 0
	s_cselect_b32 s11, s10, s30
	s_cselect_b32 s10, s34, s31
	s_cbranch_execnz .LBB76_240
.LBB76_239:                             ;   in Loop: Header=BB76_9 Depth=1
	v_cvt_f32_u32_e32 v4, s70
	s_sub_i32 s10, 0, s70
	v_readlane_b32 s30, v63, 21
	v_rcp_iflag_f32_e32 v4, v4
	s_nop 0
	v_mul_f32_e32 v4, 0x4f7ffffe, v4
	v_cvt_u32_f32_e32 v4, v4
	s_nop 0
	v_readfirstlane_b32 s11, v4
	s_mul_i32 s10, s10, s11
	s_mul_hi_u32 s10, s11, s10
	s_add_i32 s11, s11, s10
	s_mul_hi_u32 s10, s30, s11
	s_mul_i32 s10, s10, s70
	s_sub_i32 s10, s30, s10
	s_sub_i32 s11, s10, s70
	s_cmp_ge_u32 s10, s70
	s_cselect_b32 s10, s11, s10
	s_sub_i32 s11, s10, s70
	s_cmp_ge_u32 s10, s70
	s_cselect_b32 s74, s11, s10
	s_mov_b64 s[10:11], s[74:75]
.LBB76_240:                             ;   in Loop: Header=BB76_9 Depth=1
	v_readlane_b32 s30, v63, 21
	s_sub_u32 s30, s30, s10
	s_subb_u32 s31, s83, s11
	v_cmp_gt_u64_e32 vcc, s[30:31], v[0:1]
                                        ; implicit-def: $vgpr42
	s_and_saveexec_b64 s[10:11], vcc
	s_cbranch_execz .LBB76_249
; %bb.241:                              ;   in Loop: Header=BB76_9 Depth=1
	s_mov_b64 s[34:35], 0
	v_mov_b64_e32 v[4:5], v[12:13]
	v_mov_b64_e32 v[8:9], v[0:1]
                                        ; implicit-def: $sgpr42_sgpr43
	s_branch .LBB76_244
.LBB76_242:                             ;   in Loop: Header=BB76_244 Depth=2
	s_or_b64 exec, exec, s[44:45]
	s_waitcnt lgkmcnt(0)
	s_barrier
	ds_read_u16 v10, v3 offset:3072
	s_mov_b64 s[44:45], -1
	s_waitcnt lgkmcnt(0)
	s_barrier
	v_cmp_eq_u32_sdwa s[46:47], v10, v3 src0_sel:BYTE_0 src1_sel:DWORD
	s_and_b64 vcc, exec, s[46:47]
	s_mov_b64 s[46:47], -1
	s_cbranch_vccnz .LBB76_247
.LBB76_243:                             ;   in Loop: Header=BB76_244 Depth=2
	s_and_b64 s[44:45], exec, s[44:45]
	s_or_b64 s[34:35], s[44:45], s[34:35]
	s_andn2_b64 s[42:43], s[42:43], exec
	s_and_b64 s[44:45], s[46:47], exec
	s_or_b64 s[42:43], s[42:43], s[44:45]
	s_andn2_b64 exec, exec, s[34:35]
	s_cbranch_execz .LBB76_248
.LBB76_244:                             ;   Parent Loop BB76_9 Depth=1
                                        ; =>  This Inner Loop Header: Depth=2
	v_cmp_gt_u64_e32 vcc, s[56:57], v[8:9]
	s_and_saveexec_b64 s[44:45], vcc
	s_cbranch_execz .LBB76_242
; %bb.245:                              ;   in Loop: Header=BB76_244 Depth=2
	global_load_ubyte v10, v[4:5], off
	s_waitcnt vmcnt(0)
	v_bitop3_b32 v11, v10, s85, v41 bitop3:0x80
	v_cmp_eq_u32_e32 vcc, v11, v38
	s_and_b64 exec, exec, vcc
	s_cbranch_execz .LBB76_242
; %bb.246:                              ;   in Loop: Header=BB76_244 Depth=2
	v_lshlrev_b16_e32 v10, 8, v10
	v_or_b32_e32 v10, 1, v10
	ds_write_b16 v3, v10 offset:3072
	s_branch .LBB76_242
.LBB76_247:                             ;   in Loop: Header=BB76_244 Depth=2
	v_lshl_add_u64 v[8:9], v[8:9], 0, s[70:71]
	v_cmp_le_u64_e32 vcc, s[30:31], v[8:9]
	v_lshl_add_u64 v[4:5], v[4:5], 0, s[78:79]
	s_mov_b64 s[46:47], 0
	s_orn2_b64 s[44:45], vcc, exec
	s_branch .LBB76_243
.LBB76_248:                             ;   in Loop: Header=BB76_9 Depth=1
	s_or_b64 exec, exec, s[34:35]
	s_andn2_b64 s[8:9], s[8:9], exec
	s_and_b64 s[30:31], s[42:43], exec
	v_lshrrev_b32_sdwa v42, v40, v10 dst_sel:DWORD dst_unused:UNUSED_PAD src0_sel:DWORD src1_sel:WORD_0
	s_or_b64 s[8:9], s[8:9], s[30:31]
.LBB76_249:                             ;   in Loop: Header=BB76_9 Depth=1
	s_or_b64 exec, exec, s[10:11]
	s_mov_b64 s[10:11], 0
	s_mov_b64 s[34:35], -1
.LBB76_250:                             ;   in Loop: Header=BB76_9 Depth=1
	s_orn2_b64 s[30:31], s[8:9], exec
.LBB76_251:                             ;   in Loop: Header=BB76_9 Depth=1
	s_or_b64 exec, exec, s[40:41]
	s_mov_b64 s[40:41], 0
	s_and_saveexec_b64 s[8:9], s[30:31]
	s_cbranch_execz .LBB76_262
; %bb.252:                              ;   in Loop: Header=BB76_9 Depth=1
	s_xor_b64 s[30:31], s[20:21], -1
	v_mov_b64_e32 v[4:5], 1
	v_mov_b32_e32 v2, 1
	s_and_saveexec_b64 s[20:21], s[30:31]
	s_cbranch_execz .LBB76_261
; %bb.253:                              ;   in Loop: Header=BB76_9 Depth=1
	v_cmp_ge_u64_e32 vcc, s[2:3], v[6:7]
	s_and_saveexec_b64 s[30:31], vcc
	s_xor_b64 s[30:31], exec, s[30:31]
	s_cbranch_execz .LBB76_258
; %bb.254:                              ;   in Loop: Header=BB76_9 Depth=1
	ds_read_b64 v[4:5], v3 offset:5120
	v_or_b32_e32 v38, s54, v38
	v_or_b32_e32 v41, s54, v41
	s_waitcnt lgkmcnt(0)
	v_cmp_ne_u64_e32 vcc, 0, v[4:5]
	s_cbranch_vccnz .LBB76_258
; %bb.255:                              ;   in Loop: Header=BB76_9 Depth=1
	s_mov_b64 s[40:41], exec
	v_readlane_b32 s42, v63, 0
	v_readlane_b32 s43, v63, 1
	s_and_b64 s[42:43], s[40:41], s[42:43]
	s_mov_b64 exec, s[42:43]
; %bb.256:                              ;   in Loop: Header=BB76_9 Depth=1
	v_mov_b64_e32 v[4:5], s[2:3]
	ds_write_b64 v3, v[4:5] offset:5128
; %bb.257:                              ;   in Loop: Header=BB76_9 Depth=1
	s_or_b64 exec, exec, s[40:41]
	s_waitcnt lgkmcnt(0)
	s_barrier
.LBB76_258:                             ;   in Loop: Header=BB76_9 Depth=1
	s_andn2_saveexec_b64 s[30:31], s[30:31]
; %bb.259:                              ;   in Loop: Header=BB76_9 Depth=1
	v_mov_b32_e32 v2, s3
	v_subrev_co_u32_e32 v6, vcc, s2, v6
	s_nop 1
	v_subb_co_u32_e32 v7, vcc, v7, v2, vcc
; %bb.260:                              ;   in Loop: Header=BB76_9 Depth=1
	s_or_b64 exec, exec, s[30:31]
	v_mov_b32_e32 v2, 8
	v_mov_b64_e32 v[4:5], v[6:7]
.LBB76_261:                             ;   in Loop: Header=BB76_9 Depth=1
	s_or_b64 exec, exec, s[20:21]
	s_mov_b64 s[40:41], exec
	v_mov_b64_e32 v[6:7], v[4:5]
.LBB76_262:                             ;   in Loop: Header=BB76_9 Depth=1
	s_or_b64 exec, exec, s[8:9]
	s_orn2_b64 s[8:9], s[40:41], exec
.LBB76_263:                             ;   in Loop: Header=BB76_9 Depth=1
	s_or_b64 exec, exec, s[12:13]
	s_andn2_b64 s[2:3], s[36:37], exec
	s_and_b64 s[12:13], s[34:35], exec
	s_or_b64 s[36:37], s[2:3], s[12:13]
	s_andn2_b64 s[2:3], s[28:29], exec
	s_and_b64 s[10:11], s[10:11], exec
	s_or_b64 s[28:29], s[2:3], s[10:11]
	s_and_b64 s[10:11], s[8:9], exec
	v_mov_b64_e32 v[4:5], v[6:7]
.LBB76_264:                             ;   in Loop: Header=BB76_9 Depth=1
	s_or_b64 exec, exec, s[38:39]
	s_orn2_b64 s[8:9], s[10:11], exec
.LBB76_265:                             ;   in Loop: Header=BB76_9 Depth=1
	s_or_b64 exec, exec, s[26:27]
	s_andn2_b64 s[2:3], s[22:23], exec
	s_and_b64 s[10:11], s[36:37], exec
	s_or_b64 s[22:23], s[2:3], s[10:11]
	s_andn2_b64 s[0:1], s[0:1], exec
	s_and_b64 s[2:3], s[28:29], exec
	s_or_b64 s[0:1], s[0:1], s[2:3]
	s_and_b64 s[10:11], s[8:9], exec
	v_mov_b64_e32 v[8:9], v[4:5]
.LBB76_266:                             ;   in Loop: Header=BB76_9 Depth=1
	s_or_b64 exec, exec, s[24:25]
	s_orn2_b64 s[8:9], s[10:11], exec
.LBB76_267:                             ;   in Loop: Header=BB76_9 Depth=1
	s_or_b64 exec, exec, s[18:19]
	s_mov_b64 s[10:11], 0
	s_and_saveexec_b64 s[2:3], s[8:9]
	s_xor_b64 s[2:3], exec, s[2:3]
	s_cbranch_execz .LBB76_7
; %bb.268:                              ;   in Loop: Header=BB76_9 Depth=1
	v_and_b32_e32 v2, 7, v2
	v_cmp_eq_u32_e32 vcc, 0, v2
	s_mov_b64 s[8:9], -1
	s_mov_b64 s[10:11], -1
	s_and_saveexec_b64 s[12:13], vcc
	s_cbranch_execz .LBB76_6
; %bb.269:                              ;   in Loop: Header=BB76_9 Depth=1
	s_xor_b32 s33, s33, 1
	s_add_i32 s16, s84, -2
	s_cmp_eq_u32 s84, 0
	s_cselect_b64 s[8:9], -1, 0
	s_xor_b64 s[10:11], exec, -1
	s_orn2_b64 s[8:9], s[8:9], exec
	s_mov_b32 s84, s16
	s_branch .LBB76_6
.LBB76_270:                             ;   in Loop: Header=BB76_9 Depth=1
                                        ; implicit-def: $sgpr42_sgpr43
	s_branch .LBB76_223
.LBB76_271:                             ;   in Loop: Header=BB76_9 Depth=1
                                        ; implicit-def: $sgpr10_sgpr11
	s_branch .LBB76_239
.LBB76_272:
	s_or_b64 exec, exec, s[92:93]
	s_xor_b64 s[6:7], s[98:99], -1
	s_xor_b64 s[0:1], s[94:95], -1
	;; [unrolled: 1-line block ×3, first 2 shown]
	s_mov_b64 s[2:3], 0
	s_and_saveexec_b64 s[8:9], s[0:1]
	s_xor_b64 s[0:1], exec, s[8:9]
	s_cbranch_execnz .LBB76_277
; %bb.273:
	s_andn2_saveexec_b64 s[0:1], s[0:1]
	s_cbranch_execnz .LBB76_290
.LBB76_274:
	s_or_b64 exec, exec, s[0:1]
	s_and_saveexec_b64 s[0:1], s[2:3]
.LBB76_275:
	; divergent unreachable
.LBB76_276:
	s_endpgm
.LBB76_277:
	s_and_saveexec_b64 s[2:3], s[6:7]
	s_xor_b64 s[2:3], exec, s[2:3]
	s_cbranch_execz .LBB76_288
; %bb.278:
	s_and_saveexec_b64 s[6:7], s[4:5]
	s_xor_b64 s[4:5], exec, s[6:7]
; %bb.279:
	v_mov_b32_e32 v42, v38
; %bb.280:
	s_or_b64 exec, exec, s[4:5]
	v_readlane_b32 s6, v63, 6
	v_readlane_b32 s18, v63, 10
	;; [unrolled: 1-line block ×3, first 2 shown]
	s_mul_i32 s4, s7, s18
	s_mul_hi_u32 s5, s6, s18
	s_add_i32 s5, s5, s4
	s_mul_i32 s4, s6, s18
	v_readlane_b32 s6, v63, 8
	v_readlane_b32 s7, v63, 9
	s_add_u32 s4, s6, s4
	s_addc_u32 s5, s7, s5
	v_mov_b32_e32 v2, 0
	v_readlane_b32 s19, v63, 11
	global_store_byte v2, v42, s[4:5]
	s_mov_b64 s[4:5], exec
	v_readlane_b32 s6, v63, 12
	v_readlane_b32 s7, v63, 13
	s_and_b64 s[6:7], s[4:5], s[6:7]
	s_mov_b64 exec, s[6:7]
	s_cbranch_execz .LBB76_287
; %bb.281:
	s_mov_b64 s[6:7], 0
                                        ; implicit-def: $sgpr8_sgpr9
                                        ; implicit-def: $sgpr12_sgpr13
                                        ; implicit-def: $sgpr10_sgpr11
	s_branch .LBB76_283
.LBB76_282:                             ;   in Loop: Header=BB76_283 Depth=1
	s_or_b64 exec, exec, s[14:15]
	s_and_b64 s[14:15], exec, s[12:13]
	s_or_b64 s[6:7], s[14:15], s[6:7]
	s_andn2_b64 s[8:9], s[8:9], exec
	s_and_b64 s[14:15], s[10:11], exec
	s_or_b64 s[8:9], s[8:9], s[14:15]
	s_andn2_b64 exec, exec, s[6:7]
	s_cbranch_execz .LBB76_285
.LBB76_283:                             ; =>This Inner Loop Header: Depth=1
	global_load_ubyte v4, v[12:13], off
	v_mov_b64_e32 v[2:3], v[0:1]
	s_or_b64 s[10:11], s[10:11], exec
	s_or_b64 s[12:13], s[12:13], exec
                                        ; implicit-def: $vgpr0_vgpr1
	s_waitcnt vmcnt(0)
	v_cmp_ne_u16_sdwa s[16:17], v4, v42 src0_sel:DWORD src1_sel:BYTE_0
	s_and_saveexec_b64 s[14:15], s[16:17]
	s_cbranch_execz .LBB76_282
; %bb.284:                              ;   in Loop: Header=BB76_283 Depth=1
	v_lshl_add_u64 v[0:1], v[2:3], 0, s[70:71]
	v_cmp_le_u64_e32 vcc, s[56:57], v[0:1]
	s_andn2_b64 s[12:13], s[12:13], exec
	s_and_b64 s[16:17], vcc, exec
	v_lshl_add_u64 v[12:13], v[12:13], 0, s[78:79]
	s_andn2_b64 s[10:11], s[10:11], exec
	s_or_b64 s[12:13], s[12:13], s[16:17]
	s_branch .LBB76_282
.LBB76_285:
	s_or_b64 exec, exec, s[6:7]
	s_and_saveexec_b64 s[6:7], s[8:9]
	s_xor_b64 s[6:7], exec, s[6:7]
	s_cbranch_execz .LBB76_287
; %bb.286:
	v_readlane_b32 s8, v63, 2
	v_readlane_b32 s9, v63, 3
	s_mul_i32 s6, s9, s18
	s_mul_hi_u32 s7, s8, s18
	s_add_i32 s7, s7, s6
	s_mul_i32 s6, s8, s18
	s_lshl_b64 s[6:7], s[6:7], 3
	v_readlane_b32 s8, v63, 4
	v_readlane_b32 s9, v63, 5
	s_add_u32 s6, s8, s6
	s_addc_u32 s7, s9, s7
	v_mov_b32_e32 v0, 0
	global_store_dwordx2 v0, v[2:3], s[6:7]
.LBB76_287:
	s_or_b64 exec, exec, s[4:5]
.LBB76_288:
	s_or_saveexec_b64 s[2:3], s[2:3]
	s_mov_b64 s[4:5], 0
	s_xor_b64 exec, exec, s[2:3]
	s_cbranch_execnz .LBB76_291
.LBB76_289:
	s_or_b64 exec, exec, s[2:3]
	s_and_b64 s[2:3], s[4:5], exec
	s_andn2_saveexec_b64 s[0:1], s[0:1]
	s_cbranch_execz .LBB76_274
.LBB76_290:
	s_or_b64 s[2:3], s[2:3], exec
	s_trap 2
	s_or_b64 exec, exec, s[0:1]
	s_and_saveexec_b64 s[0:1], s[2:3]
	s_cbranch_execnz .LBB76_275
	s_branch .LBB76_276
.LBB76_291:
	s_mov_b64 s[4:5], exec
	s_trap 2
	s_branch .LBB76_289
	.section	.rodata,"a",@progbits
	.p2align	6, 0x0
	.amdhsa_kernel _ZN2at6native12_GLOBAL__N_112gatherMedianIhmLi1EEEvNS_4cuda6detail10TensorInfoIT_T0_EENS5_IlS7_EENS5_IKS6_S7_EES7_S7_S7_b
		.amdhsa_group_segment_fixed_size 5152
		.amdhsa_private_segment_fixed_size 0
		.amdhsa_kernarg_size 1536
		.amdhsa_user_sgpr_count 2
		.amdhsa_user_sgpr_dispatch_ptr 0
		.amdhsa_user_sgpr_queue_ptr 0
		.amdhsa_user_sgpr_kernarg_segment_ptr 1
		.amdhsa_user_sgpr_dispatch_id 0
		.amdhsa_user_sgpr_kernarg_preload_length 0
		.amdhsa_user_sgpr_kernarg_preload_offset 0
		.amdhsa_user_sgpr_private_segment_size 0
		.amdhsa_uses_dynamic_stack 0
		.amdhsa_enable_private_segment 0
		.amdhsa_system_sgpr_workgroup_id_x 1
		.amdhsa_system_sgpr_workgroup_id_y 1
		.amdhsa_system_sgpr_workgroup_id_z 1
		.amdhsa_system_sgpr_workgroup_info 0
		.amdhsa_system_vgpr_workitem_id 0
		.amdhsa_next_free_vgpr 64
		.amdhsa_next_free_sgpr 100
		.amdhsa_accum_offset 64
		.amdhsa_reserve_vcc 1
		.amdhsa_float_round_mode_32 0
		.amdhsa_float_round_mode_16_64 0
		.amdhsa_float_denorm_mode_32 3
		.amdhsa_float_denorm_mode_16_64 3
		.amdhsa_dx10_clamp 1
		.amdhsa_ieee_mode 1
		.amdhsa_fp16_overflow 0
		.amdhsa_tg_split 0
		.amdhsa_exception_fp_ieee_invalid_op 0
		.amdhsa_exception_fp_denorm_src 0
		.amdhsa_exception_fp_ieee_div_zero 0
		.amdhsa_exception_fp_ieee_overflow 0
		.amdhsa_exception_fp_ieee_underflow 0
		.amdhsa_exception_fp_ieee_inexact 0
		.amdhsa_exception_int_div_zero 0
	.end_amdhsa_kernel
	.section	.text._ZN2at6native12_GLOBAL__N_112gatherMedianIhmLi1EEEvNS_4cuda6detail10TensorInfoIT_T0_EENS5_IlS7_EENS5_IKS6_S7_EES7_S7_S7_b,"axG",@progbits,_ZN2at6native12_GLOBAL__N_112gatherMedianIhmLi1EEEvNS_4cuda6detail10TensorInfoIT_T0_EENS5_IlS7_EENS5_IKS6_S7_EES7_S7_S7_b,comdat
.Lfunc_end76:
	.size	_ZN2at6native12_GLOBAL__N_112gatherMedianIhmLi1EEEvNS_4cuda6detail10TensorInfoIT_T0_EENS5_IlS7_EENS5_IKS6_S7_EES7_S7_S7_b, .Lfunc_end76-_ZN2at6native12_GLOBAL__N_112gatherMedianIhmLi1EEEvNS_4cuda6detail10TensorInfoIT_T0_EENS5_IlS7_EENS5_IKS6_S7_EES7_S7_S7_b
                                        ; -- End function
	.set _ZN2at6native12_GLOBAL__N_112gatherMedianIhmLi1EEEvNS_4cuda6detail10TensorInfoIT_T0_EENS5_IlS7_EENS5_IKS6_S7_EES7_S7_S7_b.num_vgpr, 64
	.set _ZN2at6native12_GLOBAL__N_112gatherMedianIhmLi1EEEvNS_4cuda6detail10TensorInfoIT_T0_EENS5_IlS7_EENS5_IKS6_S7_EES7_S7_S7_b.num_agpr, 0
	.set _ZN2at6native12_GLOBAL__N_112gatherMedianIhmLi1EEEvNS_4cuda6detail10TensorInfoIT_T0_EENS5_IlS7_EENS5_IKS6_S7_EES7_S7_S7_b.numbered_sgpr, 100
	.set _ZN2at6native12_GLOBAL__N_112gatherMedianIhmLi1EEEvNS_4cuda6detail10TensorInfoIT_T0_EENS5_IlS7_EENS5_IKS6_S7_EES7_S7_S7_b.num_named_barrier, 0
	.set _ZN2at6native12_GLOBAL__N_112gatherMedianIhmLi1EEEvNS_4cuda6detail10TensorInfoIT_T0_EENS5_IlS7_EENS5_IKS6_S7_EES7_S7_S7_b.private_seg_size, 0
	.set _ZN2at6native12_GLOBAL__N_112gatherMedianIhmLi1EEEvNS_4cuda6detail10TensorInfoIT_T0_EENS5_IlS7_EENS5_IKS6_S7_EES7_S7_S7_b.uses_vcc, 1
	.set _ZN2at6native12_GLOBAL__N_112gatherMedianIhmLi1EEEvNS_4cuda6detail10TensorInfoIT_T0_EENS5_IlS7_EENS5_IKS6_S7_EES7_S7_S7_b.uses_flat_scratch, 0
	.set _ZN2at6native12_GLOBAL__N_112gatherMedianIhmLi1EEEvNS_4cuda6detail10TensorInfoIT_T0_EENS5_IlS7_EENS5_IKS6_S7_EES7_S7_S7_b.has_dyn_sized_stack, 0
	.set _ZN2at6native12_GLOBAL__N_112gatherMedianIhmLi1EEEvNS_4cuda6detail10TensorInfoIT_T0_EENS5_IlS7_EENS5_IKS6_S7_EES7_S7_S7_b.has_recursion, 0
	.set _ZN2at6native12_GLOBAL__N_112gatherMedianIhmLi1EEEvNS_4cuda6detail10TensorInfoIT_T0_EENS5_IlS7_EENS5_IKS6_S7_EES7_S7_S7_b.has_indirect_call, 0
	.section	.AMDGPU.csdata,"",@progbits
; Kernel info:
; codeLenInByte = 15140
; TotalNumSgprs: 106
; NumVgprs: 64
; NumAgprs: 0
; TotalNumVgprs: 64
; ScratchSize: 0
; MemoryBound: 0
; FloatMode: 240
; IeeeMode: 1
; LDSByteSize: 5152 bytes/workgroup (compile time only)
; SGPRBlocks: 13
; VGPRBlocks: 7
; NumSGPRsForWavesPerEU: 106
; NumVGPRsForWavesPerEU: 64
; AccumOffset: 64
; Occupancy: 7
; WaveLimiterHint : 1
; COMPUTE_PGM_RSRC2:SCRATCH_EN: 0
; COMPUTE_PGM_RSRC2:USER_SGPR: 2
; COMPUTE_PGM_RSRC2:TRAP_HANDLER: 0
; COMPUTE_PGM_RSRC2:TGID_X_EN: 1
; COMPUTE_PGM_RSRC2:TGID_Y_EN: 1
; COMPUTE_PGM_RSRC2:TGID_Z_EN: 1
; COMPUTE_PGM_RSRC2:TIDIG_COMP_CNT: 0
; COMPUTE_PGM_RSRC3_GFX90A:ACCUM_OFFSET: 15
; COMPUTE_PGM_RSRC3_GFX90A:TG_SPLIT: 0
	.section	.text._ZN2at6native12_GLOBAL__N_112gatherMedianIhmLi2EEEvNS_4cuda6detail10TensorInfoIT_T0_EENS5_IlS7_EENS5_IKS6_S7_EES7_S7_S7_b,"axG",@progbits,_ZN2at6native12_GLOBAL__N_112gatherMedianIhmLi2EEEvNS_4cuda6detail10TensorInfoIT_T0_EENS5_IlS7_EENS5_IKS6_S7_EES7_S7_S7_b,comdat
	.globl	_ZN2at6native12_GLOBAL__N_112gatherMedianIhmLi2EEEvNS_4cuda6detail10TensorInfoIT_T0_EENS5_IlS7_EENS5_IKS6_S7_EES7_S7_S7_b ; -- Begin function _ZN2at6native12_GLOBAL__N_112gatherMedianIhmLi2EEEvNS_4cuda6detail10TensorInfoIT_T0_EENS5_IlS7_EENS5_IKS6_S7_EES7_S7_S7_b
	.p2align	8
	.type	_ZN2at6native12_GLOBAL__N_112gatherMedianIhmLi2EEEvNS_4cuda6detail10TensorInfoIT_T0_EENS5_IlS7_EENS5_IKS6_S7_EES7_S7_S7_b,@function
_ZN2at6native12_GLOBAL__N_112gatherMedianIhmLi2EEEvNS_4cuda6detail10TensorInfoIT_T0_EENS5_IlS7_EENS5_IKS6_S7_EES7_S7_S7_b: ; @_ZN2at6native12_GLOBAL__N_112gatherMedianIhmLi2EEEvNS_4cuda6detail10TensorInfoIT_T0_EENS5_IlS7_EENS5_IKS6_S7_EES7_S7_S7_b
; %bb.0:
	s_load_dwordx2 s[8:9], s[0:1], 0x500
	s_load_dwordx4 s[56:59], s[0:1], 0x4e0
	s_add_u32 s10, s0, 0x500
	s_addc_u32 s11, s1, 0
	s_mov_b32 s25, 0
	s_waitcnt lgkmcnt(0)
	s_mul_i32 s4, s9, s4
	s_add_i32 s3, s4, s3
	s_mul_i32 s3, s3, s8
	s_add_i32 s24, s3, s2
	v_mov_b64_e32 v[2:3], s[24:25]
	v_cmp_le_u64_e32 vcc, s[58:59], v[2:3]
	s_cbranch_vccnz .LBB77_286
; %bb.1:
	s_load_dwordx2 s[16:17], s[0:1], 0x10
	s_load_dwordx2 s[12:13], s[0:1], 0x350
	s_load_dwordx2 s[14:15], s[0:1], 0x1b0
	s_mov_b64 s[4:5], 0
                                        ; implicit-def: $vgpr57 : SGPR spill to VGPR lane
	v_writelane_b32 v57, s4, 0
	s_waitcnt lgkmcnt(0)
	v_mov_b64_e32 v[2:3], s[16:17]
	v_cmp_lt_u64_e32 vcc, s[24:25], v[2:3]
	v_writelane_b32 v57, s5, 1
	s_mov_b64 s[4:5], 0
	s_cbranch_vccnz .LBB77_3
; %bb.2:
	v_cvt_f32_u32_e32 v1, s16
	s_sub_i32 s3, 0, s16
	v_rcp_iflag_f32_e32 v1, v1
	s_nop 0
	v_mul_f32_e32 v1, 0x4f7ffffe, v1
	v_cvt_u32_f32_e32 v1, v1
	s_nop 0
	v_readfirstlane_b32 s4, v1
	s_mul_i32 s3, s3, s4
	s_mul_hi_u32 s3, s4, s3
	s_add_i32 s4, s4, s3
	s_mul_hi_u32 s3, s24, s4
	s_mul_i32 s5, s3, s16
	s_sub_i32 s5, s24, s5
	s_add_i32 s4, s3, 1
	s_sub_i32 s6, s5, s16
	s_cmp_ge_u32 s5, s16
	s_cselect_b32 s3, s4, s3
	s_cselect_b32 s5, s6, s5
	s_add_i32 s4, s3, 1
	s_cmp_ge_u32 s5, s16
	s_cselect_b32 s4, s4, s3
.LBB77_3:
	s_load_dwordx2 s[72:73], s[0:1], 0x4f0
	v_writelane_b32 v57, s4, 2
	v_mov_b64_e32 v[2:3], s[14:15]
	v_cmp_lt_u64_e32 vcc, s[24:25], v[2:3]
	v_writelane_b32 v57, s5, 3
	v_writelane_b32 v57, s16, 4
	s_nop 1
	v_writelane_b32 v57, s17, 5
	s_cbranch_vccnz .LBB77_5
; %bb.4:
	v_cvt_f32_u32_e32 v1, s14
	s_sub_i32 s3, 0, s14
	v_rcp_iflag_f32_e32 v1, v1
	s_nop 0
	v_mul_f32_e32 v1, 0x4f7ffffe, v1
	v_cvt_u32_f32_e32 v1, v1
	s_nop 0
	v_readfirstlane_b32 s4, v1
	s_mul_i32 s3, s3, s4
	s_mul_hi_u32 s3, s4, s3
	s_add_i32 s4, s4, s3
	s_mul_hi_u32 s3, s24, s4
	s_mul_i32 s5, s3, s14
	s_sub_i32 s5, s24, s5
	s_add_i32 s4, s3, 1
	s_sub_i32 s6, s5, s14
	s_cmp_ge_u32 s5, s14
	s_cselect_b32 s3, s4, s3
	s_cselect_b32 s5, s6, s5
	s_add_i32 s4, s3, 1
	s_cmp_ge_u32 s5, s14
	s_cselect_b32 s4, s4, s3
	v_writelane_b32 v57, s4, 0
	s_nop 1
	v_writelane_b32 v57, s5, 1
.LBB77_5:
	v_mov_b64_e32 v[2:3], s[12:13]
	v_cmp_lt_u64_e32 vcc, s[24:25], v[2:3]
	v_writelane_b32 v57, s14, 6
	s_mov_b64 s[18:19], 0
	s_nop 0
	v_writelane_b32 v57, s15, 7
	s_cbranch_vccnz .LBB77_7
; %bb.6:
	v_cvt_f32_u32_e32 v1, s12
	s_sub_i32 s3, 0, s12
	v_rcp_iflag_f32_e32 v1, v1
	s_nop 0
	v_mul_f32_e32 v1, 0x4f7ffffe, v1
	v_cvt_u32_f32_e32 v1, v1
	s_nop 0
	v_readfirstlane_b32 s4, v1
	s_mul_i32 s3, s3, s4
	s_mul_hi_u32 s3, s4, s3
	s_add_i32 s4, s4, s3
	s_mul_hi_u32 s3, s24, s4
	s_mul_i32 s5, s3, s12
	s_sub_i32 s5, s24, s5
	s_add_i32 s4, s3, 1
	s_sub_i32 s6, s5, s12
	s_cmp_ge_u32 s5, s12
	s_cselect_b32 s3, s4, s3
	s_cselect_b32 s5, s6, s5
	s_add_i32 s4, s3, 1
	s_cmp_ge_u32 s5, s12
	s_cselect_b32 s18, s4, s3
.LBB77_7:
	s_load_dwordx2 s[20:21], s[0:1], 0x340
	v_cmp_eq_u32_e64 s[6:7], 0, v0
	s_mov_b64 s[4:5], exec
	s_nop 0
	v_writelane_b32 v57, s6, 8
	s_nop 1
	v_writelane_b32 v57, s7, 9
	s_and_b64 s[6:7], s[4:5], s[6:7]
	s_mov_b64 exec, s[6:7]
; %bb.8:
	v_mov_b32_e32 v2, 0
	v_mov_b32_e32 v3, v2
	ds_write_b64 v2, v[2:3] offset:5136
; %bb.9:
	s_or_b64 exec, exec, s[4:5]
	s_load_dwordx2 s[4:5], s[0:1], 0x1a0
	v_mov_b32_e32 v3, 0
	s_waitcnt lgkmcnt(0)
	s_barrier
	v_writelane_b32 v57, s4, 10
	s_barrier
	s_nop 0
	v_writelane_b32 v57, s5, 11
	s_load_dwordx2 s[4:5], s[0:1], 0x0
	s_waitcnt lgkmcnt(0)
	ds_read_b64 v[4:5], v3 offset:5136
	v_writelane_b32 v57, s4, 12
	s_nop 1
	v_writelane_b32 v57, s5, 13
	s_load_dwordx4 s[4:7], s[0:1], 0x410
	s_waitcnt lgkmcnt(0)
	v_readfirstlane_b32 s16, v4
	v_readfirstlane_b32 s17, v5
	s_mov_b64 s[22:23], exec
	v_readlane_b32 s14, v57, 8
	v_readlane_b32 s15, v57, 9
	s_and_b64 s[14:15], s[22:23], s[14:15]
	s_mov_b64 exec, s[14:15]
	s_cbranch_execz .LBB77_11
; %bb.10:
	v_mov_b32_e32 v4, 0
	v_mov_b32_e32 v6, s56
	;; [unrolled: 1-line block ×4, first 2 shown]
	ds_write_b32 v4, v4 offset:5144
	ds_write_b128 v4, v[4:7] offset:5120
.LBB77_11:
	s_or_b64 exec, exec, s[22:23]
	s_load_dword s3, s[0:1], 0x4f8
	s_load_dwordx4 s[28:31], s[0:1], 0x270
                                        ; kill: killed $sgpr0 killed $sgpr1
	v_mov_b32_e32 v1, v3
	v_mbcnt_lo_u32_b32 v2, -1, 0
	v_mbcnt_hi_u32_b32 v28, -1, v2
	s_waitcnt lgkmcnt(0)
	s_bitcmp1_b32 s3, 0
	v_writelane_b32 v57, s28, 14
	s_cselect_b64 s[14:15], -1, 0
	v_cmp_gt_u32_e32 vcc, 64, v0
	v_writelane_b32 v57, s29, 15
	v_writelane_b32 v57, s30, 16
	;; [unrolled: 1-line block ×3, first 2 shown]
	s_load_dwordx4 s[28:31], s[0:1], 0xd0
	v_cmp_lt_i64_e64 s[0:1], s[16:17], 1
	s_not_b64 s[16:17], s[16:17]
	s_or_b64 s[0:1], s[14:15], s[0:1]
	s_add_u32 s14, s56, s16
	s_addc_u32 s15, s57, s17
	s_lshr_b64 s[14:15], s[14:15], 1
	s_add_u32 s3, s14, 1
	s_addc_u32 s9, s15, 0
	s_and_b64 s[0:1], s[0:1], exec
	s_mul_i32 s0, s18, s13
	s_mul_hi_u32 s1, s18, s12
	s_cselect_b32 s17, s9, s57
	s_cselect_b32 s16, s3, s56
	s_add_i32 s1, s1, s0
	s_mul_i32 s0, s18, s12
	s_sub_u32 s0, s24, s0
	s_subb_u32 s1, 0, s1
	s_mul_i32 s3, s0, s7
	s_mul_hi_u32 s7, s0, s6
	s_waitcnt lgkmcnt(0)
	v_writelane_b32 v57, s28, 18
	s_add_i32 s3, s7, s3
	s_mul_i32 s1, s1, s6
	v_writelane_b32 v57, s29, 19
	s_add_i32 s3, s3, s1
	s_mul_i32 s1, s18, s5
	s_mul_hi_u32 s5, s18, s4
	v_writelane_b32 v57, s30, 20
	s_add_i32 s5, s5, s1
	s_mul_i32 s1, s18, s4
	v_writelane_b32 v57, s31, 21
	s_mov_b32 s12, s24
	s_add_u32 s1, s20, s1
	v_writelane_b32 v57, s12, 22
	s_mul_i32 s0, s0, s6
	s_addc_u32 s4, s21, s5
	v_writelane_b32 v57, s13, 23
	s_add_u32 s84, s1, s0
	v_cmp_gt_u64_e64 s[0:1], s[56:57], v[0:1]
	v_mov_b64_e32 v[4:5], 0xc00
	s_addc_u32 s85, s4, s3
	v_writelane_b32 v57, s0, 24
	v_mov_b64_e32 v[12:13], s[84:85]
	s_nop 0
	v_writelane_b32 v57, s1, 25
	v_cmp_gt_i32_e64 s[0:1], 4, v28
	s_and_b64 s[74:75], vcc, s[0:1]
	v_cmp_gt_u64_e64 s[0:1], s[56:57], v[4:5]
	s_barrier
	s_nop 0
	v_writelane_b32 v57, s0, 26
	v_mov_b32_e32 v7, -1
	v_not_b32_e32 v6, v0
	v_writelane_b32 v57, s1, 27
	v_mad_u64_u32 v[14:15], s[0:1], s72, v0, v[12:13]
	v_mov_b32_e32 v2, v15
	v_mad_u64_u32 v[4:5], s[0:1], s73, v0, v[2:3]
	s_load_dword s0, s[10:11], 0xc
	v_lshlrev_b32_e32 v2, 2, v28
	v_and_b32_e32 v29, 0x100, v2
	v_lshrrev_b32_e32 v2, 1, v0
	v_and_b32_e32 v2, 0x1e0, v2
	s_waitcnt lgkmcnt(0)
	s_and_b32 s82, s0, 0xffff
	s_bfe_u32 s0, s0, 0xa0006
	v_mov_b32_e32 v15, v4
	v_lshlrev_b64 v[4:5], v28, -1
	s_cmp_gt_u32 s82, 63
	v_or_b32_e32 v30, 0xc00, v2
	v_add_u32_e32 v2, 2, v0
	v_not_b32_e32 v18, v4
	s_cselect_b64 s[6:7], -1, 0
	s_add_u32 s1, s82, -1
	v_mov_b32_e32 v4, s57
	v_cmp_gt_u64_e32 vcc, s[56:57], v[2:3]
	v_not_b32_e32 v19, v5
	v_writelane_b32 v57, s6, 28
	s_addc_u32 s3, 0, -1
	v_cndmask_b32_e32 v5, 0, v4, vcc
	v_mov_b32_e32 v4, s56
	v_writelane_b32 v57, s7, 29
	s_add_u32 s14, s1, s56
	v_cndmask_b32_e32 v4, v2, v4, vcc
	v_writelane_b32 v57, s1, 30
	s_addc_u32 s93, s3, s57
	v_lshl_add_u64 v[4:5], v[4:5], 0, v[6:7]
	v_writelane_b32 v57, s3, 31
	s_cmp_lt_u32 s2, s8
	v_cmp_lt_u64_e64 s[2:3], 3, v[4:5]
	s_cselect_b32 s1, 12, 18
	v_and_b32_e32 v20, -4, v4
	v_writelane_b32 v57, s2, 32
	v_mov_b32_e32 v21, v5
	s_add_u32 s94, s10, s1
	v_writelane_b32 v57, s3, 33
	v_cmp_ne_u64_e64 s[2:3], v[4:5], v[20:21]
	s_addc_u32 s95, s11, 0
	s_add_i32 s1, s0, -1
	v_writelane_b32 v57, s2, 34
	s_and_b32 s1, s1, 0xffff
	s_mov_b32 s92, s73
	v_writelane_b32 v57, s3, 35
	s_bfe_u32 s2, s82, 0x30006
	s_cmp_gt_u32 s1, 6
	s_cselect_b64 s[8:9], -1, 0
	v_writelane_b32 v57, s8, 36
	s_and_b32 s6, s0, 0x3f8
	s_cmp_lg_u32 s2, 0
	v_writelane_b32 v57, s9, 37
	v_writelane_b32 v57, s2, 38
	s_cselect_b64 s[0:1], -1, 0
	v_writelane_b32 v57, s0, 39
	s_mov_b32 s87, 0
	s_mov_b32 s88, s73
	v_writelane_b32 v57, s1, 40
	v_writelane_b32 v57, s74, 41
	v_mov_b32_e32 v2, 0xc00
	v_cmp_eq_u32_e64 s[4:5], 0, v28
	v_writelane_b32 v57, s75, 42
	v_writelane_b32 v57, s92, 43
	v_cmp_gt_u32_e64 s[98:99], 2, v0
	v_lshlrev_b32_e32 v16, 2, v0
	v_mov_b32_e32 v17, v3
	s_mov_b32 s83, s87
	v_lshl_add_u64 v[22:23], v[20:21], 0, v[0:1]
	s_mov_b32 s15, s72
	s_mov_b32 s33, s72
	;; [unrolled: 1-line block ×5, first 2 shown]
	v_lshl_or_b32 v32, v28, 3, v2
	s_mov_b64 s[78:79], 0
	v_mov_b64_e32 v[24:25], s[16:17]
	s_movk_i32 s68, 0xff
	s_mov_b32 s69, 0xc0c0004
	v_mov_b64_e32 v[40:41], s[56:57]
	v_mov_b32_e32 v33, 0x4f800000
	v_mov_b32_e32 v34, 8
	;; [unrolled: 1-line block ×3, first 2 shown]
	s_mov_b32 s91, 0
	v_mov_b32_e32 v31, 0
	v_mov_b32_e32 v35, 0
	v_writelane_b32 v57, s88, 44
                                        ; implicit-def: $sgpr60_sgpr61
                                        ; implicit-def: $sgpr80_sgpr81
                                        ; implicit-def: $sgpr62_sgpr63
                                        ; implicit-def: $sgpr70_sgpr71
                                        ; implicit-def: $sgpr12_sgpr13
                                        ; implicit-def: $sgpr10_sgpr11
	v_writelane_b32 v57, s89, 45
	s_branch .LBB77_15
.LBB77_12:                              ;   in Loop: Header=BB77_15 Depth=1
	s_or_b64 exec, exec, s[20:21]
	s_and_b64 s[20:21], s[18:19], exec
	s_andn2_b64 s[24:25], s[24:25], exec
	s_andn2_b64 s[0:1], s[0:1], exec
	s_orn2_b64 s[18:19], s[8:9], exec
.LBB77_13:                              ;   in Loop: Header=BB77_15 Depth=1
	s_or_b64 exec, exec, s[2:3]
	s_andn2_b64 s[2:3], s[10:11], exec
	s_and_b64 s[8:9], s[20:21], exec
	s_or_b64 s[10:11], s[2:3], s[8:9]
	s_andn2_b64 s[2:3], s[12:13], exec
	s_and_b64 s[8:9], s[24:25], exec
	s_or_b64 s[12:13], s[2:3], s[8:9]
	;; [unrolled: 3-line block ×3, first 2 shown]
	s_orn2_b64 s[0:1], s[18:19], exec
.LBB77_14:                              ;   in Loop: Header=BB77_15 Depth=1
	s_or_b64 exec, exec, s[16:17]
	s_and_b64 s[0:1], exec, s[0:1]
	s_or_b64 s[78:79], s[0:1], s[78:79]
	s_andn2_b64 s[0:1], s[62:63], exec
	s_and_b64 s[2:3], s[10:11], exec
	s_or_b64 s[62:63], s[0:1], s[2:3]
	s_andn2_b64 s[0:1], s[80:81], exec
	s_and_b64 s[2:3], s[12:13], exec
	;; [unrolled: 3-line block ×3, first 2 shown]
	s_or_b64 s[60:61], s[0:1], s[2:3]
	v_mov_b64_e32 v[24:25], v[8:9]
	s_andn2_b64 exec, exec, s[78:79]
	s_cbranch_execz .LBB77_282
.LBB77_15:                              ; =>This Loop Header: Depth=1
                                        ;     Child Loop BB77_20 Depth 2
                                        ;     Child Loop BB77_34 Depth 2
	;; [unrolled: 1-line block ×17, first 2 shown]
	ds_read_b128 v[4:7], v3 offset:5120
	s_waitcnt lgkmcnt(0)
	v_readfirstlane_b32 s65, v5
	v_readfirstlane_b32 s64, v4
	s_cmp_lg_u64 s[64:65], 0
	s_cbranch_scc1 .LBB77_47
; %bb.16:                               ;   in Loop: Header=BB77_15 Depth=1
	v_readlane_b32 s0, v57, 26
	v_readlane_b32 s1, v57, 27
	s_and_b64 vcc, exec, s[0:1]
	s_cbranch_vccz .LBB77_28
; %bb.17:                               ;   in Loop: Header=BB77_15 Depth=1
	s_mov_b64 s[0:1], 0xc01
	v_cmp_gt_u64_e32 vcc, s[0:1], v[6:7]
	s_mov_b64 s[8:9], 0
	s_mov_b64 s[0:1], 0
	s_cbranch_vccz .LBB77_29
; %bb.18:                               ;   in Loop: Header=BB77_15 Depth=1
	global_load_ushort v2, v3, s[94:95]
	global_load_ubyte v6, v[14:15], off
	s_mov_b64 s[16:17], 0
	v_mov_b64_e32 v[4:5], v[0:1]
	s_waitcnt vmcnt(1)
	v_and_b32_e32 v2, 0xffff, v2
	s_branch .LBB77_20
.LBB77_19:                              ;   in Loop: Header=BB77_20 Depth=2
	s_or_b64 exec, exec, s[2:3]
	v_mov_b32_e32 v6, v7
	s_andn2_b64 exec, exec, s[16:17]
	s_cbranch_execz .LBB77_107
.LBB77_20:                              ;   Parent Loop BB77_15 Depth=1
                                        ; =>  This Inner Loop Header: Depth=2
	v_lshl_add_u64 v[4:5], v[4:5], 0, v[2:3]
	v_cmp_gt_u64_e64 s[0:1], s[56:57], v[4:5]
	v_cmp_le_u64_e32 vcc, s[56:57], v[4:5]
	s_waitcnt lgkmcnt(0)
	v_mov_b32_e32 v8, 0
	v_mov_b32_e32 v7, 0
	s_and_saveexec_b64 s[2:3], s[0:1]
	s_cbranch_execz .LBB77_22
; %bb.21:                               ;   in Loop: Header=BB77_20 Depth=2
	v_mad_u64_u32 v[10:11], s[0:1], v4, s72, v[12:13]
	v_mul_lo_u32 v7, v4, s73
	v_mul_lo_u32 v9, v5, s72
	v_add3_u32 v11, v9, v11, v7
	global_load_ubyte v7, v[10:11], off
.LBB77_22:                              ;   in Loop: Header=BB77_20 Depth=2
	s_or_b64 exec, exec, s[2:3]
	s_waitcnt vmcnt(0)
	v_bitop3_b32 v9, v6, s68, v35 bitop3:0x80
	v_cmp_eq_u32_e64 s[0:1], v9, v31
	s_cmp_lg_u64 s[0:1], 0
	s_cselect_b64 s[2:3], -1, 0
	s_and_b64 s[2:3], s[4:5], s[2:3]
	s_and_saveexec_b64 s[18:19], s[2:3]
	s_cbranch_execz .LBB77_26
; %bb.23:                               ;   in Loop: Header=BB77_20 Depth=2
	s_mov_b64 s[22:23], exec
	v_mbcnt_lo_u32_b32 v8, s22, 0
	v_mbcnt_hi_u32_b32 v8, s23, v8
	s_bcnt1_i32_b64 s24, s[0:1]
	v_cmp_eq_u32_e64 s[2:3], 0, v8
                                        ; implicit-def: $vgpr9
	s_and_saveexec_b64 s[20:21], s[2:3]
; %bb.24:                               ;   in Loop: Header=BB77_20 Depth=2
	s_bcnt1_i32_b64 s2, s[22:23]
	s_mul_i32 s2, s24, s2
	v_mov_b32_e32 v9, s2
	ds_add_rtn_u32 v9, v3, v9 offset:5144
; %bb.25:                               ;   in Loop: Header=BB77_20 Depth=2
	s_or_b64 exec, exec, s[20:21]
	s_waitcnt lgkmcnt(0)
	v_readfirstlane_b32 s2, v9
	s_nop 1
	v_mov_b32_e32 v9, s2
	v_mad_u32_u24 v8, s24, v8, v9
.LBB77_26:                              ;   in Loop: Header=BB77_20 Depth=2
	s_or_b64 exec, exec, s[18:19]
	ds_bpermute_b32 v8, v29, v8
	s_and_b64 s[2:3], exec, vcc
	s_or_b64 s[16:17], s[2:3], s[16:17]
	s_and_saveexec_b64 s[2:3], s[0:1]
	s_cbranch_execz .LBB77_19
; %bb.27:                               ;   in Loop: Header=BB77_20 Depth=2
	v_and_b32_e32 v10, s0, v18
	v_and_b32_e32 v9, s1, v19
	v_bcnt_u32_b32 v10, v10, 0
	v_bcnt_u32_b32 v9, v9, v10
	s_waitcnt lgkmcnt(0)
	v_add_u32_e32 v8, v8, v9
	ds_write_b8 v8, v6
	s_branch .LBB77_19
.LBB77_28:                              ;   in Loop: Header=BB77_15 Depth=1
	s_mov_b64 s[8:9], -1
	s_mov_b64 s[0:1], 0
.LBB77_29:                              ;   in Loop: Header=BB77_15 Depth=1
	s_and_b64 vcc, exec, s[8:9]
	s_cbranch_vccz .LBB77_45
.LBB77_30:                              ;   in Loop: Header=BB77_15 Depth=1
	s_mov_b64 s[0:1], exec
	v_readlane_b32 s2, v57, 24
	v_readlane_b32 s3, v57, 25
	s_and_b64 s[2:3], s[0:1], s[2:3]
	s_mov_b64 exec, s[2:3]
	s_cbranch_execz .LBB77_42
; %bb.31:                               ;   in Loop: Header=BB77_15 Depth=1
	global_load_ushort v2, v3, s[94:95]
	global_load_ubyte v37, v[14:15], off
	v_mov_b32_e32 v6, v0
	s_waitcnt vmcnt(1)
	v_readfirstlane_b32 s8, v2
	v_add_u32_sdwa v2, v2, v0 dst_sel:DWORD dst_unused:UNUSED_PAD src0_sel:WORD_0 src1_sel:DWORD
	v_cmp_gt_u64_e32 vcc, s[56:57], v[2:3]
	s_and_saveexec_b64 s[2:3], vcc
	s_cbranch_execz .LBB77_41
; %bb.32:                               ;   in Loop: Header=BB77_15 Depth=1
	s_and_b32 s86, s8, 0xffff
	s_cmp_eq_u32 s86, 1
	v_readlane_b32 s16, v57, 32
	s_cselect_b64 s[8:9], -1, 0
	v_readlane_b32 s17, v57, 33
	s_and_b64 s[18:19], s[16:17], s[8:9]
	s_mov_b64 s[16:17], -1
	v_mov_b64_e32 v[8:9], v[0:1]
	v_mov_b64_e32 v[4:5], v[2:3]
                                        ; implicit-def: $vgpr6_vgpr7
	s_and_saveexec_b64 s[8:9], s[18:19]
	s_cbranch_execz .LBB77_36
; %bb.33:                               ;   in Loop: Header=BB77_15 Depth=1
	v_lshl_add_u64 v[8:9], v[2:3], 0, 3
	v_lshl_add_u64 v[6:7], v[2:3], 0, 2
	;; [unrolled: 1-line block ×3, first 2 shown]
	v_mov_b64_e32 v[10:11], v[8:9]
	s_waitcnt vmcnt(0)
	v_lshlrev_b32_e32 v39, 24, v37
	s_mov_b64 s[16:17], 0
	v_mov_b64_e32 v[26:27], v[20:21]
	v_mov_b32_e32 v38, v0
	v_mov_b64_e32 v[8:9], v[6:7]
	v_mov_b64_e32 v[6:7], v[4:5]
	v_mov_b64_e32 v[4:5], v[2:3]
.LBB77_34:                              ;   Parent Loop BB77_15 Depth=1
                                        ; =>  This Inner Loop Header: Depth=2
	v_mov_b64_e32 v[42:43], s[84:85]
	v_mul_lo_u32 v55, v10, s89
	v_mul_lo_u32 v56, v11, s90
	v_mad_u64_u32 v[44:45], s[18:19], v4, s72, v[42:43]
	v_mad_u64_u32 v[46:47], s[18:19], v6, s15, v[42:43]
	;; [unrolled: 1-line block ×4, first 2 shown]
	v_mul_lo_u32 v37, v4, s73
	v_mul_lo_u32 v50, v5, s72
	;; [unrolled: 1-line block ×6, first 2 shown]
	v_add3_u32 v43, v56, v43, v55
	v_add3_u32 v45, v50, v45, v37
	;; [unrolled: 1-line block ×4, first 2 shown]
	global_load_ubyte v37, v[42:43], off
	s_nop 0
	global_load_ubyte v42, v[46:47], off
	global_load_ubyte v43, v[44:45], off
	s_nop 0
	global_load_ubyte v44, v[48:49], off
	s_mov_b32 s18, 0xc0c0007
	v_lshl_add_u64 v[26:27], v[26:27], 0, -4
	v_cmp_eq_u64_e32 vcc, 0, v[26:27]
	v_lshl_add_u64 v[10:11], v[10:11], 0, 4
	v_lshl_add_u64 v[8:9], v[8:9], 0, 4
	v_lshl_add_u64 v[6:7], v[6:7], 0, 4
	v_lshl_add_u64 v[4:5], v[4:5], 0, 4
	s_or_b64 s[16:17], vcc, s[16:17]
	s_waitcnt vmcnt(1)
	v_perm_b32 v45, v43, v42, s69
	s_waitcnt vmcnt(0)
	v_perm_b32 v46, v44, v37, s69
	v_perm_b32 v42, v42, v44, s69
	;; [unrolled: 1-line block ×3, first 2 shown]
	v_lshl_or_b32 v43, v46, 16, v45
	v_lshl_or_b32 v39, v42, 16, v39
	ds_write_b32 v38, v39
	v_add_u32_e32 v38, 4, v38
	v_mov_b32_e32 v39, v43
	s_andn2_b64 exec, exec, s[16:17]
	s_cbranch_execnz .LBB77_34
; %bb.35:                               ;   in Loop: Header=BB77_15 Depth=1
	s_or_b64 exec, exec, s[16:17]
	v_readlane_b32 s16, v57, 34
	v_lshl_add_u64 v[4:5], v[2:3], 0, v[20:21]
	v_readlane_b32 s17, v57, 35
	v_lshl_add_u64 v[6:7], v[4:5], 0, -1
	s_orn2_b64 s[16:17], s[16:17], exec
	v_mov_b64_e32 v[8:9], v[22:23]
.LBB77_36:                              ;   in Loop: Header=BB77_15 Depth=1
	s_or_b64 exec, exec, s[8:9]
	s_and_saveexec_b64 s[8:9], s[16:17]
	s_cbranch_execz .LBB77_40
; %bb.37:                               ;   in Loop: Header=BB77_15 Depth=1
	s_sub_u32 s16, 0, s86
	s_mov_b64 s[18:19], 0
	s_subb_u32 s17, 0, 0
.LBB77_38:                              ;   Parent Loop BB77_15 Depth=1
                                        ; =>  This Inner Loop Header: Depth=2
	v_mov_b64_e32 v[6:7], v[4:5]
	v_mov_b64_e32 v[4:5], s[84:85]
	v_mad_u64_u32 v[4:5], s[20:21], v6, s72, v[4:5]
	v_mul_lo_u32 v2, v6, s73
	v_mul_lo_u32 v9, v7, s72
	v_add3_u32 v5, v9, v5, v2
	global_load_ubyte v2, v[4:5], off
	v_lshl_add_u64 v[4:5], v[6:7], 0, s[86:87]
	v_cmp_le_u64_e32 vcc, s[56:57], v[4:5]
	s_waitcnt vmcnt(1)
	ds_write_b8 v8, v37
	v_mov_b64_e32 v[8:9], v[6:7]
	s_or_b64 s[18:19], vcc, s[18:19]
	s_waitcnt vmcnt(0)
	v_mov_b32_e32 v37, v2
	s_andn2_b64 exec, exec, s[18:19]
	s_cbranch_execnz .LBB77_38
; %bb.39:                               ;   in Loop: Header=BB77_15 Depth=1
	s_or_b64 exec, exec, s[18:19]
	v_lshl_add_u64 v[6:7], s[16:17], 0, v[4:5]
	v_mov_b32_e32 v37, v2
.LBB77_40:                              ;   in Loop: Header=BB77_15 Depth=1
	s_or_b64 exec, exec, s[8:9]
.LBB77_41:                              ;   in Loop: Header=BB77_15 Depth=1
	s_or_b64 exec, exec, s[2:3]
	s_waitcnt vmcnt(0)
	ds_write_b8 v6, v37
.LBB77_42:                              ;   in Loop: Header=BB77_15 Depth=1
	s_or_b64 exec, exec, s[0:1]
	s_waitcnt lgkmcnt(0)
	s_barrier
	s_mov_b64 s[0:1], exec
	v_readlane_b32 s2, v57, 8
	v_readlane_b32 s3, v57, 9
	s_and_b64 s[2:3], s[0:1], s[2:3]
	s_mov_b64 exec, s[2:3]
; %bb.43:                               ;   in Loop: Header=BB77_15 Depth=1
	ds_write_b64 v3, v[40:41] offset:5120
; %bb.44:                               ;   in Loop: Header=BB77_15 Depth=1
	s_or_b64 exec, exec, s[0:1]
	s_mov_b64 s[0:1], -1
	s_waitcnt lgkmcnt(0)
	s_barrier
.LBB77_45:                              ;   in Loop: Header=BB77_15 Depth=1
	s_mov_b64 s[64:65], 0
	s_and_b64 vcc, exec, s[0:1]
	s_cbranch_vccz .LBB77_47
; %bb.46:                               ;   in Loop: Header=BB77_15 Depth=1
	ds_read_b64 v[4:5], v3 offset:5120
	s_waitcnt lgkmcnt(0)
	v_readfirstlane_b32 s64, v4
.LBB77_47:                              ;   in Loop: Header=BB77_15 Depth=1
	s_cmp_lt_i32 s64, 1
	s_mov_b64 s[0:1], -1
                                        ; implicit-def: $vgpr10_vgpr11
                                        ; implicit-def: $vgpr6_vgpr7
	s_cbranch_scc1 .LBB77_57
; %bb.48:                               ;   in Loop: Header=BB77_15 Depth=1
	s_and_b64 vcc, exec, s[0:1]
	s_cbranch_vccnz .LBB77_71
.LBB77_49:                              ;   in Loop: Header=BB77_15 Depth=1
	s_lshl_b32 s2, s91, 6
	s_and_saveexec_b64 s[0:1], s[4:5]
	s_cbranch_execz .LBB77_51
.LBB77_50:                              ;   in Loop: Header=BB77_15 Depth=1
	v_lshl_add_u32 v2, s2, 3, v30
	ds_write_b128 v2, v[4:7]
	ds_write_b128 v2, v[8:11] offset:16
.LBB77_51:                              ;   in Loop: Header=BB77_15 Depth=1
	s_or_b64 exec, exec, s[0:1]
	s_waitcnt lgkmcnt(0)
	s_barrier
	s_and_saveexec_b64 s[0:1], s[74:75]
	s_cbranch_execz .LBB77_86
; %bb.52:                               ;   in Loop: Header=BB77_15 Depth=1
	v_readlane_b32 s8, v57, 28
	v_readlane_b32 s9, v57, 29
	s_andn2_b64 vcc, exec, s[8:9]
	v_mov_b64_e32 v[4:5], 0
	s_cbranch_vccnz .LBB77_85
; %bb.53:                               ;   in Loop: Header=BB77_15 Depth=1
	v_readlane_b32 s8, v57, 36
	v_readlane_b32 s9, v57, 37
	s_andn2_b64 vcc, exec, s[8:9]
	s_cbranch_vccnz .LBB77_81
; %bb.54:                               ;   in Loop: Header=BB77_15 Depth=1
	v_lshl_add_u32 v2, s91, 9, v32
	v_mov_b64_e32 v[4:5], 0
	s_mov_b32 s3, 0
.LBB77_55:                              ;   Parent Loop BB77_15 Depth=1
                                        ; =>  This Inner Loop Header: Depth=2
	ds_read2_b64 v[6:9], v2 offset1:4
	ds_read2_b64 v[42:45], v2 offset0:8 offset1:12
	ds_read2_b64 v[46:49], v2 offset0:16 offset1:20
	;; [unrolled: 1-line block ×3, first 2 shown]
	s_add_i32 s3, s3, 8
	s_waitcnt lgkmcnt(3)
	v_lshl_add_u64 v[4:5], v[6:7], 0, v[4:5]
	v_lshl_add_u64 v[4:5], v[8:9], 0, v[4:5]
	s_waitcnt lgkmcnt(2)
	v_lshl_add_u64 v[4:5], v[42:43], 0, v[4:5]
	v_lshl_add_u64 v[4:5], v[44:45], 0, v[4:5]
	;; [unrolled: 3-line block ×3, first 2 shown]
	s_waitcnt lgkmcnt(0)
	v_lshl_add_u64 v[4:5], v[50:51], 0, v[4:5]
	v_add_u32_e32 v2, 0x100, v2
	s_cmp_eq_u32 s6, s3
	v_lshl_add_u64 v[4:5], v[52:53], 0, v[4:5]
	s_cbranch_scc0 .LBB77_55
; %bb.56:                               ;   in Loop: Header=BB77_15 Depth=1
	s_mov_b32 s3, s6
	s_branch .LBB77_82
.LBB77_57:                              ;   in Loop: Header=BB77_15 Depth=1
	global_load_ushort v2, v3, s[94:95]
	s_mov_b32 s0, s87
	s_waitcnt vmcnt(0)
	v_readfirstlane_b32 s1, v2
	s_and_b32 s1, 0xffff, s1
	s_lshl_b32 s86, s1, 2
	s_mov_b32 s1, s57
	s_cmp_lg_u64 s[0:1], 0
	s_cbranch_scc0 .LBB77_80
; %bb.58:                               ;   in Loop: Header=BB77_15 Depth=1
	v_cvt_f32_u32_e32 v4, s86
	s_sub_u32 s2, 0, s86
	s_subb_u32 s3, 0, 0
	v_fmac_f32_e32 v4, 0, v33
	v_rcp_f32_e32 v4, v4
	s_nop 0
	v_mul_f32_e32 v4, 0x5f7ffffc, v4
	v_mul_f32_e32 v5, 0x2f800000, v4
	v_trunc_f32_e32 v5, v5
	v_fmac_f32_e32 v4, 0xcf800000, v5
	v_cvt_u32_f32_e32 v5, v5
	v_cvt_u32_f32_e32 v4, v4
	v_readfirstlane_b32 s8, v5
	v_readfirstlane_b32 s0, v4
	s_mul_i32 s1, s2, s8
	s_mul_hi_u32 s16, s2, s0
	s_mul_i32 s9, s3, s0
	s_add_i32 s1, s16, s1
	s_mul_i32 s17, s2, s0
	s_add_i32 s1, s1, s9
	s_mul_hi_u32 s16, s0, s17
	s_mul_i32 s18, s0, s1
	s_mul_hi_u32 s9, s0, s1
	s_add_u32 s16, s16, s18
	s_addc_u32 s9, 0, s9
	s_mul_hi_u32 s19, s8, s17
	s_mul_i32 s17, s8, s17
	s_add_u32 s16, s16, s17
	s_mul_hi_u32 s18, s8, s1
	s_addc_u32 s9, s9, s19
	s_addc_u32 s16, s18, 0
	s_mul_i32 s1, s8, s1
	s_add_u32 s1, s9, s1
	s_addc_u32 s9, 0, s16
	s_add_u32 s16, s0, s1
	s_cselect_b64 s[0:1], -1, 0
	s_cmp_lg_u64 s[0:1], 0
	s_addc_u32 s8, s8, s9
	s_mul_i32 s0, s2, s8
	s_mul_hi_u32 s1, s2, s16
	s_add_i32 s0, s1, s0
	s_mul_i32 s3, s3, s16
	s_add_i32 s0, s0, s3
	s_mul_i32 s2, s2, s16
	s_mul_hi_u32 s3, s8, s2
	s_mul_i32 s9, s8, s2
	s_mul_i32 s18, s16, s0
	s_mul_hi_u32 s2, s16, s2
	s_mul_hi_u32 s17, s16, s0
	s_add_u32 s2, s2, s18
	s_addc_u32 s17, 0, s17
	s_add_u32 s2, s2, s9
	s_mul_hi_u32 s1, s8, s0
	s_addc_u32 s2, s17, s3
	s_addc_u32 s1, s1, 0
	s_mul_i32 s0, s8, s0
	s_add_u32 s0, s2, s0
	s_addc_u32 s2, 0, s1
	s_add_u32 s3, s16, s0
	s_cselect_b64 s[0:1], -1, 0
	s_cmp_lg_u64 s[0:1], 0
	s_addc_u32 s0, s8, s2
	s_mul_i32 s2, s56, s0
	s_mul_hi_u32 s8, s56, s3
	s_mul_hi_u32 s1, s56, s0
	s_add_u32 s2, s8, s2
	s_addc_u32 s1, 0, s1
	s_mul_hi_u32 s9, s57, s3
	s_mul_i32 s3, s57, s3
	s_add_u32 s2, s2, s3
	s_mul_hi_u32 s8, s57, s0
	s_addc_u32 s1, s1, s9
	s_addc_u32 s2, s8, 0
	s_mul_i32 s0, s57, s0
	s_add_u32 s0, s1, s0
	s_addc_u32 s1, 0, s2
	s_mul_i32 s1, s86, s1
	s_mul_hi_u32 s2, s86, s0
	s_add_i32 s2, s2, s1
	s_mul_i32 s0, s86, s0
	s_sub_u32 s3, s56, s0
	s_cselect_b64 s[0:1], -1, 0
	s_cmp_lg_u64 s[0:1], 0
	s_subb_u32 s2, s57, s2
	s_sub_u32 s8, s3, s86
	s_cselect_b64 s[0:1], -1, 0
	s_cmp_lg_u64 s[0:1], 0
	s_subb_u32 s9, s2, 0
	;; [unrolled: 4-line block ×3, first 2 shown]
	s_cmp_ge_u32 s8, s86
	s_cselect_b32 s1, -1, 0
	s_cmp_eq_u32 s9, 0
	s_cselect_b32 s1, s1, -1
	s_cmp_lg_u32 s1, 0
	s_cselect_b32 s0, s0, s9
	s_cselect_b32 s8, s16, s8
	s_cmp_ge_u32 s3, s86
	s_cselect_b32 s1, -1, 0
	s_cmp_eq_u32 s2, 0
	s_cselect_b32 s1, s1, -1
	s_cmp_lg_u32 s1, 0
	s_cselect_b32 s1, s0, s2
	s_cselect_b32 s0, s8, s3
	s_cbranch_execnz .LBB77_60
.LBB77_59:                              ;   in Loop: Header=BB77_15 Depth=1
	v_cvt_f32_u32_e32 v4, s86
	s_sub_i32 s0, 0, s86
	v_rcp_iflag_f32_e32 v4, v4
	s_nop 0
	v_mul_f32_e32 v4, 0x4f7ffffe, v4
	v_cvt_u32_f32_e32 v4, v4
	s_nop 0
	v_readfirstlane_b32 s1, v4
	s_mul_i32 s0, s0, s1
	s_mul_hi_u32 s0, s1, s0
	s_add_i32 s1, s1, s0
	s_mul_hi_u32 s0, s56, s1
	s_mul_i32 s0, s0, s86
	s_sub_i32 s0, s56, s0
	s_sub_i32 s1, s0, s86
	s_cmp_ge_u32 s0, s86
	s_cselect_b32 s0, s1, s0
	s_sub_i32 s1, s0, s86
	s_cmp_ge_u32 s0, s86
	s_cselect_b32 s0, s1, s0
	s_mov_b32 s1, s87
.LBB77_60:                              ;   in Loop: Header=BB77_15 Depth=1
	s_sub_u32 s54, s56, s0
	s_subb_u32 s55, s57, s1
	v_cmp_gt_u64_e32 vcc, s[54:55], v[16:17]
	v_mov_b64_e32 v[4:5], 0
	v_mov_b64_e32 v[6:7], 0
	;; [unrolled: 1-line block ×4, first 2 shown]
	s_and_saveexec_b64 s[66:67], vcc
	s_cbranch_execz .LBB77_64
; %bb.61:                               ;   in Loop: Header=BB77_15 Depth=1
	s_mov_b64 s[58:59], 0
	s_mov_b64 s[76:77], 0
	;; [unrolled: 1-line block ×5, first 2 shown]
	v_mov_b64_e32 v[26:27], v[16:17]
.LBB77_62:                              ;   Parent Loop BB77_15 Depth=1
                                        ; =>  This Inner Loop Header: Depth=2
	v_mov_b64_e32 v[4:5], s[84:85]
	v_mul_lo_u32 v6, v26, s73
	v_mul_lo_u32 v7, v27, s72
	v_mad_u64_u32 v[4:5], s[0:1], v26, s72, v[4:5]
	v_add3_u32 v5, v7, v5, v6
	global_load_ubyte v6, v[4:5], off
	v_lshl_add_u64 v[4:5], v[4:5], 0, s[72:73]
	global_load_ubyte v7, v[4:5], off
	v_lshl_add_u64 v[4:5], v[4:5], 0, s[72:73]
	;; [unrolled: 2-line block ×4, first 2 shown]
	v_cmp_le_u64_e32 vcc, s[54:55], v[26:27]
	s_waitcnt vmcnt(3)
	v_and_b32_e32 v5, v35, v6
	v_bfe_u32 v6, v6, s7, 2
	v_cmp_eq_u32_e64 s[16:17], v5, v31
	s_waitcnt vmcnt(2)
	v_and_b32_e32 v5, v35, v7
	v_cmp_eq_u32_e64 s[2:3], 0, v6
	v_bfe_u32 v7, v7, s7, 2
	v_cmp_eq_u32_e64 s[34:35], 1, v6
	v_cmp_eq_u32_e64 s[36:37], 2, v6
	;; [unrolled: 1-line block ×4, first 2 shown]
	s_waitcnt vmcnt(1)
	v_and_b32_e32 v5, v35, v8
	v_bfe_u32 v6, v8, s7, 2
	s_and_b64 s[2:3], s[16:17], s[2:3]
	v_cmp_eq_u32_e64 s[26:27], 0, v7
	v_cmp_eq_u32_e64 s[38:39], 1, v7
	v_cmp_eq_u32_e64 s[40:41], 2, v7
	v_cmp_eq_u32_e64 s[20:21], 3, v7
	v_cndmask_b32_e64 v7, 0, 1, s[2:3]
	v_cmp_eq_u32_e64 s[22:23], v5, v31
	s_waitcnt vmcnt(0)
	v_and_b32_e32 v5, v35, v4
	v_bfe_u32 v4, v4, s7, 2
	v_cmp_eq_u32_e64 s[2:3], 0, v6
	s_and_b64 s[8:9], s[0:1], s[26:27]
	v_cmp_eq_u32_e64 s[26:27], v5, v31
	v_cmp_eq_u32_e64 s[48:49], 0, v4
	s_and_b64 s[2:3], s[22:23], s[2:3]
	v_cmp_eq_u32_e64 s[42:43], 1, v6
	v_cmp_eq_u32_e64 s[44:45], 2, v6
	;; [unrolled: 1-line block ×3, first 2 shown]
	v_cndmask_b32_e64 v6, 0, 1, s[8:9]
	v_cmp_eq_u32_e64 s[50:51], 1, v4
	v_cmp_eq_u32_e64 s[52:53], 2, v4
	;; [unrolled: 1-line block ×3, first 2 shown]
	v_cndmask_b32_e64 v4, 0, 1, s[2:3]
	s_and_b64 s[8:9], s[26:27], s[48:49]
	v_cmp_ne_u32_e64 s[46:47], 0, v7
	v_cmp_ne_u32_e64 s[2:3], 0, v4
	v_cndmask_b32_e64 v4, 0, 1, s[8:9]
	s_bcnt1_i32_b64 s65, s[46:47]
	v_cmp_ne_u32_e64 s[46:47], 0, v6
	s_bcnt1_i32_b64 s8, s[2:3]
	v_cmp_ne_u32_e64 s[2:3], 0, v4
	s_bcnt1_i32_b64 s46, s[46:47]
	s_bcnt1_i32_b64 s2, s[2:3]
	s_add_u32 s3, s65, s96
	s_addc_u32 s9, 0, s97
	s_add_u32 s3, s3, s46
	s_addc_u32 s9, s9, 0
	;; [unrolled: 2-line block ×4, first 2 shown]
	s_and_b64 s[2:3], s[16:17], s[34:35]
	v_cndmask_b32_e64 v6, 0, 1, s[2:3]
	s_and_b64 s[2:3], s[0:1], s[38:39]
	v_cndmask_b32_e64 v7, 0, 1, s[2:3]
	;; [unrolled: 2-line block ×4, first 2 shown]
	v_cmp_ne_u32_e64 s[2:3], 0, v6
	v_cmp_ne_u32_e64 s[34:35], 0, v7
	;; [unrolled: 1-line block ×4, first 2 shown]
	s_bcnt1_i32_b64 s2, s[2:3]
	s_bcnt1_i32_b64 s3, s[34:35]
	;; [unrolled: 1-line block ×4, first 2 shown]
	s_add_u32 s2, s2, s30
	s_addc_u32 s30, 0, s31
	s_add_u32 s2, s2, s3
	s_addc_u32 s3, s30, 0
	;; [unrolled: 2-line block ×4, first 2 shown]
	s_and_b64 s[2:3], s[16:17], s[36:37]
	v_cndmask_b32_e64 v8, 0, 1, s[2:3]
	s_and_b64 s[2:3], s[0:1], s[40:41]
	v_cndmask_b32_e64 v9, 0, 1, s[2:3]
	;; [unrolled: 2-line block ×4, first 2 shown]
	v_cmp_ne_u32_e64 s[2:3], 0, v8
	v_cmp_ne_u32_e64 s[34:35], 0, v9
	;; [unrolled: 1-line block ×4, first 2 shown]
	s_bcnt1_i32_b64 s2, s[2:3]
	s_bcnt1_i32_b64 s3, s[34:35]
	;; [unrolled: 1-line block ×4, first 2 shown]
	s_add_u32 s2, s2, s74
	s_addc_u32 s34, 0, s75
	s_add_u32 s2, s2, s3
	s_addc_u32 s3, s34, 0
	;; [unrolled: 2-line block ×4, first 2 shown]
	s_and_b64 s[0:1], s[0:1], s[20:21]
	v_cndmask_b32_e64 v11, 0, 1, s[0:1]
	s_and_b64 s[0:1], s[22:23], s[24:25]
	s_and_b64 s[2:3], s[16:17], s[18:19]
	v_cndmask_b32_e64 v37, 0, 1, s[0:1]
	s_and_b64 s[0:1], s[26:27], s[28:29]
	v_cndmask_b32_e64 v10, 0, 1, s[2:3]
	v_cndmask_b32_e64 v38, 0, 1, s[0:1]
	v_cmp_ne_u32_e64 s[0:1], 0, v10
	v_cmp_ne_u32_e64 s[2:3], 0, v11
	;; [unrolled: 1-line block ×4, first 2 shown]
	s_bcnt1_i32_b64 s0, s[0:1]
	s_bcnt1_i32_b64 s1, s[2:3]
	;; [unrolled: 1-line block ×4, first 2 shown]
	s_add_u32 s0, s0, s76
	s_addc_u32 s8, 0, s77
	s_add_u32 s0, s0, s1
	s_addc_u32 s1, s8, 0
	;; [unrolled: 2-line block ×4, first 2 shown]
	v_mov_b64_e32 v[4:5], s[96:97]
	v_mov_b64_e32 v[6:7], s[30:31]
	;; [unrolled: 1-line block ×3, first 2 shown]
	s_or_b64 s[58:59], vcc, s[58:59]
	v_mov_b64_e32 v[10:11], s[76:77]
	s_andn2_b64 exec, exec, s[58:59]
	s_cbranch_execnz .LBB77_62
; %bb.63:                               ;   in Loop: Header=BB77_15 Depth=1
	s_or_b64 exec, exec, s[58:59]
	v_readlane_b32 s74, v57, 41
	v_readlane_b32 s75, v57, 42
	v_readlane_b32 s88, v57, 44
	v_readlane_b32 s89, v57, 45
.LBB77_64:                              ;   in Loop: Header=BB77_15 Depth=1
	s_or_b64 exec, exec, s[66:67]
	v_lshl_add_u64 v[26:27], s[54:55], 0, v[0:1]
	v_and_b32_e32 v2, 0xffff, v2
	v_cmp_gt_u64_e32 vcc, s[56:57], v[26:27]
	s_and_saveexec_b64 s[2:3], vcc
	s_cbranch_execz .LBB77_70
; %bb.65:                               ;   in Loop: Header=BB77_15 Depth=1
	v_mov_b64_e32 v[38:39], s[84:85]
	v_mad_u64_u32 v[38:39], s[0:1], v26, s72, v[38:39]
	v_mul_lo_u32 v37, v26, s73
	v_mul_lo_u32 v42, v27, s72
	v_add3_u32 v39, v42, v39, v37
	global_load_ubyte v38, v[38:39], off
	s_mov_b64 s[8:9], 0
	s_branch .LBB77_67
.LBB77_66:                              ;   in Loop: Header=BB77_67 Depth=2
	s_or_b64 exec, exec, s[16:17]
	s_waitcnt vmcnt(0)
	v_and_b32_e32 v39, 0xff, v38
	v_bitop3_b32 v38, v35, v38, s68 bitop3:0x80
	s_and_b64 s[0:1], exec, vcc
	v_cmp_eq_u32_e32 vcc, v38, v31
	v_bfe_u32 v38, v39, s7, 2
	s_or_b64 s[8:9], s[0:1], s[8:9]
	v_cmp_eq_u32_e64 s[0:1], 0, v38
	s_and_b64 s[0:1], vcc, s[0:1]
	s_nop 0
	v_cndmask_b32_e64 v39, 0, 1, s[0:1]
	v_cmp_ne_u32_e64 s[0:1], 0, v39
	s_bcnt1_i32_b64 s86, s[0:1]
	v_cmp_eq_u32_e64 s[0:1], 1, v38
	s_and_b64 s[0:1], vcc, s[0:1]
	v_lshl_add_u64 v[4:5], s[86:87], 0, v[4:5]
	v_cndmask_b32_e64 v39, 0, 1, s[0:1]
	v_cmp_ne_u32_e64 s[0:1], 0, v39
	s_bcnt1_i32_b64 s86, s[0:1]
	v_cmp_eq_u32_e64 s[0:1], 2, v38
	s_and_b64 s[0:1], vcc, s[0:1]
	v_lshl_add_u64 v[6:7], s[86:87], 0, v[6:7]
	;; [unrolled: 6-line block ×3, first 2 shown]
	v_cndmask_b32_e64 v38, 0, 1, s[0:1]
	v_cmp_ne_u32_e32 vcc, 0, v38
	s_bcnt1_i32_b64 s86, vcc
	v_lshl_add_u64 v[10:11], s[86:87], 0, v[10:11]
	v_mov_b32_e32 v38, v37
	s_andn2_b64 exec, exec, s[8:9]
	s_cbranch_execz .LBB77_69
.LBB77_67:                              ;   Parent Loop BB77_15 Depth=1
                                        ; =>  This Inner Loop Header: Depth=2
	v_lshl_add_u64 v[26:27], v[26:27], 0, v[2:3]
	v_cmp_gt_u64_e64 s[0:1], s[56:57], v[26:27]
	v_cmp_le_u64_e32 vcc, s[56:57], v[26:27]
	v_mov_b32_e32 v37, 0
	s_and_saveexec_b64 s[16:17], s[0:1]
	s_cbranch_execz .LBB77_66
; %bb.68:                               ;   in Loop: Header=BB77_67 Depth=2
	v_mov_b64_e32 v[42:43], s[84:85]
	v_mad_u64_u32 v[42:43], s[0:1], v26, s72, v[42:43]
	v_mul_lo_u32 v37, v26, s73
	v_mul_lo_u32 v39, v27, s72
	v_add3_u32 v43, v39, v43, v37
	global_load_ubyte v37, v[42:43], off
	s_branch .LBB77_66
.LBB77_69:                              ;   in Loop: Header=BB77_15 Depth=1
	s_or_b64 exec, exec, s[8:9]
.LBB77_70:                              ;   in Loop: Header=BB77_15 Depth=1
	s_or_b64 exec, exec, s[2:3]
	s_branch .LBB77_49
.LBB77_71:                              ;   in Loop: Header=BB77_15 Depth=1
	global_load_ushort v2, v3, s[94:95]
	v_mov_b64_e32 v[8:9], 0
	s_waitcnt vmcnt(0)
	v_readfirstlane_b32 s0, v2
	s_and_b32 s65, 0xffff, s0
	s_lshl_b32 s86, s65, 2
	v_cvt_f32_u32_e32 v4, s86
	s_sub_i32 s0, 0, s86
	v_rcp_iflag_f32_e32 v6, v4
	v_mov_b64_e32 v[4:5], 0
	v_mul_f32_e32 v6, 0x4f7ffffe, v6
	v_cvt_u32_f32_e32 v10, v6
	v_mov_b64_e32 v[6:7], 0
	v_readfirstlane_b32 s1, v10
	s_mul_i32 s0, s0, s1
	s_mul_hi_u32 s0, s1, s0
	s_add_i32 s1, s1, s0
	s_mul_hi_u32 s0, s64, s1
	s_mul_i32 s1, s0, s86
	s_sub_i32 s1, s64, s1
	s_add_i32 s2, s0, 1
	s_sub_i32 s3, s1, s86
	s_cmp_ge_u32 s1, s86
	s_cselect_b32 s0, s2, s0
	s_cselect_b32 s1, s3, s1
	s_add_i32 s2, s0, 1
	s_cmp_ge_u32 s1, s86
	s_cselect_b32 s0, s2, s0
	s_mul_hi_u32 s67, s65, s0
	s_mul_i32 s66, s65, s0
	s_lshl_b64 s[76:77], s[66:67], 2
	v_cmp_gt_u64_e32 vcc, s[76:77], v[16:17]
	v_mov_b64_e32 v[10:11], 0
	s_and_saveexec_b64 s[58:59], vcc
	s_cbranch_execz .LBB77_75
; %bb.72:                               ;   in Loop: Header=BB77_15 Depth=1
	s_mov_b64 s[88:89], s[98:99]
	s_mov_b64 s[30:31], 0
	v_mov_b32_e32 v37, v16
	s_mov_b64 s[74:75], 0
	s_mov_b64 s[96:97], 0
	;; [unrolled: 1-line block ×4, first 2 shown]
	v_mov_b64_e32 v[26:27], v[16:17]
.LBB77_73:                              ;   Parent Loop BB77_15 Depth=1
                                        ; =>  This Inner Loop Header: Depth=2
	ds_read_b32 v4, v37
	v_lshl_add_u64 v[26:27], v[26:27], 0, s[86:87]
	v_cmp_le_u64_e32 vcc, s[76:77], v[26:27]
	v_add_u32_e32 v37, s86, v37
	s_waitcnt lgkmcnt(0)
	v_and_b32_e32 v8, 0xff, v4
	v_lshrrev_b32_e32 v5, 16, v4
	v_lshrrev_b32_e32 v6, 8, v4
	v_lshrrev_b32_e32 v7, 24, v4
	v_bfe_u32 v9, v4, 8, 8
	v_bfe_u32 v10, v4, 16, 8
	v_bitop3_b32 v4, v35, v4, s68 bitop3:0x80
	v_bfe_u32 v8, v8, s7, 2
	v_cmp_eq_u32_e64 s[18:19], v4, v31
	v_bitop3_b32 v4, v35, v6, s68 bitop3:0x80
	v_bfe_u32 v9, v9, s7, 2
	v_cmp_eq_u32_e64 s[2:3], 0, v8
	;; [unrolled: 3-line block ×3, first 2 shown]
	v_cmp_eq_u32_e64 s[34:35], 0, v9
	s_and_b64 s[2:3], s[18:19], s[2:3]
	v_and_b32_e32 v6, v35, v7
	v_bfe_u32 v7, v7, s7, 2
	v_cmp_eq_u32_e64 s[16:17], v5, v31
	v_cmp_eq_u32_e64 s[36:37], 0, v10
	v_cndmask_b32_e64 v4, 0, 1, s[2:3]
	s_and_b64 s[2:3], s[20:21], s[34:35]
	v_cmp_eq_u32_e64 s[0:1], v6, v31
	v_cmp_eq_u32_e64 s[38:39], 0, v7
	v_cndmask_b32_e64 v5, 0, 1, s[2:3]
	s_and_b64 s[2:3], s[16:17], s[36:37]
	v_cndmask_b32_e64 v6, 0, 1, s[2:3]
	s_and_b64 s[2:3], s[0:1], s[38:39]
	v_cmp_eq_u32_e64 s[46:47], 1, v7
	v_cmp_eq_u32_e64 s[54:55], 2, v7
	;; [unrolled: 1-line block ×3, first 2 shown]
	v_cndmask_b32_e64 v7, 0, 1, s[2:3]
	v_cmp_ne_u32_e64 s[2:3], 0, v4
	v_cmp_ne_u32_e64 s[34:35], 0, v5
	;; [unrolled: 1-line block ×4, first 2 shown]
	s_bcnt1_i32_b64 s2, s[2:3]
	s_bcnt1_i32_b64 s3, s[34:35]
	s_bcnt1_i32_b64 s34, s[36:37]
	s_bcnt1_i32_b64 s35, s[38:39]
	s_add_u32 s2, s2, s8
	s_addc_u32 s8, 0, s9
	s_add_u32 s2, s2, s3
	s_addc_u32 s3, s8, 0
	;; [unrolled: 2-line block ×3, first 2 shown]
	v_cmp_eq_u32_e64 s[40:41], 1, v8
	s_add_u32 s8, s2, s35
	v_cmp_eq_u32_e64 s[42:43], 1, v9
	s_addc_u32 s9, s3, 0
	s_and_b64 s[2:3], s[18:19], s[40:41]
	v_cmp_eq_u32_e64 s[44:45], 1, v10
	v_cndmask_b32_e64 v6, 0, 1, s[2:3]
	s_and_b64 s[2:3], s[20:21], s[42:43]
	v_cndmask_b32_e64 v7, 0, 1, s[2:3]
	s_and_b64 s[2:3], s[16:17], s[44:45]
	v_cmp_eq_u32_e64 s[48:49], 2, v8
	v_cmp_eq_u32_e64 s[28:29], 3, v8
	v_cndmask_b32_e64 v8, 0, 1, s[2:3]
	s_and_b64 s[2:3], s[0:1], s[46:47]
	v_cmp_eq_u32_e64 s[50:51], 2, v9
	v_cmp_eq_u32_e64 s[26:27], 3, v9
	v_cndmask_b32_e64 v9, 0, 1, s[2:3]
	v_cmp_ne_u32_e64 s[2:3], 0, v6
	v_cmp_ne_u32_e64 s[34:35], 0, v7
	;; [unrolled: 1-line block ×4, first 2 shown]
	s_bcnt1_i32_b64 s2, s[2:3]
	s_bcnt1_i32_b64 s3, s[34:35]
	;; [unrolled: 1-line block ×4, first 2 shown]
	s_add_u32 s2, s2, s98
	s_addc_u32 s36, 0, s99
	s_add_u32 s2, s2, s3
	s_addc_u32 s3, s36, 0
	;; [unrolled: 2-line block ×4, first 2 shown]
	s_and_b64 s[2:3], s[18:19], s[48:49]
	v_cmp_eq_u32_e64 s[52:53], 2, v10
	v_cndmask_b32_e64 v8, 0, 1, s[2:3]
	s_and_b64 s[2:3], s[20:21], s[50:51]
	v_cndmask_b32_e64 v9, 0, 1, s[2:3]
	s_and_b64 s[2:3], s[16:17], s[52:53]
	v_cmp_eq_u32_e64 s[24:25], 3, v10
	v_cndmask_b32_e64 v10, 0, 1, s[2:3]
	s_and_b64 s[2:3], s[0:1], s[54:55]
	v_cndmask_b32_e64 v11, 0, 1, s[2:3]
	v_cmp_ne_u32_e64 s[2:3], 0, v8
	v_cmp_ne_u32_e64 s[34:35], 0, v9
	;; [unrolled: 1-line block ×4, first 2 shown]
	s_bcnt1_i32_b64 s2, s[2:3]
	s_bcnt1_i32_b64 s3, s[34:35]
	;; [unrolled: 1-line block ×4, first 2 shown]
	s_add_u32 s2, s2, s96
	s_addc_u32 s36, 0, s97
	s_add_u32 s2, s2, s3
	s_addc_u32 s3, s36, 0
	;; [unrolled: 2-line block ×4, first 2 shown]
	s_and_b64 s[2:3], s[18:19], s[28:29]
	v_cndmask_b32_e64 v10, 0, 1, s[2:3]
	s_and_b64 s[2:3], s[20:21], s[26:27]
	v_cndmask_b32_e64 v11, 0, 1, s[2:3]
	s_and_b64 s[2:3], s[16:17], s[24:25]
	s_and_b64 s[0:1], s[0:1], s[22:23]
	v_cndmask_b32_e64 v38, 0, 1, s[2:3]
	v_cndmask_b32_e64 v39, 0, 1, s[0:1]
	v_cmp_ne_u32_e64 s[0:1], 0, v10
	v_cmp_ne_u32_e64 s[2:3], 0, v11
	;; [unrolled: 1-line block ×4, first 2 shown]
	s_bcnt1_i32_b64 s0, s[0:1]
	s_bcnt1_i32_b64 s1, s[2:3]
	;; [unrolled: 1-line block ×4, first 2 shown]
	s_add_u32 s0, s0, s74
	s_addc_u32 s16, 0, s75
	s_add_u32 s0, s0, s1
	s_addc_u32 s1, s16, 0
	;; [unrolled: 2-line block ×4, first 2 shown]
	v_mov_b64_e32 v[4:5], s[8:9]
	v_mov_b64_e32 v[6:7], s[98:99]
	v_mov_b64_e32 v[8:9], s[96:97]
	s_or_b64 s[30:31], vcc, s[30:31]
	v_mov_b64_e32 v[10:11], s[74:75]
	s_andn2_b64 exec, exec, s[30:31]
	s_cbranch_execnz .LBB77_73
; %bb.74:                               ;   in Loop: Header=BB77_15 Depth=1
	s_or_b64 exec, exec, s[30:31]
	v_readlane_b32 s74, v57, 41
	s_mov_b64 s[98:99], s[88:89]
	v_readlane_b32 s75, v57, 42
	v_readlane_b32 s88, v57, 44
	;; [unrolled: 1-line block ×3, first 2 shown]
.LBB77_75:                              ;   in Loop: Header=BB77_15 Depth=1
	s_or_b64 exec, exec, s[58:59]
	s_and_b32 s8, s64, 0x7fffffff
	s_mov_b32 s9, s87
	v_lshl_add_u64 v[26:27], s[76:77], 0, v[0:1]
	v_and_b32_e32 v2, 0xffff, v2
	v_cmp_gt_u64_e32 vcc, s[8:9], v[26:27]
	s_and_saveexec_b64 s[22:23], vcc
	s_cbranch_execz .LBB77_79
; %bb.76:                               ;   in Loop: Header=BB77_15 Depth=1
	v_lshl_add_u32 v37, s66, 2, v0
	s_mov_b64 s[24:25], 0
.LBB77_77:                              ;   Parent Loop BB77_15 Depth=1
                                        ; =>  This Inner Loop Header: Depth=2
	ds_read_u8 v38, v37
	v_lshl_add_u64 v[26:27], v[26:27], 0, v[2:3]
	v_cmp_le_u64_e32 vcc, s[8:9], v[26:27]
	v_add_u32_e32 v37, s65, v37
	s_waitcnt lgkmcnt(0)
	v_and_b32_e32 v39, v35, v38
	v_bfe_u32 v38, v38, s7, 2
	v_cmp_eq_u32_e64 s[0:1], v39, v31
	v_cmp_eq_u32_e64 s[2:3], 0, v38
	;; [unrolled: 1-line block ×3, first 2 shown]
	s_and_b64 s[2:3], s[0:1], s[2:3]
	v_cmp_eq_u32_e64 s[18:19], 2, v38
	v_cmp_eq_u32_e64 s[20:21], 3, v38
	v_cndmask_b32_e64 v38, 0, 1, s[2:3]
	s_and_b64 s[2:3], s[0:1], s[16:17]
	v_cndmask_b32_e64 v39, 0, 1, s[2:3]
	s_and_b64 s[2:3], s[0:1], s[18:19]
	s_and_b64 s[0:1], s[0:1], s[20:21]
	v_cndmask_b32_e64 v43, 0, 1, s[0:1]
	v_cmp_ne_u32_e64 s[0:1], 0, v38
	v_cndmask_b32_e64 v42, 0, 1, s[2:3]
	v_cmp_ne_u32_e64 s[2:3], 0, v39
	s_bcnt1_i32_b64 s86, s[0:1]
	v_cmp_ne_u32_e64 s[16:17], 0, v42
	v_lshl_add_u64 v[4:5], s[86:87], 0, v[4:5]
	s_bcnt1_i32_b64 s86, s[2:3]
	v_cmp_ne_u32_e64 s[18:19], 0, v43
	v_lshl_add_u64 v[6:7], s[86:87], 0, v[6:7]
	s_bcnt1_i32_b64 s86, s[16:17]
	v_lshl_add_u64 v[8:9], s[86:87], 0, v[8:9]
	s_bcnt1_i32_b64 s86, s[18:19]
	s_or_b64 s[24:25], vcc, s[24:25]
	v_lshl_add_u64 v[10:11], s[86:87], 0, v[10:11]
	s_andn2_b64 exec, exec, s[24:25]
	s_cbranch_execnz .LBB77_77
; %bb.78:                               ;   in Loop: Header=BB77_15 Depth=1
	s_or_b64 exec, exec, s[24:25]
.LBB77_79:                              ;   in Loop: Header=BB77_15 Depth=1
	s_or_b64 exec, exec, s[22:23]
	s_lshl_b32 s2, s91, 6
	s_and_saveexec_b64 s[0:1], s[4:5]
	s_cbranch_execnz .LBB77_50
	s_branch .LBB77_51
.LBB77_80:                              ;   in Loop: Header=BB77_15 Depth=1
                                        ; implicit-def: $sgpr0_sgpr1
	s_branch .LBB77_59
.LBB77_81:                              ;   in Loop: Header=BB77_15 Depth=1
	s_mov_b32 s3, 0
	v_mov_b64_e32 v[4:5], 0
.LBB77_82:                              ;   in Loop: Header=BB77_15 Depth=1
	v_readlane_b32 s8, v57, 39
	v_readlane_b32 s9, v57, 40
	s_andn2_b64 vcc, exec, s[8:9]
	s_cbranch_vccnz .LBB77_85
; %bb.83:                               ;   in Loop: Header=BB77_15 Depth=1
	s_lshl_b32 s8, s91, 9
	s_lshl_b32 s3, s3, 5
	s_add_i32 s8, s8, s3
	v_add_u32_e32 v2, s8, v32
	v_readlane_b32 s3, v57, 38
.LBB77_84:                              ;   Parent Loop BB77_15 Depth=1
                                        ; =>  This Inner Loop Header: Depth=2
	ds_read_b64 v[6:7], v2
	s_add_i32 s3, s3, -1
	v_add_u32_e32 v2, 32, v2
	s_cmp_lg_u32 s3, 0
	s_waitcnt lgkmcnt(0)
	v_lshl_add_u64 v[4:5], v[6:7], 0, v[4:5]
	s_cbranch_scc1 .LBB77_84
.LBB77_85:                              ;   in Loop: Header=BB77_15 Depth=1
	v_add_lshl_u32 v2, s2, v28, 3
	ds_write_b64 v2, v[4:5] offset:3072
.LBB77_86:                              ;   in Loop: Header=BB77_15 Depth=1
	s_or_b64 exec, exec, s[0:1]
	s_lshl_b32 s0, s2, 3
	v_mov_b32_e32 v2, s0
	s_waitcnt lgkmcnt(0)
	s_barrier
	ds_read_b128 v[8:11], v2 offset:3088
	ds_read_b128 v[4:7], v2 offset:3072
	s_lshl_b32 s66, 3, s7
	v_cmp_eq_u64_e64 s[0:1], 1, v[24:25]
	s_not_b32 s54, s66
	s_waitcnt lgkmcnt(1)
	v_readfirstlane_b32 s22, v8
	s_waitcnt lgkmcnt(0)
	v_cmp_eq_u64_e32 vcc, 1, v[4:5]
	v_readfirstlane_b32 s23, v9
	v_readfirstlane_b32 s2, v10
	;; [unrolled: 1-line block ×3, first 2 shown]
	s_and_b64 s[18:19], vcc, s[0:1]
	s_mov_b64 s[0:1], -1
	s_mov_b64 s[8:9], -1
                                        ; implicit-def: $sgpr24_sgpr25
                                        ; implicit-def: $sgpr20_sgpr21
	s_and_saveexec_b64 s[16:17], s[18:19]
	s_cbranch_execz .LBB77_124
; %bb.87:                               ;   in Loop: Header=BB77_15 Depth=1
	ds_read_b64 v[8:9], v3 offset:5120
	s_waitcnt lgkmcnt(0)
	s_barrier
	v_readfirstlane_b32 s26, v8
	v_readfirstlane_b32 s27, v9
	s_and_saveexec_b64 s[8:9], s[98:99]
; %bb.88:                               ;   in Loop: Header=BB77_15 Depth=1
	ds_write_b8 v0, v3 offset:3072
; %bb.89:                               ;   in Loop: Header=BB77_15 Depth=1
	s_or_b64 exec, exec, s[8:9]
	v_and_b32_e32 v31, s54, v31
	v_or_b32_e32 v35, s66, v35
	s_mov_b64 s[20:21], -1
	s_mov_b64 s[24:25], 0
	s_cmp_eq_u64 s[26:27], 0
	s_mov_b64 s[8:9], 0
	s_mov_b64 s[28:29], -1
	s_waitcnt lgkmcnt(0)
	s_barrier
                                        ; implicit-def: $vgpr36
	s_cbranch_scc1 .LBB77_103
; %bb.90:                               ;   in Loop: Header=BB77_15 Depth=1
	v_readlane_b32 s8, v57, 30
	s_add_u32 s34, s26, s8
	v_readlane_b32 s8, v57, 31
	s_addc_u32 s9, s27, s8
	s_mov_b32 s8, s87
	s_cmp_lg_u64 s[8:9], 0
	s_cbranch_scc0 .LBB77_106
; %bb.91:                               ;   in Loop: Header=BB77_15 Depth=1
	v_cvt_f32_u32_e32 v2, s82
	s_sub_u32 s8, 0, s82
	s_subb_u32 s30, 0, 0
	v_fmac_f32_e32 v2, 0, v33
	v_rcp_f32_e32 v2, v2
	s_nop 0
	v_mul_f32_e32 v2, 0x5f7ffffc, v2
	v_mul_f32_e32 v8, 0x2f800000, v2
	v_trunc_f32_e32 v8, v8
	v_fmac_f32_e32 v2, 0xcf800000, v8
	v_cvt_u32_f32_e32 v8, v8
	v_cvt_u32_f32_e32 v2, v2
	v_readfirstlane_b32 s31, v8
	v_readfirstlane_b32 s28, v2
	s_mul_i32 s29, s8, s31
	s_mul_hi_u32 s36, s8, s28
	s_mul_i32 s35, s30, s28
	s_add_i32 s29, s36, s29
	s_mul_i32 s37, s8, s28
	s_add_i32 s29, s29, s35
	s_mul_hi_u32 s36, s28, s37
	s_mul_i32 s38, s28, s29
	s_mul_hi_u32 s35, s28, s29
	s_add_u32 s36, s36, s38
	s_addc_u32 s35, 0, s35
	s_mul_hi_u32 s39, s31, s37
	s_mul_i32 s37, s31, s37
	s_add_u32 s36, s36, s37
	s_mul_hi_u32 s38, s31, s29
	s_addc_u32 s35, s35, s39
	s_addc_u32 s36, s38, 0
	s_mul_i32 s29, s31, s29
	s_add_u32 s29, s35, s29
	s_addc_u32 s35, 0, s36
	s_add_u32 s36, s28, s29
	s_cselect_b64 s[28:29], -1, 0
	s_cmp_lg_u64 s[28:29], 0
	s_addc_u32 s31, s31, s35
	s_mul_i32 s28, s8, s31
	s_mul_hi_u32 s29, s8, s36
	s_add_i32 s28, s29, s28
	s_mul_i32 s30, s30, s36
	s_add_i32 s28, s28, s30
	s_mul_i32 s8, s8, s36
	s_mul_hi_u32 s30, s31, s8
	s_mul_i32 s35, s31, s8
	s_mul_i32 s38, s36, s28
	s_mul_hi_u32 s8, s36, s8
	s_mul_hi_u32 s37, s36, s28
	s_add_u32 s8, s8, s38
	s_addc_u32 s37, 0, s37
	s_add_u32 s8, s8, s35
	s_mul_hi_u32 s29, s31, s28
	s_addc_u32 s8, s37, s30
	s_addc_u32 s29, s29, 0
	s_mul_i32 s28, s31, s28
	s_add_u32 s8, s8, s28
	s_addc_u32 s30, 0, s29
	s_add_u32 s8, s36, s8
	s_cselect_b64 s[28:29], -1, 0
	s_cmp_lg_u64 s[28:29], 0
	s_addc_u32 s28, s31, s30
	s_mul_i32 s30, s34, s28
	s_mul_hi_u32 s31, s34, s8
	s_mul_hi_u32 s29, s34, s28
	s_add_u32 s30, s31, s30
	s_addc_u32 s29, 0, s29
	s_mul_hi_u32 s35, s9, s8
	s_mul_i32 s8, s9, s8
	s_add_u32 s8, s30, s8
	s_mul_hi_u32 s31, s9, s28
	s_addc_u32 s8, s29, s35
	s_addc_u32 s29, s31, 0
	s_mul_i32 s28, s9, s28
	s_add_u32 s8, s8, s28
	s_addc_u32 s28, 0, s29
	s_mul_i32 s28, s82, s28
	s_mul_hi_u32 s29, s82, s8
	s_add_i32 s30, s29, s28
	s_mul_i32 s8, s82, s8
	s_sub_u32 s8, s34, s8
	s_cselect_b64 s[28:29], -1, 0
	s_cmp_lg_u64 s[28:29], 0
	s_subb_u32 s30, s9, s30
	s_sub_u32 s31, s8, s82
	s_cselect_b64 s[28:29], -1, 0
	s_cmp_lg_u64 s[28:29], 0
	s_subb_u32 s35, s30, 0
	;; [unrolled: 4-line block ×3, first 2 shown]
	s_cmp_ge_u32 s31, s82
	s_cselect_b32 s29, -1, 0
	s_cmp_eq_u32 s35, 0
	s_cselect_b32 s29, s29, -1
	s_cmp_lg_u32 s29, 0
	s_cselect_b32 s28, s28, s35
	s_cselect_b32 s31, s36, s31
	s_cmp_ge_u32 s8, s82
	s_cselect_b32 s29, -1, 0
	s_cmp_eq_u32 s30, 0
	s_cselect_b32 s29, s29, -1
	s_cmp_lg_u32 s29, 0
	s_cselect_b32 s29, s28, s30
	s_cselect_b32 s28, s31, s8
	s_cbranch_execnz .LBB77_93
.LBB77_92:                              ;   in Loop: Header=BB77_15 Depth=1
	v_cvt_f32_u32_e32 v2, s82
	s_sub_i32 s8, 0, s82
	v_rcp_iflag_f32_e32 v2, v2
	s_nop 0
	v_mul_f32_e32 v2, 0x4f7ffffe, v2
	v_cvt_u32_f32_e32 v2, v2
	s_nop 0
	v_readfirstlane_b32 s28, v2
	s_mul_i32 s8, s8, s28
	s_mul_hi_u32 s8, s28, s8
	s_add_i32 s28, s28, s8
	s_mul_hi_u32 s8, s34, s28
	s_mul_i32 s8, s8, s82
	s_sub_i32 s8, s34, s8
	s_sub_i32 s28, s8, s82
	s_cmp_ge_u32 s8, s82
	s_cselect_b32 s8, s28, s8
	s_sub_i32 s28, s8, s82
	s_cmp_ge_u32 s8, s82
	s_cselect_b32 s86, s28, s8
	s_mov_b64 s[28:29], s[86:87]
.LBB77_93:                              ;   in Loop: Header=BB77_15 Depth=1
	s_sub_u32 s34, s34, s28
	s_subb_u32 s35, s9, s29
	v_cmp_gt_u64_e32 vcc, s[34:35], v[0:1]
	s_mov_b64 s[28:29], 0
	s_mov_b64 s[8:9], 0
                                        ; implicit-def: $vgpr36
	s_and_saveexec_b64 s[30:31], vcc
	s_cbranch_execz .LBB77_102
; %bb.94:                               ;   in Loop: Header=BB77_15 Depth=1
	v_mov_b32_e32 v2, v0
	v_mov_b64_e32 v[8:9], v[0:1]
                                        ; implicit-def: $sgpr36_sgpr37
	s_branch .LBB77_97
.LBB77_95:                              ;   in Loop: Header=BB77_97 Depth=2
	s_or_b64 exec, exec, s[38:39]
	s_waitcnt lgkmcnt(0)
	s_barrier
	ds_read_u16 v10, v3 offset:3072
	s_mov_b64 s[38:39], -1
	s_waitcnt lgkmcnt(0)
	s_barrier
	v_cmp_ne_u32_sdwa s[40:41], v10, v3 src0_sel:BYTE_0 src1_sel:DWORD
	s_and_b64 vcc, exec, s[40:41]
	s_mov_b64 s[40:41], -1
	s_cbranch_vccz .LBB77_100
.LBB77_96:                              ;   in Loop: Header=BB77_97 Depth=2
	s_and_b64 s[38:39], exec, s[38:39]
	s_or_b64 s[8:9], s[38:39], s[8:9]
	s_andn2_b64 s[36:37], s[36:37], exec
	s_and_b64 s[38:39], s[40:41], exec
	s_or_b64 s[36:37], s[36:37], s[38:39]
	s_andn2_b64 exec, exec, s[8:9]
	s_cbranch_execz .LBB77_101
.LBB77_97:                              ;   Parent Loop BB77_15 Depth=1
                                        ; =>  This Inner Loop Header: Depth=2
	v_cmp_gt_u64_e32 vcc, s[26:27], v[8:9]
	s_and_saveexec_b64 s[38:39], vcc
	s_cbranch_execz .LBB77_95
; %bb.98:                               ;   in Loop: Header=BB77_97 Depth=2
	ds_read_u8 v10, v2
	s_waitcnt lgkmcnt(0)
	v_bitop3_b32 v11, v10, s68, v35 bitop3:0x80
	v_cmp_eq_u32_e32 vcc, v11, v31
	s_and_b64 exec, exec, vcc
	s_cbranch_execz .LBB77_95
; %bb.99:                               ;   in Loop: Header=BB77_97 Depth=2
	v_lshlrev_b16_e32 v10, 8, v10
	v_or_b32_e32 v10, 1, v10
	ds_write_b16 v3, v10 offset:3072
	s_branch .LBB77_95
.LBB77_100:                             ;   in Loop: Header=BB77_97 Depth=2
	v_lshl_add_u64 v[8:9], v[8:9], 0, s[82:83]
	v_cmp_le_u64_e32 vcc, s[34:35], v[8:9]
	v_add_u32_e32 v2, s82, v2
	s_mov_b64 s[40:41], 0
	s_orn2_b64 s[38:39], vcc, exec
	s_branch .LBB77_96
.LBB77_101:                             ;   in Loop: Header=BB77_15 Depth=1
	s_or_b64 exec, exec, s[8:9]
	v_lshrrev_b32_sdwa v36, v34, v10 dst_sel:DWORD dst_unused:UNUSED_PAD src0_sel:DWORD src1_sel:WORD_0
	s_and_b64 s[8:9], s[36:37], exec
.LBB77_102:                             ;   in Loop: Header=BB77_15 Depth=1
	s_or_b64 exec, exec, s[30:31]
.LBB77_103:                             ;   in Loop: Header=BB77_15 Depth=1
	s_and_b64 vcc, exec, s[28:29]
	s_cbranch_vccz .LBB77_123
; %bb.104:                              ;   in Loop: Header=BB77_15 Depth=1
	s_mov_b32 s92, s87
	s_cmp_lg_u64 s[92:93], 0
	s_cbranch_scc0 .LBB77_110
; %bb.105:                              ;   in Loop: Header=BB77_15 Depth=1
	v_cvt_f32_u32_e32 v2, s82
	s_sub_u32 s24, 0, s82
	s_subb_u32 s25, 0, 0
	v_fmac_f32_e32 v2, 0, v33
	v_rcp_f32_e32 v2, v2
	s_nop 0
	v_mul_f32_e32 v2, 0x5f7ffffc, v2
	v_mul_f32_e32 v8, 0x2f800000, v2
	v_trunc_f32_e32 v8, v8
	v_fmac_f32_e32 v2, 0xcf800000, v8
	v_cvt_u32_f32_e32 v8, v8
	v_cvt_u32_f32_e32 v2, v2
	v_readfirstlane_b32 s26, v8
	v_readfirstlane_b32 s20, v2
	s_mul_i32 s21, s24, s26
	s_mul_hi_u32 s28, s24, s20
	s_mul_i32 s27, s25, s20
	s_add_i32 s21, s28, s21
	s_mul_i32 s29, s24, s20
	s_add_i32 s21, s21, s27
	s_mul_hi_u32 s28, s20, s29
	s_mul_i32 s30, s20, s21
	s_mul_hi_u32 s27, s20, s21
	s_add_u32 s28, s28, s30
	s_addc_u32 s27, 0, s27
	s_mul_hi_u32 s31, s26, s29
	s_mul_i32 s29, s26, s29
	s_add_u32 s28, s28, s29
	s_mul_hi_u32 s30, s26, s21
	s_addc_u32 s27, s27, s31
	s_addc_u32 s28, s30, 0
	s_mul_i32 s21, s26, s21
	s_add_u32 s21, s27, s21
	s_addc_u32 s27, 0, s28
	s_add_u32 s28, s20, s21
	s_cselect_b64 s[20:21], -1, 0
	s_cmp_lg_u64 s[20:21], 0
	s_addc_u32 s26, s26, s27
	s_mul_i32 s20, s24, s26
	s_mul_hi_u32 s21, s24, s28
	s_add_i32 s20, s21, s20
	s_mul_i32 s25, s25, s28
	s_add_i32 s20, s20, s25
	s_mul_i32 s24, s24, s28
	s_mul_hi_u32 s25, s26, s24
	s_mul_i32 s27, s26, s24
	s_mul_i32 s30, s28, s20
	s_mul_hi_u32 s24, s28, s24
	s_mul_hi_u32 s29, s28, s20
	s_add_u32 s24, s24, s30
	s_addc_u32 s29, 0, s29
	s_add_u32 s24, s24, s27
	s_mul_hi_u32 s21, s26, s20
	s_addc_u32 s24, s29, s25
	s_addc_u32 s21, s21, 0
	s_mul_i32 s20, s26, s20
	s_add_u32 s20, s24, s20
	s_addc_u32 s24, 0, s21
	s_add_u32 s25, s28, s20
	s_cselect_b64 s[20:21], -1, 0
	s_cmp_lg_u64 s[20:21], 0
	s_addc_u32 s20, s26, s24
	s_mul_i32 s24, s14, s20
	s_mul_hi_u32 s26, s14, s25
	s_mul_hi_u32 s21, s14, s20
	s_add_u32 s24, s26, s24
	s_addc_u32 s21, 0, s21
	s_mul_hi_u32 s27, s93, s25
	s_mul_i32 s25, s93, s25
	s_add_u32 s24, s24, s25
	s_mul_hi_u32 s26, s93, s20
	s_addc_u32 s21, s21, s27
	s_addc_u32 s24, s26, 0
	s_mul_i32 s20, s93, s20
	s_add_u32 s20, s21, s20
	s_addc_u32 s21, 0, s24
	s_mul_i32 s21, s82, s21
	s_mul_hi_u32 s24, s82, s20
	s_add_i32 s24, s24, s21
	s_mul_i32 s20, s82, s20
	s_sub_u32 s25, s14, s20
	s_cselect_b64 s[20:21], -1, 0
	s_cmp_lg_u64 s[20:21], 0
	s_subb_u32 s24, s93, s24
	s_sub_u32 s26, s25, s82
	s_cselect_b64 s[20:21], -1, 0
	s_cmp_lg_u64 s[20:21], 0
	s_subb_u32 s27, s24, 0
	;; [unrolled: 4-line block ×3, first 2 shown]
	s_cmp_ge_u32 s26, s82
	s_cselect_b32 s21, -1, 0
	s_cmp_eq_u32 s27, 0
	s_cselect_b32 s21, s21, -1
	s_cmp_lg_u32 s21, 0
	s_cselect_b32 s20, s20, s27
	s_cselect_b32 s26, s28, s26
	s_cmp_ge_u32 s25, s82
	s_cselect_b32 s21, -1, 0
	s_cmp_eq_u32 s24, 0
	s_cselect_b32 s21, s21, -1
	s_cmp_lg_u32 s21, 0
	s_cselect_b32 s21, s20, s24
	s_cselect_b32 s20, s26, s25
	s_mov_b64 s[24:25], 0
	s_branch .LBB77_111
.LBB77_106:                             ;   in Loop: Header=BB77_15 Depth=1
                                        ; implicit-def: $sgpr28_sgpr29
	s_branch .LBB77_92
.LBB77_107:                             ;   in Loop: Header=BB77_15 Depth=1
	s_or_b64 exec, exec, s[16:17]
	s_waitcnt lgkmcnt(0)
	s_barrier
	s_mov_b64 s[0:1], exec
	v_readlane_b32 s2, v57, 8
	v_readlane_b32 s3, v57, 9
	s_and_b64 s[2:3], s[0:1], s[2:3]
	s_mov_b64 exec, s[2:3]
	s_cbranch_execz .LBB77_109
; %bb.108:                              ;   in Loop: Header=BB77_15 Depth=1
	ds_read_b32 v4, v3 offset:5144
	s_waitcnt lgkmcnt(0)
	v_ashrrev_i32_e32 v5, 31, v4
	ds_write_b64 v3, v[4:5] offset:5120
.LBB77_109:                             ;   in Loop: Header=BB77_15 Depth=1
	s_or_b64 exec, exec, s[0:1]
	s_waitcnt lgkmcnt(0)
	s_barrier
	s_mov_b64 s[0:1], -1
	s_and_b64 vcc, exec, s[8:9]
	s_cbranch_vccnz .LBB77_30
	s_branch .LBB77_45
.LBB77_110:                             ;   in Loop: Header=BB77_15 Depth=1
	s_mov_b64 s[24:25], -1
                                        ; implicit-def: $sgpr20_sgpr21
.LBB77_111:                             ;   in Loop: Header=BB77_15 Depth=1
	s_andn2_b64 vcc, exec, s[24:25]
	v_readlane_b32 s92, v57, 43
	s_cbranch_vccnz .LBB77_113
; %bb.112:                              ;   in Loop: Header=BB77_15 Depth=1
	v_cvt_f32_u32_e32 v2, s82
	s_sub_i32 s20, 0, s82
	v_rcp_iflag_f32_e32 v2, v2
	s_nop 0
	v_mul_f32_e32 v2, 0x4f7ffffe, v2
	v_cvt_u32_f32_e32 v2, v2
	s_nop 0
	v_readfirstlane_b32 s21, v2
	s_mul_i32 s20, s20, s21
	s_mul_hi_u32 s20, s21, s20
	s_add_i32 s21, s21, s20
	s_mul_hi_u32 s20, s14, s21
	s_mul_i32 s20, s20, s82
	s_sub_i32 s20, s14, s20
	s_sub_i32 s21, s20, s82
	s_cmp_ge_u32 s20, s82
	s_cselect_b32 s20, s21, s20
	s_sub_i32 s21, s20, s82
	s_cmp_ge_u32 s20, s82
	s_cselect_b32 s86, s21, s20
	s_mov_b64 s[20:21], s[86:87]
.LBB77_113:                             ;   in Loop: Header=BB77_15 Depth=1
	s_sub_u32 s24, s14, s20
	s_subb_u32 s25, s93, s21
	v_cmp_gt_u64_e32 vcc, s[24:25], v[0:1]
                                        ; implicit-def: $vgpr36
	s_and_saveexec_b64 s[20:21], vcc
	s_cbranch_execz .LBB77_122
; %bb.114:                              ;   in Loop: Header=BB77_15 Depth=1
	s_mov_b64 s[26:27], 0
	v_mov_b64_e32 v[8:9], v[0:1]
                                        ; implicit-def: $sgpr28_sgpr29
	s_branch .LBB77_117
.LBB77_115:                             ;   in Loop: Header=BB77_117 Depth=2
	s_or_b64 exec, exec, s[30:31]
	s_waitcnt lgkmcnt(0)
	s_barrier
	ds_read_u16 v2, v3 offset:3072
	s_mov_b64 s[30:31], -1
	s_waitcnt lgkmcnt(0)
	s_barrier
	v_cmp_ne_u32_sdwa s[34:35], v2, v3 src0_sel:BYTE_0 src1_sel:DWORD
	s_and_b64 vcc, exec, s[34:35]
	s_mov_b64 s[34:35], -1
	s_cbranch_vccz .LBB77_120
.LBB77_116:                             ;   in Loop: Header=BB77_117 Depth=2
	s_and_b64 s[30:31], exec, s[30:31]
	s_or_b64 s[26:27], s[30:31], s[26:27]
	s_andn2_b64 s[28:29], s[28:29], exec
	s_and_b64 s[30:31], s[34:35], exec
	s_or_b64 s[28:29], s[28:29], s[30:31]
	s_andn2_b64 exec, exec, s[26:27]
	s_cbranch_execz .LBB77_121
.LBB77_117:                             ;   Parent Loop BB77_15 Depth=1
                                        ; =>  This Inner Loop Header: Depth=2
	v_cmp_gt_u64_e32 vcc, s[56:57], v[8:9]
	s_and_saveexec_b64 s[30:31], vcc
	s_cbranch_execz .LBB77_115
; %bb.118:                              ;   in Loop: Header=BB77_117 Depth=2
	v_mov_b64_e32 v[10:11], s[84:85]
	v_mad_u64_u32 v[10:11], s[34:35], v8, s72, v[10:11]
	v_mul_lo_u32 v2, v8, s73
	v_mul_lo_u32 v26, v9, s72
	v_add3_u32 v11, v26, v11, v2
	global_load_ubyte v2, v[10:11], off
	s_waitcnt vmcnt(0)
	v_bitop3_b32 v10, v2, s68, v35 bitop3:0x80
	v_cmp_eq_u32_e32 vcc, v10, v31
	s_and_b64 exec, exec, vcc
	s_cbranch_execz .LBB77_115
; %bb.119:                              ;   in Loop: Header=BB77_117 Depth=2
	v_lshlrev_b16_e32 v2, 8, v2
	v_or_b32_e32 v2, 1, v2
	ds_write_b16 v3, v2 offset:3072
	s_branch .LBB77_115
.LBB77_120:                             ;   in Loop: Header=BB77_117 Depth=2
	v_lshl_add_u64 v[8:9], v[8:9], 0, s[82:83]
	v_cmp_le_u64_e32 vcc, s[24:25], v[8:9]
	s_mov_b64 s[34:35], 0
	s_orn2_b64 s[30:31], vcc, exec
	s_branch .LBB77_116
.LBB77_121:                             ;   in Loop: Header=BB77_15 Depth=1
	s_or_b64 exec, exec, s[26:27]
	s_andn2_b64 s[8:9], s[8:9], exec
	s_and_b64 s[24:25], s[28:29], exec
	v_lshrrev_b32_sdwa v36, v34, v2 dst_sel:DWORD dst_unused:UNUSED_PAD src0_sel:DWORD src1_sel:WORD_0
	s_or_b64 s[8:9], s[8:9], s[24:25]
.LBB77_122:                             ;   in Loop: Header=BB77_15 Depth=1
	s_or_b64 exec, exec, s[20:21]
	s_mov_b64 s[20:21], 0
	s_mov_b64 s[24:25], -1
.LBB77_123:                             ;   in Loop: Header=BB77_15 Depth=1
	s_orn2_b64 s[8:9], s[8:9], exec
.LBB77_124:                             ;   in Loop: Header=BB77_15 Depth=1
	s_or_b64 exec, exec, s[16:17]
	s_andn2_b64 s[12:13], s[12:13], exec
	s_and_b64 s[16:17], s[24:25], exec
	s_or_b64 s[12:13], s[12:13], s[16:17]
	s_andn2_b64 s[16:17], s[70:71], exec
	s_and_b64 s[20:21], s[20:21], exec
	s_andn2_b64 s[10:11], s[10:11], exec
	s_or_b64 s[70:71], s[16:17], s[20:21]
                                        ; implicit-def: $vgpr8_vgpr9
	s_and_saveexec_b64 s[16:17], s[8:9]
	s_cbranch_execz .LBB77_14
; %bb.125:                              ;   in Loop: Header=BB77_15 Depth=1
	s_xor_b64 s[8:9], s[18:19], -1
	v_mov_b32_e32 v2, 1
	s_mov_b64 s[20:21], 0
	v_mov_b64_e32 v[8:9], 1
	s_and_saveexec_b64 s[0:1], s[8:9]
	s_cbranch_execz .LBB77_134
; %bb.126:                              ;   in Loop: Header=BB77_15 Depth=1
	v_cmp_le_u64_e32 vcc, v[24:25], v[4:5]
	s_and_saveexec_b64 s[8:9], vcc
	s_xor_b64 s[8:9], exec, s[8:9]
	s_cbranch_execz .LBB77_131
; %bb.127:                              ;   in Loop: Header=BB77_15 Depth=1
	ds_read_b64 v[8:9], v3 offset:5120
	v_and_b32_e32 v31, s54, v31
	v_or_b32_e32 v35, s66, v35
	s_waitcnt lgkmcnt(0)
	v_cmp_ne_u64_e32 vcc, 0, v[8:9]
	s_cbranch_vccnz .LBB77_131
; %bb.128:                              ;   in Loop: Header=BB77_15 Depth=1
	s_mov_b64 s[18:19], exec
	v_readlane_b32 s20, v57, 8
	v_readlane_b32 s21, v57, 9
	s_and_b64 s[20:21], s[18:19], s[20:21]
	s_mov_b64 exec, s[20:21]
; %bb.129:                              ;   in Loop: Header=BB77_15 Depth=1
	ds_write_b64 v3, v[4:5] offset:5128
; %bb.130:                              ;   in Loop: Header=BB77_15 Depth=1
	s_or_b64 exec, exec, s[18:19]
	s_waitcnt lgkmcnt(0)
	s_barrier
.LBB77_131:                             ;   in Loop: Header=BB77_15 Depth=1
	s_or_saveexec_b64 s[8:9], s[8:9]
	s_mov_b64 s[18:19], 0
	v_mov_b32_e32 v2, 8
	s_xor_b64 exec, exec, s[8:9]
; %bb.132:                              ;   in Loop: Header=BB77_15 Depth=1
	v_sub_co_u32_e32 v24, vcc, v24, v4
	s_mov_b64 s[18:19], exec
	s_nop 0
	v_subb_co_u32_e32 v25, vcc, v25, v5, vcc
	v_mov_b32_e32 v2, 0
; %bb.133:                              ;   in Loop: Header=BB77_15 Depth=1
	s_or_b64 exec, exec, s[8:9]
	s_and_b64 s[20:21], s[18:19], exec
	v_mov_b64_e32 v[8:9], v[24:25]
.LBB77_134:                             ;   in Loop: Header=BB77_15 Depth=1
	s_or_b64 exec, exec, s[0:1]
	s_mov_b64 s[18:19], -1
	s_mov_b64 s[8:9], -1
                                        ; implicit-def: $sgpr0_sgpr1
                                        ; implicit-def: $sgpr24_sgpr25
	s_and_saveexec_b64 s[26:27], s[20:21]
	s_xor_b64 s[20:21], exec, s[26:27]
	s_cbranch_execz .LBB77_279
; %bb.135:                              ;   in Loop: Header=BB77_15 Depth=1
	v_cmp_eq_u64_e32 vcc, 1, v[6:7]
	v_cmp_eq_u64_e64 s[0:1], 1, v[8:9]
	s_and_b64 s[28:29], vcc, s[0:1]
                                        ; implicit-def: $sgpr24_sgpr25
                                        ; implicit-def: $sgpr0_sgpr1
	s_and_saveexec_b64 s[26:27], s[28:29]
	s_cbranch_execz .LBB77_170
; %bb.136:                              ;   in Loop: Header=BB77_15 Depth=1
	ds_read_b64 v[4:5], v3 offset:5120
	s_waitcnt lgkmcnt(0)
	s_barrier
	v_readfirstlane_b32 s30, v4
	v_readfirstlane_b32 s31, v5
	s_and_saveexec_b64 s[0:1], s[98:99]
; %bb.137:                              ;   in Loop: Header=BB77_15 Depth=1
	ds_write_b8 v0, v3 offset:3072
; %bb.138:                              ;   in Loop: Header=BB77_15 Depth=1
	s_or_b64 exec, exec, s[0:1]
	v_and_b32_e32 v4, s54, v31
	v_lshl_or_b32 v31, 1, s7, v4
	v_or_b32_e32 v35, s66, v35
	s_mov_b64 s[0:1], -1
	s_mov_b64 s[24:25], 0
	s_cmp_eq_u64 s[30:31], 0
	s_mov_b64 s[8:9], 0
	s_mov_b64 s[34:35], -1
	s_waitcnt lgkmcnt(0)
	s_barrier
                                        ; implicit-def: $vgpr36
	s_cbranch_scc1 .LBB77_152
; %bb.139:                              ;   in Loop: Header=BB77_15 Depth=1
	v_readlane_b32 s8, v57, 30
	s_add_u32 s38, s30, s8
	v_readlane_b32 s8, v57, 31
	s_addc_u32 s9, s31, s8
	s_mov_b32 s8, s87
	s_cmp_lg_u64 s[8:9], 0
	s_cbranch_scc0 .LBB77_155
; %bb.140:                              ;   in Loop: Header=BB77_15 Depth=1
	v_cvt_f32_u32_e32 v4, s82
	s_sub_u32 s8, 0, s82
	s_subb_u32 s36, 0, 0
	v_fmac_f32_e32 v4, 0, v33
	v_rcp_f32_e32 v4, v4
	s_nop 0
	v_mul_f32_e32 v4, 0x5f7ffffc, v4
	v_mul_f32_e32 v5, 0x2f800000, v4
	v_trunc_f32_e32 v5, v5
	v_fmac_f32_e32 v4, 0xcf800000, v5
	v_cvt_u32_f32_e32 v5, v5
	v_cvt_u32_f32_e32 v4, v4
	v_readfirstlane_b32 s37, v5
	v_readfirstlane_b32 s34, v4
	s_mul_i32 s35, s8, s37
	s_mul_hi_u32 s40, s8, s34
	s_mul_i32 s39, s36, s34
	s_add_i32 s35, s40, s35
	s_mul_i32 s41, s8, s34
	s_add_i32 s35, s35, s39
	s_mul_hi_u32 s40, s34, s41
	s_mul_i32 s42, s34, s35
	s_mul_hi_u32 s39, s34, s35
	s_add_u32 s40, s40, s42
	s_addc_u32 s39, 0, s39
	s_mul_hi_u32 s43, s37, s41
	s_mul_i32 s41, s37, s41
	s_add_u32 s40, s40, s41
	s_mul_hi_u32 s42, s37, s35
	s_addc_u32 s39, s39, s43
	s_addc_u32 s40, s42, 0
	s_mul_i32 s35, s37, s35
	s_add_u32 s35, s39, s35
	s_addc_u32 s39, 0, s40
	s_add_u32 s40, s34, s35
	s_cselect_b64 s[34:35], -1, 0
	s_cmp_lg_u64 s[34:35], 0
	s_addc_u32 s37, s37, s39
	s_mul_i32 s34, s8, s37
	s_mul_hi_u32 s35, s8, s40
	s_add_i32 s34, s35, s34
	s_mul_i32 s36, s36, s40
	s_add_i32 s34, s34, s36
	s_mul_i32 s8, s8, s40
	s_mul_hi_u32 s36, s37, s8
	s_mul_i32 s39, s37, s8
	s_mul_i32 s42, s40, s34
	s_mul_hi_u32 s8, s40, s8
	s_mul_hi_u32 s41, s40, s34
	s_add_u32 s8, s8, s42
	s_addc_u32 s41, 0, s41
	s_add_u32 s8, s8, s39
	s_mul_hi_u32 s35, s37, s34
	s_addc_u32 s8, s41, s36
	s_addc_u32 s35, s35, 0
	s_mul_i32 s34, s37, s34
	s_add_u32 s8, s8, s34
	s_addc_u32 s36, 0, s35
	s_add_u32 s8, s40, s8
	s_cselect_b64 s[34:35], -1, 0
	s_cmp_lg_u64 s[34:35], 0
	s_addc_u32 s34, s37, s36
	s_mul_i32 s36, s38, s34
	s_mul_hi_u32 s37, s38, s8
	s_mul_hi_u32 s35, s38, s34
	s_add_u32 s36, s37, s36
	s_addc_u32 s35, 0, s35
	s_mul_hi_u32 s39, s9, s8
	s_mul_i32 s8, s9, s8
	s_add_u32 s8, s36, s8
	s_mul_hi_u32 s37, s9, s34
	s_addc_u32 s8, s35, s39
	s_addc_u32 s35, s37, 0
	s_mul_i32 s34, s9, s34
	s_add_u32 s8, s8, s34
	s_addc_u32 s34, 0, s35
	s_mul_i32 s34, s82, s34
	s_mul_hi_u32 s35, s82, s8
	s_add_i32 s36, s35, s34
	s_mul_i32 s8, s82, s8
	s_sub_u32 s8, s38, s8
	s_cselect_b64 s[34:35], -1, 0
	s_cmp_lg_u64 s[34:35], 0
	s_subb_u32 s36, s9, s36
	s_sub_u32 s37, s8, s82
	s_cselect_b64 s[34:35], -1, 0
	s_cmp_lg_u64 s[34:35], 0
	s_subb_u32 s39, s36, 0
	s_sub_u32 s40, s37, s82
	s_cselect_b64 s[34:35], -1, 0
	s_cmp_lg_u64 s[34:35], 0
	s_subb_u32 s34, s39, 0
	s_cmp_ge_u32 s37, s82
	s_cselect_b32 s35, -1, 0
	s_cmp_eq_u32 s39, 0
	s_cselect_b32 s35, s35, -1
	s_cmp_lg_u32 s35, 0
	s_cselect_b32 s34, s34, s39
	s_cselect_b32 s37, s40, s37
	s_cmp_ge_u32 s8, s82
	s_cselect_b32 s35, -1, 0
	s_cmp_eq_u32 s36, 0
	s_cselect_b32 s35, s35, -1
	s_cmp_lg_u32 s35, 0
	s_cselect_b32 s35, s34, s36
	s_cselect_b32 s34, s37, s8
	s_cbranch_execnz .LBB77_142
.LBB77_141:                             ;   in Loop: Header=BB77_15 Depth=1
	v_cvt_f32_u32_e32 v4, s82
	s_sub_i32 s8, 0, s82
	v_rcp_iflag_f32_e32 v4, v4
	s_nop 0
	v_mul_f32_e32 v4, 0x4f7ffffe, v4
	v_cvt_u32_f32_e32 v4, v4
	s_nop 0
	v_readfirstlane_b32 s34, v4
	s_mul_i32 s8, s8, s34
	s_mul_hi_u32 s8, s34, s8
	s_add_i32 s34, s34, s8
	s_mul_hi_u32 s8, s38, s34
	s_mul_i32 s8, s8, s82
	s_sub_i32 s8, s38, s8
	s_sub_i32 s34, s8, s82
	s_cmp_ge_u32 s8, s82
	s_cselect_b32 s8, s34, s8
	s_sub_i32 s34, s8, s82
	s_cmp_ge_u32 s8, s82
	s_cselect_b32 s86, s34, s8
	s_mov_b64 s[34:35], s[86:87]
.LBB77_142:                             ;   in Loop: Header=BB77_15 Depth=1
	s_sub_u32 s38, s38, s34
	s_subb_u32 s39, s9, s35
	v_cmp_gt_u64_e32 vcc, s[38:39], v[0:1]
	s_mov_b64 s[34:35], 0
	s_mov_b64 s[8:9], 0
                                        ; implicit-def: $vgpr36
	s_and_saveexec_b64 s[36:37], vcc
	s_cbranch_execz .LBB77_151
; %bb.143:                              ;   in Loop: Header=BB77_15 Depth=1
	v_mov_b32_e32 v10, v0
	v_mov_b64_e32 v[4:5], v[0:1]
                                        ; implicit-def: $sgpr40_sgpr41
	s_branch .LBB77_146
.LBB77_144:                             ;   in Loop: Header=BB77_146 Depth=2
	s_or_b64 exec, exec, s[42:43]
	s_waitcnt lgkmcnt(0)
	s_barrier
	ds_read_u16 v11, v3 offset:3072
	s_mov_b64 s[42:43], -1
	s_waitcnt lgkmcnt(0)
	s_barrier
	v_cmp_ne_u32_sdwa s[44:45], v11, v3 src0_sel:BYTE_0 src1_sel:DWORD
	s_and_b64 vcc, exec, s[44:45]
	s_mov_b64 s[44:45], -1
	s_cbranch_vccz .LBB77_149
.LBB77_145:                             ;   in Loop: Header=BB77_146 Depth=2
	s_and_b64 s[42:43], exec, s[42:43]
	s_or_b64 s[8:9], s[42:43], s[8:9]
	s_andn2_b64 s[40:41], s[40:41], exec
	s_and_b64 s[42:43], s[44:45], exec
	s_or_b64 s[40:41], s[40:41], s[42:43]
	s_andn2_b64 exec, exec, s[8:9]
	s_cbranch_execz .LBB77_150
.LBB77_146:                             ;   Parent Loop BB77_15 Depth=1
                                        ; =>  This Inner Loop Header: Depth=2
	v_cmp_gt_u64_e32 vcc, s[30:31], v[4:5]
	s_and_saveexec_b64 s[42:43], vcc
	s_cbranch_execz .LBB77_144
; %bb.147:                              ;   in Loop: Header=BB77_146 Depth=2
	ds_read_u8 v11, v10
	s_waitcnt lgkmcnt(0)
	v_bitop3_b32 v24, v11, s68, v35 bitop3:0x80
	v_cmp_eq_u32_e32 vcc, v24, v31
	s_and_b64 exec, exec, vcc
	s_cbranch_execz .LBB77_144
; %bb.148:                              ;   in Loop: Header=BB77_146 Depth=2
	v_lshlrev_b16_e32 v11, 8, v11
	v_or_b32_e32 v11, 1, v11
	ds_write_b16 v3, v11 offset:3072
	s_branch .LBB77_144
.LBB77_149:                             ;   in Loop: Header=BB77_146 Depth=2
	v_lshl_add_u64 v[4:5], v[4:5], 0, s[82:83]
	v_cmp_le_u64_e32 vcc, s[38:39], v[4:5]
	v_add_u32_e32 v10, s82, v10
	s_mov_b64 s[44:45], 0
	s_orn2_b64 s[42:43], vcc, exec
	s_branch .LBB77_145
.LBB77_150:                             ;   in Loop: Header=BB77_15 Depth=1
	s_or_b64 exec, exec, s[8:9]
	v_lshrrev_b32_sdwa v36, v34, v11 dst_sel:DWORD dst_unused:UNUSED_PAD src0_sel:DWORD src1_sel:WORD_0
	s_and_b64 s[8:9], s[40:41], exec
.LBB77_151:                             ;   in Loop: Header=BB77_15 Depth=1
	s_or_b64 exec, exec, s[36:37]
.LBB77_152:                             ;   in Loop: Header=BB77_15 Depth=1
	s_and_b64 vcc, exec, s[34:35]
	s_cbranch_vccz .LBB77_169
; %bb.153:                              ;   in Loop: Header=BB77_15 Depth=1
	s_mov_b32 s92, s87
	s_cmp_lg_u64 s[92:93], 0
	s_cbranch_scc0 .LBB77_156
; %bb.154:                              ;   in Loop: Header=BB77_15 Depth=1
	v_cvt_f32_u32_e32 v4, s82
	s_sub_u32 s24, 0, s82
	s_subb_u32 s25, 0, 0
	v_fmac_f32_e32 v4, 0, v33
	v_rcp_f32_e32 v4, v4
	s_nop 0
	v_mul_f32_e32 v4, 0x5f7ffffc, v4
	v_mul_f32_e32 v5, 0x2f800000, v4
	v_trunc_f32_e32 v5, v5
	v_fmac_f32_e32 v4, 0xcf800000, v5
	v_cvt_u32_f32_e32 v5, v5
	v_cvt_u32_f32_e32 v4, v4
	v_readfirstlane_b32 s30, v5
	v_readfirstlane_b32 s0, v4
	s_mul_i32 s1, s24, s30
	s_mul_hi_u32 s34, s24, s0
	s_mul_i32 s31, s25, s0
	s_add_i32 s1, s34, s1
	s_mul_i32 s35, s24, s0
	s_add_i32 s1, s1, s31
	s_mul_hi_u32 s34, s0, s35
	s_mul_i32 s36, s0, s1
	s_mul_hi_u32 s31, s0, s1
	s_add_u32 s34, s34, s36
	s_addc_u32 s31, 0, s31
	s_mul_hi_u32 s37, s30, s35
	s_mul_i32 s35, s30, s35
	s_add_u32 s34, s34, s35
	s_mul_hi_u32 s36, s30, s1
	s_addc_u32 s31, s31, s37
	s_addc_u32 s34, s36, 0
	s_mul_i32 s1, s30, s1
	s_add_u32 s1, s31, s1
	s_addc_u32 s31, 0, s34
	s_add_u32 s34, s0, s1
	s_cselect_b64 s[0:1], -1, 0
	s_cmp_lg_u64 s[0:1], 0
	s_addc_u32 s30, s30, s31
	s_mul_i32 s0, s24, s30
	s_mul_hi_u32 s1, s24, s34
	s_add_i32 s0, s1, s0
	s_mul_i32 s25, s25, s34
	s_add_i32 s0, s0, s25
	s_mul_i32 s24, s24, s34
	s_mul_hi_u32 s25, s30, s24
	s_mul_i32 s31, s30, s24
	s_mul_i32 s36, s34, s0
	s_mul_hi_u32 s24, s34, s24
	s_mul_hi_u32 s35, s34, s0
	s_add_u32 s24, s24, s36
	s_addc_u32 s35, 0, s35
	s_add_u32 s24, s24, s31
	s_mul_hi_u32 s1, s30, s0
	s_addc_u32 s24, s35, s25
	s_addc_u32 s1, s1, 0
	s_mul_i32 s0, s30, s0
	s_add_u32 s0, s24, s0
	s_addc_u32 s24, 0, s1
	s_add_u32 s25, s34, s0
	s_cselect_b64 s[0:1], -1, 0
	s_cmp_lg_u64 s[0:1], 0
	s_addc_u32 s0, s30, s24
	s_mul_i32 s24, s14, s0
	s_mul_hi_u32 s30, s14, s25
	s_mul_hi_u32 s1, s14, s0
	s_add_u32 s24, s30, s24
	s_addc_u32 s1, 0, s1
	s_mul_hi_u32 s31, s93, s25
	s_mul_i32 s25, s93, s25
	s_add_u32 s24, s24, s25
	s_mul_hi_u32 s30, s93, s0
	s_addc_u32 s1, s1, s31
	s_addc_u32 s24, s30, 0
	s_mul_i32 s0, s93, s0
	s_add_u32 s0, s1, s0
	s_addc_u32 s1, 0, s24
	s_mul_i32 s1, s82, s1
	s_mul_hi_u32 s24, s82, s0
	s_add_i32 s24, s24, s1
	s_mul_i32 s0, s82, s0
	s_sub_u32 s25, s14, s0
	s_cselect_b64 s[0:1], -1, 0
	s_cmp_lg_u64 s[0:1], 0
	s_subb_u32 s24, s93, s24
	s_sub_u32 s30, s25, s82
	s_cselect_b64 s[0:1], -1, 0
	s_cmp_lg_u64 s[0:1], 0
	s_subb_u32 s31, s24, 0
	;; [unrolled: 4-line block ×3, first 2 shown]
	s_cmp_ge_u32 s30, s82
	s_cselect_b32 s1, -1, 0
	s_cmp_eq_u32 s31, 0
	s_cselect_b32 s1, s1, -1
	s_cmp_lg_u32 s1, 0
	s_cselect_b32 s0, s0, s31
	s_cselect_b32 s30, s34, s30
	s_cmp_ge_u32 s25, s82
	s_cselect_b32 s1, -1, 0
	s_cmp_eq_u32 s24, 0
	s_cselect_b32 s1, s1, -1
	s_cmp_lg_u32 s1, 0
	s_cselect_b32 s1, s0, s24
	s_cselect_b32 s0, s30, s25
	s_mov_b64 s[24:25], 0
	s_branch .LBB77_157
.LBB77_155:                             ;   in Loop: Header=BB77_15 Depth=1
                                        ; implicit-def: $sgpr34_sgpr35
	s_branch .LBB77_141
.LBB77_156:                             ;   in Loop: Header=BB77_15 Depth=1
	s_mov_b64 s[24:25], -1
                                        ; implicit-def: $sgpr0_sgpr1
.LBB77_157:                             ;   in Loop: Header=BB77_15 Depth=1
	s_andn2_b64 vcc, exec, s[24:25]
	v_readlane_b32 s92, v57, 43
	s_cbranch_vccnz .LBB77_159
; %bb.158:                              ;   in Loop: Header=BB77_15 Depth=1
	v_cvt_f32_u32_e32 v4, s82
	s_sub_i32 s0, 0, s82
	v_rcp_iflag_f32_e32 v4, v4
	s_nop 0
	v_mul_f32_e32 v4, 0x4f7ffffe, v4
	v_cvt_u32_f32_e32 v4, v4
	s_nop 0
	v_readfirstlane_b32 s1, v4
	s_mul_i32 s0, s0, s1
	s_mul_hi_u32 s0, s1, s0
	s_add_i32 s1, s1, s0
	s_mul_hi_u32 s0, s14, s1
	s_mul_i32 s0, s0, s82
	s_sub_i32 s0, s14, s0
	s_sub_i32 s1, s0, s82
	s_cmp_ge_u32 s0, s82
	s_cselect_b32 s0, s1, s0
	s_sub_i32 s1, s0, s82
	s_cmp_ge_u32 s0, s82
	s_cselect_b32 s86, s1, s0
	s_mov_b64 s[0:1], s[86:87]
.LBB77_159:                             ;   in Loop: Header=BB77_15 Depth=1
	s_sub_u32 s24, s14, s0
	s_subb_u32 s25, s93, s1
	v_cmp_gt_u64_e32 vcc, s[24:25], v[0:1]
                                        ; implicit-def: $vgpr36
	s_and_saveexec_b64 s[0:1], vcc
	s_cbranch_execz .LBB77_168
; %bb.160:                              ;   in Loop: Header=BB77_15 Depth=1
	s_mov_b64 s[30:31], 0
	v_mov_b64_e32 v[4:5], v[0:1]
                                        ; implicit-def: $sgpr34_sgpr35
	s_branch .LBB77_163
.LBB77_161:                             ;   in Loop: Header=BB77_163 Depth=2
	s_or_b64 exec, exec, s[36:37]
	s_waitcnt lgkmcnt(0)
	s_barrier
	ds_read_u16 v10, v3 offset:3072
	s_mov_b64 s[36:37], -1
	s_waitcnt lgkmcnt(0)
	s_barrier
	v_cmp_eq_u32_sdwa s[38:39], v10, v3 src0_sel:BYTE_0 src1_sel:DWORD
	s_and_b64 vcc, exec, s[38:39]
	s_mov_b64 s[38:39], -1
	s_cbranch_vccnz .LBB77_166
.LBB77_162:                             ;   in Loop: Header=BB77_163 Depth=2
	s_and_b64 s[36:37], exec, s[36:37]
	s_or_b64 s[30:31], s[36:37], s[30:31]
	s_andn2_b64 s[34:35], s[34:35], exec
	s_and_b64 s[36:37], s[38:39], exec
	s_or_b64 s[34:35], s[34:35], s[36:37]
	s_andn2_b64 exec, exec, s[30:31]
	s_cbranch_execz .LBB77_167
.LBB77_163:                             ;   Parent Loop BB77_15 Depth=1
                                        ; =>  This Inner Loop Header: Depth=2
	v_cmp_gt_u64_e32 vcc, s[56:57], v[4:5]
	s_and_saveexec_b64 s[36:37], vcc
	s_cbranch_execz .LBB77_161
; %bb.164:                              ;   in Loop: Header=BB77_163 Depth=2
	v_mov_b64_e32 v[10:11], s[84:85]
	v_mad_u64_u32 v[10:11], s[38:39], v4, s72, v[10:11]
	v_mul_lo_u32 v24, v4, s73
	v_mul_lo_u32 v25, v5, s72
	v_add3_u32 v11, v25, v11, v24
	global_load_ubyte v10, v[10:11], off
	s_waitcnt vmcnt(0)
	v_bitop3_b32 v11, v10, s68, v35 bitop3:0x80
	v_cmp_eq_u32_e32 vcc, v11, v31
	s_and_b64 exec, exec, vcc
	s_cbranch_execz .LBB77_161
; %bb.165:                              ;   in Loop: Header=BB77_163 Depth=2
	v_lshlrev_b16_e32 v10, 8, v10
	v_or_b32_e32 v10, 1, v10
	ds_write_b16 v3, v10 offset:3072
	s_branch .LBB77_161
.LBB77_166:                             ;   in Loop: Header=BB77_163 Depth=2
	v_lshl_add_u64 v[4:5], v[4:5], 0, s[82:83]
	v_cmp_le_u64_e32 vcc, s[24:25], v[4:5]
	s_mov_b64 s[38:39], 0
	s_orn2_b64 s[36:37], vcc, exec
	s_branch .LBB77_162
.LBB77_167:                             ;   in Loop: Header=BB77_15 Depth=1
	s_or_b64 exec, exec, s[30:31]
	s_andn2_b64 s[8:9], s[8:9], exec
	s_and_b64 s[24:25], s[34:35], exec
	v_lshrrev_b32_sdwa v36, v34, v10 dst_sel:DWORD dst_unused:UNUSED_PAD src0_sel:DWORD src1_sel:WORD_0
	s_or_b64 s[8:9], s[8:9], s[24:25]
.LBB77_168:                             ;   in Loop: Header=BB77_15 Depth=1
	s_or_b64 exec, exec, s[0:1]
	s_mov_b64 s[0:1], 0
	s_mov_b64 s[24:25], -1
.LBB77_169:                             ;   in Loop: Header=BB77_15 Depth=1
	s_orn2_b64 s[8:9], s[8:9], exec
.LBB77_170:                             ;   in Loop: Header=BB77_15 Depth=1
	s_or_b64 exec, exec, s[26:27]
	s_mov_b64 s[30:31], 0
	s_and_saveexec_b64 s[26:27], s[8:9]
	s_cbranch_execz .LBB77_278
; %bb.171:                              ;   in Loop: Header=BB77_15 Depth=1
	s_xor_b64 s[28:29], s[28:29], -1
	v_mov_b32_e32 v2, 1
	v_mov_b64_e32 v[4:5], 1
	s_and_saveexec_b64 s[8:9], s[28:29]
	s_cbranch_execz .LBB77_181
; %bb.172:                              ;   in Loop: Header=BB77_15 Depth=1
	v_cmp_le_u64_e32 vcc, v[8:9], v[6:7]
	s_and_saveexec_b64 s[28:29], vcc
	s_xor_b64 s[28:29], exec, s[28:29]
	s_cbranch_execz .LBB77_178
; %bb.173:                              ;   in Loop: Header=BB77_15 Depth=1
	ds_read_b64 v[4:5], v3 offset:5120
	v_and_b32_e32 v2, s54, v31
	v_lshl_or_b32 v31, 1, s7, v2
	v_or_b32_e32 v35, s66, v35
	s_waitcnt lgkmcnt(0)
	v_cmp_ne_u64_e32 vcc, 0, v[4:5]
	s_cbranch_vccnz .LBB77_177
; %bb.174:                              ;   in Loop: Header=BB77_15 Depth=1
	s_mov_b64 s[30:31], exec
	v_readlane_b32 s34, v57, 8
	v_readlane_b32 s35, v57, 9
	s_and_b64 s[34:35], s[30:31], s[34:35]
	s_mov_b64 exec, s[34:35]
; %bb.175:                              ;   in Loop: Header=BB77_15 Depth=1
	ds_write_b64 v3, v[6:7] offset:5128
; %bb.176:                              ;   in Loop: Header=BB77_15 Depth=1
	s_or_b64 exec, exec, s[30:31]
	s_waitcnt lgkmcnt(0)
	s_barrier
.LBB77_177:                             ;   in Loop: Header=BB77_15 Depth=1
                                        ; implicit-def: $vgpr4_vgpr5_vgpr6_vgpr7
.LBB77_178:                             ;   in Loop: Header=BB77_15 Depth=1
	s_or_saveexec_b64 s[28:29], s[28:29]
	s_mov_b64 s[30:31], 0
	v_mov_b32_e32 v2, 8
	s_xor_b64 exec, exec, s[28:29]
; %bb.179:                              ;   in Loop: Header=BB77_15 Depth=1
	v_sub_co_u32_e32 v8, vcc, v8, v6
	s_mov_b64 s[30:31], exec
	s_nop 0
	v_subb_co_u32_e32 v9, vcc, v9, v7, vcc
	v_mov_b32_e32 v2, 0
; %bb.180:                              ;   in Loop: Header=BB77_15 Depth=1
	s_or_b64 exec, exec, s[28:29]
	s_and_b64 s[30:31], s[30:31], exec
	v_mov_b64_e32 v[4:5], v[8:9]
.LBB77_181:                             ;   in Loop: Header=BB77_15 Depth=1
	s_or_b64 exec, exec, s[8:9]
	s_mov_b64 s[8:9], -1
                                        ; implicit-def: $sgpr34_sgpr35
                                        ; implicit-def: $sgpr36_sgpr37
	s_and_saveexec_b64 s[28:29], s[30:31]
	s_cbranch_execz .LBB77_277
; %bb.182:                              ;   in Loop: Header=BB77_15 Depth=1
	s_cmp_eq_u64 s[22:23], 1
	s_cselect_b64 s[8:9], -1, 0
	v_cmp_eq_u64_e32 vcc, 1, v[4:5]
	s_and_b64 s[40:41], s[8:9], vcc
	s_mov_b64 s[8:9], -1
                                        ; implicit-def: $sgpr36_sgpr37
                                        ; implicit-def: $sgpr34_sgpr35
	s_and_saveexec_b64 s[38:39], s[40:41]
	s_cbranch_execz .LBB77_217
; %bb.183:                              ;   in Loop: Header=BB77_15 Depth=1
	ds_read_b64 v[6:7], v3 offset:5120
	s_waitcnt lgkmcnt(0)
	s_barrier
	v_readfirstlane_b32 s30, v6
	v_readfirstlane_b32 s31, v7
	s_and_saveexec_b64 s[8:9], s[98:99]
; %bb.184:                              ;   in Loop: Header=BB77_15 Depth=1
	ds_write_b8 v0, v3 offset:3072
; %bb.185:                              ;   in Loop: Header=BB77_15 Depth=1
	s_or_b64 exec, exec, s[8:9]
	v_and_b32_e32 v6, s54, v31
	v_lshl_or_b32 v31, 2, s7, v6
	v_or_b32_e32 v35, s66, v35
	s_mov_b64 s[34:35], -1
	s_mov_b64 s[36:37], 0
	s_cmp_eq_u64 s[30:31], 0
	s_mov_b64 s[8:9], 0
	s_mov_b64 s[42:43], -1
	s_waitcnt lgkmcnt(0)
	s_barrier
                                        ; implicit-def: $vgpr36
	s_cbranch_scc1 .LBB77_199
; %bb.186:                              ;   in Loop: Header=BB77_15 Depth=1
	v_readlane_b32 s8, v57, 30
	s_add_u32 s46, s30, s8
	v_readlane_b32 s8, v57, 31
	s_addc_u32 s9, s31, s8
	s_mov_b32 s8, s87
	s_cmp_lg_u64 s[8:9], 0
	s_cbranch_scc0 .LBB77_202
; %bb.187:                              ;   in Loop: Header=BB77_15 Depth=1
	v_cvt_f32_u32_e32 v6, s82
	s_sub_u32 s8, 0, s82
	s_subb_u32 s44, 0, 0
	v_fmac_f32_e32 v6, 0, v33
	v_rcp_f32_e32 v6, v6
	s_nop 0
	v_mul_f32_e32 v6, 0x5f7ffffc, v6
	v_mul_f32_e32 v7, 0x2f800000, v6
	v_trunc_f32_e32 v7, v7
	v_fmac_f32_e32 v6, 0xcf800000, v7
	v_cvt_u32_f32_e32 v7, v7
	v_cvt_u32_f32_e32 v6, v6
	v_readfirstlane_b32 s45, v7
	v_readfirstlane_b32 s42, v6
	s_mul_i32 s43, s8, s45
	s_mul_hi_u32 s48, s8, s42
	s_mul_i32 s47, s44, s42
	s_add_i32 s43, s48, s43
	s_mul_i32 s49, s8, s42
	s_add_i32 s43, s43, s47
	s_mul_hi_u32 s48, s42, s49
	s_mul_i32 s50, s42, s43
	s_mul_hi_u32 s47, s42, s43
	s_add_u32 s48, s48, s50
	s_addc_u32 s47, 0, s47
	s_mul_hi_u32 s51, s45, s49
	s_mul_i32 s49, s45, s49
	s_add_u32 s48, s48, s49
	s_mul_hi_u32 s50, s45, s43
	s_addc_u32 s47, s47, s51
	s_addc_u32 s48, s50, 0
	s_mul_i32 s43, s45, s43
	s_add_u32 s43, s47, s43
	s_addc_u32 s47, 0, s48
	s_add_u32 s48, s42, s43
	s_cselect_b64 s[42:43], -1, 0
	s_cmp_lg_u64 s[42:43], 0
	s_addc_u32 s45, s45, s47
	s_mul_i32 s42, s8, s45
	s_mul_hi_u32 s43, s8, s48
	s_add_i32 s42, s43, s42
	s_mul_i32 s44, s44, s48
	s_add_i32 s42, s42, s44
	s_mul_i32 s8, s8, s48
	s_mul_hi_u32 s44, s45, s8
	s_mul_i32 s47, s45, s8
	s_mul_i32 s50, s48, s42
	s_mul_hi_u32 s8, s48, s8
	s_mul_hi_u32 s49, s48, s42
	s_add_u32 s8, s8, s50
	s_addc_u32 s49, 0, s49
	s_add_u32 s8, s8, s47
	s_mul_hi_u32 s43, s45, s42
	s_addc_u32 s8, s49, s44
	s_addc_u32 s43, s43, 0
	s_mul_i32 s42, s45, s42
	s_add_u32 s8, s8, s42
	s_addc_u32 s44, 0, s43
	s_add_u32 s8, s48, s8
	s_cselect_b64 s[42:43], -1, 0
	s_cmp_lg_u64 s[42:43], 0
	s_addc_u32 s42, s45, s44
	s_mul_i32 s44, s46, s42
	s_mul_hi_u32 s45, s46, s8
	s_mul_hi_u32 s43, s46, s42
	s_add_u32 s44, s45, s44
	s_addc_u32 s43, 0, s43
	s_mul_hi_u32 s47, s9, s8
	s_mul_i32 s8, s9, s8
	s_add_u32 s8, s44, s8
	s_mul_hi_u32 s45, s9, s42
	s_addc_u32 s8, s43, s47
	s_addc_u32 s43, s45, 0
	s_mul_i32 s42, s9, s42
	s_add_u32 s8, s8, s42
	s_addc_u32 s42, 0, s43
	s_mul_i32 s42, s82, s42
	s_mul_hi_u32 s43, s82, s8
	s_add_i32 s44, s43, s42
	s_mul_i32 s8, s82, s8
	s_sub_u32 s8, s46, s8
	s_cselect_b64 s[42:43], -1, 0
	s_cmp_lg_u64 s[42:43], 0
	s_subb_u32 s44, s9, s44
	s_sub_u32 s45, s8, s82
	s_cselect_b64 s[42:43], -1, 0
	s_cmp_lg_u64 s[42:43], 0
	s_subb_u32 s47, s44, 0
	;; [unrolled: 4-line block ×3, first 2 shown]
	s_cmp_ge_u32 s45, s82
	s_cselect_b32 s43, -1, 0
	s_cmp_eq_u32 s47, 0
	s_cselect_b32 s43, s43, -1
	s_cmp_lg_u32 s43, 0
	s_cselect_b32 s42, s42, s47
	s_cselect_b32 s45, s48, s45
	s_cmp_ge_u32 s8, s82
	s_cselect_b32 s43, -1, 0
	s_cmp_eq_u32 s44, 0
	s_cselect_b32 s43, s43, -1
	s_cmp_lg_u32 s43, 0
	s_cselect_b32 s43, s42, s44
	s_cselect_b32 s42, s45, s8
	s_cbranch_execnz .LBB77_189
.LBB77_188:                             ;   in Loop: Header=BB77_15 Depth=1
	v_cvt_f32_u32_e32 v6, s82
	s_sub_i32 s8, 0, s82
	v_rcp_iflag_f32_e32 v6, v6
	s_nop 0
	v_mul_f32_e32 v6, 0x4f7ffffe, v6
	v_cvt_u32_f32_e32 v6, v6
	s_nop 0
	v_readfirstlane_b32 s42, v6
	s_mul_i32 s8, s8, s42
	s_mul_hi_u32 s8, s42, s8
	s_add_i32 s42, s42, s8
	s_mul_hi_u32 s8, s46, s42
	s_mul_i32 s8, s8, s82
	s_sub_i32 s8, s46, s8
	s_sub_i32 s42, s8, s82
	s_cmp_ge_u32 s8, s82
	s_cselect_b32 s8, s42, s8
	s_sub_i32 s42, s8, s82
	s_cmp_ge_u32 s8, s82
	s_cselect_b32 s86, s42, s8
	s_mov_b64 s[42:43], s[86:87]
.LBB77_189:                             ;   in Loop: Header=BB77_15 Depth=1
	s_sub_u32 s46, s46, s42
	s_subb_u32 s47, s9, s43
	v_cmp_gt_u64_e32 vcc, s[46:47], v[0:1]
	s_mov_b64 s[42:43], 0
	s_mov_b64 s[8:9], 0
                                        ; implicit-def: $vgpr36
	s_and_saveexec_b64 s[44:45], vcc
	s_cbranch_execz .LBB77_198
; %bb.190:                              ;   in Loop: Header=BB77_15 Depth=1
	v_mov_b32_e32 v8, v0
	v_mov_b64_e32 v[6:7], v[0:1]
                                        ; implicit-def: $sgpr48_sgpr49
	s_branch .LBB77_193
.LBB77_191:                             ;   in Loop: Header=BB77_193 Depth=2
	s_or_b64 exec, exec, s[50:51]
	s_waitcnt lgkmcnt(0)
	s_barrier
	ds_read_u16 v9, v3 offset:3072
	s_mov_b64 s[50:51], -1
	s_waitcnt lgkmcnt(0)
	s_barrier
	v_cmp_ne_u32_sdwa s[52:53], v9, v3 src0_sel:BYTE_0 src1_sel:DWORD
	s_and_b64 vcc, exec, s[52:53]
	s_mov_b64 s[52:53], -1
	s_cbranch_vccz .LBB77_196
.LBB77_192:                             ;   in Loop: Header=BB77_193 Depth=2
	s_and_b64 s[50:51], exec, s[50:51]
	s_or_b64 s[8:9], s[50:51], s[8:9]
	s_andn2_b64 s[48:49], s[48:49], exec
	s_and_b64 s[50:51], s[52:53], exec
	s_or_b64 s[48:49], s[48:49], s[50:51]
	s_andn2_b64 exec, exec, s[8:9]
	s_cbranch_execz .LBB77_197
.LBB77_193:                             ;   Parent Loop BB77_15 Depth=1
                                        ; =>  This Inner Loop Header: Depth=2
	v_cmp_gt_u64_e32 vcc, s[30:31], v[6:7]
	s_and_saveexec_b64 s[50:51], vcc
	s_cbranch_execz .LBB77_191
; %bb.194:                              ;   in Loop: Header=BB77_193 Depth=2
	ds_read_u8 v9, v8
	s_waitcnt lgkmcnt(0)
	v_bitop3_b32 v10, v9, s68, v35 bitop3:0x80
	v_cmp_eq_u32_e32 vcc, v10, v31
	s_and_b64 exec, exec, vcc
	s_cbranch_execz .LBB77_191
; %bb.195:                              ;   in Loop: Header=BB77_193 Depth=2
	v_lshlrev_b16_e32 v9, 8, v9
	v_or_b32_e32 v9, 1, v9
	ds_write_b16 v3, v9 offset:3072
	s_branch .LBB77_191
.LBB77_196:                             ;   in Loop: Header=BB77_193 Depth=2
	v_lshl_add_u64 v[6:7], v[6:7], 0, s[82:83]
	v_cmp_le_u64_e32 vcc, s[46:47], v[6:7]
	v_add_u32_e32 v8, s82, v8
	s_mov_b64 s[52:53], 0
	s_orn2_b64 s[50:51], vcc, exec
	s_branch .LBB77_192
.LBB77_197:                             ;   in Loop: Header=BB77_15 Depth=1
	s_or_b64 exec, exec, s[8:9]
	v_lshrrev_b32_sdwa v36, v34, v9 dst_sel:DWORD dst_unused:UNUSED_PAD src0_sel:DWORD src1_sel:WORD_0
	s_and_b64 s[8:9], s[48:49], exec
.LBB77_198:                             ;   in Loop: Header=BB77_15 Depth=1
	s_or_b64 exec, exec, s[44:45]
.LBB77_199:                             ;   in Loop: Header=BB77_15 Depth=1
	s_and_b64 vcc, exec, s[42:43]
	s_cbranch_vccz .LBB77_216
; %bb.200:                              ;   in Loop: Header=BB77_15 Depth=1
	s_mov_b32 s92, s87
	s_cmp_lg_u64 s[92:93], 0
	s_cbranch_scc0 .LBB77_203
; %bb.201:                              ;   in Loop: Header=BB77_15 Depth=1
	v_cvt_f32_u32_e32 v6, s82
	s_sub_u32 s34, 0, s82
	s_subb_u32 s35, 0, 0
	v_fmac_f32_e32 v6, 0, v33
	v_rcp_f32_e32 v6, v6
	s_nop 0
	v_mul_f32_e32 v6, 0x5f7ffffc, v6
	v_mul_f32_e32 v7, 0x2f800000, v6
	v_trunc_f32_e32 v7, v7
	v_fmac_f32_e32 v6, 0xcf800000, v7
	v_cvt_u32_f32_e32 v7, v7
	v_cvt_u32_f32_e32 v6, v6
	v_readfirstlane_b32 s36, v7
	v_readfirstlane_b32 s30, v6
	s_mul_i32 s31, s34, s36
	s_mul_hi_u32 s42, s34, s30
	s_mul_i32 s37, s35, s30
	s_add_i32 s31, s42, s31
	s_mul_i32 s43, s34, s30
	s_add_i32 s31, s31, s37
	s_mul_hi_u32 s42, s30, s43
	s_mul_i32 s44, s30, s31
	s_mul_hi_u32 s37, s30, s31
	s_add_u32 s42, s42, s44
	s_addc_u32 s37, 0, s37
	s_mul_hi_u32 s45, s36, s43
	s_mul_i32 s43, s36, s43
	s_add_u32 s42, s42, s43
	s_mul_hi_u32 s44, s36, s31
	s_addc_u32 s37, s37, s45
	s_addc_u32 s42, s44, 0
	s_mul_i32 s31, s36, s31
	s_add_u32 s31, s37, s31
	s_addc_u32 s37, 0, s42
	s_add_u32 s42, s30, s31
	s_cselect_b64 s[30:31], -1, 0
	s_cmp_lg_u64 s[30:31], 0
	s_addc_u32 s36, s36, s37
	s_mul_i32 s30, s34, s36
	s_mul_hi_u32 s31, s34, s42
	s_add_i32 s30, s31, s30
	s_mul_i32 s35, s35, s42
	s_add_i32 s30, s30, s35
	s_mul_i32 s34, s34, s42
	s_mul_hi_u32 s35, s36, s34
	s_mul_i32 s37, s36, s34
	s_mul_i32 s44, s42, s30
	s_mul_hi_u32 s34, s42, s34
	s_mul_hi_u32 s43, s42, s30
	s_add_u32 s34, s34, s44
	s_addc_u32 s43, 0, s43
	s_add_u32 s34, s34, s37
	s_mul_hi_u32 s31, s36, s30
	s_addc_u32 s34, s43, s35
	s_addc_u32 s31, s31, 0
	s_mul_i32 s30, s36, s30
	s_add_u32 s30, s34, s30
	s_addc_u32 s34, 0, s31
	s_add_u32 s35, s42, s30
	s_cselect_b64 s[30:31], -1, 0
	s_cmp_lg_u64 s[30:31], 0
	s_addc_u32 s30, s36, s34
	s_mul_i32 s34, s14, s30
	s_mul_hi_u32 s36, s14, s35
	s_mul_hi_u32 s31, s14, s30
	s_add_u32 s34, s36, s34
	s_addc_u32 s31, 0, s31
	s_mul_hi_u32 s37, s93, s35
	s_mul_i32 s35, s93, s35
	s_add_u32 s34, s34, s35
	s_mul_hi_u32 s36, s93, s30
	s_addc_u32 s31, s31, s37
	s_addc_u32 s34, s36, 0
	s_mul_i32 s30, s93, s30
	s_add_u32 s30, s31, s30
	s_addc_u32 s31, 0, s34
	s_mul_i32 s31, s82, s31
	s_mul_hi_u32 s34, s82, s30
	s_add_i32 s34, s34, s31
	s_mul_i32 s30, s82, s30
	s_sub_u32 s35, s14, s30
	s_cselect_b64 s[30:31], -1, 0
	s_cmp_lg_u64 s[30:31], 0
	s_subb_u32 s34, s93, s34
	s_sub_u32 s36, s35, s82
	s_cselect_b64 s[30:31], -1, 0
	s_cmp_lg_u64 s[30:31], 0
	s_subb_u32 s37, s34, 0
	;; [unrolled: 4-line block ×3, first 2 shown]
	s_cmp_ge_u32 s36, s82
	s_cselect_b32 s31, -1, 0
	s_cmp_eq_u32 s37, 0
	s_cselect_b32 s31, s31, -1
	s_cmp_lg_u32 s31, 0
	s_cselect_b32 s30, s30, s37
	s_cselect_b32 s36, s42, s36
	s_cmp_ge_u32 s35, s82
	s_cselect_b32 s31, -1, 0
	s_cmp_eq_u32 s34, 0
	s_cselect_b32 s31, s31, -1
	s_cmp_lg_u32 s31, 0
	s_cselect_b32 s31, s30, s34
	s_cselect_b32 s30, s36, s35
	s_mov_b64 s[34:35], 0
	s_branch .LBB77_204
.LBB77_202:                             ;   in Loop: Header=BB77_15 Depth=1
                                        ; implicit-def: $sgpr42_sgpr43
	s_branch .LBB77_188
.LBB77_203:                             ;   in Loop: Header=BB77_15 Depth=1
	s_mov_b64 s[34:35], -1
                                        ; implicit-def: $sgpr30_sgpr31
.LBB77_204:                             ;   in Loop: Header=BB77_15 Depth=1
	s_andn2_b64 vcc, exec, s[34:35]
	v_readlane_b32 s92, v57, 43
	s_cbranch_vccnz .LBB77_206
; %bb.205:                              ;   in Loop: Header=BB77_15 Depth=1
	v_cvt_f32_u32_e32 v6, s82
	s_sub_i32 s30, 0, s82
	v_rcp_iflag_f32_e32 v6, v6
	s_nop 0
	v_mul_f32_e32 v6, 0x4f7ffffe, v6
	v_cvt_u32_f32_e32 v6, v6
	s_nop 0
	v_readfirstlane_b32 s31, v6
	s_mul_i32 s30, s30, s31
	s_mul_hi_u32 s30, s31, s30
	s_add_i32 s31, s31, s30
	s_mul_hi_u32 s30, s14, s31
	s_mul_i32 s30, s30, s82
	s_sub_i32 s30, s14, s30
	s_sub_i32 s31, s30, s82
	s_cmp_ge_u32 s30, s82
	s_cselect_b32 s30, s31, s30
	s_sub_i32 s31, s30, s82
	s_cmp_ge_u32 s30, s82
	s_cselect_b32 s86, s31, s30
	s_mov_b64 s[30:31], s[86:87]
.LBB77_206:                             ;   in Loop: Header=BB77_15 Depth=1
	s_sub_u32 s34, s14, s30
	s_subb_u32 s35, s93, s31
	v_cmp_gt_u64_e32 vcc, s[34:35], v[0:1]
                                        ; implicit-def: $vgpr36
	s_and_saveexec_b64 s[30:31], vcc
	s_cbranch_execz .LBB77_215
; %bb.207:                              ;   in Loop: Header=BB77_15 Depth=1
	s_mov_b64 s[36:37], 0
	v_mov_b64_e32 v[6:7], v[0:1]
                                        ; implicit-def: $sgpr42_sgpr43
	s_branch .LBB77_210
.LBB77_208:                             ;   in Loop: Header=BB77_210 Depth=2
	s_or_b64 exec, exec, s[44:45]
	s_waitcnt lgkmcnt(0)
	s_barrier
	ds_read_u16 v8, v3 offset:3072
	s_mov_b64 s[44:45], -1
	s_waitcnt lgkmcnt(0)
	s_barrier
	v_cmp_eq_u32_sdwa s[46:47], v8, v3 src0_sel:BYTE_0 src1_sel:DWORD
	s_and_b64 vcc, exec, s[46:47]
	s_mov_b64 s[46:47], -1
	s_cbranch_vccnz .LBB77_213
.LBB77_209:                             ;   in Loop: Header=BB77_210 Depth=2
	s_and_b64 s[44:45], exec, s[44:45]
	s_or_b64 s[36:37], s[44:45], s[36:37]
	s_andn2_b64 s[42:43], s[42:43], exec
	s_and_b64 s[44:45], s[46:47], exec
	s_or_b64 s[42:43], s[42:43], s[44:45]
	s_andn2_b64 exec, exec, s[36:37]
	s_cbranch_execz .LBB77_214
.LBB77_210:                             ;   Parent Loop BB77_15 Depth=1
                                        ; =>  This Inner Loop Header: Depth=2
	v_cmp_gt_u64_e32 vcc, s[56:57], v[6:7]
	s_and_saveexec_b64 s[44:45], vcc
	s_cbranch_execz .LBB77_208
; %bb.211:                              ;   in Loop: Header=BB77_210 Depth=2
	v_mov_b64_e32 v[8:9], s[84:85]
	v_mad_u64_u32 v[8:9], s[46:47], v6, s72, v[8:9]
	v_mul_lo_u32 v10, v6, s73
	v_mul_lo_u32 v11, v7, s72
	v_add3_u32 v9, v11, v9, v10
	global_load_ubyte v8, v[8:9], off
	s_waitcnt vmcnt(0)
	v_bitop3_b32 v9, v8, s68, v35 bitop3:0x80
	v_cmp_eq_u32_e32 vcc, v9, v31
	s_and_b64 exec, exec, vcc
	s_cbranch_execz .LBB77_208
; %bb.212:                              ;   in Loop: Header=BB77_210 Depth=2
	v_lshlrev_b16_e32 v8, 8, v8
	v_or_b32_e32 v8, 1, v8
	ds_write_b16 v3, v8 offset:3072
	s_branch .LBB77_208
.LBB77_213:                             ;   in Loop: Header=BB77_210 Depth=2
	v_lshl_add_u64 v[6:7], v[6:7], 0, s[82:83]
	v_cmp_le_u64_e32 vcc, s[34:35], v[6:7]
	s_mov_b64 s[46:47], 0
	s_orn2_b64 s[44:45], vcc, exec
	s_branch .LBB77_209
.LBB77_214:                             ;   in Loop: Header=BB77_15 Depth=1
	s_or_b64 exec, exec, s[36:37]
	s_andn2_b64 s[8:9], s[8:9], exec
	s_and_b64 s[34:35], s[42:43], exec
	v_lshrrev_b32_sdwa v36, v34, v8 dst_sel:DWORD dst_unused:UNUSED_PAD src0_sel:DWORD src1_sel:WORD_0
	s_or_b64 s[8:9], s[8:9], s[34:35]
.LBB77_215:                             ;   in Loop: Header=BB77_15 Depth=1
	s_or_b64 exec, exec, s[30:31]
	s_mov_b64 s[34:35], 0
	s_mov_b64 s[36:37], -1
.LBB77_216:                             ;   in Loop: Header=BB77_15 Depth=1
	s_orn2_b64 s[8:9], s[8:9], exec
.LBB77_217:                             ;   in Loop: Header=BB77_15 Depth=1
	s_or_b64 exec, exec, s[38:39]
	s_mov_b64 s[30:31], 0
	s_and_saveexec_b64 s[38:39], s[8:9]
	s_cbranch_execz .LBB77_276
; %bb.218:                              ;   in Loop: Header=BB77_15 Depth=1
	s_xor_b64 s[40:41], s[40:41], -1
	v_mov_b32_e32 v2, 1
	v_mov_b64_e32 v[6:7], 1
	s_and_saveexec_b64 s[8:9], s[40:41]
	s_cbranch_execz .LBB77_227
; %bb.219:                              ;   in Loop: Header=BB77_15 Depth=1
	v_cmp_ge_u64_e32 vcc, s[22:23], v[4:5]
	s_and_saveexec_b64 s[30:31], vcc
	s_xor_b64 s[30:31], exec, s[30:31]
	s_cbranch_execz .LBB77_224
; %bb.220:                              ;   in Loop: Header=BB77_15 Depth=1
	ds_read_b64 v[6:7], v3 offset:5120
	v_and_b32_e32 v2, s54, v31
	v_lshl_or_b32 v31, 2, s7, v2
	v_or_b32_e32 v35, s66, v35
	s_waitcnt lgkmcnt(0)
	v_cmp_ne_u64_e32 vcc, 0, v[6:7]
	s_cbranch_vccnz .LBB77_224
; %bb.221:                              ;   in Loop: Header=BB77_15 Depth=1
	s_mov_b64 s[40:41], exec
	v_readlane_b32 s42, v57, 8
	v_readlane_b32 s43, v57, 9
	s_and_b64 s[42:43], s[40:41], s[42:43]
	s_mov_b64 exec, s[42:43]
; %bb.222:                              ;   in Loop: Header=BB77_15 Depth=1
	v_mov_b64_e32 v[6:7], s[22:23]
	ds_write_b64 v3, v[6:7] offset:5128
; %bb.223:                              ;   in Loop: Header=BB77_15 Depth=1
	s_or_b64 exec, exec, s[40:41]
	s_waitcnt lgkmcnt(0)
	s_barrier
.LBB77_224:                             ;   in Loop: Header=BB77_15 Depth=1
	s_or_saveexec_b64 s[30:31], s[30:31]
	s_mov_b64 s[40:41], 0
	v_mov_b32_e32 v2, 8
	s_xor_b64 exec, exec, s[30:31]
; %bb.225:                              ;   in Loop: Header=BB77_15 Depth=1
	v_mov_b32_e32 v2, s23
	v_subrev_co_u32_e32 v4, vcc, s22, v4
	s_mov_b64 s[40:41], exec
	s_nop 0
	v_subb_co_u32_e32 v5, vcc, v5, v2, vcc
	v_mov_b32_e32 v2, 0
; %bb.226:                              ;   in Loop: Header=BB77_15 Depth=1
	s_or_b64 exec, exec, s[30:31]
	s_and_b64 s[30:31], s[40:41], exec
	v_mov_b64_e32 v[6:7], v[4:5]
.LBB77_227:                             ;   in Loop: Header=BB77_15 Depth=1
	s_or_b64 exec, exec, s[8:9]
	s_mov_b64 s[8:9], -1
                                        ; implicit-def: $sgpr46_sgpr47
                                        ; implicit-def: $sgpr44_sgpr45
	s_and_saveexec_b64 s[22:23], s[30:31]
	s_cbranch_execz .LBB77_275
; %bb.228:                              ;   in Loop: Header=BB77_15 Depth=1
	s_cmp_eq_u64 s[2:3], 1
	s_cselect_b64 s[8:9], -1, 0
	v_cmp_eq_u64_e32 vcc, 1, v[6:7]
	s_and_b64 s[40:41], s[8:9], vcc
	s_mov_b64 s[30:31], -1
                                        ; implicit-def: $sgpr46_sgpr47
                                        ; implicit-def: $sgpr44_sgpr45
	s_and_saveexec_b64 s[42:43], s[40:41]
	s_cbranch_execz .LBB77_263
; %bb.229:                              ;   in Loop: Header=BB77_15 Depth=1
	ds_read_b64 v[4:5], v3 offset:5120
	s_waitcnt lgkmcnt(0)
	s_barrier
	v_readfirstlane_b32 s30, v4
	v_readfirstlane_b32 s31, v5
	s_and_saveexec_b64 s[8:9], s[98:99]
; %bb.230:                              ;   in Loop: Header=BB77_15 Depth=1
	ds_write_b8 v0, v3 offset:3072
; %bb.231:                              ;   in Loop: Header=BB77_15 Depth=1
	s_or_b64 exec, exec, s[8:9]
	v_or_b32_e32 v31, s66, v31
	v_or_b32_e32 v35, s66, v35
	s_mov_b64 s[44:45], -1
	s_mov_b64 s[46:47], 0
	s_cmp_eq_u64 s[30:31], 0
	s_mov_b64 s[8:9], 0
	s_mov_b64 s[48:49], -1
	s_waitcnt lgkmcnt(0)
	s_barrier
                                        ; implicit-def: $vgpr36
	s_cbranch_scc1 .LBB77_245
; %bb.232:                              ;   in Loop: Header=BB77_15 Depth=1
	v_readlane_b32 s8, v57, 30
	s_add_u32 s52, s30, s8
	v_readlane_b32 s8, v57, 31
	s_addc_u32 s9, s31, s8
	s_mov_b32 s8, s87
	s_cmp_lg_u64 s[8:9], 0
	s_cbranch_scc0 .LBB77_248
; %bb.233:                              ;   in Loop: Header=BB77_15 Depth=1
	v_cvt_f32_u32_e32 v4, s82
	s_sub_u32 s8, 0, s82
	s_subb_u32 s50, 0, 0
	v_fmac_f32_e32 v4, 0, v33
	v_rcp_f32_e32 v4, v4
	s_nop 0
	v_mul_f32_e32 v4, 0x5f7ffffc, v4
	v_mul_f32_e32 v5, 0x2f800000, v4
	v_trunc_f32_e32 v5, v5
	v_fmac_f32_e32 v4, 0xcf800000, v5
	v_cvt_u32_f32_e32 v5, v5
	v_cvt_u32_f32_e32 v4, v4
	v_readfirstlane_b32 s51, v5
	v_readfirstlane_b32 s48, v4
	s_mul_i32 s49, s8, s51
	s_mul_hi_u32 s54, s8, s48
	s_mul_i32 s53, s50, s48
	s_add_i32 s49, s54, s49
	s_mul_i32 s55, s8, s48
	s_add_i32 s49, s49, s53
	s_mul_hi_u32 s54, s48, s55
	s_mul_i32 s58, s48, s49
	s_mul_hi_u32 s53, s48, s49
	s_add_u32 s54, s54, s58
	s_addc_u32 s53, 0, s53
	s_mul_hi_u32 s59, s51, s55
	s_mul_i32 s55, s51, s55
	s_add_u32 s54, s54, s55
	s_mul_hi_u32 s58, s51, s49
	s_addc_u32 s53, s53, s59
	s_addc_u32 s54, s58, 0
	s_mul_i32 s49, s51, s49
	s_add_u32 s49, s53, s49
	s_addc_u32 s53, 0, s54
	s_add_u32 s54, s48, s49
	s_cselect_b64 s[48:49], -1, 0
	s_cmp_lg_u64 s[48:49], 0
	s_addc_u32 s51, s51, s53
	s_mul_i32 s48, s8, s51
	s_mul_hi_u32 s49, s8, s54
	s_add_i32 s48, s49, s48
	s_mul_i32 s50, s50, s54
	s_add_i32 s48, s48, s50
	s_mul_i32 s8, s8, s54
	s_mul_hi_u32 s50, s51, s8
	s_mul_i32 s53, s51, s8
	s_mul_i32 s58, s54, s48
	s_mul_hi_u32 s8, s54, s8
	s_mul_hi_u32 s55, s54, s48
	s_add_u32 s8, s8, s58
	s_addc_u32 s55, 0, s55
	s_add_u32 s8, s8, s53
	s_mul_hi_u32 s49, s51, s48
	s_addc_u32 s8, s55, s50
	s_addc_u32 s49, s49, 0
	s_mul_i32 s48, s51, s48
	s_add_u32 s8, s8, s48
	s_addc_u32 s50, 0, s49
	s_add_u32 s8, s54, s8
	s_cselect_b64 s[48:49], -1, 0
	s_cmp_lg_u64 s[48:49], 0
	s_addc_u32 s48, s51, s50
	s_mul_i32 s50, s52, s48
	s_mul_hi_u32 s51, s52, s8
	s_mul_hi_u32 s49, s52, s48
	s_add_u32 s50, s51, s50
	s_addc_u32 s49, 0, s49
	s_mul_hi_u32 s53, s9, s8
	s_mul_i32 s8, s9, s8
	s_add_u32 s8, s50, s8
	s_mul_hi_u32 s51, s9, s48
	s_addc_u32 s8, s49, s53
	s_addc_u32 s49, s51, 0
	s_mul_i32 s48, s9, s48
	s_add_u32 s8, s8, s48
	s_addc_u32 s48, 0, s49
	s_mul_i32 s48, s82, s48
	s_mul_hi_u32 s49, s82, s8
	s_add_i32 s50, s49, s48
	s_mul_i32 s8, s82, s8
	s_sub_u32 s8, s52, s8
	s_cselect_b64 s[48:49], -1, 0
	s_cmp_lg_u64 s[48:49], 0
	s_subb_u32 s50, s9, s50
	s_sub_u32 s51, s8, s82
	s_cselect_b64 s[48:49], -1, 0
	s_cmp_lg_u64 s[48:49], 0
	s_subb_u32 s53, s50, 0
	;; [unrolled: 4-line block ×3, first 2 shown]
	s_cmp_ge_u32 s51, s82
	s_cselect_b32 s49, -1, 0
	s_cmp_eq_u32 s53, 0
	s_cselect_b32 s49, s49, -1
	s_cmp_lg_u32 s49, 0
	s_cselect_b32 s48, s48, s53
	s_cselect_b32 s51, s54, s51
	s_cmp_ge_u32 s8, s82
	s_cselect_b32 s49, -1, 0
	s_cmp_eq_u32 s50, 0
	s_cselect_b32 s49, s49, -1
	s_cmp_lg_u32 s49, 0
	s_cselect_b32 s49, s48, s50
	s_cselect_b32 s48, s51, s8
	s_cbranch_execnz .LBB77_235
.LBB77_234:                             ;   in Loop: Header=BB77_15 Depth=1
	v_cvt_f32_u32_e32 v4, s82
	s_sub_i32 s8, 0, s82
	v_rcp_iflag_f32_e32 v4, v4
	s_nop 0
	v_mul_f32_e32 v4, 0x4f7ffffe, v4
	v_cvt_u32_f32_e32 v4, v4
	s_nop 0
	v_readfirstlane_b32 s48, v4
	s_mul_i32 s8, s8, s48
	s_mul_hi_u32 s8, s48, s8
	s_add_i32 s48, s48, s8
	s_mul_hi_u32 s8, s52, s48
	s_mul_i32 s8, s8, s82
	s_sub_i32 s8, s52, s8
	s_sub_i32 s48, s8, s82
	s_cmp_ge_u32 s8, s82
	s_cselect_b32 s8, s48, s8
	s_sub_i32 s48, s8, s82
	s_cmp_ge_u32 s8, s82
	s_cselect_b32 s86, s48, s8
	s_mov_b64 s[48:49], s[86:87]
.LBB77_235:                             ;   in Loop: Header=BB77_15 Depth=1
	s_sub_u32 s52, s52, s48
	s_subb_u32 s53, s9, s49
	v_cmp_gt_u64_e32 vcc, s[52:53], v[0:1]
	s_mov_b64 s[48:49], 0
	s_mov_b64 s[8:9], 0
                                        ; implicit-def: $vgpr36
	s_and_saveexec_b64 s[50:51], vcc
	s_cbranch_execz .LBB77_244
; %bb.236:                              ;   in Loop: Header=BB77_15 Depth=1
	v_mov_b32_e32 v8, v0
	v_mov_b64_e32 v[4:5], v[0:1]
                                        ; implicit-def: $sgpr54_sgpr55
	s_branch .LBB77_239
.LBB77_237:                             ;   in Loop: Header=BB77_239 Depth=2
	s_or_b64 exec, exec, s[58:59]
	s_waitcnt lgkmcnt(0)
	s_barrier
	ds_read_u16 v9, v3 offset:3072
	s_mov_b64 s[58:59], -1
	s_waitcnt lgkmcnt(0)
	s_barrier
	v_cmp_ne_u32_sdwa s[64:65], v9, v3 src0_sel:BYTE_0 src1_sel:DWORD
	s_and_b64 vcc, exec, s[64:65]
	s_mov_b64 s[64:65], -1
	s_cbranch_vccz .LBB77_242
.LBB77_238:                             ;   in Loop: Header=BB77_239 Depth=2
	s_and_b64 s[58:59], exec, s[58:59]
	s_or_b64 s[8:9], s[58:59], s[8:9]
	s_andn2_b64 s[54:55], s[54:55], exec
	s_and_b64 s[58:59], s[64:65], exec
	s_or_b64 s[54:55], s[54:55], s[58:59]
	s_andn2_b64 exec, exec, s[8:9]
	s_cbranch_execz .LBB77_243
.LBB77_239:                             ;   Parent Loop BB77_15 Depth=1
                                        ; =>  This Inner Loop Header: Depth=2
	v_cmp_gt_u64_e32 vcc, s[30:31], v[4:5]
	s_and_saveexec_b64 s[58:59], vcc
	s_cbranch_execz .LBB77_237
; %bb.240:                              ;   in Loop: Header=BB77_239 Depth=2
	ds_read_u8 v9, v8
	s_waitcnt lgkmcnt(0)
	v_bitop3_b32 v10, v9, s68, v35 bitop3:0x80
	v_cmp_eq_u32_e32 vcc, v10, v31
	s_and_b64 exec, exec, vcc
	s_cbranch_execz .LBB77_237
; %bb.241:                              ;   in Loop: Header=BB77_239 Depth=2
	v_lshlrev_b16_e32 v9, 8, v9
	v_or_b32_e32 v9, 1, v9
	ds_write_b16 v3, v9 offset:3072
	s_branch .LBB77_237
.LBB77_242:                             ;   in Loop: Header=BB77_239 Depth=2
	v_lshl_add_u64 v[4:5], v[4:5], 0, s[82:83]
	v_cmp_le_u64_e32 vcc, s[52:53], v[4:5]
	v_add_u32_e32 v8, s82, v8
	s_mov_b64 s[64:65], 0
	s_orn2_b64 s[58:59], vcc, exec
	s_branch .LBB77_238
.LBB77_243:                             ;   in Loop: Header=BB77_15 Depth=1
	s_or_b64 exec, exec, s[8:9]
	v_lshrrev_b32_sdwa v36, v34, v9 dst_sel:DWORD dst_unused:UNUSED_PAD src0_sel:DWORD src1_sel:WORD_0
	s_and_b64 s[8:9], s[54:55], exec
.LBB77_244:                             ;   in Loop: Header=BB77_15 Depth=1
	s_or_b64 exec, exec, s[50:51]
.LBB77_245:                             ;   in Loop: Header=BB77_15 Depth=1
	s_and_b64 vcc, exec, s[48:49]
	s_cbranch_vccz .LBB77_262
; %bb.246:                              ;   in Loop: Header=BB77_15 Depth=1
	s_mov_b32 s92, s87
	s_cmp_lg_u64 s[92:93], 0
	s_cbranch_scc0 .LBB77_249
; %bb.247:                              ;   in Loop: Header=BB77_15 Depth=1
	v_cvt_f32_u32_e32 v4, s82
	s_sub_u32 s44, 0, s82
	s_subb_u32 s45, 0, 0
	v_fmac_f32_e32 v4, 0, v33
	v_rcp_f32_e32 v4, v4
	s_nop 0
	v_mul_f32_e32 v4, 0x5f7ffffc, v4
	v_mul_f32_e32 v5, 0x2f800000, v4
	v_trunc_f32_e32 v5, v5
	v_fmac_f32_e32 v4, 0xcf800000, v5
	v_cvt_u32_f32_e32 v5, v5
	v_cvt_u32_f32_e32 v4, v4
	v_readfirstlane_b32 s46, v5
	v_readfirstlane_b32 s30, v4
	s_mul_i32 s31, s44, s46
	s_mul_hi_u32 s48, s44, s30
	s_mul_i32 s47, s45, s30
	s_add_i32 s31, s48, s31
	s_mul_i32 s49, s44, s30
	s_add_i32 s31, s31, s47
	s_mul_hi_u32 s48, s30, s49
	s_mul_i32 s50, s30, s31
	s_mul_hi_u32 s47, s30, s31
	s_add_u32 s48, s48, s50
	s_addc_u32 s47, 0, s47
	s_mul_hi_u32 s51, s46, s49
	s_mul_i32 s49, s46, s49
	s_add_u32 s48, s48, s49
	s_mul_hi_u32 s50, s46, s31
	s_addc_u32 s47, s47, s51
	s_addc_u32 s48, s50, 0
	s_mul_i32 s31, s46, s31
	s_add_u32 s31, s47, s31
	s_addc_u32 s47, 0, s48
	s_add_u32 s48, s30, s31
	s_cselect_b64 s[30:31], -1, 0
	s_cmp_lg_u64 s[30:31], 0
	s_addc_u32 s46, s46, s47
	s_mul_i32 s30, s44, s46
	s_mul_hi_u32 s31, s44, s48
	s_add_i32 s30, s31, s30
	s_mul_i32 s45, s45, s48
	s_add_i32 s30, s30, s45
	s_mul_i32 s44, s44, s48
	s_mul_hi_u32 s45, s46, s44
	s_mul_i32 s47, s46, s44
	s_mul_i32 s50, s48, s30
	s_mul_hi_u32 s44, s48, s44
	s_mul_hi_u32 s49, s48, s30
	s_add_u32 s44, s44, s50
	s_addc_u32 s49, 0, s49
	s_add_u32 s44, s44, s47
	s_mul_hi_u32 s31, s46, s30
	s_addc_u32 s44, s49, s45
	s_addc_u32 s31, s31, 0
	s_mul_i32 s30, s46, s30
	s_add_u32 s30, s44, s30
	s_addc_u32 s44, 0, s31
	s_add_u32 s45, s48, s30
	s_cselect_b64 s[30:31], -1, 0
	s_cmp_lg_u64 s[30:31], 0
	s_addc_u32 s30, s46, s44
	s_mul_i32 s44, s14, s30
	s_mul_hi_u32 s46, s14, s45
	s_mul_hi_u32 s31, s14, s30
	s_add_u32 s44, s46, s44
	s_addc_u32 s31, 0, s31
	s_mul_hi_u32 s47, s93, s45
	s_mul_i32 s45, s93, s45
	s_add_u32 s44, s44, s45
	s_mul_hi_u32 s46, s93, s30
	s_addc_u32 s31, s31, s47
	s_addc_u32 s44, s46, 0
	s_mul_i32 s30, s93, s30
	s_add_u32 s30, s31, s30
	s_addc_u32 s31, 0, s44
	s_mul_i32 s31, s82, s31
	s_mul_hi_u32 s44, s82, s30
	s_add_i32 s44, s44, s31
	s_mul_i32 s30, s82, s30
	s_sub_u32 s45, s14, s30
	s_cselect_b64 s[30:31], -1, 0
	s_cmp_lg_u64 s[30:31], 0
	s_subb_u32 s44, s93, s44
	s_sub_u32 s46, s45, s82
	s_cselect_b64 s[30:31], -1, 0
	s_cmp_lg_u64 s[30:31], 0
	s_subb_u32 s47, s44, 0
	;; [unrolled: 4-line block ×3, first 2 shown]
	s_cmp_ge_u32 s46, s82
	s_cselect_b32 s31, -1, 0
	s_cmp_eq_u32 s47, 0
	s_cselect_b32 s31, s31, -1
	s_cmp_lg_u32 s31, 0
	s_cselect_b32 s30, s30, s47
	s_cselect_b32 s46, s48, s46
	s_cmp_ge_u32 s45, s82
	s_cselect_b32 s31, -1, 0
	s_cmp_eq_u32 s44, 0
	s_cselect_b32 s31, s31, -1
	s_cmp_lg_u32 s31, 0
	s_cselect_b32 s31, s30, s44
	s_cselect_b32 s30, s46, s45
	s_mov_b64 s[44:45], 0
	s_branch .LBB77_250
.LBB77_248:                             ;   in Loop: Header=BB77_15 Depth=1
                                        ; implicit-def: $sgpr48_sgpr49
	s_branch .LBB77_234
.LBB77_249:                             ;   in Loop: Header=BB77_15 Depth=1
	s_mov_b64 s[44:45], -1
                                        ; implicit-def: $sgpr30_sgpr31
.LBB77_250:                             ;   in Loop: Header=BB77_15 Depth=1
	s_andn2_b64 vcc, exec, s[44:45]
	v_readlane_b32 s92, v57, 43
	s_cbranch_vccnz .LBB77_252
; %bb.251:                              ;   in Loop: Header=BB77_15 Depth=1
	v_cvt_f32_u32_e32 v4, s82
	s_sub_i32 s30, 0, s82
	v_rcp_iflag_f32_e32 v4, v4
	s_nop 0
	v_mul_f32_e32 v4, 0x4f7ffffe, v4
	v_cvt_u32_f32_e32 v4, v4
	s_nop 0
	v_readfirstlane_b32 s31, v4
	s_mul_i32 s30, s30, s31
	s_mul_hi_u32 s30, s31, s30
	s_add_i32 s31, s31, s30
	s_mul_hi_u32 s30, s14, s31
	s_mul_i32 s30, s30, s82
	s_sub_i32 s30, s14, s30
	s_sub_i32 s31, s30, s82
	s_cmp_ge_u32 s30, s82
	s_cselect_b32 s30, s31, s30
	s_sub_i32 s31, s30, s82
	s_cmp_ge_u32 s30, s82
	s_cselect_b32 s86, s31, s30
	s_mov_b64 s[30:31], s[86:87]
.LBB77_252:                             ;   in Loop: Header=BB77_15 Depth=1
	s_sub_u32 s44, s14, s30
	s_subb_u32 s45, s93, s31
	v_cmp_gt_u64_e32 vcc, s[44:45], v[0:1]
                                        ; implicit-def: $vgpr36
	s_and_saveexec_b64 s[30:31], vcc
	s_cbranch_execz .LBB77_261
; %bb.253:                              ;   in Loop: Header=BB77_15 Depth=1
	s_mov_b64 s[46:47], 0
	v_mov_b64_e32 v[4:5], v[0:1]
                                        ; implicit-def: $sgpr48_sgpr49
	s_branch .LBB77_256
.LBB77_254:                             ;   in Loop: Header=BB77_256 Depth=2
	s_or_b64 exec, exec, s[50:51]
	s_waitcnt lgkmcnt(0)
	s_barrier
	ds_read_u16 v8, v3 offset:3072
	s_mov_b64 s[50:51], -1
	s_waitcnt lgkmcnt(0)
	s_barrier
	v_cmp_eq_u32_sdwa s[52:53], v8, v3 src0_sel:BYTE_0 src1_sel:DWORD
	s_and_b64 vcc, exec, s[52:53]
	s_mov_b64 s[52:53], -1
	s_cbranch_vccnz .LBB77_259
.LBB77_255:                             ;   in Loop: Header=BB77_256 Depth=2
	s_and_b64 s[50:51], exec, s[50:51]
	s_or_b64 s[46:47], s[50:51], s[46:47]
	s_andn2_b64 s[48:49], s[48:49], exec
	s_and_b64 s[50:51], s[52:53], exec
	s_or_b64 s[48:49], s[48:49], s[50:51]
	s_andn2_b64 exec, exec, s[46:47]
	s_cbranch_execz .LBB77_260
.LBB77_256:                             ;   Parent Loop BB77_15 Depth=1
                                        ; =>  This Inner Loop Header: Depth=2
	v_cmp_gt_u64_e32 vcc, s[56:57], v[4:5]
	s_and_saveexec_b64 s[50:51], vcc
	s_cbranch_execz .LBB77_254
; %bb.257:                              ;   in Loop: Header=BB77_256 Depth=2
	v_mov_b64_e32 v[8:9], s[84:85]
	v_mad_u64_u32 v[8:9], s[52:53], v4, s72, v[8:9]
	v_mul_lo_u32 v10, v4, s73
	v_mul_lo_u32 v11, v5, s72
	v_add3_u32 v9, v11, v9, v10
	global_load_ubyte v8, v[8:9], off
	s_waitcnt vmcnt(0)
	v_bitop3_b32 v9, v8, s68, v35 bitop3:0x80
	v_cmp_eq_u32_e32 vcc, v9, v31
	s_and_b64 exec, exec, vcc
	s_cbranch_execz .LBB77_254
; %bb.258:                              ;   in Loop: Header=BB77_256 Depth=2
	v_lshlrev_b16_e32 v8, 8, v8
	v_or_b32_e32 v8, 1, v8
	ds_write_b16 v3, v8 offset:3072
	s_branch .LBB77_254
.LBB77_259:                             ;   in Loop: Header=BB77_256 Depth=2
	v_lshl_add_u64 v[4:5], v[4:5], 0, s[82:83]
	v_cmp_le_u64_e32 vcc, s[44:45], v[4:5]
	s_mov_b64 s[52:53], 0
	s_orn2_b64 s[50:51], vcc, exec
	s_branch .LBB77_255
.LBB77_260:                             ;   in Loop: Header=BB77_15 Depth=1
	s_or_b64 exec, exec, s[46:47]
	s_andn2_b64 s[8:9], s[8:9], exec
	s_and_b64 s[44:45], s[48:49], exec
	v_lshrrev_b32_sdwa v36, v34, v8 dst_sel:DWORD dst_unused:UNUSED_PAD src0_sel:DWORD src1_sel:WORD_0
	s_or_b64 s[8:9], s[8:9], s[44:45]
.LBB77_261:                             ;   in Loop: Header=BB77_15 Depth=1
	s_or_b64 exec, exec, s[30:31]
	s_mov_b64 s[44:45], 0
	s_mov_b64 s[46:47], -1
.LBB77_262:                             ;   in Loop: Header=BB77_15 Depth=1
	s_orn2_b64 s[30:31], s[8:9], exec
.LBB77_263:                             ;   in Loop: Header=BB77_15 Depth=1
	s_or_b64 exec, exec, s[42:43]
	s_mov_b64 s[42:43], 0
	s_and_saveexec_b64 s[8:9], s[30:31]
	s_cbranch_execz .LBB77_274
; %bb.264:                              ;   in Loop: Header=BB77_15 Depth=1
	s_xor_b64 s[40:41], s[40:41], -1
	v_mov_b64_e32 v[4:5], 1
	v_mov_b32_e32 v2, 1
	s_and_saveexec_b64 s[30:31], s[40:41]
	s_cbranch_execz .LBB77_273
; %bb.265:                              ;   in Loop: Header=BB77_15 Depth=1
	v_cmp_ge_u64_e32 vcc, s[2:3], v[6:7]
	s_and_saveexec_b64 s[40:41], vcc
	s_xor_b64 s[40:41], exec, s[40:41]
	s_cbranch_execz .LBB77_270
; %bb.266:                              ;   in Loop: Header=BB77_15 Depth=1
	ds_read_b64 v[4:5], v3 offset:5120
	v_or_b32_e32 v31, s66, v31
	v_or_b32_e32 v35, s66, v35
	s_waitcnt lgkmcnt(0)
	v_cmp_ne_u64_e32 vcc, 0, v[4:5]
	s_cbranch_vccnz .LBB77_270
; %bb.267:                              ;   in Loop: Header=BB77_15 Depth=1
	s_mov_b64 s[42:43], exec
	v_readlane_b32 s48, v57, 8
	v_readlane_b32 s49, v57, 9
	s_and_b64 s[48:49], s[42:43], s[48:49]
	s_mov_b64 exec, s[48:49]
; %bb.268:                              ;   in Loop: Header=BB77_15 Depth=1
	v_mov_b64_e32 v[4:5], s[2:3]
	ds_write_b64 v3, v[4:5] offset:5128
; %bb.269:                              ;   in Loop: Header=BB77_15 Depth=1
	s_or_b64 exec, exec, s[42:43]
	s_waitcnt lgkmcnt(0)
	s_barrier
.LBB77_270:                             ;   in Loop: Header=BB77_15 Depth=1
	s_andn2_saveexec_b64 s[40:41], s[40:41]
; %bb.271:                              ;   in Loop: Header=BB77_15 Depth=1
	v_mov_b32_e32 v2, s3
	v_subrev_co_u32_e32 v6, vcc, s2, v6
	s_nop 1
	v_subb_co_u32_e32 v7, vcc, v7, v2, vcc
; %bb.272:                              ;   in Loop: Header=BB77_15 Depth=1
	s_or_b64 exec, exec, s[40:41]
	v_mov_b32_e32 v2, 8
	v_mov_b64_e32 v[4:5], v[6:7]
.LBB77_273:                             ;   in Loop: Header=BB77_15 Depth=1
	s_or_b64 exec, exec, s[30:31]
	s_mov_b64 s[42:43], exec
	v_mov_b64_e32 v[6:7], v[4:5]
.LBB77_274:                             ;   in Loop: Header=BB77_15 Depth=1
	s_or_b64 exec, exec, s[8:9]
	s_orn2_b64 s[8:9], s[42:43], exec
.LBB77_275:                             ;   in Loop: Header=BB77_15 Depth=1
	s_or_b64 exec, exec, s[22:23]
	s_andn2_b64 s[2:3], s[36:37], exec
	s_and_b64 s[22:23], s[46:47], exec
	s_or_b64 s[36:37], s[2:3], s[22:23]
	s_andn2_b64 s[2:3], s[34:35], exec
	s_and_b64 s[22:23], s[44:45], exec
	s_or_b64 s[34:35], s[2:3], s[22:23]
	s_and_b64 s[30:31], s[8:9], exec
	v_mov_b64_e32 v[4:5], v[6:7]
.LBB77_276:                             ;   in Loop: Header=BB77_15 Depth=1
	s_or_b64 exec, exec, s[38:39]
	s_orn2_b64 s[8:9], s[30:31], exec
.LBB77_277:                             ;   in Loop: Header=BB77_15 Depth=1
	s_or_b64 exec, exec, s[28:29]
	s_andn2_b64 s[2:3], s[24:25], exec
	s_and_b64 s[22:23], s[36:37], exec
	s_or_b64 s[24:25], s[2:3], s[22:23]
	s_andn2_b64 s[0:1], s[0:1], exec
	s_and_b64 s[2:3], s[34:35], exec
	s_or_b64 s[0:1], s[0:1], s[2:3]
	s_and_b64 s[30:31], s[8:9], exec
	v_mov_b64_e32 v[8:9], v[4:5]
.LBB77_278:                             ;   in Loop: Header=BB77_15 Depth=1
	s_or_b64 exec, exec, s[26:27]
	s_orn2_b64 s[8:9], s[30:31], exec
.LBB77_279:                             ;   in Loop: Header=BB77_15 Depth=1
	s_or_b64 exec, exec, s[20:21]
	s_mov_b64 s[20:21], 0
	s_and_saveexec_b64 s[2:3], s[8:9]
	s_xor_b64 s[2:3], exec, s[2:3]
	s_cbranch_execz .LBB77_13
; %bb.280:                              ;   in Loop: Header=BB77_15 Depth=1
	v_and_b32_e32 v2, 7, v2
	v_cmp_eq_u32_e32 vcc, 0, v2
	s_mov_b64 s[8:9], -1
	s_mov_b64 s[18:19], -1
	s_and_saveexec_b64 s[20:21], vcc
	s_cbranch_execz .LBB77_12
; %bb.281:                              ;   in Loop: Header=BB77_15 Depth=1
	s_xor_b32 s91, s91, 1
	s_add_i32 s22, s7, -2
	s_cmp_eq_u32 s7, 0
	s_cselect_b64 s[8:9], -1, 0
	s_xor_b64 s[18:19], exec, -1
	s_orn2_b64 s[8:9], s[8:9], exec
	s_mov_b32 s7, s22
	s_branch .LBB77_12
.LBB77_282:
	s_or_b64 exec, exec, s[78:79]
	s_xor_b64 s[6:7], s[80:81], -1
	s_xor_b64 s[0:1], s[60:61], -1
	;; [unrolled: 1-line block ×3, first 2 shown]
	s_mov_b64 s[2:3], 0
	s_and_saveexec_b64 s[8:9], s[0:1]
	s_xor_b64 s[0:1], exec, s[8:9]
	s_cbranch_execnz .LBB77_287
; %bb.283:
	s_andn2_saveexec_b64 s[0:1], s[0:1]
	s_cbranch_execnz .LBB77_300
.LBB77_284:
	s_or_b64 exec, exec, s[0:1]
	s_and_saveexec_b64 s[0:1], s[2:3]
.LBB77_285:
	; divergent unreachable
.LBB77_286:
	s_endpgm
.LBB77_287:
	s_and_saveexec_b64 s[2:3], s[6:7]
	s_xor_b64 s[2:3], exec, s[2:3]
	s_cbranch_execz .LBB77_298
; %bb.288:
	s_and_saveexec_b64 s[6:7], s[4:5]
	s_xor_b64 s[4:5], exec, s[6:7]
; %bb.289:
	v_mov_b32_e32 v36, v31
; %bb.290:
	s_or_b64 exec, exec, s[4:5]
	v_readlane_b32 s6, v57, 4
	v_readlane_b32 s4, v57, 2
	;; [unrolled: 1-line block ×4, first 2 shown]
	s_mov_b32 s8, s4
	s_mul_i32 s4, s4, s7
	s_mul_hi_u32 s5, s8, s6
	s_add_i32 s5, s5, s4
	s_mul_i32 s4, s8, s6
	v_readlane_b32 s18, v57, 22
	v_readlane_b32 s12, v57, 18
	s_sub_u32 s4, s18, s4
	v_readlane_b32 s14, v57, 20
	v_readlane_b32 s15, v57, 21
	s_subb_u32 s5, 0, s5
	s_mul_i32 s6, s4, s15
	s_mul_hi_u32 s7, s4, s14
	v_readlane_b32 s13, v57, 19
	s_add_i32 s6, s7, s6
	s_mul_i32 s5, s5, s14
	s_add_i32 s6, s6, s5
	s_mul_i32 s5, s8, s13
	s_mul_hi_u32 s7, s8, s12
	s_add_i32 s7, s7, s5
	s_mul_i32 s5, s8, s12
	v_readlane_b32 s8, v57, 12
	v_readlane_b32 s9, v57, 13
	s_add_u32 s5, s8, s5
	s_mul_i32 s4, s4, s14
	s_addc_u32 s7, s9, s7
	s_add_u32 s4, s5, s4
	s_addc_u32 s5, s7, s6
	v_mov_b32_e32 v2, 0
	v_readlane_b32 s19, v57, 23
	global_store_byte v2, v36, s[4:5]
	s_mov_b64 s[4:5], exec
	v_readlane_b32 s6, v57, 24
	v_readlane_b32 s7, v57, 25
	s_and_b64 s[6:7], s[4:5], s[6:7]
	s_mov_b64 exec, s[6:7]
	s_cbranch_execz .LBB77_297
; %bb.291:
	s_mov_b64 s[6:7], 0
	v_mov_b64_e32 v[4:5], s[84:85]
                                        ; implicit-def: $sgpr8_sgpr9
                                        ; implicit-def: $sgpr12_sgpr13
                                        ; implicit-def: $sgpr10_sgpr11
	s_branch .LBB77_293
.LBB77_292:                             ;   in Loop: Header=BB77_293 Depth=1
	s_or_b64 exec, exec, s[14:15]
	s_and_b64 s[14:15], exec, s[12:13]
	s_or_b64 s[6:7], s[14:15], s[6:7]
	s_andn2_b64 s[8:9], s[8:9], exec
	s_and_b64 s[14:15], s[10:11], exec
	s_or_b64 s[8:9], s[8:9], s[14:15]
	s_andn2_b64 exec, exec, s[6:7]
	s_cbranch_execz .LBB77_295
.LBB77_293:                             ; =>This Inner Loop Header: Depth=1
	v_mov_b64_e32 v[2:3], v[0:1]
	v_mad_u64_u32 v[0:1], s[14:15], v2, s72, v[4:5]
	v_mul_lo_u32 v6, v2, s73
	v_mul_lo_u32 v7, v3, s72
	v_add3_u32 v1, v7, v1, v6
	global_load_ubyte v0, v[0:1], off
	s_or_b64 s[10:11], s[10:11], exec
	s_or_b64 s[12:13], s[12:13], exec
	s_waitcnt vmcnt(0)
	v_cmp_ne_u16_sdwa s[16:17], v0, v36 src0_sel:DWORD src1_sel:BYTE_0
                                        ; implicit-def: $vgpr0_vgpr1
	s_and_saveexec_b64 s[14:15], s[16:17]
	s_cbranch_execz .LBB77_292
; %bb.294:                              ;   in Loop: Header=BB77_293 Depth=1
	v_lshl_add_u64 v[0:1], v[2:3], 0, s[82:83]
	v_cmp_le_u64_e32 vcc, s[56:57], v[0:1]
	s_andn2_b64 s[12:13], s[12:13], exec
	s_and_b64 s[16:17], vcc, exec
	s_andn2_b64 s[10:11], s[10:11], exec
	s_or_b64 s[12:13], s[12:13], s[16:17]
	s_branch .LBB77_292
.LBB77_295:
	s_or_b64 exec, exec, s[6:7]
	s_and_saveexec_b64 s[6:7], s[8:9]
	s_xor_b64 s[6:7], exec, s[6:7]
	s_cbranch_execz .LBB77_297
; %bb.296:
	v_readlane_b32 s8, v57, 6
	v_readlane_b32 s6, v57, 0
	;; [unrolled: 1-line block ×4, first 2 shown]
	s_mov_b32 s10, s6
	s_mul_i32 s6, s6, s9
	s_mul_hi_u32 s7, s10, s8
	s_add_i32 s7, s7, s6
	s_mul_i32 s6, s10, s8
	v_readlane_b32 s12, v57, 14
	s_sub_u32 s6, s18, s6
	v_readlane_b32 s14, v57, 16
	v_readlane_b32 s15, v57, 17
	s_subb_u32 s7, 0, s7
	s_mul_i32 s8, s6, s15
	s_mul_hi_u32 s9, s6, s14
	v_readlane_b32 s13, v57, 15
	s_add_i32 s8, s9, s8
	s_mul_i32 s7, s7, s14
	s_add_i32 s7, s8, s7
	s_mul_i32 s8, s10, s13
	s_mul_hi_u32 s9, s10, s12
	s_add_i32 s9, s9, s8
	s_mul_i32 s8, s10, s12
	s_lshl_b64 s[8:9], s[8:9], 3
	v_readlane_b32 s10, v57, 10
	s_mul_i32 s6, s6, s14
	v_readlane_b32 s11, v57, 11
	s_add_u32 s8, s10, s8
	s_addc_u32 s9, s11, s9
	s_lshl_b64 s[6:7], s[6:7], 3
	s_add_u32 s6, s8, s6
	s_addc_u32 s7, s9, s7
	v_mov_b32_e32 v0, 0
	global_store_dwordx2 v0, v[2:3], s[6:7]
.LBB77_297:
	s_or_b64 exec, exec, s[4:5]
.LBB77_298:
	s_or_saveexec_b64 s[2:3], s[2:3]
	s_mov_b64 s[4:5], 0
	s_xor_b64 exec, exec, s[2:3]
	s_cbranch_execnz .LBB77_301
.LBB77_299:
	s_or_b64 exec, exec, s[2:3]
	s_and_b64 s[2:3], s[4:5], exec
	s_andn2_saveexec_b64 s[0:1], s[0:1]
	s_cbranch_execz .LBB77_284
.LBB77_300:
	s_or_b64 s[2:3], s[2:3], exec
	s_trap 2
	s_or_b64 exec, exec, s[0:1]
	s_and_saveexec_b64 s[0:1], s[2:3]
	s_cbranch_execnz .LBB77_285
	s_branch .LBB77_286
.LBB77_301:
	s_mov_b64 s[4:5], exec
	s_trap 2
	s_branch .LBB77_299
	.section	.rodata,"a",@progbits
	.p2align	6, 0x0
	.amdhsa_kernel _ZN2at6native12_GLOBAL__N_112gatherMedianIhmLi2EEEvNS_4cuda6detail10TensorInfoIT_T0_EENS5_IlS7_EENS5_IKS6_S7_EES7_S7_S7_b
		.amdhsa_group_segment_fixed_size 5152
		.amdhsa_private_segment_fixed_size 0
		.amdhsa_kernarg_size 1536
		.amdhsa_user_sgpr_count 2
		.amdhsa_user_sgpr_dispatch_ptr 0
		.amdhsa_user_sgpr_queue_ptr 0
		.amdhsa_user_sgpr_kernarg_segment_ptr 1
		.amdhsa_user_sgpr_dispatch_id 0
		.amdhsa_user_sgpr_kernarg_preload_length 0
		.amdhsa_user_sgpr_kernarg_preload_offset 0
		.amdhsa_user_sgpr_private_segment_size 0
		.amdhsa_uses_dynamic_stack 0
		.amdhsa_enable_private_segment 0
		.amdhsa_system_sgpr_workgroup_id_x 1
		.amdhsa_system_sgpr_workgroup_id_y 1
		.amdhsa_system_sgpr_workgroup_id_z 1
		.amdhsa_system_sgpr_workgroup_info 0
		.amdhsa_system_vgpr_workitem_id 0
		.amdhsa_next_free_vgpr 58
		.amdhsa_next_free_sgpr 100
		.amdhsa_accum_offset 60
		.amdhsa_reserve_vcc 1
		.amdhsa_float_round_mode_32 0
		.amdhsa_float_round_mode_16_64 0
		.amdhsa_float_denorm_mode_32 3
		.amdhsa_float_denorm_mode_16_64 3
		.amdhsa_dx10_clamp 1
		.amdhsa_ieee_mode 1
		.amdhsa_fp16_overflow 0
		.amdhsa_tg_split 0
		.amdhsa_exception_fp_ieee_invalid_op 0
		.amdhsa_exception_fp_denorm_src 0
		.amdhsa_exception_fp_ieee_div_zero 0
		.amdhsa_exception_fp_ieee_overflow 0
		.amdhsa_exception_fp_ieee_underflow 0
		.amdhsa_exception_fp_ieee_inexact 0
		.amdhsa_exception_int_div_zero 0
	.end_amdhsa_kernel
	.section	.text._ZN2at6native12_GLOBAL__N_112gatherMedianIhmLi2EEEvNS_4cuda6detail10TensorInfoIT_T0_EENS5_IlS7_EENS5_IKS6_S7_EES7_S7_S7_b,"axG",@progbits,_ZN2at6native12_GLOBAL__N_112gatherMedianIhmLi2EEEvNS_4cuda6detail10TensorInfoIT_T0_EENS5_IlS7_EENS5_IKS6_S7_EES7_S7_S7_b,comdat
.Lfunc_end77:
	.size	_ZN2at6native12_GLOBAL__N_112gatherMedianIhmLi2EEEvNS_4cuda6detail10TensorInfoIT_T0_EENS5_IlS7_EENS5_IKS6_S7_EES7_S7_S7_b, .Lfunc_end77-_ZN2at6native12_GLOBAL__N_112gatherMedianIhmLi2EEEvNS_4cuda6detail10TensorInfoIT_T0_EENS5_IlS7_EENS5_IKS6_S7_EES7_S7_S7_b
                                        ; -- End function
	.set _ZN2at6native12_GLOBAL__N_112gatherMedianIhmLi2EEEvNS_4cuda6detail10TensorInfoIT_T0_EENS5_IlS7_EENS5_IKS6_S7_EES7_S7_S7_b.num_vgpr, 58
	.set _ZN2at6native12_GLOBAL__N_112gatherMedianIhmLi2EEEvNS_4cuda6detail10TensorInfoIT_T0_EENS5_IlS7_EENS5_IKS6_S7_EES7_S7_S7_b.num_agpr, 0
	.set _ZN2at6native12_GLOBAL__N_112gatherMedianIhmLi2EEEvNS_4cuda6detail10TensorInfoIT_T0_EENS5_IlS7_EENS5_IKS6_S7_EES7_S7_S7_b.numbered_sgpr, 100
	.set _ZN2at6native12_GLOBAL__N_112gatherMedianIhmLi2EEEvNS_4cuda6detail10TensorInfoIT_T0_EENS5_IlS7_EENS5_IKS6_S7_EES7_S7_S7_b.num_named_barrier, 0
	.set _ZN2at6native12_GLOBAL__N_112gatherMedianIhmLi2EEEvNS_4cuda6detail10TensorInfoIT_T0_EENS5_IlS7_EENS5_IKS6_S7_EES7_S7_S7_b.private_seg_size, 0
	.set _ZN2at6native12_GLOBAL__N_112gatherMedianIhmLi2EEEvNS_4cuda6detail10TensorInfoIT_T0_EENS5_IlS7_EENS5_IKS6_S7_EES7_S7_S7_b.uses_vcc, 1
	.set _ZN2at6native12_GLOBAL__N_112gatherMedianIhmLi2EEEvNS_4cuda6detail10TensorInfoIT_T0_EENS5_IlS7_EENS5_IKS6_S7_EES7_S7_S7_b.uses_flat_scratch, 0
	.set _ZN2at6native12_GLOBAL__N_112gatherMedianIhmLi2EEEvNS_4cuda6detail10TensorInfoIT_T0_EENS5_IlS7_EENS5_IKS6_S7_EES7_S7_S7_b.has_dyn_sized_stack, 0
	.set _ZN2at6native12_GLOBAL__N_112gatherMedianIhmLi2EEEvNS_4cuda6detail10TensorInfoIT_T0_EENS5_IlS7_EENS5_IKS6_S7_EES7_S7_S7_b.has_recursion, 0
	.set _ZN2at6native12_GLOBAL__N_112gatherMedianIhmLi2EEEvNS_4cuda6detail10TensorInfoIT_T0_EENS5_IlS7_EENS5_IKS6_S7_EES7_S7_S7_b.has_indirect_call, 0
	.section	.AMDGPU.csdata,"",@progbits
; Kernel info:
; codeLenInByte = 15584
; TotalNumSgprs: 106
; NumVgprs: 58
; NumAgprs: 0
; TotalNumVgprs: 58
; ScratchSize: 0
; MemoryBound: 0
; FloatMode: 240
; IeeeMode: 1
; LDSByteSize: 5152 bytes/workgroup (compile time only)
; SGPRBlocks: 13
; VGPRBlocks: 7
; NumSGPRsForWavesPerEU: 106
; NumVGPRsForWavesPerEU: 58
; AccumOffset: 60
; Occupancy: 7
; WaveLimiterHint : 1
; COMPUTE_PGM_RSRC2:SCRATCH_EN: 0
; COMPUTE_PGM_RSRC2:USER_SGPR: 2
; COMPUTE_PGM_RSRC2:TRAP_HANDLER: 0
; COMPUTE_PGM_RSRC2:TGID_X_EN: 1
; COMPUTE_PGM_RSRC2:TGID_Y_EN: 1
; COMPUTE_PGM_RSRC2:TGID_Z_EN: 1
; COMPUTE_PGM_RSRC2:TIDIG_COMP_CNT: 0
; COMPUTE_PGM_RSRC3_GFX90A:ACCUM_OFFSET: 14
; COMPUTE_PGM_RSRC3_GFX90A:TG_SPLIT: 0
	.section	.text._ZN2at6native12_GLOBAL__N_112gatherMedianIhmLi3EEEvNS_4cuda6detail10TensorInfoIT_T0_EENS5_IlS7_EENS5_IKS6_S7_EES7_S7_S7_b,"axG",@progbits,_ZN2at6native12_GLOBAL__N_112gatherMedianIhmLi3EEEvNS_4cuda6detail10TensorInfoIT_T0_EENS5_IlS7_EENS5_IKS6_S7_EES7_S7_S7_b,comdat
	.globl	_ZN2at6native12_GLOBAL__N_112gatherMedianIhmLi3EEEvNS_4cuda6detail10TensorInfoIT_T0_EENS5_IlS7_EENS5_IKS6_S7_EES7_S7_S7_b ; -- Begin function _ZN2at6native12_GLOBAL__N_112gatherMedianIhmLi3EEEvNS_4cuda6detail10TensorInfoIT_T0_EENS5_IlS7_EENS5_IKS6_S7_EES7_S7_S7_b
	.p2align	8
	.type	_ZN2at6native12_GLOBAL__N_112gatherMedianIhmLi3EEEvNS_4cuda6detail10TensorInfoIT_T0_EENS5_IlS7_EENS5_IKS6_S7_EES7_S7_S7_b,@function
_ZN2at6native12_GLOBAL__N_112gatherMedianIhmLi3EEEvNS_4cuda6detail10TensorInfoIT_T0_EENS5_IlS7_EENS5_IKS6_S7_EES7_S7_S7_b: ; @_ZN2at6native12_GLOBAL__N_112gatherMedianIhmLi3EEEvNS_4cuda6detail10TensorInfoIT_T0_EENS5_IlS7_EENS5_IKS6_S7_EES7_S7_S7_b
; %bb.0:
	s_load_dwordx2 s[12:13], s[0:1], 0x500
	s_load_dwordx4 s[56:59], s[0:1], 0x4e0
	s_add_u32 s16, s0, 0x500
	s_addc_u32 s17, s1, 0
	s_mov_b32 s31, 0
	s_waitcnt lgkmcnt(0)
	s_mul_i32 s4, s13, s4
	s_add_i32 s3, s4, s3
	s_mul_i32 s3, s3, s12
	s_add_i32 s30, s3, s2
	v_mov_b64_e32 v[2:3], s[30:31]
	v_cmp_le_u64_e32 vcc, s[58:59], v[2:3]
	s_cbranch_vccnz .LBB78_288
; %bb.1:
	s_load_dwordx4 s[4:7], s[0:1], 0x10
	s_mov_b64 s[8:9], 0
                                        ; implicit-def: $vgpr57 : SGPR spill to VGPR lane
	v_writelane_b32 v57, s8, 0
	s_waitcnt lgkmcnt(0)
	v_mov_b64_e32 v[2:3], s[6:7]
	v_writelane_b32 v57, s9, 1
	v_writelane_b32 v57, s4, 2
	v_cmp_lt_u64_e32 vcc, s[30:31], v[2:3]
	s_and_b64 vcc, exec, vcc
	v_writelane_b32 v57, s5, 3
	s_mov_b64 s[8:9], 0
	v_writelane_b32 v57, s6, 4
	v_writelane_b32 v57, s7, 5
	s_cbranch_vccnz .LBB78_3
; %bb.2:
	v_cvt_f32_u32_e32 v1, s6
	s_sub_i32 s3, 0, s6
	s_load_dwordx4 s[8:11], s[0:1], 0x10
	v_rcp_iflag_f32_e32 v1, v1
	s_nop 0
	v_mul_f32_e32 v1, 0x4f7ffffe, v1
	v_cvt_u32_f32_e32 v1, v1
	s_nop 0
	v_readfirstlane_b32 s4, v1
	s_mul_i32 s3, s3, s4
	s_mul_hi_u32 s3, s4, s3
	s_add_i32 s4, s4, s3
	s_mul_hi_u32 s3, s30, s4
	s_waitcnt lgkmcnt(0)
	s_mul_i32 s5, s3, s10
	s_load_dwordx4 s[8:11], s[0:1], 0x10
	s_sub_i32 s5, s30, s5
	s_add_i32 s4, s3, 1
	s_waitcnt lgkmcnt(0)
	s_sub_i32 s6, s5, s10
	s_load_dwordx4 s[8:11], s[0:1], 0x10
	s_waitcnt lgkmcnt(0)
	s_cmp_ge_u32 s5, s10
	s_load_dwordx4 s[8:11], s[0:1], 0x10
	s_cselect_b32 s3, s4, s3
	s_cselect_b32 s5, s6, s5
	s_add_i32 s4, s3, 1
	s_waitcnt lgkmcnt(0)
	s_mov_b32 s9, 0
	s_cmp_ge_u32 s5, s10
	s_cselect_b32 s8, s4, s3
	s_load_dwordx4 s[4:7], s[0:1], 0x10
.LBB78_3:
	s_waitcnt lgkmcnt(0)
	s_mov_b64 s[6:7], s[8:9]
	s_load_dwordx4 s[8:11], s[0:1], 0x1b0
	v_writelane_b32 v57, s6, 6
	v_mov_b64_e32 v[2:3], s[4:5]
	s_nop 0
	v_writelane_b32 v57, s7, 7
	s_waitcnt lgkmcnt(0)
	v_writelane_b32 v57, s8, 8
	v_cmp_lt_u64_e32 vcc, s[6:7], v[2:3]
	s_nop 0
	v_writelane_b32 v57, s9, 9
	v_writelane_b32 v57, s10, 10
	;; [unrolled: 1-line block ×3, first 2 shown]
	s_cbranch_vccnz .LBB78_5
; %bb.4:
	s_load_dwordx4 s[4:7], s[0:1], 0x10
	s_waitcnt lgkmcnt(0)
	s_mov_b64 s[10:11], s[6:7]
	s_mov_b64 s[8:9], s[4:5]
	v_cvt_f32_u32_e32 v1, s8
	s_sub_i32 s3, 0, s8
	v_readlane_b32 s6, v57, 6
	v_readlane_b32 s7, v57, 7
	v_rcp_iflag_f32_e32 v1, v1
	s_nop 0
	v_mul_f32_e32 v1, 0x4f7ffffe, v1
	v_cvt_u32_f32_e32 v1, v1
	s_nop 0
	v_readfirstlane_b32 s4, v1
	s_mul_i32 s3, s3, s4
	s_mul_hi_u32 s3, s4, s3
	s_add_i32 s4, s4, s3
	s_mul_hi_u32 s3, s6, s4
	s_mul_i32 s5, s3, s8
	s_sub_i32 s5, s6, s5
	s_add_i32 s4, s3, 1
	s_sub_i32 s6, s5, s8
	s_cmp_ge_u32 s5, s8
	s_cselect_b32 s3, s4, s3
	s_cselect_b32 s5, s6, s5
	s_add_i32 s4, s3, 1
	s_cmp_ge_u32 s5, s8
	s_load_dwordx4 s[8:11], s[0:1], 0x1b0
	s_cselect_b32 s4, s4, s3
	v_writelane_b32 v57, s4, 0
	s_nop 1
	v_writelane_b32 v57, s5, 1
.LBB78_5:
	s_waitcnt lgkmcnt(0)
	v_mov_b64_e32 v[2:3], s[10:11]
	v_cmp_lt_u64_e32 vcc, s[30:31], v[2:3]
	s_mov_b64 s[4:5], 0
	v_writelane_b32 v57, s4, 12
	s_mov_b64 s[14:15], 0
	s_nop 0
	v_writelane_b32 v57, s5, 13
	s_cbranch_vccnz .LBB78_7
; %bb.6:
	v_cvt_f32_u32_e32 v1, s10
	s_sub_i32 s3, 0, s10
	s_mov_b32 s15, 0
	v_rcp_iflag_f32_e32 v1, v1
	s_nop 0
	v_mul_f32_e32 v1, 0x4f7ffffe, v1
	v_cvt_u32_f32_e32 v1, v1
	s_nop 0
	v_readfirstlane_b32 s4, v1
	s_mul_i32 s3, s3, s4
	s_mul_hi_u32 s3, s4, s3
	s_add_i32 s4, s4, s3
	s_mul_hi_u32 s3, s30, s4
	s_mul_i32 s5, s3, s10
	s_sub_i32 s5, s30, s5
	s_add_i32 s4, s3, 1
	s_sub_i32 s6, s5, s10
	s_cmp_ge_u32 s5, s10
	s_cselect_b32 s3, s4, s3
	s_cselect_b32 s5, s6, s5
	s_add_i32 s4, s3, 1
	s_cmp_ge_u32 s5, s10
	s_cselect_b32 s14, s4, s3
.LBB78_7:
	s_load_dwordx4 s[4:7], s[0:1], 0x350
	v_mov_b64_e32 v[2:3], s[8:9]
	v_cmp_lt_u64_e32 vcc, s[14:15], v[2:3]
	s_cbranch_vccnz .LBB78_9
; %bb.8:
	s_load_dwordx4 s[8:11], s[0:1], 0x1b0
	s_waitcnt lgkmcnt(0)
	s_mov_b64 s[22:23], s[10:11]
	s_mov_b64 s[20:21], s[8:9]
	v_cvt_f32_u32_e32 v1, s20
	s_sub_i32 s3, 0, s20
	v_rcp_iflag_f32_e32 v1, v1
	s_nop 0
	v_mul_f32_e32 v1, 0x4f7ffffe, v1
	v_cvt_u32_f32_e32 v1, v1
	s_nop 0
	v_readfirstlane_b32 s8, v1
	s_mul_i32 s3, s3, s8
	s_mul_hi_u32 s3, s8, s3
	s_add_i32 s8, s8, s3
	s_mul_hi_u32 s3, s14, s8
	s_mul_i32 s9, s3, s20
	s_sub_i32 s9, s14, s9
	s_add_i32 s8, s3, 1
	s_sub_i32 s10, s9, s20
	s_cmp_ge_u32 s9, s20
	s_cselect_b32 s3, s8, s3
	s_cselect_b32 s9, s10, s9
	s_add_i32 s8, s3, 1
	s_cmp_ge_u32 s9, s20
	s_cselect_b32 s8, s8, s3
	v_writelane_b32 v57, s8, 12
	s_nop 1
	v_writelane_b32 v57, s9, 13
.LBB78_9:
	s_load_dwordx2 s[84:85], s[0:1], 0x4f0
	s_waitcnt lgkmcnt(0)
	v_mov_b64_e32 v[2:3], s[6:7]
	v_cmp_lt_u64_e32 vcc, s[30:31], v[2:3]
	v_writelane_b32 v57, s14, 14
	s_mov_b64 s[20:21], 0
	s_mov_b64 s[18:19], 0
	v_writelane_b32 v57, s15, 15
	s_cbranch_vccnz .LBB78_11
; %bb.10:
	v_cvt_f32_u32_e32 v1, s6
	s_sub_i32 s3, 0, s6
	s_mov_b32 s19, 0
	v_rcp_iflag_f32_e32 v1, v1
	s_nop 0
	v_mul_f32_e32 v1, 0x4f7ffffe, v1
	v_cvt_u32_f32_e32 v1, v1
	s_nop 0
	v_readfirstlane_b32 s8, v1
	s_mul_i32 s3, s3, s8
	s_mul_hi_u32 s3, s8, s3
	s_add_i32 s8, s8, s3
	s_mul_hi_u32 s3, s30, s8
	s_mul_i32 s9, s3, s6
	s_sub_i32 s9, s30, s9
	s_add_i32 s8, s3, 1
	s_sub_i32 s10, s9, s6
	s_cmp_ge_u32 s9, s6
	s_cselect_b32 s3, s8, s3
	s_cselect_b32 s9, s10, s9
	s_add_i32 s8, s3, 1
	s_cmp_ge_u32 s9, s6
	s_cselect_b32 s18, s8, s3
.LBB78_11:
	s_load_dwordx2 s[24:25], s[0:1], 0x420
	s_load_dwordx4 s[8:11], s[0:1], 0x410
	v_mov_b64_e32 v[2:3], s[4:5]
	v_cmp_lt_u64_e32 vcc, s[18:19], v[2:3]
	s_cbranch_vccnz .LBB78_13
; %bb.12:
	v_cvt_f32_u32_e32 v1, s4
	s_sub_i32 s3, 0, s4
	v_rcp_iflag_f32_e32 v1, v1
	s_nop 0
	v_mul_f32_e32 v1, 0x4f7ffffe, v1
	v_cvt_u32_f32_e32 v1, v1
	s_nop 0
	v_readfirstlane_b32 s13, v1
	s_mul_i32 s3, s3, s13
	s_mul_hi_u32 s3, s13, s3
	s_add_i32 s13, s13, s3
	s_mul_hi_u32 s3, s18, s13
	s_mul_i32 s14, s3, s4
	s_sub_i32 s14, s18, s14
	s_add_i32 s13, s3, 1
	s_sub_i32 s15, s14, s4
	s_cmp_ge_u32 s14, s4
	s_cselect_b32 s3, s13, s3
	s_cselect_b32 s14, s15, s14
	s_add_i32 s13, s3, 1
	s_cmp_ge_u32 s14, s4
	s_cselect_b32 s20, s13, s3
.LBB78_13:
	s_load_dwordx2 s[14:15], s[0:1], 0x280
	s_load_dwordx4 s[36:39], s[0:1], 0x270
	s_load_dwordx2 s[26:27], s[0:1], 0x340
	s_waitcnt lgkmcnt(0)
	v_writelane_b32 v57, s14, 16
	s_nop 1
	v_writelane_b32 v57, s15, 17
	v_writelane_b32 v57, s36, 18
	s_load_dwordx2 s[14:15], s[0:1], 0xe0
	s_nop 0
	v_writelane_b32 v57, s37, 19
	v_writelane_b32 v57, s38, 20
	;; [unrolled: 1-line block ×3, first 2 shown]
	s_load_dwordx4 s[36:39], s[0:1], 0xd0
	s_waitcnt lgkmcnt(0)
	v_writelane_b32 v57, s14, 22
	s_nop 1
	v_writelane_b32 v57, s15, 23
	v_writelane_b32 v57, s36, 24
	v_cmp_eq_u32_e64 s[14:15], 0, v0
	s_nop 0
	v_writelane_b32 v57, s37, 25
	v_writelane_b32 v57, s38, 26
	;; [unrolled: 1-line block ×3, first 2 shown]
	s_mov_b64 s[22:23], exec
	v_writelane_b32 v57, s14, 28
	s_nop 1
	v_writelane_b32 v57, s15, 29
	s_and_b64 s[14:15], s[22:23], s[14:15]
	s_mov_b64 exec, s[14:15]
; %bb.14:
	v_mov_b32_e32 v2, 0
	v_mov_b32_e32 v3, v2
	ds_write_b64 v2, v[2:3] offset:5136
; %bb.15:
	s_or_b64 exec, exec, s[22:23]
	s_load_dwordx2 s[14:15], s[0:1], 0x1a0
	v_mov_b32_e32 v3, 0
	s_waitcnt lgkmcnt(0)
	s_barrier
	v_writelane_b32 v57, s14, 30
	s_barrier
	ds_read_b64 v[4:5], v3 offset:5136
	v_writelane_b32 v57, s15, 31
	s_load_dwordx2 s[14:15], s[0:1], 0x0
	s_waitcnt lgkmcnt(0)
	v_readfirstlane_b32 s22, v4
	v_readfirstlane_b32 s23, v5
	v_writelane_b32 v57, s14, 32
	s_nop 1
	v_writelane_b32 v57, s15, 33
	s_mov_b64 s[28:29], exec
	v_readlane_b32 s14, v57, 28
	v_readlane_b32 s15, v57, 29
	s_and_b64 s[14:15], s[28:29], s[14:15]
	s_mov_b64 exec, s[14:15]
	s_cbranch_execz .LBB78_17
; %bb.16:
	v_mov_b32_e32 v4, 0
	v_mov_b32_e32 v6, s56
	;; [unrolled: 1-line block ×4, first 2 shown]
	ds_write_b32 v4, v4 offset:5144
	ds_write_b128 v4, v[4:7] offset:5120
.LBB78_17:
	s_or_b64 exec, exec, s[28:29]
	s_load_dword s3, s[0:1], 0x4f8
	v_cmp_lt_i64_e64 s[0:1], s[22:23], 1
	s_mul_i32 s7, s18, s7
	v_mov_b32_e32 v1, v3
	v_mbcnt_lo_u32_b32 v2, -1, 0
	s_waitcnt lgkmcnt(0)
	s_bitcmp1_b32 s3, 0
	s_cselect_b64 s[14:15], -1, 0
	s_not_b64 s[22:23], s[22:23]
	s_or_b64 s[0:1], s[14:15], s[0:1]
	s_add_u32 s14, s56, s22
	s_addc_u32 s15, s57, s23
	s_lshr_b64 s[14:15], s[14:15], 1
	s_add_u32 s3, s14, 1
	s_addc_u32 s13, s15, 0
	s_and_b64 s[0:1], s[0:1], exec
	s_mul_hi_u32 s0, s18, s6
	s_cselect_b32 s23, s13, s57
	s_cselect_b32 s22, s3, s56
	s_add_i32 s0, s0, s7
	s_mul_i32 s1, s18, s6
	s_mov_b32 s6, s30
	v_writelane_b32 v57, s6, 34
	s_sub_u32 s1, s30, s1
	s_subb_u32 s0, 0, s0
	v_writelane_b32 v57, s7, 35
	s_mul_i32 s3, s1, s25
	s_mul_hi_u32 s6, s1, s24
	s_add_i32 s3, s6, s3
	s_mul_i32 s0, s0, s24
	s_add_i32 s3, s3, s0
	s_mul_i32 s0, s20, s5
	s_mul_hi_u32 s5, s20, s4
	s_add_i32 s5, s5, s0
	s_mul_i32 s0, s20, s4
	s_sub_u32 s0, s18, s0
	s_subb_u32 s4, s19, s5
	s_mul_i32 s5, s0, s11
	s_mul_hi_u32 s6, s0, s10
	s_add_i32 s5, s6, s5
	s_mul_i32 s4, s4, s10
	s_add_i32 s5, s5, s4
	s_mul_i32 s4, s20, s9
	s_mul_hi_u32 s6, s20, s8
	s_add_i32 s6, s6, s4
	s_mul_i32 s4, s20, s8
	s_add_u32 s4, s26, s4
	s_mul_i32 s0, s0, s10
	s_addc_u32 s6, s27, s6
	s_add_u32 s0, s4, s0
	s_mul_i32 s1, s1, s24
	s_addc_u32 s4, s6, s5
	s_add_u32 s96, s0, s1
	v_cmp_gt_u64_e64 s[0:1], s[56:57], v[0:1]
	v_mbcnt_hi_u32_b32 v28, -1, v2
	v_cmp_gt_u32_e32 vcc, 64, v0
	v_writelane_b32 v57, s0, 36
	s_addc_u32 s97, s4, s3
	v_mov_b64_e32 v[4:5], 0xc00
	v_writelane_b32 v57, s1, 37
	v_cmp_gt_i32_e64 s[0:1], 4, v28
	s_and_b64 s[88:89], vcc, s[0:1]
	v_cmp_gt_u32_e64 s[0:1], 2, v0
	v_mov_b64_e32 v[12:13], s[96:97]
	s_nop 0
	v_writelane_b32 v57, s0, 38
	s_barrier
	s_nop 0
	v_writelane_b32 v57, s1, 39
	v_cmp_gt_u64_e64 s[0:1], s[56:57], v[4:5]
	v_mov_b32_e32 v7, -1
	v_not_b32_e32 v6, v0
	v_writelane_b32 v57, s0, 40
	s_mov_b32 s99, 0
	s_mov_b32 s65, s85
	v_writelane_b32 v57, s1, 41
	v_mad_u64_u32 v[14:15], s[0:1], s84, v0, v[12:13]
	v_mov_b32_e32 v2, v15
	v_mad_u64_u32 v[4:5], s[0:1], s85, v0, v[2:3]
	s_load_dword s0, s[16:17], 0xc
	v_lshlrev_b32_e32 v2, 2, v28
	v_and_b32_e32 v29, 0x100, v2
	v_lshrrev_b32_e32 v2, 1, v0
	v_and_b32_e32 v2, 0x1e0, v2
	s_waitcnt lgkmcnt(0)
	s_and_b32 s94, s0, 0xffff
	s_bfe_u32 s0, s0, 0xa0006
	v_mov_b32_e32 v15, v4
	v_lshlrev_b64 v[4:5], v28, -1
	s_cmp_gt_u32 s94, 63
	v_or_b32_e32 v30, 0xc00, v2
	v_add_u32_e32 v2, 2, v0
	v_not_b32_e32 v18, v4
	s_cselect_b64 s[6:7], -1, 0
	s_add_u32 s1, s94, -1
	v_mov_b32_e32 v4, s57
	v_cmp_gt_u64_e32 vcc, s[56:57], v[2:3]
	v_not_b32_e32 v19, v5
	v_writelane_b32 v57, s6, 42
	s_addc_u32 s3, 0, -1
	v_cndmask_b32_e32 v5, 0, v4, vcc
	v_mov_b32_e32 v4, s56
	v_writelane_b32 v57, s7, 43
	s_add_u32 s14, s1, s56
	v_cndmask_b32_e32 v4, v2, v4, vcc
	v_writelane_b32 v57, s1, 44
	s_addc_u32 s69, s3, s57
	v_lshl_add_u64 v[4:5], v[4:5], 0, v[6:7]
	v_writelane_b32 v57, s3, 45
	s_cmp_lt_u32 s2, s12
	v_cmp_lt_u64_e64 s[2:3], 3, v[4:5]
	s_cselect_b32 s1, 12, 18
	v_and_b32_e32 v20, -4, v4
	v_writelane_b32 v57, s2, 46
	v_mov_b32_e32 v21, v5
	s_add_u32 s70, s16, s1
	v_writelane_b32 v57, s3, 47
	v_cmp_ne_u64_e64 s[2:3], v[4:5], v[20:21]
	s_addc_u32 s71, s17, 0
	s_add_i32 s1, s0, -1
	v_writelane_b32 v57, s2, 48
	s_and_b32 s1, s1, 0xffff
	v_mov_b32_e32 v2, 0xc00
	v_writelane_b32 v57, s3, 49
	s_bfe_u32 s2, s94, 0x30006
	s_cmp_gt_u32 s1, 6
	s_cselect_b64 s[8:9], -1, 0
	v_writelane_b32 v57, s8, 50
	s_and_b32 s6, s0, 0x3f8
	s_cmp_lg_u32 s2, 0
	v_writelane_b32 v57, s9, 51
	v_writelane_b32 v57, s2, 52
	s_cselect_b64 s[0:1], -1, 0
	v_writelane_b32 v57, s0, 53
	v_cmp_eq_u32_e64 s[4:5], 0, v28
	v_lshlrev_b32_e32 v16, 2, v0
	v_writelane_b32 v57, s1, 54
	v_mov_b32_e32 v17, v3
	s_mov_b32 s95, s99
	v_lshl_add_u64 v[22:23], v[20:21], 0, v[0:1]
	s_mov_b32 s15, s84
	s_mov_b32 s67, s85
	s_mov_b32 s33, s84
	s_mov_b32 s86, s84
	s_mov_b32 s66, s85
	s_mov_b32 s7, 6
	v_lshl_or_b32 v32, v28, 3, v2
	s_mov_b64 s[12:13], 0
	v_mov_b64_e32 v[24:25], s[22:23]
	s_movk_i32 s76, 0xff
	s_mov_b32 s77, 0xc0c0004
	v_mov_b64_e32 v[40:41], s[56:57]
	v_mov_b32_e32 v33, 0x4f800000
	v_mov_b32_e32 v34, 8
	;; [unrolled: 1-line block ×3, first 2 shown]
	s_mov_b32 s87, 0
	v_mov_b32_e32 v31, 0
	v_mov_b32_e32 v35, 0
	v_writelane_b32 v57, s65, 55
                                        ; implicit-def: $sgpr90_sgpr91
                                        ; implicit-def: $sgpr72_sgpr73
                                        ; implicit-def: $sgpr10_sgpr11
                                        ; implicit-def: $sgpr82_sgpr83
                                        ; implicit-def: $sgpr58_sgpr59
                                        ; implicit-def: $sgpr74_sgpr75
	v_writelane_b32 v57, s66, 56
	s_branch .LBB78_21
.LBB78_18:                              ;   in Loop: Header=BB78_21 Depth=1
	s_or_b64 exec, exec, s[20:21]
	s_and_b64 s[20:21], s[18:19], exec
	s_andn2_b64 s[24:25], s[24:25], exec
	s_andn2_b64 s[0:1], s[0:1], exec
	s_orn2_b64 s[18:19], s[8:9], exec
.LBB78_19:                              ;   in Loop: Header=BB78_21 Depth=1
	s_or_b64 exec, exec, s[2:3]
	s_andn2_b64 s[2:3], s[74:75], exec
	s_and_b64 s[8:9], s[20:21], exec
	s_or_b64 s[74:75], s[2:3], s[8:9]
	s_andn2_b64 s[2:3], s[58:59], exec
	s_and_b64 s[8:9], s[24:25], exec
	s_or_b64 s[58:59], s[2:3], s[8:9]
	;; [unrolled: 3-line block ×3, first 2 shown]
	s_orn2_b64 s[0:1], s[18:19], exec
.LBB78_20:                              ;   in Loop: Header=BB78_21 Depth=1
	s_or_b64 exec, exec, s[16:17]
	s_and_b64 s[0:1], exec, s[0:1]
	s_or_b64 s[12:13], s[0:1], s[12:13]
	s_andn2_b64 s[0:1], s[10:11], exec
	s_and_b64 s[2:3], s[74:75], exec
	s_or_b64 s[10:11], s[0:1], s[2:3]
	s_andn2_b64 s[0:1], s[72:73], exec
	s_and_b64 s[2:3], s[58:59], exec
	;; [unrolled: 3-line block ×3, first 2 shown]
	s_or_b64 s[90:91], s[0:1], s[2:3]
	v_mov_b64_e32 v[24:25], v[8:9]
	s_andn2_b64 exec, exec, s[12:13]
	s_cbranch_execz .LBB78_284
.LBB78_21:                              ; =>This Loop Header: Depth=1
                                        ;     Child Loop BB78_26 Depth 2
                                        ;     Child Loop BB78_40 Depth 2
                                        ;     Child Loop BB78_44 Depth 2
                                        ;     Child Loop BB78_79 Depth 2
                                        ;     Child Loop BB78_83 Depth 2
                                        ;     Child Loop BB78_68 Depth 2
                                        ;     Child Loop BB78_73 Depth 2
                                        ;     Child Loop BB78_61 Depth 2
                                        ;     Child Loop BB78_90 Depth 2
                                        ;     Child Loop BB78_103 Depth 2
                                        ;     Child Loop BB78_117 Depth 2
                                        ;     Child Loop BB78_146 Depth 2
                                        ;     Child Loop BB78_165 Depth 2
                                        ;     Child Loop BB78_195 Depth 2
                                        ;     Child Loop BB78_211 Depth 2
                                        ;     Child Loop BB78_240 Depth 2
                                        ;     Child Loop BB78_256 Depth 2
	ds_read_b128 v[4:7], v3 offset:5120
	s_waitcnt lgkmcnt(0)
	v_readfirstlane_b32 s81, v5
	v_readfirstlane_b32 s80, v4
	s_cmp_lg_u64 s[80:81], 0
	s_cbranch_scc1 .LBB78_53
; %bb.22:                               ;   in Loop: Header=BB78_21 Depth=1
	v_readlane_b32 s0, v57, 40
	v_readlane_b32 s1, v57, 41
	s_and_b64 vcc, exec, s[0:1]
	s_cbranch_vccz .LBB78_34
; %bb.23:                               ;   in Loop: Header=BB78_21 Depth=1
	s_mov_b64 s[0:1], 0xc01
	v_cmp_gt_u64_e32 vcc, s[0:1], v[6:7]
	s_mov_b64 s[8:9], 0
	s_mov_b64 s[0:1], 0
	s_cbranch_vccz .LBB78_35
; %bb.24:                               ;   in Loop: Header=BB78_21 Depth=1
	global_load_ushort v2, v3, s[70:71]
	global_load_ubyte v6, v[14:15], off
	s_mov_b64 s[16:17], 0
	v_mov_b64_e32 v[4:5], v[0:1]
	s_waitcnt vmcnt(1)
	v_and_b32_e32 v2, 0xffff, v2
	s_branch .LBB78_26
.LBB78_25:                              ;   in Loop: Header=BB78_26 Depth=2
	s_or_b64 exec, exec, s[2:3]
	v_mov_b32_e32 v6, v7
	s_andn2_b64 exec, exec, s[16:17]
	s_cbranch_execz .LBB78_151
.LBB78_26:                              ;   Parent Loop BB78_21 Depth=1
                                        ; =>  This Inner Loop Header: Depth=2
	v_lshl_add_u64 v[4:5], v[4:5], 0, v[2:3]
	v_cmp_gt_u64_e64 s[0:1], s[56:57], v[4:5]
	v_cmp_le_u64_e32 vcc, s[56:57], v[4:5]
	s_waitcnt lgkmcnt(0)
	v_mov_b32_e32 v8, 0
	v_mov_b32_e32 v7, 0
	s_and_saveexec_b64 s[2:3], s[0:1]
	s_cbranch_execz .LBB78_28
; %bb.27:                               ;   in Loop: Header=BB78_26 Depth=2
	v_mad_u64_u32 v[10:11], s[0:1], v4, s84, v[12:13]
	v_mul_lo_u32 v7, v4, s85
	v_mul_lo_u32 v9, v5, s84
	v_add3_u32 v11, v9, v11, v7
	global_load_ubyte v7, v[10:11], off
.LBB78_28:                              ;   in Loop: Header=BB78_26 Depth=2
	s_or_b64 exec, exec, s[2:3]
	s_waitcnt vmcnt(0)
	v_bitop3_b32 v9, v6, s76, v35 bitop3:0x80
	v_cmp_eq_u32_e64 s[0:1], v9, v31
	s_cmp_lg_u64 s[0:1], 0
	s_cselect_b64 s[2:3], -1, 0
	s_and_b64 s[2:3], s[4:5], s[2:3]
	s_and_saveexec_b64 s[18:19], s[2:3]
	s_cbranch_execz .LBB78_32
; %bb.29:                               ;   in Loop: Header=BB78_26 Depth=2
	s_mov_b64 s[22:23], exec
	v_mbcnt_lo_u32_b32 v8, s22, 0
	v_mbcnt_hi_u32_b32 v8, s23, v8
	s_bcnt1_i32_b64 s24, s[0:1]
	v_cmp_eq_u32_e64 s[2:3], 0, v8
                                        ; implicit-def: $vgpr9
	s_and_saveexec_b64 s[20:21], s[2:3]
; %bb.30:                               ;   in Loop: Header=BB78_26 Depth=2
	s_bcnt1_i32_b64 s2, s[22:23]
	s_mul_i32 s2, s24, s2
	v_mov_b32_e32 v9, s2
	ds_add_rtn_u32 v9, v3, v9 offset:5144
; %bb.31:                               ;   in Loop: Header=BB78_26 Depth=2
	s_or_b64 exec, exec, s[20:21]
	s_waitcnt lgkmcnt(0)
	v_readfirstlane_b32 s2, v9
	s_nop 1
	v_mov_b32_e32 v9, s2
	v_mad_u32_u24 v8, s24, v8, v9
.LBB78_32:                              ;   in Loop: Header=BB78_26 Depth=2
	s_or_b64 exec, exec, s[18:19]
	ds_bpermute_b32 v8, v29, v8
	s_and_b64 s[2:3], exec, vcc
	s_or_b64 s[16:17], s[2:3], s[16:17]
	s_and_saveexec_b64 s[2:3], s[0:1]
	s_cbranch_execz .LBB78_25
; %bb.33:                               ;   in Loop: Header=BB78_26 Depth=2
	v_and_b32_e32 v10, s0, v18
	v_and_b32_e32 v9, s1, v19
	v_bcnt_u32_b32 v10, v10, 0
	v_bcnt_u32_b32 v9, v9, v10
	s_waitcnt lgkmcnt(0)
	v_add_u32_e32 v8, v8, v9
	ds_write_b8 v8, v6
	s_branch .LBB78_25
.LBB78_34:                              ;   in Loop: Header=BB78_21 Depth=1
	s_mov_b64 s[8:9], -1
	s_mov_b64 s[0:1], 0
.LBB78_35:                              ;   in Loop: Header=BB78_21 Depth=1
	s_and_b64 vcc, exec, s[8:9]
	s_cbranch_vccz .LBB78_51
.LBB78_36:                              ;   in Loop: Header=BB78_21 Depth=1
	s_mov_b64 s[0:1], exec
	v_readlane_b32 s2, v57, 36
	v_readlane_b32 s3, v57, 37
	s_and_b64 s[2:3], s[0:1], s[2:3]
	s_mov_b64 exec, s[2:3]
	s_cbranch_execz .LBB78_48
; %bb.37:                               ;   in Loop: Header=BB78_21 Depth=1
	global_load_ushort v2, v3, s[70:71]
	global_load_ubyte v37, v[14:15], off
	v_mov_b32_e32 v6, v0
	s_waitcnt vmcnt(1)
	v_readfirstlane_b32 s8, v2
	v_add_u32_sdwa v2, v2, v0 dst_sel:DWORD dst_unused:UNUSED_PAD src0_sel:WORD_0 src1_sel:DWORD
	v_cmp_gt_u64_e32 vcc, s[56:57], v[2:3]
	s_and_saveexec_b64 s[2:3], vcc
	s_cbranch_execz .LBB78_47
; %bb.38:                               ;   in Loop: Header=BB78_21 Depth=1
	s_and_b32 s98, s8, 0xffff
	s_cmp_eq_u32 s98, 1
	v_readlane_b32 s16, v57, 46
	s_cselect_b64 s[8:9], -1, 0
	v_readlane_b32 s17, v57, 47
	s_and_b64 s[18:19], s[16:17], s[8:9]
	s_mov_b64 s[16:17], -1
	v_mov_b64_e32 v[8:9], v[0:1]
	v_mov_b64_e32 v[4:5], v[2:3]
                                        ; implicit-def: $vgpr6_vgpr7
	s_and_saveexec_b64 s[8:9], s[18:19]
	s_cbranch_execz .LBB78_42
; %bb.39:                               ;   in Loop: Header=BB78_21 Depth=1
	v_lshl_add_u64 v[8:9], v[2:3], 0, 3
	v_lshl_add_u64 v[6:7], v[2:3], 0, 2
	;; [unrolled: 1-line block ×3, first 2 shown]
	v_mov_b64_e32 v[10:11], v[8:9]
	s_waitcnt vmcnt(0)
	v_lshlrev_b32_e32 v39, 24, v37
	s_mov_b64 s[16:17], 0
	v_mov_b64_e32 v[26:27], v[20:21]
	v_mov_b32_e32 v38, v0
	v_mov_b64_e32 v[8:9], v[6:7]
	v_mov_b64_e32 v[6:7], v[4:5]
	;; [unrolled: 1-line block ×3, first 2 shown]
.LBB78_40:                              ;   Parent Loop BB78_21 Depth=1
                                        ; =>  This Inner Loop Header: Depth=2
	v_mov_b64_e32 v[42:43], s[96:97]
	v_mul_lo_u32 v55, v10, s66
	v_mul_lo_u32 v56, v11, s86
	v_mad_u64_u32 v[44:45], s[18:19], v4, s84, v[42:43]
	v_mad_u64_u32 v[46:47], s[18:19], v6, s15, v[42:43]
	;; [unrolled: 1-line block ×4, first 2 shown]
	v_mul_lo_u32 v37, v4, s85
	v_mul_lo_u32 v50, v5, s84
	;; [unrolled: 1-line block ×6, first 2 shown]
	v_add3_u32 v43, v56, v43, v55
	v_add3_u32 v45, v50, v45, v37
	;; [unrolled: 1-line block ×4, first 2 shown]
	global_load_ubyte v37, v[42:43], off
	s_nop 0
	global_load_ubyte v42, v[46:47], off
	global_load_ubyte v43, v[44:45], off
	s_nop 0
	global_load_ubyte v44, v[48:49], off
	s_mov_b32 s18, 0xc0c0007
	v_lshl_add_u64 v[26:27], v[26:27], 0, -4
	v_cmp_eq_u64_e32 vcc, 0, v[26:27]
	v_lshl_add_u64 v[10:11], v[10:11], 0, 4
	v_lshl_add_u64 v[8:9], v[8:9], 0, 4
	;; [unrolled: 1-line block ×4, first 2 shown]
	s_or_b64 s[16:17], vcc, s[16:17]
	s_waitcnt vmcnt(1)
	v_perm_b32 v45, v43, v42, s77
	s_waitcnt vmcnt(0)
	v_perm_b32 v46, v44, v37, s77
	v_perm_b32 v42, v42, v44, s77
	;; [unrolled: 1-line block ×3, first 2 shown]
	v_lshl_or_b32 v43, v46, 16, v45
	v_lshl_or_b32 v39, v42, 16, v39
	ds_write_b32 v38, v39
	v_add_u32_e32 v38, 4, v38
	v_mov_b32_e32 v39, v43
	s_andn2_b64 exec, exec, s[16:17]
	s_cbranch_execnz .LBB78_40
; %bb.41:                               ;   in Loop: Header=BB78_21 Depth=1
	s_or_b64 exec, exec, s[16:17]
	v_readlane_b32 s16, v57, 48
	v_lshl_add_u64 v[4:5], v[2:3], 0, v[20:21]
	v_readlane_b32 s17, v57, 49
	v_lshl_add_u64 v[6:7], v[4:5], 0, -1
	s_orn2_b64 s[16:17], s[16:17], exec
	v_mov_b64_e32 v[8:9], v[22:23]
.LBB78_42:                              ;   in Loop: Header=BB78_21 Depth=1
	s_or_b64 exec, exec, s[8:9]
	s_and_saveexec_b64 s[8:9], s[16:17]
	s_cbranch_execz .LBB78_46
; %bb.43:                               ;   in Loop: Header=BB78_21 Depth=1
	s_sub_u32 s16, 0, s98
	s_mov_b64 s[18:19], 0
	s_subb_u32 s17, 0, 0
.LBB78_44:                              ;   Parent Loop BB78_21 Depth=1
                                        ; =>  This Inner Loop Header: Depth=2
	v_mov_b64_e32 v[6:7], v[4:5]
	v_mov_b64_e32 v[4:5], s[96:97]
	v_mad_u64_u32 v[4:5], s[20:21], v6, s84, v[4:5]
	v_mul_lo_u32 v2, v6, s85
	v_mul_lo_u32 v9, v7, s84
	v_add3_u32 v5, v9, v5, v2
	global_load_ubyte v2, v[4:5], off
	v_lshl_add_u64 v[4:5], v[6:7], 0, s[98:99]
	v_cmp_le_u64_e32 vcc, s[56:57], v[4:5]
	s_waitcnt vmcnt(1)
	ds_write_b8 v8, v37
	v_mov_b64_e32 v[8:9], v[6:7]
	s_or_b64 s[18:19], vcc, s[18:19]
	s_waitcnt vmcnt(0)
	v_mov_b32_e32 v37, v2
	s_andn2_b64 exec, exec, s[18:19]
	s_cbranch_execnz .LBB78_44
; %bb.45:                               ;   in Loop: Header=BB78_21 Depth=1
	s_or_b64 exec, exec, s[18:19]
	v_lshl_add_u64 v[6:7], s[16:17], 0, v[4:5]
	v_mov_b32_e32 v37, v2
.LBB78_46:                              ;   in Loop: Header=BB78_21 Depth=1
	s_or_b64 exec, exec, s[8:9]
.LBB78_47:                              ;   in Loop: Header=BB78_21 Depth=1
	s_or_b64 exec, exec, s[2:3]
	s_waitcnt vmcnt(0)
	ds_write_b8 v6, v37
.LBB78_48:                              ;   in Loop: Header=BB78_21 Depth=1
	s_or_b64 exec, exec, s[0:1]
	s_waitcnt lgkmcnt(0)
	s_barrier
	s_mov_b64 s[0:1], exec
	v_readlane_b32 s2, v57, 28
	v_readlane_b32 s3, v57, 29
	s_and_b64 s[2:3], s[0:1], s[2:3]
	s_mov_b64 exec, s[2:3]
; %bb.49:                               ;   in Loop: Header=BB78_21 Depth=1
	ds_write_b64 v3, v[40:41] offset:5120
; %bb.50:                               ;   in Loop: Header=BB78_21 Depth=1
	s_or_b64 exec, exec, s[0:1]
	s_mov_b64 s[0:1], -1
	s_waitcnt lgkmcnt(0)
	s_barrier
.LBB78_51:                              ;   in Loop: Header=BB78_21 Depth=1
	s_mov_b64 s[80:81], 0
	s_and_b64 vcc, exec, s[0:1]
	s_cbranch_vccz .LBB78_53
; %bb.52:                               ;   in Loop: Header=BB78_21 Depth=1
	ds_read_b64 v[4:5], v3 offset:5120
	s_waitcnt lgkmcnt(0)
	v_readfirstlane_b32 s80, v4
.LBB78_53:                              ;   in Loop: Header=BB78_21 Depth=1
	s_cmp_lt_i32 s80, 1
	s_mov_b64 s[0:1], -1
                                        ; implicit-def: $vgpr10_vgpr11
                                        ; implicit-def: $vgpr6_vgpr7
	s_cbranch_scc1 .LBB78_63
; %bb.54:                               ;   in Loop: Header=BB78_21 Depth=1
	s_and_b64 vcc, exec, s[0:1]
	s_cbranch_vccnz .LBB78_77
.LBB78_55:                              ;   in Loop: Header=BB78_21 Depth=1
	s_lshl_b32 s2, s87, 6
	s_and_saveexec_b64 s[0:1], s[4:5]
	s_cbranch_execz .LBB78_57
.LBB78_56:                              ;   in Loop: Header=BB78_21 Depth=1
	v_lshl_add_u32 v2, s2, 3, v30
	ds_write_b128 v2, v[4:7]
	ds_write_b128 v2, v[8:11] offset:16
.LBB78_57:                              ;   in Loop: Header=BB78_21 Depth=1
	s_or_b64 exec, exec, s[0:1]
	s_waitcnt lgkmcnt(0)
	s_barrier
	s_and_saveexec_b64 s[0:1], s[88:89]
	s_cbranch_execz .LBB78_92
; %bb.58:                               ;   in Loop: Header=BB78_21 Depth=1
	v_readlane_b32 s8, v57, 42
	v_readlane_b32 s9, v57, 43
	s_andn2_b64 vcc, exec, s[8:9]
	v_mov_b64_e32 v[4:5], 0
	s_cbranch_vccnz .LBB78_91
; %bb.59:                               ;   in Loop: Header=BB78_21 Depth=1
	v_readlane_b32 s8, v57, 50
	v_readlane_b32 s9, v57, 51
	s_andn2_b64 vcc, exec, s[8:9]
	s_cbranch_vccnz .LBB78_87
; %bb.60:                               ;   in Loop: Header=BB78_21 Depth=1
	v_lshl_add_u32 v2, s87, 9, v32
	v_mov_b64_e32 v[4:5], 0
	s_mov_b32 s3, 0
.LBB78_61:                              ;   Parent Loop BB78_21 Depth=1
                                        ; =>  This Inner Loop Header: Depth=2
	ds_read2_b64 v[6:9], v2 offset1:4
	ds_read2_b64 v[42:45], v2 offset0:8 offset1:12
	ds_read2_b64 v[46:49], v2 offset0:16 offset1:20
	ds_read2_b64 v[50:53], v2 offset0:24 offset1:28
	s_add_i32 s3, s3, 8
	s_waitcnt lgkmcnt(3)
	v_lshl_add_u64 v[4:5], v[6:7], 0, v[4:5]
	v_lshl_add_u64 v[4:5], v[8:9], 0, v[4:5]
	s_waitcnt lgkmcnt(2)
	v_lshl_add_u64 v[4:5], v[42:43], 0, v[4:5]
	v_lshl_add_u64 v[4:5], v[44:45], 0, v[4:5]
	;; [unrolled: 3-line block ×3, first 2 shown]
	s_waitcnt lgkmcnt(0)
	v_lshl_add_u64 v[4:5], v[50:51], 0, v[4:5]
	v_add_u32_e32 v2, 0x100, v2
	s_cmp_eq_u32 s6, s3
	v_lshl_add_u64 v[4:5], v[52:53], 0, v[4:5]
	s_cbranch_scc0 .LBB78_61
; %bb.62:                               ;   in Loop: Header=BB78_21 Depth=1
	s_mov_b32 s3, s6
	s_branch .LBB78_88
.LBB78_63:                              ;   in Loop: Header=BB78_21 Depth=1
	global_load_ushort v2, v3, s[70:71]
	s_mov_b32 s0, s99
	s_waitcnt vmcnt(0)
	v_readfirstlane_b32 s1, v2
	s_and_b32 s1, 0xffff, s1
	s_lshl_b32 s98, s1, 2
	s_mov_b32 s1, s57
	s_cmp_lg_u64 s[0:1], 0
	s_cbranch_scc0 .LBB78_86
; %bb.64:                               ;   in Loop: Header=BB78_21 Depth=1
	v_cvt_f32_u32_e32 v4, s98
	s_sub_u32 s2, 0, s98
	s_subb_u32 s3, 0, 0
	v_fmac_f32_e32 v4, 0, v33
	v_rcp_f32_e32 v4, v4
	s_nop 0
	v_mul_f32_e32 v4, 0x5f7ffffc, v4
	v_mul_f32_e32 v5, 0x2f800000, v4
	v_trunc_f32_e32 v5, v5
	v_fmac_f32_e32 v4, 0xcf800000, v5
	v_cvt_u32_f32_e32 v5, v5
	v_cvt_u32_f32_e32 v4, v4
	v_readfirstlane_b32 s8, v5
	v_readfirstlane_b32 s0, v4
	s_mul_i32 s1, s2, s8
	s_mul_hi_u32 s16, s2, s0
	s_mul_i32 s9, s3, s0
	s_add_i32 s1, s16, s1
	s_mul_i32 s17, s2, s0
	s_add_i32 s1, s1, s9
	s_mul_hi_u32 s16, s0, s17
	s_mul_i32 s18, s0, s1
	s_mul_hi_u32 s9, s0, s1
	s_add_u32 s16, s16, s18
	s_addc_u32 s9, 0, s9
	s_mul_hi_u32 s19, s8, s17
	s_mul_i32 s17, s8, s17
	s_add_u32 s16, s16, s17
	s_mul_hi_u32 s18, s8, s1
	s_addc_u32 s9, s9, s19
	s_addc_u32 s16, s18, 0
	s_mul_i32 s1, s8, s1
	s_add_u32 s1, s9, s1
	s_addc_u32 s9, 0, s16
	s_add_u32 s16, s0, s1
	s_cselect_b64 s[0:1], -1, 0
	s_cmp_lg_u64 s[0:1], 0
	s_addc_u32 s8, s8, s9
	s_mul_i32 s0, s2, s8
	s_mul_hi_u32 s1, s2, s16
	s_add_i32 s0, s1, s0
	s_mul_i32 s3, s3, s16
	s_add_i32 s0, s0, s3
	s_mul_i32 s2, s2, s16
	s_mul_hi_u32 s3, s8, s2
	s_mul_i32 s9, s8, s2
	s_mul_i32 s18, s16, s0
	s_mul_hi_u32 s2, s16, s2
	s_mul_hi_u32 s17, s16, s0
	s_add_u32 s2, s2, s18
	s_addc_u32 s17, 0, s17
	s_add_u32 s2, s2, s9
	s_mul_hi_u32 s1, s8, s0
	s_addc_u32 s2, s17, s3
	s_addc_u32 s1, s1, 0
	s_mul_i32 s0, s8, s0
	s_add_u32 s0, s2, s0
	s_addc_u32 s2, 0, s1
	s_add_u32 s3, s16, s0
	s_cselect_b64 s[0:1], -1, 0
	s_cmp_lg_u64 s[0:1], 0
	s_addc_u32 s0, s8, s2
	s_mul_i32 s2, s56, s0
	s_mul_hi_u32 s8, s56, s3
	s_mul_hi_u32 s1, s56, s0
	s_add_u32 s2, s8, s2
	s_addc_u32 s1, 0, s1
	s_mul_hi_u32 s9, s57, s3
	s_mul_i32 s3, s57, s3
	s_add_u32 s2, s2, s3
	s_mul_hi_u32 s8, s57, s0
	s_addc_u32 s1, s1, s9
	s_addc_u32 s2, s8, 0
	s_mul_i32 s0, s57, s0
	s_add_u32 s0, s1, s0
	s_addc_u32 s1, 0, s2
	s_mul_i32 s1, s98, s1
	s_mul_hi_u32 s2, s98, s0
	s_add_i32 s2, s2, s1
	s_mul_i32 s0, s98, s0
	s_sub_u32 s3, s56, s0
	s_cselect_b64 s[0:1], -1, 0
	s_cmp_lg_u64 s[0:1], 0
	s_subb_u32 s2, s57, s2
	s_sub_u32 s8, s3, s98
	s_cselect_b64 s[0:1], -1, 0
	s_cmp_lg_u64 s[0:1], 0
	s_subb_u32 s9, s2, 0
	;; [unrolled: 4-line block ×3, first 2 shown]
	s_cmp_ge_u32 s8, s98
	s_cselect_b32 s1, -1, 0
	s_cmp_eq_u32 s9, 0
	s_cselect_b32 s1, s1, -1
	s_cmp_lg_u32 s1, 0
	s_cselect_b32 s0, s0, s9
	s_cselect_b32 s8, s16, s8
	s_cmp_ge_u32 s3, s98
	s_cselect_b32 s1, -1, 0
	s_cmp_eq_u32 s2, 0
	s_cselect_b32 s1, s1, -1
	s_cmp_lg_u32 s1, 0
	s_cselect_b32 s1, s0, s2
	s_cselect_b32 s0, s8, s3
	s_cbranch_execnz .LBB78_66
.LBB78_65:                              ;   in Loop: Header=BB78_21 Depth=1
	v_cvt_f32_u32_e32 v4, s98
	s_sub_i32 s0, 0, s98
	v_rcp_iflag_f32_e32 v4, v4
	s_nop 0
	v_mul_f32_e32 v4, 0x4f7ffffe, v4
	v_cvt_u32_f32_e32 v4, v4
	s_nop 0
	v_readfirstlane_b32 s1, v4
	s_mul_i32 s0, s0, s1
	s_mul_hi_u32 s0, s1, s0
	s_add_i32 s1, s1, s0
	s_mul_hi_u32 s0, s56, s1
	s_mul_i32 s0, s0, s98
	s_sub_i32 s0, s56, s0
	s_sub_i32 s1, s0, s98
	s_cmp_ge_u32 s0, s98
	s_cselect_b32 s0, s1, s0
	s_sub_i32 s1, s0, s98
	s_cmp_ge_u32 s0, s98
	s_cselect_b32 s0, s1, s0
	s_mov_b32 s1, s99
.LBB78_66:                              ;   in Loop: Header=BB78_21 Depth=1
	s_sub_u32 s54, s56, s0
	s_subb_u32 s55, s57, s1
	v_cmp_gt_u64_e32 vcc, s[54:55], v[16:17]
	v_mov_b64_e32 v[4:5], 0
	v_mov_b64_e32 v[6:7], 0
	;; [unrolled: 1-line block ×4, first 2 shown]
	s_and_saveexec_b64 s[30:31], vcc
	s_cbranch_execz .LBB78_70
; %bb.67:                               ;   in Loop: Header=BB78_21 Depth=1
	s_mov_b64 s[60:61], 0
	s_mov_b64 s[62:63], 0
	;; [unrolled: 1-line block ×5, first 2 shown]
	v_mov_b64_e32 v[26:27], v[16:17]
.LBB78_68:                              ;   Parent Loop BB78_21 Depth=1
                                        ; =>  This Inner Loop Header: Depth=2
	v_mov_b64_e32 v[4:5], s[96:97]
	v_mul_lo_u32 v6, v26, s85
	v_mul_lo_u32 v7, v27, s84
	v_mad_u64_u32 v[4:5], s[0:1], v26, s84, v[4:5]
	v_add3_u32 v5, v7, v5, v6
	global_load_ubyte v6, v[4:5], off
	v_lshl_add_u64 v[4:5], v[4:5], 0, s[84:85]
	global_load_ubyte v7, v[4:5], off
	v_lshl_add_u64 v[4:5], v[4:5], 0, s[84:85]
	;; [unrolled: 2-line block ×4, first 2 shown]
	v_cmp_le_u64_e32 vcc, s[54:55], v[26:27]
	s_waitcnt vmcnt(3)
	v_and_b32_e32 v5, v35, v6
	v_bfe_u32 v6, v6, s7, 2
	v_cmp_eq_u32_e64 s[16:17], v5, v31
	s_waitcnt vmcnt(2)
	v_and_b32_e32 v5, v35, v7
	v_cmp_eq_u32_e64 s[2:3], 0, v6
	v_bfe_u32 v7, v7, s7, 2
	v_cmp_eq_u32_e64 s[34:35], 1, v6
	v_cmp_eq_u32_e64 s[36:37], 2, v6
	;; [unrolled: 1-line block ×4, first 2 shown]
	s_waitcnt vmcnt(1)
	v_and_b32_e32 v5, v35, v8
	v_bfe_u32 v6, v8, s7, 2
	s_and_b64 s[2:3], s[16:17], s[2:3]
	v_cmp_eq_u32_e64 s[26:27], 0, v7
	v_cmp_eq_u32_e64 s[38:39], 1, v7
	;; [unrolled: 1-line block ×4, first 2 shown]
	v_cndmask_b32_e64 v7, 0, 1, s[2:3]
	v_cmp_eq_u32_e64 s[22:23], v5, v31
	s_waitcnt vmcnt(0)
	v_and_b32_e32 v5, v35, v4
	v_bfe_u32 v4, v4, s7, 2
	v_cmp_eq_u32_e64 s[2:3], 0, v6
	s_and_b64 s[8:9], s[0:1], s[26:27]
	v_cmp_eq_u32_e64 s[26:27], v5, v31
	v_cmp_eq_u32_e64 s[48:49], 0, v4
	s_and_b64 s[2:3], s[22:23], s[2:3]
	v_cmp_eq_u32_e64 s[42:43], 1, v6
	v_cmp_eq_u32_e64 s[44:45], 2, v6
	;; [unrolled: 1-line block ×3, first 2 shown]
	v_cndmask_b32_e64 v6, 0, 1, s[8:9]
	v_cmp_eq_u32_e64 s[50:51], 1, v4
	v_cmp_eq_u32_e64 s[52:53], 2, v4
	;; [unrolled: 1-line block ×3, first 2 shown]
	v_cndmask_b32_e64 v4, 0, 1, s[2:3]
	s_and_b64 s[8:9], s[26:27], s[48:49]
	v_cmp_ne_u32_e64 s[46:47], 0, v7
	v_cmp_ne_u32_e64 s[2:3], 0, v4
	v_cndmask_b32_e64 v4, 0, 1, s[8:9]
	s_bcnt1_i32_b64 s66, s[46:47]
	v_cmp_ne_u32_e64 s[46:47], 0, v6
	s_bcnt1_i32_b64 s8, s[2:3]
	v_cmp_ne_u32_e64 s[2:3], 0, v4
	s_bcnt1_i32_b64 s46, s[46:47]
	s_bcnt1_i32_b64 s2, s[2:3]
	s_add_u32 s3, s66, s64
	s_addc_u32 s9, 0, s65
	s_add_u32 s3, s3, s46
	s_addc_u32 s9, s9, 0
	;; [unrolled: 2-line block ×4, first 2 shown]
	s_and_b64 s[2:3], s[16:17], s[34:35]
	v_cndmask_b32_e64 v6, 0, 1, s[2:3]
	s_and_b64 s[2:3], s[0:1], s[38:39]
	v_cndmask_b32_e64 v7, 0, 1, s[2:3]
	;; [unrolled: 2-line block ×4, first 2 shown]
	v_cmp_ne_u32_e64 s[2:3], 0, v6
	v_cmp_ne_u32_e64 s[34:35], 0, v7
	;; [unrolled: 1-line block ×4, first 2 shown]
	s_bcnt1_i32_b64 s2, s[2:3]
	s_bcnt1_i32_b64 s3, s[34:35]
	;; [unrolled: 1-line block ×4, first 2 shown]
	s_add_u32 s2, s2, s78
	s_addc_u32 s34, 0, s79
	s_add_u32 s2, s2, s3
	s_addc_u32 s3, s34, 0
	;; [unrolled: 2-line block ×4, first 2 shown]
	s_and_b64 s[2:3], s[16:17], s[36:37]
	v_cndmask_b32_e64 v8, 0, 1, s[2:3]
	s_and_b64 s[2:3], s[0:1], s[40:41]
	v_cndmask_b32_e64 v9, 0, 1, s[2:3]
	;; [unrolled: 2-line block ×4, first 2 shown]
	v_cmp_ne_u32_e64 s[2:3], 0, v8
	v_cmp_ne_u32_e64 s[34:35], 0, v9
	;; [unrolled: 1-line block ×4, first 2 shown]
	s_bcnt1_i32_b64 s2, s[2:3]
	s_bcnt1_i32_b64 s3, s[34:35]
	s_bcnt1_i32_b64 s8, s[36:37]
	s_bcnt1_i32_b64 s9, s[38:39]
	s_add_u32 s2, s2, s92
	s_addc_u32 s34, 0, s93
	s_add_u32 s2, s2, s3
	s_addc_u32 s3, s34, 0
	;; [unrolled: 2-line block ×4, first 2 shown]
	s_and_b64 s[0:1], s[0:1], s[20:21]
	v_cndmask_b32_e64 v11, 0, 1, s[0:1]
	s_and_b64 s[0:1], s[22:23], s[24:25]
	s_and_b64 s[2:3], s[16:17], s[18:19]
	v_cndmask_b32_e64 v37, 0, 1, s[0:1]
	s_and_b64 s[0:1], s[26:27], s[28:29]
	v_cndmask_b32_e64 v10, 0, 1, s[2:3]
	v_cndmask_b32_e64 v38, 0, 1, s[0:1]
	v_cmp_ne_u32_e64 s[0:1], 0, v10
	v_cmp_ne_u32_e64 s[2:3], 0, v11
	v_cmp_ne_u32_e64 s[16:17], 0, v37
	v_cmp_ne_u32_e64 s[18:19], 0, v38
	s_bcnt1_i32_b64 s0, s[0:1]
	s_bcnt1_i32_b64 s1, s[2:3]
	;; [unrolled: 1-line block ×4, first 2 shown]
	s_add_u32 s0, s0, s62
	s_addc_u32 s8, 0, s63
	s_add_u32 s0, s0, s1
	s_addc_u32 s1, s8, 0
	;; [unrolled: 2-line block ×4, first 2 shown]
	v_mov_b64_e32 v[4:5], s[64:65]
	v_mov_b64_e32 v[6:7], s[78:79]
	;; [unrolled: 1-line block ×3, first 2 shown]
	s_or_b64 s[60:61], vcc, s[60:61]
	v_mov_b64_e32 v[10:11], s[62:63]
	s_andn2_b64 exec, exec, s[60:61]
	s_cbranch_execnz .LBB78_68
; %bb.69:                               ;   in Loop: Header=BB78_21 Depth=1
	s_or_b64 exec, exec, s[60:61]
	v_readlane_b32 s65, v57, 55
	v_readlane_b32 s66, v57, 56
.LBB78_70:                              ;   in Loop: Header=BB78_21 Depth=1
	s_or_b64 exec, exec, s[30:31]
	v_lshl_add_u64 v[26:27], s[54:55], 0, v[0:1]
	v_and_b32_e32 v2, 0xffff, v2
	v_cmp_gt_u64_e32 vcc, s[56:57], v[26:27]
	s_and_saveexec_b64 s[2:3], vcc
	s_cbranch_execz .LBB78_76
; %bb.71:                               ;   in Loop: Header=BB78_21 Depth=1
	v_mov_b64_e32 v[38:39], s[96:97]
	v_mad_u64_u32 v[38:39], s[0:1], v26, s84, v[38:39]
	v_mul_lo_u32 v37, v26, s85
	v_mul_lo_u32 v42, v27, s84
	v_add3_u32 v39, v42, v39, v37
	global_load_ubyte v38, v[38:39], off
	s_mov_b64 s[8:9], 0
	s_branch .LBB78_73
.LBB78_72:                              ;   in Loop: Header=BB78_73 Depth=2
	s_or_b64 exec, exec, s[16:17]
	s_waitcnt vmcnt(0)
	v_and_b32_e32 v39, 0xff, v38
	v_bitop3_b32 v38, v35, v38, s76 bitop3:0x80
	s_and_b64 s[0:1], exec, vcc
	v_cmp_eq_u32_e32 vcc, v38, v31
	v_bfe_u32 v38, v39, s7, 2
	s_or_b64 s[8:9], s[0:1], s[8:9]
	v_cmp_eq_u32_e64 s[0:1], 0, v38
	s_and_b64 s[0:1], vcc, s[0:1]
	s_nop 0
	v_cndmask_b32_e64 v39, 0, 1, s[0:1]
	v_cmp_ne_u32_e64 s[0:1], 0, v39
	s_bcnt1_i32_b64 s98, s[0:1]
	v_cmp_eq_u32_e64 s[0:1], 1, v38
	s_and_b64 s[0:1], vcc, s[0:1]
	v_lshl_add_u64 v[4:5], s[98:99], 0, v[4:5]
	v_cndmask_b32_e64 v39, 0, 1, s[0:1]
	v_cmp_ne_u32_e64 s[0:1], 0, v39
	s_bcnt1_i32_b64 s98, s[0:1]
	v_cmp_eq_u32_e64 s[0:1], 2, v38
	s_and_b64 s[0:1], vcc, s[0:1]
	v_lshl_add_u64 v[6:7], s[98:99], 0, v[6:7]
	;; [unrolled: 6-line block ×3, first 2 shown]
	v_cndmask_b32_e64 v38, 0, 1, s[0:1]
	v_cmp_ne_u32_e32 vcc, 0, v38
	s_bcnt1_i32_b64 s98, vcc
	v_lshl_add_u64 v[10:11], s[98:99], 0, v[10:11]
	v_mov_b32_e32 v38, v37
	s_andn2_b64 exec, exec, s[8:9]
	s_cbranch_execz .LBB78_75
.LBB78_73:                              ;   Parent Loop BB78_21 Depth=1
                                        ; =>  This Inner Loop Header: Depth=2
	v_lshl_add_u64 v[26:27], v[26:27], 0, v[2:3]
	v_cmp_gt_u64_e64 s[0:1], s[56:57], v[26:27]
	v_cmp_le_u64_e32 vcc, s[56:57], v[26:27]
	v_mov_b32_e32 v37, 0
	s_and_saveexec_b64 s[16:17], s[0:1]
	s_cbranch_execz .LBB78_72
; %bb.74:                               ;   in Loop: Header=BB78_73 Depth=2
	v_mov_b64_e32 v[42:43], s[96:97]
	v_mad_u64_u32 v[42:43], s[0:1], v26, s84, v[42:43]
	v_mul_lo_u32 v37, v26, s85
	v_mul_lo_u32 v39, v27, s84
	v_add3_u32 v43, v39, v43, v37
	global_load_ubyte v37, v[42:43], off
	s_branch .LBB78_72
.LBB78_75:                              ;   in Loop: Header=BB78_21 Depth=1
	s_or_b64 exec, exec, s[8:9]
.LBB78_76:                              ;   in Loop: Header=BB78_21 Depth=1
	s_or_b64 exec, exec, s[2:3]
	s_branch .LBB78_55
.LBB78_77:                              ;   in Loop: Header=BB78_21 Depth=1
	global_load_ushort v2, v3, s[70:71]
	v_mov_b64_e32 v[8:9], 0
	s_waitcnt vmcnt(0)
	v_readfirstlane_b32 s0, v2
	s_and_b32 s68, 0xffff, s0
	s_lshl_b32 s98, s68, 2
	v_cvt_f32_u32_e32 v4, s98
	s_sub_i32 s0, 0, s98
	v_rcp_iflag_f32_e32 v6, v4
	v_mov_b64_e32 v[4:5], 0
	v_mul_f32_e32 v6, 0x4f7ffffe, v6
	v_cvt_u32_f32_e32 v10, v6
	v_mov_b64_e32 v[6:7], 0
	v_readfirstlane_b32 s1, v10
	s_mul_i32 s0, s0, s1
	s_mul_hi_u32 s0, s1, s0
	s_add_i32 s1, s1, s0
	s_mul_hi_u32 s0, s80, s1
	s_mul_i32 s1, s0, s98
	s_sub_i32 s1, s80, s1
	s_add_i32 s2, s0, 1
	s_sub_i32 s3, s1, s98
	s_cmp_ge_u32 s1, s98
	s_cselect_b32 s0, s2, s0
	s_cselect_b32 s1, s3, s1
	s_add_i32 s2, s0, 1
	s_cmp_ge_u32 s1, s98
	s_cselect_b32 s0, s2, s0
	s_mul_hi_u32 s31, s68, s0
	s_mul_i32 s30, s68, s0
	s_lshl_b64 s[60:61], s[30:31], 2
	v_cmp_gt_u64_e32 vcc, s[60:61], v[16:17]
	v_mov_b64_e32 v[10:11], 0
	s_and_saveexec_b64 s[62:63], vcc
	s_cbranch_execz .LBB78_81
; %bb.78:                               ;   in Loop: Header=BB78_21 Depth=1
	s_mov_b32 s81, s67
	s_mov_b64 s[64:65], 0
	v_mov_b32_e32 v37, v16
	s_mov_b64 s[66:67], 0
	s_mov_b64 s[78:79], 0
	;; [unrolled: 1-line block ×4, first 2 shown]
	v_mov_b64_e32 v[26:27], v[16:17]
.LBB78_79:                              ;   Parent Loop BB78_21 Depth=1
                                        ; =>  This Inner Loop Header: Depth=2
	ds_read_b32 v4, v37
	v_lshl_add_u64 v[26:27], v[26:27], 0, s[98:99]
	v_cmp_le_u64_e32 vcc, s[60:61], v[26:27]
	v_add_u32_e32 v37, s98, v37
	s_waitcnt lgkmcnt(0)
	v_and_b32_e32 v8, 0xff, v4
	v_lshrrev_b32_e32 v5, 16, v4
	v_lshrrev_b32_e32 v6, 8, v4
	;; [unrolled: 1-line block ×3, first 2 shown]
	v_bfe_u32 v9, v4, 8, 8
	v_bfe_u32 v10, v4, 16, 8
	v_bitop3_b32 v4, v35, v4, s76 bitop3:0x80
	v_bfe_u32 v8, v8, s7, 2
	v_cmp_eq_u32_e64 s[18:19], v4, v31
	v_bitop3_b32 v4, v35, v6, s76 bitop3:0x80
	v_bfe_u32 v9, v9, s7, 2
	v_cmp_eq_u32_e64 s[2:3], 0, v8
	;; [unrolled: 3-line block ×3, first 2 shown]
	v_cmp_eq_u32_e64 s[34:35], 0, v9
	s_and_b64 s[2:3], s[18:19], s[2:3]
	v_and_b32_e32 v6, v35, v7
	v_bfe_u32 v7, v7, s7, 2
	v_cmp_eq_u32_e64 s[16:17], v5, v31
	v_cmp_eq_u32_e64 s[36:37], 0, v10
	v_cndmask_b32_e64 v4, 0, 1, s[2:3]
	s_and_b64 s[2:3], s[20:21], s[34:35]
	v_cmp_eq_u32_e64 s[0:1], v6, v31
	v_cmp_eq_u32_e64 s[38:39], 0, v7
	v_cndmask_b32_e64 v5, 0, 1, s[2:3]
	s_and_b64 s[2:3], s[16:17], s[36:37]
	v_cndmask_b32_e64 v6, 0, 1, s[2:3]
	s_and_b64 s[2:3], s[0:1], s[38:39]
	v_cmp_eq_u32_e64 s[46:47], 1, v7
	v_cmp_eq_u32_e64 s[54:55], 2, v7
	;; [unrolled: 1-line block ×3, first 2 shown]
	v_cndmask_b32_e64 v7, 0, 1, s[2:3]
	v_cmp_ne_u32_e64 s[2:3], 0, v4
	v_cmp_ne_u32_e64 s[34:35], 0, v5
	;; [unrolled: 1-line block ×4, first 2 shown]
	s_bcnt1_i32_b64 s2, s[2:3]
	s_bcnt1_i32_b64 s3, s[34:35]
	;; [unrolled: 1-line block ×4, first 2 shown]
	s_add_u32 s2, s2, s8
	s_addc_u32 s8, 0, s9
	s_add_u32 s2, s2, s3
	s_addc_u32 s3, s8, 0
	;; [unrolled: 2-line block ×3, first 2 shown]
	v_cmp_eq_u32_e64 s[40:41], 1, v8
	s_add_u32 s8, s2, s34
	v_cmp_eq_u32_e64 s[42:43], 1, v9
	s_addc_u32 s9, s3, 0
	s_and_b64 s[2:3], s[18:19], s[40:41]
	v_cmp_eq_u32_e64 s[44:45], 1, v10
	v_cndmask_b32_e64 v6, 0, 1, s[2:3]
	s_and_b64 s[2:3], s[20:21], s[42:43]
	v_cndmask_b32_e64 v7, 0, 1, s[2:3]
	s_and_b64 s[2:3], s[16:17], s[44:45]
	v_cmp_eq_u32_e64 s[48:49], 2, v8
	v_cmp_eq_u32_e64 s[28:29], 3, v8
	v_cndmask_b32_e64 v8, 0, 1, s[2:3]
	s_and_b64 s[2:3], s[0:1], s[46:47]
	v_cmp_eq_u32_e64 s[50:51], 2, v9
	v_cmp_eq_u32_e64 s[26:27], 3, v9
	v_cndmask_b32_e64 v9, 0, 1, s[2:3]
	v_cmp_ne_u32_e64 s[2:3], 0, v6
	v_cmp_ne_u32_e64 s[34:35], 0, v7
	v_cmp_ne_u32_e64 s[36:37], 0, v8
	v_cmp_ne_u32_e64 s[38:39], 0, v9
	s_bcnt1_i32_b64 s2, s[2:3]
	s_bcnt1_i32_b64 s3, s[34:35]
	;; [unrolled: 1-line block ×4, first 2 shown]
	s_add_u32 s2, s2, s92
	s_addc_u32 s35, 0, s93
	s_add_u32 s2, s2, s3
	s_addc_u32 s3, s35, 0
	;; [unrolled: 2-line block ×4, first 2 shown]
	s_and_b64 s[2:3], s[18:19], s[48:49]
	v_cmp_eq_u32_e64 s[52:53], 2, v10
	v_cndmask_b32_e64 v8, 0, 1, s[2:3]
	s_and_b64 s[2:3], s[20:21], s[50:51]
	v_cndmask_b32_e64 v9, 0, 1, s[2:3]
	s_and_b64 s[2:3], s[16:17], s[52:53]
	v_cmp_eq_u32_e64 s[24:25], 3, v10
	v_cndmask_b32_e64 v10, 0, 1, s[2:3]
	s_and_b64 s[2:3], s[0:1], s[54:55]
	v_cndmask_b32_e64 v11, 0, 1, s[2:3]
	v_cmp_ne_u32_e64 s[2:3], 0, v8
	v_cmp_ne_u32_e64 s[34:35], 0, v9
	v_cmp_ne_u32_e64 s[36:37], 0, v10
	v_cmp_ne_u32_e64 s[38:39], 0, v11
	s_bcnt1_i32_b64 s2, s[2:3]
	s_bcnt1_i32_b64 s3, s[34:35]
	;; [unrolled: 1-line block ×4, first 2 shown]
	s_add_u32 s2, s2, s78
	s_addc_u32 s35, 0, s79
	s_add_u32 s2, s2, s3
	s_addc_u32 s3, s35, 0
	;; [unrolled: 2-line block ×4, first 2 shown]
	s_and_b64 s[2:3], s[18:19], s[28:29]
	v_cndmask_b32_e64 v10, 0, 1, s[2:3]
	s_and_b64 s[2:3], s[20:21], s[26:27]
	v_cndmask_b32_e64 v11, 0, 1, s[2:3]
	s_and_b64 s[2:3], s[16:17], s[24:25]
	s_and_b64 s[0:1], s[0:1], s[22:23]
	v_cndmask_b32_e64 v38, 0, 1, s[2:3]
	v_cndmask_b32_e64 v39, 0, 1, s[0:1]
	v_cmp_ne_u32_e64 s[0:1], 0, v10
	v_cmp_ne_u32_e64 s[2:3], 0, v11
	;; [unrolled: 1-line block ×4, first 2 shown]
	s_bcnt1_i32_b64 s0, s[0:1]
	s_bcnt1_i32_b64 s1, s[2:3]
	;; [unrolled: 1-line block ×4, first 2 shown]
	s_add_u32 s0, s0, s66
	s_addc_u32 s16, 0, s67
	s_add_u32 s0, s0, s1
	s_addc_u32 s1, s16, 0
	;; [unrolled: 2-line block ×4, first 2 shown]
	v_mov_b64_e32 v[4:5], s[8:9]
	v_mov_b64_e32 v[6:7], s[92:93]
	v_mov_b64_e32 v[8:9], s[78:79]
	s_or_b64 s[64:65], vcc, s[64:65]
	v_mov_b64_e32 v[10:11], s[66:67]
	s_andn2_b64 exec, exec, s[64:65]
	s_cbranch_execnz .LBB78_79
; %bb.80:                               ;   in Loop: Header=BB78_21 Depth=1
	s_or_b64 exec, exec, s[64:65]
	s_mov_b32 s67, s81
	v_readlane_b32 s65, v57, 55
	v_readlane_b32 s66, v57, 56
.LBB78_81:                              ;   in Loop: Header=BB78_21 Depth=1
	s_or_b64 exec, exec, s[62:63]
	s_and_b32 s8, s80, 0x7fffffff
	s_mov_b32 s9, s99
	v_lshl_add_u64 v[26:27], s[60:61], 0, v[0:1]
	v_and_b32_e32 v2, 0xffff, v2
	v_cmp_gt_u64_e32 vcc, s[8:9], v[26:27]
	s_and_saveexec_b64 s[22:23], vcc
	s_cbranch_execz .LBB78_85
; %bb.82:                               ;   in Loop: Header=BB78_21 Depth=1
	v_lshl_add_u32 v37, s30, 2, v0
	s_mov_b64 s[24:25], 0
.LBB78_83:                              ;   Parent Loop BB78_21 Depth=1
                                        ; =>  This Inner Loop Header: Depth=2
	ds_read_u8 v38, v37
	v_lshl_add_u64 v[26:27], v[26:27], 0, v[2:3]
	v_cmp_le_u64_e32 vcc, s[8:9], v[26:27]
	v_add_u32_e32 v37, s68, v37
	s_waitcnt lgkmcnt(0)
	v_and_b32_e32 v39, v35, v38
	v_bfe_u32 v38, v38, s7, 2
	v_cmp_eq_u32_e64 s[0:1], v39, v31
	v_cmp_eq_u32_e64 s[2:3], 0, v38
	v_cmp_eq_u32_e64 s[16:17], 1, v38
	s_and_b64 s[2:3], s[0:1], s[2:3]
	v_cmp_eq_u32_e64 s[18:19], 2, v38
	v_cmp_eq_u32_e64 s[20:21], 3, v38
	v_cndmask_b32_e64 v38, 0, 1, s[2:3]
	s_and_b64 s[2:3], s[0:1], s[16:17]
	v_cndmask_b32_e64 v39, 0, 1, s[2:3]
	s_and_b64 s[2:3], s[0:1], s[18:19]
	s_and_b64 s[0:1], s[0:1], s[20:21]
	v_cndmask_b32_e64 v43, 0, 1, s[0:1]
	v_cmp_ne_u32_e64 s[0:1], 0, v38
	v_cndmask_b32_e64 v42, 0, 1, s[2:3]
	v_cmp_ne_u32_e64 s[2:3], 0, v39
	s_bcnt1_i32_b64 s98, s[0:1]
	v_cmp_ne_u32_e64 s[16:17], 0, v42
	v_lshl_add_u64 v[4:5], s[98:99], 0, v[4:5]
	s_bcnt1_i32_b64 s98, s[2:3]
	v_cmp_ne_u32_e64 s[18:19], 0, v43
	v_lshl_add_u64 v[6:7], s[98:99], 0, v[6:7]
	s_bcnt1_i32_b64 s98, s[16:17]
	v_lshl_add_u64 v[8:9], s[98:99], 0, v[8:9]
	s_bcnt1_i32_b64 s98, s[18:19]
	s_or_b64 s[24:25], vcc, s[24:25]
	v_lshl_add_u64 v[10:11], s[98:99], 0, v[10:11]
	s_andn2_b64 exec, exec, s[24:25]
	s_cbranch_execnz .LBB78_83
; %bb.84:                               ;   in Loop: Header=BB78_21 Depth=1
	s_or_b64 exec, exec, s[24:25]
.LBB78_85:                              ;   in Loop: Header=BB78_21 Depth=1
	s_or_b64 exec, exec, s[22:23]
	s_lshl_b32 s2, s87, 6
	s_and_saveexec_b64 s[0:1], s[4:5]
	s_cbranch_execnz .LBB78_56
	s_branch .LBB78_57
.LBB78_86:                              ;   in Loop: Header=BB78_21 Depth=1
                                        ; implicit-def: $sgpr0_sgpr1
	s_branch .LBB78_65
.LBB78_87:                              ;   in Loop: Header=BB78_21 Depth=1
	s_mov_b32 s3, 0
	v_mov_b64_e32 v[4:5], 0
.LBB78_88:                              ;   in Loop: Header=BB78_21 Depth=1
	v_readlane_b32 s8, v57, 53
	v_readlane_b32 s9, v57, 54
	s_andn2_b64 vcc, exec, s[8:9]
	s_cbranch_vccnz .LBB78_91
; %bb.89:                               ;   in Loop: Header=BB78_21 Depth=1
	s_lshl_b32 s8, s87, 9
	s_lshl_b32 s3, s3, 5
	s_add_i32 s8, s8, s3
	v_add_u32_e32 v2, s8, v32
	v_readlane_b32 s3, v57, 52
.LBB78_90:                              ;   Parent Loop BB78_21 Depth=1
                                        ; =>  This Inner Loop Header: Depth=2
	ds_read_b64 v[6:7], v2
	s_add_i32 s3, s3, -1
	v_add_u32_e32 v2, 32, v2
	s_cmp_lg_u32 s3, 0
	s_waitcnt lgkmcnt(0)
	v_lshl_add_u64 v[4:5], v[6:7], 0, v[4:5]
	s_cbranch_scc1 .LBB78_90
.LBB78_91:                              ;   in Loop: Header=BB78_21 Depth=1
	v_add_lshl_u32 v2, s2, v28, 3
	ds_write_b64 v2, v[4:5] offset:3072
.LBB78_92:                              ;   in Loop: Header=BB78_21 Depth=1
	s_or_b64 exec, exec, s[0:1]
	s_lshl_b32 s0, s2, 3
	v_mov_b32_e32 v2, s0
	s_waitcnt lgkmcnt(0)
	s_barrier
	ds_read_b128 v[8:11], v2 offset:3088
	ds_read_b128 v[4:7], v2 offset:3072
	s_lshl_b32 s64, 3, s7
	v_cmp_eq_u64_e64 s[0:1], 1, v[24:25]
	s_not_b32 s54, s64
	s_waitcnt lgkmcnt(1)
	v_readfirstlane_b32 s22, v8
	s_waitcnt lgkmcnt(0)
	v_cmp_eq_u64_e32 vcc, 1, v[4:5]
	v_readfirstlane_b32 s23, v9
	v_readfirstlane_b32 s2, v10
	;; [unrolled: 1-line block ×3, first 2 shown]
	s_and_b64 s[18:19], vcc, s[0:1]
	s_mov_b64 s[0:1], -1
	s_mov_b64 s[8:9], -1
                                        ; implicit-def: $sgpr24_sgpr25
                                        ; implicit-def: $sgpr20_sgpr21
	s_and_saveexec_b64 s[16:17], s[18:19]
	s_cbranch_execz .LBB78_124
; %bb.93:                               ;   in Loop: Header=BB78_21 Depth=1
	ds_read_b64 v[8:9], v3 offset:5120
	s_waitcnt lgkmcnt(0)
	s_barrier
	v_readfirstlane_b32 s26, v8
	v_readfirstlane_b32 s27, v9
	s_mov_b64 s[8:9], exec
	v_readlane_b32 s20, v57, 38
	v_readlane_b32 s21, v57, 39
	s_and_b64 s[20:21], s[8:9], s[20:21]
	s_mov_b64 exec, s[20:21]
; %bb.94:                               ;   in Loop: Header=BB78_21 Depth=1
	ds_write_b8 v0, v3 offset:3072
; %bb.95:                               ;   in Loop: Header=BB78_21 Depth=1
	s_or_b64 exec, exec, s[8:9]
	v_and_b32_e32 v31, s54, v31
	v_or_b32_e32 v35, s64, v35
	s_mov_b64 s[20:21], -1
	s_mov_b64 s[24:25], 0
	s_cmp_eq_u64 s[26:27], 0
	s_mov_b64 s[8:9], 0
	s_mov_b64 s[28:29], -1
	s_waitcnt lgkmcnt(0)
	s_barrier
                                        ; implicit-def: $vgpr36
	s_cbranch_scc1 .LBB78_109
; %bb.96:                               ;   in Loop: Header=BB78_21 Depth=1
	v_readlane_b32 s8, v57, 44
	s_add_u32 s34, s26, s8
	v_readlane_b32 s8, v57, 45
	s_addc_u32 s9, s27, s8
	s_mov_b32 s8, s99
	s_cmp_lg_u64 s[8:9], 0
	s_cbranch_scc0 .LBB78_150
; %bb.97:                               ;   in Loop: Header=BB78_21 Depth=1
	v_cvt_f32_u32_e32 v2, s94
	s_sub_u32 s8, 0, s94
	s_subb_u32 s30, 0, 0
	v_fmac_f32_e32 v2, 0, v33
	v_rcp_f32_e32 v2, v2
	s_nop 0
	v_mul_f32_e32 v2, 0x5f7ffffc, v2
	v_mul_f32_e32 v8, 0x2f800000, v2
	v_trunc_f32_e32 v8, v8
	v_fmac_f32_e32 v2, 0xcf800000, v8
	v_cvt_u32_f32_e32 v8, v8
	v_cvt_u32_f32_e32 v2, v2
	v_readfirstlane_b32 s31, v8
	v_readfirstlane_b32 s28, v2
	s_mul_i32 s29, s8, s31
	s_mul_hi_u32 s36, s8, s28
	s_mul_i32 s35, s30, s28
	s_add_i32 s29, s36, s29
	s_mul_i32 s37, s8, s28
	s_add_i32 s29, s29, s35
	s_mul_hi_u32 s36, s28, s37
	s_mul_i32 s38, s28, s29
	s_mul_hi_u32 s35, s28, s29
	s_add_u32 s36, s36, s38
	s_addc_u32 s35, 0, s35
	s_mul_hi_u32 s39, s31, s37
	s_mul_i32 s37, s31, s37
	s_add_u32 s36, s36, s37
	s_mul_hi_u32 s38, s31, s29
	s_addc_u32 s35, s35, s39
	s_addc_u32 s36, s38, 0
	s_mul_i32 s29, s31, s29
	s_add_u32 s29, s35, s29
	s_addc_u32 s35, 0, s36
	s_add_u32 s36, s28, s29
	s_cselect_b64 s[28:29], -1, 0
	s_cmp_lg_u64 s[28:29], 0
	s_addc_u32 s31, s31, s35
	s_mul_i32 s28, s8, s31
	s_mul_hi_u32 s29, s8, s36
	s_add_i32 s28, s29, s28
	s_mul_i32 s30, s30, s36
	s_add_i32 s28, s28, s30
	s_mul_i32 s8, s8, s36
	s_mul_hi_u32 s30, s31, s8
	s_mul_i32 s35, s31, s8
	s_mul_i32 s38, s36, s28
	s_mul_hi_u32 s8, s36, s8
	s_mul_hi_u32 s37, s36, s28
	s_add_u32 s8, s8, s38
	s_addc_u32 s37, 0, s37
	s_add_u32 s8, s8, s35
	s_mul_hi_u32 s29, s31, s28
	s_addc_u32 s8, s37, s30
	s_addc_u32 s29, s29, 0
	s_mul_i32 s28, s31, s28
	s_add_u32 s8, s8, s28
	s_addc_u32 s30, 0, s29
	s_add_u32 s8, s36, s8
	s_cselect_b64 s[28:29], -1, 0
	s_cmp_lg_u64 s[28:29], 0
	s_addc_u32 s28, s31, s30
	s_mul_i32 s30, s34, s28
	s_mul_hi_u32 s31, s34, s8
	s_mul_hi_u32 s29, s34, s28
	s_add_u32 s30, s31, s30
	s_addc_u32 s29, 0, s29
	s_mul_hi_u32 s35, s9, s8
	s_mul_i32 s8, s9, s8
	s_add_u32 s8, s30, s8
	s_mul_hi_u32 s31, s9, s28
	s_addc_u32 s8, s29, s35
	s_addc_u32 s29, s31, 0
	s_mul_i32 s28, s9, s28
	s_add_u32 s8, s8, s28
	s_addc_u32 s28, 0, s29
	s_mul_i32 s28, s94, s28
	s_mul_hi_u32 s29, s94, s8
	s_add_i32 s30, s29, s28
	s_mul_i32 s8, s94, s8
	s_sub_u32 s8, s34, s8
	s_cselect_b64 s[28:29], -1, 0
	s_cmp_lg_u64 s[28:29], 0
	s_subb_u32 s30, s9, s30
	s_sub_u32 s31, s8, s94
	s_cselect_b64 s[28:29], -1, 0
	s_cmp_lg_u64 s[28:29], 0
	s_subb_u32 s35, s30, 0
	;; [unrolled: 4-line block ×3, first 2 shown]
	s_cmp_ge_u32 s31, s94
	s_cselect_b32 s29, -1, 0
	s_cmp_eq_u32 s35, 0
	s_cselect_b32 s29, s29, -1
	s_cmp_lg_u32 s29, 0
	s_cselect_b32 s28, s28, s35
	s_cselect_b32 s31, s36, s31
	s_cmp_ge_u32 s8, s94
	s_cselect_b32 s29, -1, 0
	s_cmp_eq_u32 s30, 0
	s_cselect_b32 s29, s29, -1
	s_cmp_lg_u32 s29, 0
	s_cselect_b32 s29, s28, s30
	s_cselect_b32 s28, s31, s8
	s_cbranch_execnz .LBB78_99
.LBB78_98:                              ;   in Loop: Header=BB78_21 Depth=1
	v_cvt_f32_u32_e32 v2, s94
	s_sub_i32 s8, 0, s94
	v_rcp_iflag_f32_e32 v2, v2
	s_nop 0
	v_mul_f32_e32 v2, 0x4f7ffffe, v2
	v_cvt_u32_f32_e32 v2, v2
	s_nop 0
	v_readfirstlane_b32 s28, v2
	s_mul_i32 s8, s8, s28
	s_mul_hi_u32 s8, s28, s8
	s_add_i32 s28, s28, s8
	s_mul_hi_u32 s8, s34, s28
	s_mul_i32 s8, s8, s94
	s_sub_i32 s8, s34, s8
	s_sub_i32 s28, s8, s94
	s_cmp_ge_u32 s8, s94
	s_cselect_b32 s8, s28, s8
	s_sub_i32 s28, s8, s94
	s_cmp_ge_u32 s8, s94
	s_cselect_b32 s98, s28, s8
	s_mov_b64 s[28:29], s[98:99]
.LBB78_99:                              ;   in Loop: Header=BB78_21 Depth=1
	s_sub_u32 s34, s34, s28
	s_subb_u32 s35, s9, s29
	v_cmp_gt_u64_e32 vcc, s[34:35], v[0:1]
	s_mov_b64 s[28:29], 0
	s_mov_b64 s[8:9], 0
                                        ; implicit-def: $vgpr36
	s_and_saveexec_b64 s[30:31], vcc
	s_cbranch_execz .LBB78_108
; %bb.100:                              ;   in Loop: Header=BB78_21 Depth=1
	v_mov_b32_e32 v2, v0
	v_mov_b64_e32 v[8:9], v[0:1]
                                        ; implicit-def: $sgpr36_sgpr37
	s_branch .LBB78_103
.LBB78_101:                             ;   in Loop: Header=BB78_103 Depth=2
	s_or_b64 exec, exec, s[38:39]
	s_waitcnt lgkmcnt(0)
	s_barrier
	ds_read_u16 v10, v3 offset:3072
	s_mov_b64 s[38:39], -1
	s_waitcnt lgkmcnt(0)
	s_barrier
	v_cmp_ne_u32_sdwa s[40:41], v10, v3 src0_sel:BYTE_0 src1_sel:DWORD
	s_and_b64 vcc, exec, s[40:41]
	s_mov_b64 s[40:41], -1
	s_cbranch_vccz .LBB78_106
.LBB78_102:                             ;   in Loop: Header=BB78_103 Depth=2
	s_and_b64 s[38:39], exec, s[38:39]
	s_or_b64 s[8:9], s[38:39], s[8:9]
	s_andn2_b64 s[36:37], s[36:37], exec
	s_and_b64 s[38:39], s[40:41], exec
	s_or_b64 s[36:37], s[36:37], s[38:39]
	s_andn2_b64 exec, exec, s[8:9]
	s_cbranch_execz .LBB78_107
.LBB78_103:                             ;   Parent Loop BB78_21 Depth=1
                                        ; =>  This Inner Loop Header: Depth=2
	v_cmp_gt_u64_e32 vcc, s[26:27], v[8:9]
	s_and_saveexec_b64 s[38:39], vcc
	s_cbranch_execz .LBB78_101
; %bb.104:                              ;   in Loop: Header=BB78_103 Depth=2
	ds_read_u8 v10, v2
	s_waitcnt lgkmcnt(0)
	v_bitop3_b32 v11, v10, s76, v35 bitop3:0x80
	v_cmp_eq_u32_e32 vcc, v11, v31
	s_and_b64 exec, exec, vcc
	s_cbranch_execz .LBB78_101
; %bb.105:                              ;   in Loop: Header=BB78_103 Depth=2
	v_lshlrev_b16_e32 v10, 8, v10
	v_or_b32_e32 v10, 1, v10
	ds_write_b16 v3, v10 offset:3072
	s_branch .LBB78_101
.LBB78_106:                             ;   in Loop: Header=BB78_103 Depth=2
	v_lshl_add_u64 v[8:9], v[8:9], 0, s[94:95]
	v_cmp_le_u64_e32 vcc, s[34:35], v[8:9]
	v_add_u32_e32 v2, s94, v2
	s_mov_b64 s[40:41], 0
	s_orn2_b64 s[38:39], vcc, exec
	s_branch .LBB78_102
.LBB78_107:                             ;   in Loop: Header=BB78_21 Depth=1
	s_or_b64 exec, exec, s[8:9]
	v_lshrrev_b32_sdwa v36, v34, v10 dst_sel:DWORD dst_unused:UNUSED_PAD src0_sel:DWORD src1_sel:WORD_0
	s_and_b64 s[8:9], s[36:37], exec
.LBB78_108:                             ;   in Loop: Header=BB78_21 Depth=1
	s_or_b64 exec, exec, s[30:31]
.LBB78_109:                             ;   in Loop: Header=BB78_21 Depth=1
	s_and_b64 vcc, exec, s[28:29]
	s_cbranch_vccz .LBB78_123
; %bb.110:                              ;   in Loop: Header=BB78_21 Depth=1
	s_mov_b32 s68, s99
	s_cmp_lg_u64 s[68:69], 0
	s_cbranch_scc0 .LBB78_154
; %bb.111:                              ;   in Loop: Header=BB78_21 Depth=1
	v_cvt_f32_u32_e32 v2, s94
	s_sub_u32 s24, 0, s94
	s_subb_u32 s25, 0, 0
	v_fmac_f32_e32 v2, 0, v33
	v_rcp_f32_e32 v2, v2
	s_nop 0
	v_mul_f32_e32 v2, 0x5f7ffffc, v2
	v_mul_f32_e32 v8, 0x2f800000, v2
	v_trunc_f32_e32 v8, v8
	v_fmac_f32_e32 v2, 0xcf800000, v8
	v_cvt_u32_f32_e32 v8, v8
	v_cvt_u32_f32_e32 v2, v2
	v_readfirstlane_b32 s26, v8
	v_readfirstlane_b32 s20, v2
	s_mul_i32 s21, s24, s26
	s_mul_hi_u32 s28, s24, s20
	s_mul_i32 s27, s25, s20
	s_add_i32 s21, s28, s21
	s_mul_i32 s29, s24, s20
	s_add_i32 s21, s21, s27
	s_mul_hi_u32 s28, s20, s29
	s_mul_i32 s30, s20, s21
	s_mul_hi_u32 s27, s20, s21
	s_add_u32 s28, s28, s30
	s_addc_u32 s27, 0, s27
	s_mul_hi_u32 s31, s26, s29
	s_mul_i32 s29, s26, s29
	s_add_u32 s28, s28, s29
	s_mul_hi_u32 s30, s26, s21
	s_addc_u32 s27, s27, s31
	s_addc_u32 s28, s30, 0
	s_mul_i32 s21, s26, s21
	s_add_u32 s21, s27, s21
	s_addc_u32 s27, 0, s28
	s_add_u32 s28, s20, s21
	s_cselect_b64 s[20:21], -1, 0
	s_cmp_lg_u64 s[20:21], 0
	s_addc_u32 s26, s26, s27
	s_mul_i32 s20, s24, s26
	s_mul_hi_u32 s21, s24, s28
	s_add_i32 s20, s21, s20
	s_mul_i32 s25, s25, s28
	s_add_i32 s20, s20, s25
	s_mul_i32 s24, s24, s28
	s_mul_hi_u32 s25, s26, s24
	s_mul_i32 s27, s26, s24
	s_mul_i32 s30, s28, s20
	s_mul_hi_u32 s24, s28, s24
	s_mul_hi_u32 s29, s28, s20
	s_add_u32 s24, s24, s30
	s_addc_u32 s29, 0, s29
	s_add_u32 s24, s24, s27
	s_mul_hi_u32 s21, s26, s20
	s_addc_u32 s24, s29, s25
	s_addc_u32 s21, s21, 0
	s_mul_i32 s20, s26, s20
	s_add_u32 s20, s24, s20
	s_addc_u32 s24, 0, s21
	s_add_u32 s25, s28, s20
	s_cselect_b64 s[20:21], -1, 0
	s_cmp_lg_u64 s[20:21], 0
	s_addc_u32 s20, s26, s24
	s_mul_i32 s24, s14, s20
	s_mul_hi_u32 s26, s14, s25
	s_mul_hi_u32 s21, s14, s20
	s_add_u32 s24, s26, s24
	s_addc_u32 s21, 0, s21
	s_mul_hi_u32 s27, s69, s25
	s_mul_i32 s25, s69, s25
	s_add_u32 s24, s24, s25
	s_mul_hi_u32 s26, s69, s20
	s_addc_u32 s21, s21, s27
	s_addc_u32 s24, s26, 0
	s_mul_i32 s20, s69, s20
	s_add_u32 s20, s21, s20
	s_addc_u32 s21, 0, s24
	s_mul_i32 s21, s94, s21
	s_mul_hi_u32 s24, s94, s20
	s_add_i32 s24, s24, s21
	s_mul_i32 s20, s94, s20
	s_sub_u32 s25, s14, s20
	s_cselect_b64 s[20:21], -1, 0
	s_cmp_lg_u64 s[20:21], 0
	s_subb_u32 s24, s69, s24
	s_sub_u32 s26, s25, s94
	s_cselect_b64 s[20:21], -1, 0
	s_cmp_lg_u64 s[20:21], 0
	s_subb_u32 s27, s24, 0
	;; [unrolled: 4-line block ×3, first 2 shown]
	s_cmp_ge_u32 s26, s94
	s_cselect_b32 s21, -1, 0
	s_cmp_eq_u32 s27, 0
	s_cselect_b32 s21, s21, -1
	s_cmp_lg_u32 s21, 0
	s_cselect_b32 s20, s20, s27
	s_cselect_b32 s26, s28, s26
	s_cmp_ge_u32 s25, s94
	s_cselect_b32 s21, -1, 0
	s_cmp_eq_u32 s24, 0
	s_cselect_b32 s21, s21, -1
	s_cmp_lg_u32 s21, 0
	s_cselect_b32 s21, s20, s24
	s_cselect_b32 s20, s26, s25
	s_cbranch_execnz .LBB78_113
.LBB78_112:                             ;   in Loop: Header=BB78_21 Depth=1
	v_cvt_f32_u32_e32 v2, s94
	s_sub_i32 s20, 0, s94
	v_rcp_iflag_f32_e32 v2, v2
	s_nop 0
	v_mul_f32_e32 v2, 0x4f7ffffe, v2
	v_cvt_u32_f32_e32 v2, v2
	s_nop 0
	v_readfirstlane_b32 s21, v2
	s_mul_i32 s20, s20, s21
	s_mul_hi_u32 s20, s21, s20
	s_add_i32 s21, s21, s20
	s_mul_hi_u32 s20, s14, s21
	s_mul_i32 s20, s20, s94
	s_sub_i32 s20, s14, s20
	s_sub_i32 s21, s20, s94
	s_cmp_ge_u32 s20, s94
	s_cselect_b32 s20, s21, s20
	s_sub_i32 s21, s20, s94
	s_cmp_ge_u32 s20, s94
	s_cselect_b32 s98, s21, s20
	s_mov_b64 s[20:21], s[98:99]
.LBB78_113:                             ;   in Loop: Header=BB78_21 Depth=1
	s_sub_u32 s24, s14, s20
	s_subb_u32 s25, s69, s21
	v_cmp_gt_u64_e32 vcc, s[24:25], v[0:1]
                                        ; implicit-def: $vgpr36
	s_and_saveexec_b64 s[20:21], vcc
	s_cbranch_execz .LBB78_122
; %bb.114:                              ;   in Loop: Header=BB78_21 Depth=1
	s_mov_b64 s[26:27], 0
	v_mov_b64_e32 v[8:9], v[0:1]
                                        ; implicit-def: $sgpr28_sgpr29
	s_branch .LBB78_117
.LBB78_115:                             ;   in Loop: Header=BB78_117 Depth=2
	s_or_b64 exec, exec, s[30:31]
	s_waitcnt lgkmcnt(0)
	s_barrier
	ds_read_u16 v2, v3 offset:3072
	s_mov_b64 s[30:31], -1
	s_waitcnt lgkmcnt(0)
	s_barrier
	v_cmp_ne_u32_sdwa s[34:35], v2, v3 src0_sel:BYTE_0 src1_sel:DWORD
	s_and_b64 vcc, exec, s[34:35]
	s_mov_b64 s[34:35], -1
	s_cbranch_vccz .LBB78_120
.LBB78_116:                             ;   in Loop: Header=BB78_117 Depth=2
	s_and_b64 s[30:31], exec, s[30:31]
	s_or_b64 s[26:27], s[30:31], s[26:27]
	s_andn2_b64 s[28:29], s[28:29], exec
	s_and_b64 s[30:31], s[34:35], exec
	s_or_b64 s[28:29], s[28:29], s[30:31]
	s_andn2_b64 exec, exec, s[26:27]
	s_cbranch_execz .LBB78_121
.LBB78_117:                             ;   Parent Loop BB78_21 Depth=1
                                        ; =>  This Inner Loop Header: Depth=2
	v_cmp_gt_u64_e32 vcc, s[56:57], v[8:9]
	s_and_saveexec_b64 s[30:31], vcc
	s_cbranch_execz .LBB78_115
; %bb.118:                              ;   in Loop: Header=BB78_117 Depth=2
	v_mov_b64_e32 v[10:11], s[96:97]
	v_mad_u64_u32 v[10:11], s[34:35], v8, s84, v[10:11]
	v_mul_lo_u32 v2, v8, s85
	v_mul_lo_u32 v26, v9, s84
	v_add3_u32 v11, v26, v11, v2
	global_load_ubyte v2, v[10:11], off
	s_waitcnt vmcnt(0)
	v_bitop3_b32 v10, v2, s76, v35 bitop3:0x80
	v_cmp_eq_u32_e32 vcc, v10, v31
	s_and_b64 exec, exec, vcc
	s_cbranch_execz .LBB78_115
; %bb.119:                              ;   in Loop: Header=BB78_117 Depth=2
	v_lshlrev_b16_e32 v2, 8, v2
	v_or_b32_e32 v2, 1, v2
	ds_write_b16 v3, v2 offset:3072
	s_branch .LBB78_115
.LBB78_120:                             ;   in Loop: Header=BB78_117 Depth=2
	v_lshl_add_u64 v[8:9], v[8:9], 0, s[94:95]
	v_cmp_le_u64_e32 vcc, s[24:25], v[8:9]
	s_mov_b64 s[34:35], 0
	s_orn2_b64 s[30:31], vcc, exec
	s_branch .LBB78_116
.LBB78_121:                             ;   in Loop: Header=BB78_21 Depth=1
	s_or_b64 exec, exec, s[26:27]
	s_andn2_b64 s[8:9], s[8:9], exec
	s_and_b64 s[24:25], s[28:29], exec
	v_lshrrev_b32_sdwa v36, v34, v2 dst_sel:DWORD dst_unused:UNUSED_PAD src0_sel:DWORD src1_sel:WORD_0
	s_or_b64 s[8:9], s[8:9], s[24:25]
.LBB78_122:                             ;   in Loop: Header=BB78_21 Depth=1
	s_or_b64 exec, exec, s[20:21]
	s_mov_b64 s[20:21], 0
	s_mov_b64 s[24:25], -1
.LBB78_123:                             ;   in Loop: Header=BB78_21 Depth=1
	s_orn2_b64 s[8:9], s[8:9], exec
.LBB78_124:                             ;   in Loop: Header=BB78_21 Depth=1
	s_or_b64 exec, exec, s[16:17]
	s_andn2_b64 s[16:17], s[58:59], exec
	s_and_b64 s[24:25], s[24:25], exec
	s_or_b64 s[58:59], s[16:17], s[24:25]
	s_andn2_b64 s[16:17], s[82:83], exec
	s_and_b64 s[20:21], s[20:21], exec
	s_andn2_b64 s[74:75], s[74:75], exec
	s_or_b64 s[82:83], s[16:17], s[20:21]
                                        ; implicit-def: $vgpr8_vgpr9
	s_and_saveexec_b64 s[16:17], s[8:9]
	s_cbranch_execz .LBB78_20
; %bb.125:                              ;   in Loop: Header=BB78_21 Depth=1
	s_xor_b64 s[8:9], s[18:19], -1
	v_mov_b32_e32 v2, 1
	s_mov_b64 s[20:21], 0
	v_mov_b64_e32 v[8:9], 1
	s_and_saveexec_b64 s[0:1], s[8:9]
	s_cbranch_execz .LBB78_134
; %bb.126:                              ;   in Loop: Header=BB78_21 Depth=1
	v_cmp_le_u64_e32 vcc, v[24:25], v[4:5]
	s_and_saveexec_b64 s[8:9], vcc
	s_xor_b64 s[8:9], exec, s[8:9]
	s_cbranch_execz .LBB78_131
; %bb.127:                              ;   in Loop: Header=BB78_21 Depth=1
	ds_read_b64 v[8:9], v3 offset:5120
	v_and_b32_e32 v31, s54, v31
	v_or_b32_e32 v35, s64, v35
	s_waitcnt lgkmcnt(0)
	v_cmp_ne_u64_e32 vcc, 0, v[8:9]
	s_cbranch_vccnz .LBB78_131
; %bb.128:                              ;   in Loop: Header=BB78_21 Depth=1
	s_mov_b64 s[18:19], exec
	v_readlane_b32 s20, v57, 28
	v_readlane_b32 s21, v57, 29
	s_and_b64 s[20:21], s[18:19], s[20:21]
	s_mov_b64 exec, s[20:21]
; %bb.129:                              ;   in Loop: Header=BB78_21 Depth=1
	ds_write_b64 v3, v[4:5] offset:5128
; %bb.130:                              ;   in Loop: Header=BB78_21 Depth=1
	s_or_b64 exec, exec, s[18:19]
	s_waitcnt lgkmcnt(0)
	s_barrier
.LBB78_131:                             ;   in Loop: Header=BB78_21 Depth=1
	s_or_saveexec_b64 s[8:9], s[8:9]
	s_mov_b64 s[18:19], 0
	v_mov_b32_e32 v2, 8
	s_xor_b64 exec, exec, s[8:9]
; %bb.132:                              ;   in Loop: Header=BB78_21 Depth=1
	v_sub_co_u32_e32 v24, vcc, v24, v4
	s_mov_b64 s[18:19], exec
	s_nop 0
	v_subb_co_u32_e32 v25, vcc, v25, v5, vcc
	v_mov_b32_e32 v2, 0
; %bb.133:                              ;   in Loop: Header=BB78_21 Depth=1
	s_or_b64 exec, exec, s[8:9]
	s_and_b64 s[20:21], s[18:19], exec
	v_mov_b64_e32 v[8:9], v[24:25]
.LBB78_134:                             ;   in Loop: Header=BB78_21 Depth=1
	s_or_b64 exec, exec, s[0:1]
	s_mov_b64 s[18:19], -1
	s_mov_b64 s[8:9], -1
                                        ; implicit-def: $sgpr0_sgpr1
                                        ; implicit-def: $sgpr24_sgpr25
	s_and_saveexec_b64 s[26:27], s[20:21]
	s_xor_b64 s[20:21], exec, s[26:27]
	s_cbranch_execz .LBB78_279
; %bb.135:                              ;   in Loop: Header=BB78_21 Depth=1
	v_cmp_eq_u64_e32 vcc, 1, v[6:7]
	v_cmp_eq_u64_e64 s[0:1], 1, v[8:9]
	s_and_b64 s[28:29], vcc, s[0:1]
                                        ; implicit-def: $sgpr24_sgpr25
                                        ; implicit-def: $sgpr0_sgpr1
	s_and_saveexec_b64 s[26:27], s[28:29]
	s_cbranch_execz .LBB78_172
; %bb.136:                              ;   in Loop: Header=BB78_21 Depth=1
	ds_read_b64 v[4:5], v3 offset:5120
	s_waitcnt lgkmcnt(0)
	s_barrier
	v_readfirstlane_b32 s30, v4
	v_readfirstlane_b32 s31, v5
	s_mov_b64 s[0:1], exec
	v_readlane_b32 s8, v57, 38
	v_readlane_b32 s9, v57, 39
	s_and_b64 s[8:9], s[0:1], s[8:9]
	s_mov_b64 exec, s[8:9]
; %bb.137:                              ;   in Loop: Header=BB78_21 Depth=1
	ds_write_b8 v0, v3 offset:3072
; %bb.138:                              ;   in Loop: Header=BB78_21 Depth=1
	s_or_b64 exec, exec, s[0:1]
	v_and_b32_e32 v4, s54, v31
	v_lshl_or_b32 v31, 1, s7, v4
	v_or_b32_e32 v35, s64, v35
	s_mov_b64 s[0:1], -1
	s_mov_b64 s[24:25], 0
	s_cmp_eq_u64 s[30:31], 0
	s_mov_b64 s[8:9], 0
	s_mov_b64 s[34:35], -1
	s_waitcnt lgkmcnt(0)
	s_barrier
                                        ; implicit-def: $vgpr36
	s_cbranch_scc1 .LBB78_157
; %bb.139:                              ;   in Loop: Header=BB78_21 Depth=1
	v_readlane_b32 s8, v57, 44
	s_add_u32 s38, s30, s8
	v_readlane_b32 s8, v57, 45
	s_addc_u32 s9, s31, s8
	s_mov_b32 s8, s99
	s_cmp_lg_u64 s[8:9], 0
	s_cbranch_scc0 .LBB78_199
; %bb.140:                              ;   in Loop: Header=BB78_21 Depth=1
	v_cvt_f32_u32_e32 v4, s94
	s_sub_u32 s8, 0, s94
	s_subb_u32 s36, 0, 0
	v_fmac_f32_e32 v4, 0, v33
	v_rcp_f32_e32 v4, v4
	s_nop 0
	v_mul_f32_e32 v4, 0x5f7ffffc, v4
	v_mul_f32_e32 v5, 0x2f800000, v4
	v_trunc_f32_e32 v5, v5
	v_fmac_f32_e32 v4, 0xcf800000, v5
	v_cvt_u32_f32_e32 v5, v5
	v_cvt_u32_f32_e32 v4, v4
	v_readfirstlane_b32 s37, v5
	v_readfirstlane_b32 s34, v4
	s_mul_i32 s35, s8, s37
	s_mul_hi_u32 s40, s8, s34
	s_mul_i32 s39, s36, s34
	s_add_i32 s35, s40, s35
	s_mul_i32 s41, s8, s34
	s_add_i32 s35, s35, s39
	s_mul_hi_u32 s40, s34, s41
	s_mul_i32 s42, s34, s35
	s_mul_hi_u32 s39, s34, s35
	s_add_u32 s40, s40, s42
	s_addc_u32 s39, 0, s39
	s_mul_hi_u32 s43, s37, s41
	s_mul_i32 s41, s37, s41
	s_add_u32 s40, s40, s41
	s_mul_hi_u32 s42, s37, s35
	s_addc_u32 s39, s39, s43
	s_addc_u32 s40, s42, 0
	s_mul_i32 s35, s37, s35
	s_add_u32 s35, s39, s35
	s_addc_u32 s39, 0, s40
	s_add_u32 s40, s34, s35
	s_cselect_b64 s[34:35], -1, 0
	s_cmp_lg_u64 s[34:35], 0
	s_addc_u32 s37, s37, s39
	s_mul_i32 s34, s8, s37
	s_mul_hi_u32 s35, s8, s40
	s_add_i32 s34, s35, s34
	s_mul_i32 s36, s36, s40
	s_add_i32 s34, s34, s36
	s_mul_i32 s8, s8, s40
	s_mul_hi_u32 s36, s37, s8
	s_mul_i32 s39, s37, s8
	s_mul_i32 s42, s40, s34
	s_mul_hi_u32 s8, s40, s8
	s_mul_hi_u32 s41, s40, s34
	s_add_u32 s8, s8, s42
	s_addc_u32 s41, 0, s41
	s_add_u32 s8, s8, s39
	s_mul_hi_u32 s35, s37, s34
	s_addc_u32 s8, s41, s36
	s_addc_u32 s35, s35, 0
	s_mul_i32 s34, s37, s34
	s_add_u32 s8, s8, s34
	s_addc_u32 s36, 0, s35
	s_add_u32 s8, s40, s8
	s_cselect_b64 s[34:35], -1, 0
	s_cmp_lg_u64 s[34:35], 0
	s_addc_u32 s34, s37, s36
	s_mul_i32 s36, s38, s34
	s_mul_hi_u32 s37, s38, s8
	s_mul_hi_u32 s35, s38, s34
	s_add_u32 s36, s37, s36
	s_addc_u32 s35, 0, s35
	s_mul_hi_u32 s39, s9, s8
	s_mul_i32 s8, s9, s8
	s_add_u32 s8, s36, s8
	s_mul_hi_u32 s37, s9, s34
	s_addc_u32 s8, s35, s39
	s_addc_u32 s35, s37, 0
	s_mul_i32 s34, s9, s34
	s_add_u32 s8, s8, s34
	s_addc_u32 s34, 0, s35
	s_mul_i32 s34, s94, s34
	s_mul_hi_u32 s35, s94, s8
	s_add_i32 s36, s35, s34
	s_mul_i32 s8, s94, s8
	s_sub_u32 s8, s38, s8
	s_cselect_b64 s[34:35], -1, 0
	s_cmp_lg_u64 s[34:35], 0
	s_subb_u32 s36, s9, s36
	s_sub_u32 s37, s8, s94
	s_cselect_b64 s[34:35], -1, 0
	s_cmp_lg_u64 s[34:35], 0
	s_subb_u32 s39, s36, 0
	;; [unrolled: 4-line block ×3, first 2 shown]
	s_cmp_ge_u32 s37, s94
	s_cselect_b32 s35, -1, 0
	s_cmp_eq_u32 s39, 0
	s_cselect_b32 s35, s35, -1
	s_cmp_lg_u32 s35, 0
	s_cselect_b32 s34, s34, s39
	s_cselect_b32 s37, s40, s37
	s_cmp_ge_u32 s8, s94
	s_cselect_b32 s35, -1, 0
	s_cmp_eq_u32 s36, 0
	s_cselect_b32 s35, s35, -1
	s_cmp_lg_u32 s35, 0
	s_cselect_b32 s35, s34, s36
	s_cselect_b32 s34, s37, s8
	s_cbranch_execnz .LBB78_142
.LBB78_141:                             ;   in Loop: Header=BB78_21 Depth=1
	v_cvt_f32_u32_e32 v4, s94
	s_sub_i32 s8, 0, s94
	v_rcp_iflag_f32_e32 v4, v4
	s_nop 0
	v_mul_f32_e32 v4, 0x4f7ffffe, v4
	v_cvt_u32_f32_e32 v4, v4
	s_nop 0
	v_readfirstlane_b32 s34, v4
	s_mul_i32 s8, s8, s34
	s_mul_hi_u32 s8, s34, s8
	s_add_i32 s34, s34, s8
	s_mul_hi_u32 s8, s38, s34
	s_mul_i32 s8, s8, s94
	s_sub_i32 s8, s38, s8
	s_sub_i32 s34, s8, s94
	s_cmp_ge_u32 s8, s94
	s_cselect_b32 s8, s34, s8
	s_sub_i32 s34, s8, s94
	s_cmp_ge_u32 s8, s94
	s_cselect_b32 s98, s34, s8
	s_mov_b64 s[34:35], s[98:99]
.LBB78_142:                             ;   in Loop: Header=BB78_21 Depth=1
	s_sub_u32 s38, s38, s34
	s_subb_u32 s39, s9, s35
	v_cmp_gt_u64_e32 vcc, s[38:39], v[0:1]
	s_mov_b64 s[34:35], 0
	s_mov_b64 s[8:9], 0
                                        ; implicit-def: $vgpr36
	s_and_saveexec_b64 s[36:37], vcc
	s_cbranch_execz .LBB78_156
; %bb.143:                              ;   in Loop: Header=BB78_21 Depth=1
	v_mov_b32_e32 v10, v0
	v_mov_b64_e32 v[4:5], v[0:1]
                                        ; implicit-def: $sgpr40_sgpr41
	s_branch .LBB78_146
.LBB78_144:                             ;   in Loop: Header=BB78_146 Depth=2
	s_or_b64 exec, exec, s[42:43]
	s_waitcnt lgkmcnt(0)
	s_barrier
	ds_read_u16 v11, v3 offset:3072
	s_mov_b64 s[42:43], -1
	s_waitcnt lgkmcnt(0)
	s_barrier
	v_cmp_ne_u32_sdwa s[44:45], v11, v3 src0_sel:BYTE_0 src1_sel:DWORD
	s_and_b64 vcc, exec, s[44:45]
	s_mov_b64 s[44:45], -1
	s_cbranch_vccz .LBB78_149
.LBB78_145:                             ;   in Loop: Header=BB78_146 Depth=2
	s_and_b64 s[42:43], exec, s[42:43]
	s_or_b64 s[8:9], s[42:43], s[8:9]
	s_andn2_b64 s[40:41], s[40:41], exec
	s_and_b64 s[42:43], s[44:45], exec
	s_or_b64 s[40:41], s[40:41], s[42:43]
	s_andn2_b64 exec, exec, s[8:9]
	s_cbranch_execz .LBB78_155
.LBB78_146:                             ;   Parent Loop BB78_21 Depth=1
                                        ; =>  This Inner Loop Header: Depth=2
	v_cmp_gt_u64_e32 vcc, s[30:31], v[4:5]
	s_and_saveexec_b64 s[42:43], vcc
	s_cbranch_execz .LBB78_144
; %bb.147:                              ;   in Loop: Header=BB78_146 Depth=2
	ds_read_u8 v11, v10
	s_waitcnt lgkmcnt(0)
	v_bitop3_b32 v24, v11, s76, v35 bitop3:0x80
	v_cmp_eq_u32_e32 vcc, v24, v31
	s_and_b64 exec, exec, vcc
	s_cbranch_execz .LBB78_144
; %bb.148:                              ;   in Loop: Header=BB78_146 Depth=2
	v_lshlrev_b16_e32 v11, 8, v11
	v_or_b32_e32 v11, 1, v11
	ds_write_b16 v3, v11 offset:3072
	s_branch .LBB78_144
.LBB78_149:                             ;   in Loop: Header=BB78_146 Depth=2
	v_lshl_add_u64 v[4:5], v[4:5], 0, s[94:95]
	v_cmp_le_u64_e32 vcc, s[38:39], v[4:5]
	v_add_u32_e32 v10, s94, v10
	s_mov_b64 s[44:45], 0
	s_orn2_b64 s[42:43], vcc, exec
	s_branch .LBB78_145
.LBB78_150:                             ;   in Loop: Header=BB78_21 Depth=1
                                        ; implicit-def: $sgpr28_sgpr29
	s_branch .LBB78_98
.LBB78_151:                             ;   in Loop: Header=BB78_21 Depth=1
	s_or_b64 exec, exec, s[16:17]
	s_waitcnt lgkmcnt(0)
	s_barrier
	s_mov_b64 s[0:1], exec
	v_readlane_b32 s2, v57, 28
	v_readlane_b32 s3, v57, 29
	s_and_b64 s[2:3], s[0:1], s[2:3]
	s_mov_b64 exec, s[2:3]
	s_cbranch_execz .LBB78_153
; %bb.152:                              ;   in Loop: Header=BB78_21 Depth=1
	ds_read_b32 v4, v3 offset:5144
	s_waitcnt lgkmcnt(0)
	v_ashrrev_i32_e32 v5, 31, v4
	ds_write_b64 v3, v[4:5] offset:5120
.LBB78_153:                             ;   in Loop: Header=BB78_21 Depth=1
	s_or_b64 exec, exec, s[0:1]
	s_waitcnt lgkmcnt(0)
	s_barrier
	s_mov_b64 s[0:1], -1
	s_and_b64 vcc, exec, s[8:9]
	s_cbranch_vccnz .LBB78_36
	s_branch .LBB78_51
.LBB78_154:                             ;   in Loop: Header=BB78_21 Depth=1
                                        ; implicit-def: $sgpr20_sgpr21
	s_branch .LBB78_112
.LBB78_155:                             ;   in Loop: Header=BB78_21 Depth=1
	s_or_b64 exec, exec, s[8:9]
	v_lshrrev_b32_sdwa v36, v34, v11 dst_sel:DWORD dst_unused:UNUSED_PAD src0_sel:DWORD src1_sel:WORD_0
	s_and_b64 s[8:9], s[40:41], exec
.LBB78_156:                             ;   in Loop: Header=BB78_21 Depth=1
	s_or_b64 exec, exec, s[36:37]
.LBB78_157:                             ;   in Loop: Header=BB78_21 Depth=1
	s_and_b64 vcc, exec, s[34:35]
	s_cbranch_vccz .LBB78_171
; %bb.158:                              ;   in Loop: Header=BB78_21 Depth=1
	s_mov_b32 s68, s99
	s_cmp_lg_u64 s[68:69], 0
	s_cbranch_scc0 .LBB78_200
; %bb.159:                              ;   in Loop: Header=BB78_21 Depth=1
	v_cvt_f32_u32_e32 v4, s94
	s_sub_u32 s24, 0, s94
	s_subb_u32 s25, 0, 0
	v_fmac_f32_e32 v4, 0, v33
	v_rcp_f32_e32 v4, v4
	s_nop 0
	v_mul_f32_e32 v4, 0x5f7ffffc, v4
	v_mul_f32_e32 v5, 0x2f800000, v4
	v_trunc_f32_e32 v5, v5
	v_fmac_f32_e32 v4, 0xcf800000, v5
	v_cvt_u32_f32_e32 v5, v5
	v_cvt_u32_f32_e32 v4, v4
	v_readfirstlane_b32 s30, v5
	v_readfirstlane_b32 s0, v4
	s_mul_i32 s1, s24, s30
	s_mul_hi_u32 s34, s24, s0
	s_mul_i32 s31, s25, s0
	s_add_i32 s1, s34, s1
	s_mul_i32 s35, s24, s0
	s_add_i32 s1, s1, s31
	s_mul_hi_u32 s34, s0, s35
	s_mul_i32 s36, s0, s1
	s_mul_hi_u32 s31, s0, s1
	s_add_u32 s34, s34, s36
	s_addc_u32 s31, 0, s31
	s_mul_hi_u32 s37, s30, s35
	s_mul_i32 s35, s30, s35
	s_add_u32 s34, s34, s35
	s_mul_hi_u32 s36, s30, s1
	s_addc_u32 s31, s31, s37
	s_addc_u32 s34, s36, 0
	s_mul_i32 s1, s30, s1
	s_add_u32 s1, s31, s1
	s_addc_u32 s31, 0, s34
	s_add_u32 s34, s0, s1
	s_cselect_b64 s[0:1], -1, 0
	s_cmp_lg_u64 s[0:1], 0
	s_addc_u32 s30, s30, s31
	s_mul_i32 s0, s24, s30
	s_mul_hi_u32 s1, s24, s34
	s_add_i32 s0, s1, s0
	s_mul_i32 s25, s25, s34
	s_add_i32 s0, s0, s25
	s_mul_i32 s24, s24, s34
	s_mul_hi_u32 s25, s30, s24
	s_mul_i32 s31, s30, s24
	s_mul_i32 s36, s34, s0
	s_mul_hi_u32 s24, s34, s24
	s_mul_hi_u32 s35, s34, s0
	s_add_u32 s24, s24, s36
	s_addc_u32 s35, 0, s35
	s_add_u32 s24, s24, s31
	s_mul_hi_u32 s1, s30, s0
	s_addc_u32 s24, s35, s25
	s_addc_u32 s1, s1, 0
	s_mul_i32 s0, s30, s0
	s_add_u32 s0, s24, s0
	s_addc_u32 s24, 0, s1
	s_add_u32 s25, s34, s0
	s_cselect_b64 s[0:1], -1, 0
	s_cmp_lg_u64 s[0:1], 0
	s_addc_u32 s0, s30, s24
	s_mul_i32 s24, s14, s0
	s_mul_hi_u32 s30, s14, s25
	s_mul_hi_u32 s1, s14, s0
	s_add_u32 s24, s30, s24
	s_addc_u32 s1, 0, s1
	s_mul_hi_u32 s31, s69, s25
	s_mul_i32 s25, s69, s25
	s_add_u32 s24, s24, s25
	s_mul_hi_u32 s30, s69, s0
	s_addc_u32 s1, s1, s31
	s_addc_u32 s24, s30, 0
	s_mul_i32 s0, s69, s0
	s_add_u32 s0, s1, s0
	s_addc_u32 s1, 0, s24
	s_mul_i32 s1, s94, s1
	s_mul_hi_u32 s24, s94, s0
	s_add_i32 s24, s24, s1
	s_mul_i32 s0, s94, s0
	s_sub_u32 s25, s14, s0
	s_cselect_b64 s[0:1], -1, 0
	s_cmp_lg_u64 s[0:1], 0
	s_subb_u32 s24, s69, s24
	s_sub_u32 s30, s25, s94
	s_cselect_b64 s[0:1], -1, 0
	s_cmp_lg_u64 s[0:1], 0
	s_subb_u32 s31, s24, 0
	;; [unrolled: 4-line block ×3, first 2 shown]
	s_cmp_ge_u32 s30, s94
	s_cselect_b32 s1, -1, 0
	s_cmp_eq_u32 s31, 0
	s_cselect_b32 s1, s1, -1
	s_cmp_lg_u32 s1, 0
	s_cselect_b32 s0, s0, s31
	s_cselect_b32 s30, s34, s30
	s_cmp_ge_u32 s25, s94
	s_cselect_b32 s1, -1, 0
	s_cmp_eq_u32 s24, 0
	s_cselect_b32 s1, s1, -1
	s_cmp_lg_u32 s1, 0
	s_cselect_b32 s1, s0, s24
	s_cselect_b32 s0, s30, s25
	s_cbranch_execnz .LBB78_161
.LBB78_160:                             ;   in Loop: Header=BB78_21 Depth=1
	v_cvt_f32_u32_e32 v4, s94
	s_sub_i32 s0, 0, s94
	v_rcp_iflag_f32_e32 v4, v4
	s_nop 0
	v_mul_f32_e32 v4, 0x4f7ffffe, v4
	v_cvt_u32_f32_e32 v4, v4
	s_nop 0
	v_readfirstlane_b32 s1, v4
	s_mul_i32 s0, s0, s1
	s_mul_hi_u32 s0, s1, s0
	s_add_i32 s1, s1, s0
	s_mul_hi_u32 s0, s14, s1
	s_mul_i32 s0, s0, s94
	s_sub_i32 s0, s14, s0
	s_sub_i32 s1, s0, s94
	s_cmp_ge_u32 s0, s94
	s_cselect_b32 s0, s1, s0
	s_sub_i32 s1, s0, s94
	s_cmp_ge_u32 s0, s94
	s_cselect_b32 s98, s1, s0
	s_mov_b64 s[0:1], s[98:99]
.LBB78_161:                             ;   in Loop: Header=BB78_21 Depth=1
	s_sub_u32 s24, s14, s0
	s_subb_u32 s25, s69, s1
	v_cmp_gt_u64_e32 vcc, s[24:25], v[0:1]
                                        ; implicit-def: $vgpr36
	s_and_saveexec_b64 s[0:1], vcc
	s_cbranch_execz .LBB78_170
; %bb.162:                              ;   in Loop: Header=BB78_21 Depth=1
	s_mov_b64 s[30:31], 0
	v_mov_b64_e32 v[4:5], v[0:1]
                                        ; implicit-def: $sgpr34_sgpr35
	s_branch .LBB78_165
.LBB78_163:                             ;   in Loop: Header=BB78_165 Depth=2
	s_or_b64 exec, exec, s[36:37]
	s_waitcnt lgkmcnt(0)
	s_barrier
	ds_read_u16 v10, v3 offset:3072
	s_mov_b64 s[36:37], -1
	s_waitcnt lgkmcnt(0)
	s_barrier
	v_cmp_eq_u32_sdwa s[38:39], v10, v3 src0_sel:BYTE_0 src1_sel:DWORD
	s_and_b64 vcc, exec, s[38:39]
	s_mov_b64 s[38:39], -1
	s_cbranch_vccnz .LBB78_168
.LBB78_164:                             ;   in Loop: Header=BB78_165 Depth=2
	s_and_b64 s[36:37], exec, s[36:37]
	s_or_b64 s[30:31], s[36:37], s[30:31]
	s_andn2_b64 s[34:35], s[34:35], exec
	s_and_b64 s[36:37], s[38:39], exec
	s_or_b64 s[34:35], s[34:35], s[36:37]
	s_andn2_b64 exec, exec, s[30:31]
	s_cbranch_execz .LBB78_169
.LBB78_165:                             ;   Parent Loop BB78_21 Depth=1
                                        ; =>  This Inner Loop Header: Depth=2
	v_cmp_gt_u64_e32 vcc, s[56:57], v[4:5]
	s_and_saveexec_b64 s[36:37], vcc
	s_cbranch_execz .LBB78_163
; %bb.166:                              ;   in Loop: Header=BB78_165 Depth=2
	v_mov_b64_e32 v[10:11], s[96:97]
	v_mad_u64_u32 v[10:11], s[38:39], v4, s84, v[10:11]
	v_mul_lo_u32 v24, v4, s85
	v_mul_lo_u32 v25, v5, s84
	v_add3_u32 v11, v25, v11, v24
	global_load_ubyte v10, v[10:11], off
	s_waitcnt vmcnt(0)
	v_bitop3_b32 v11, v10, s76, v35 bitop3:0x80
	v_cmp_eq_u32_e32 vcc, v11, v31
	s_and_b64 exec, exec, vcc
	s_cbranch_execz .LBB78_163
; %bb.167:                              ;   in Loop: Header=BB78_165 Depth=2
	v_lshlrev_b16_e32 v10, 8, v10
	v_or_b32_e32 v10, 1, v10
	ds_write_b16 v3, v10 offset:3072
	s_branch .LBB78_163
.LBB78_168:                             ;   in Loop: Header=BB78_165 Depth=2
	v_lshl_add_u64 v[4:5], v[4:5], 0, s[94:95]
	v_cmp_le_u64_e32 vcc, s[24:25], v[4:5]
	s_mov_b64 s[38:39], 0
	s_orn2_b64 s[36:37], vcc, exec
	s_branch .LBB78_164
.LBB78_169:                             ;   in Loop: Header=BB78_21 Depth=1
	s_or_b64 exec, exec, s[30:31]
	s_andn2_b64 s[8:9], s[8:9], exec
	s_and_b64 s[24:25], s[34:35], exec
	v_lshrrev_b32_sdwa v36, v34, v10 dst_sel:DWORD dst_unused:UNUSED_PAD src0_sel:DWORD src1_sel:WORD_0
	s_or_b64 s[8:9], s[8:9], s[24:25]
.LBB78_170:                             ;   in Loop: Header=BB78_21 Depth=1
	s_or_b64 exec, exec, s[0:1]
	s_mov_b64 s[0:1], 0
	s_mov_b64 s[24:25], -1
.LBB78_171:                             ;   in Loop: Header=BB78_21 Depth=1
	s_orn2_b64 s[8:9], s[8:9], exec
.LBB78_172:                             ;   in Loop: Header=BB78_21 Depth=1
	s_or_b64 exec, exec, s[26:27]
	s_mov_b64 s[30:31], 0
	s_and_saveexec_b64 s[26:27], s[8:9]
	s_cbranch_execz .LBB78_278
; %bb.173:                              ;   in Loop: Header=BB78_21 Depth=1
	s_xor_b64 s[28:29], s[28:29], -1
	v_mov_b32_e32 v2, 1
	v_mov_b64_e32 v[4:5], 1
	s_and_saveexec_b64 s[8:9], s[28:29]
	s_cbranch_execz .LBB78_183
; %bb.174:                              ;   in Loop: Header=BB78_21 Depth=1
	v_cmp_le_u64_e32 vcc, v[8:9], v[6:7]
	s_and_saveexec_b64 s[28:29], vcc
	s_xor_b64 s[28:29], exec, s[28:29]
	s_cbranch_execz .LBB78_180
; %bb.175:                              ;   in Loop: Header=BB78_21 Depth=1
	ds_read_b64 v[4:5], v3 offset:5120
	v_and_b32_e32 v2, s54, v31
	v_lshl_or_b32 v31, 1, s7, v2
	v_or_b32_e32 v35, s64, v35
	s_waitcnt lgkmcnt(0)
	v_cmp_ne_u64_e32 vcc, 0, v[4:5]
	s_cbranch_vccnz .LBB78_179
; %bb.176:                              ;   in Loop: Header=BB78_21 Depth=1
	s_mov_b64 s[30:31], exec
	v_readlane_b32 s34, v57, 28
	v_readlane_b32 s35, v57, 29
	s_and_b64 s[34:35], s[30:31], s[34:35]
	s_mov_b64 exec, s[34:35]
; %bb.177:                              ;   in Loop: Header=BB78_21 Depth=1
	ds_write_b64 v3, v[6:7] offset:5128
; %bb.178:                              ;   in Loop: Header=BB78_21 Depth=1
	s_or_b64 exec, exec, s[30:31]
	s_waitcnt lgkmcnt(0)
	s_barrier
.LBB78_179:                             ;   in Loop: Header=BB78_21 Depth=1
                                        ; implicit-def: $vgpr4_vgpr5_vgpr6_vgpr7
.LBB78_180:                             ;   in Loop: Header=BB78_21 Depth=1
	s_or_saveexec_b64 s[28:29], s[28:29]
	s_mov_b64 s[30:31], 0
	v_mov_b32_e32 v2, 8
	s_xor_b64 exec, exec, s[28:29]
; %bb.181:                              ;   in Loop: Header=BB78_21 Depth=1
	v_sub_co_u32_e32 v8, vcc, v8, v6
	s_mov_b64 s[30:31], exec
	s_nop 0
	v_subb_co_u32_e32 v9, vcc, v9, v7, vcc
	v_mov_b32_e32 v2, 0
; %bb.182:                              ;   in Loop: Header=BB78_21 Depth=1
	s_or_b64 exec, exec, s[28:29]
	s_and_b64 s[30:31], s[30:31], exec
	v_mov_b64_e32 v[4:5], v[8:9]
.LBB78_183:                             ;   in Loop: Header=BB78_21 Depth=1
	s_or_b64 exec, exec, s[8:9]
	s_mov_b64 s[8:9], -1
                                        ; implicit-def: $sgpr34_sgpr35
                                        ; implicit-def: $sgpr36_sgpr37
	s_and_saveexec_b64 s[28:29], s[30:31]
	s_cbranch_execz .LBB78_277
; %bb.184:                              ;   in Loop: Header=BB78_21 Depth=1
	s_cmp_eq_u64 s[22:23], 1
	s_cselect_b64 s[8:9], -1, 0
	v_cmp_eq_u64_e32 vcc, 1, v[4:5]
	s_and_b64 s[40:41], s[8:9], vcc
	s_mov_b64 s[8:9], -1
                                        ; implicit-def: $sgpr36_sgpr37
                                        ; implicit-def: $sgpr34_sgpr35
	s_and_saveexec_b64 s[38:39], s[40:41]
	s_cbranch_execz .LBB78_218
; %bb.185:                              ;   in Loop: Header=BB78_21 Depth=1
	ds_read_b64 v[6:7], v3 offset:5120
	s_waitcnt lgkmcnt(0)
	s_barrier
	v_readfirstlane_b32 s30, v6
	v_readfirstlane_b32 s31, v7
	s_mov_b64 s[8:9], exec
	v_readlane_b32 s34, v57, 38
	v_readlane_b32 s35, v57, 39
	s_and_b64 s[34:35], s[8:9], s[34:35]
	s_mov_b64 exec, s[34:35]
; %bb.186:                              ;   in Loop: Header=BB78_21 Depth=1
	ds_write_b8 v0, v3 offset:3072
; %bb.187:                              ;   in Loop: Header=BB78_21 Depth=1
	s_or_b64 exec, exec, s[8:9]
	v_and_b32_e32 v6, s54, v31
	v_lshl_or_b32 v31, 2, s7, v6
	v_or_b32_e32 v35, s64, v35
	s_mov_b64 s[34:35], -1
	s_mov_b64 s[36:37], 0
	s_cmp_eq_u64 s[30:31], 0
	s_mov_b64 s[8:9], 0
	s_mov_b64 s[42:43], -1
	s_waitcnt lgkmcnt(0)
	s_barrier
                                        ; implicit-def: $vgpr36
	s_cbranch_scc1 .LBB78_203
; %bb.188:                              ;   in Loop: Header=BB78_21 Depth=1
	v_readlane_b32 s8, v57, 44
	s_add_u32 s46, s30, s8
	v_readlane_b32 s8, v57, 45
	s_addc_u32 s9, s31, s8
	s_mov_b32 s8, s99
	s_cmp_lg_u64 s[8:9], 0
	s_cbranch_scc0 .LBB78_244
; %bb.189:                              ;   in Loop: Header=BB78_21 Depth=1
	v_cvt_f32_u32_e32 v6, s94
	s_sub_u32 s8, 0, s94
	s_subb_u32 s44, 0, 0
	v_fmac_f32_e32 v6, 0, v33
	v_rcp_f32_e32 v6, v6
	s_nop 0
	v_mul_f32_e32 v6, 0x5f7ffffc, v6
	v_mul_f32_e32 v7, 0x2f800000, v6
	v_trunc_f32_e32 v7, v7
	v_fmac_f32_e32 v6, 0xcf800000, v7
	v_cvt_u32_f32_e32 v7, v7
	v_cvt_u32_f32_e32 v6, v6
	v_readfirstlane_b32 s45, v7
	v_readfirstlane_b32 s42, v6
	s_mul_i32 s43, s8, s45
	s_mul_hi_u32 s48, s8, s42
	s_mul_i32 s47, s44, s42
	s_add_i32 s43, s48, s43
	s_mul_i32 s49, s8, s42
	s_add_i32 s43, s43, s47
	s_mul_hi_u32 s48, s42, s49
	s_mul_i32 s50, s42, s43
	s_mul_hi_u32 s47, s42, s43
	s_add_u32 s48, s48, s50
	s_addc_u32 s47, 0, s47
	s_mul_hi_u32 s51, s45, s49
	s_mul_i32 s49, s45, s49
	s_add_u32 s48, s48, s49
	s_mul_hi_u32 s50, s45, s43
	s_addc_u32 s47, s47, s51
	s_addc_u32 s48, s50, 0
	s_mul_i32 s43, s45, s43
	s_add_u32 s43, s47, s43
	s_addc_u32 s47, 0, s48
	s_add_u32 s48, s42, s43
	s_cselect_b64 s[42:43], -1, 0
	s_cmp_lg_u64 s[42:43], 0
	s_addc_u32 s45, s45, s47
	s_mul_i32 s42, s8, s45
	s_mul_hi_u32 s43, s8, s48
	s_add_i32 s42, s43, s42
	s_mul_i32 s44, s44, s48
	s_add_i32 s42, s42, s44
	s_mul_i32 s8, s8, s48
	s_mul_hi_u32 s44, s45, s8
	s_mul_i32 s47, s45, s8
	s_mul_i32 s50, s48, s42
	s_mul_hi_u32 s8, s48, s8
	s_mul_hi_u32 s49, s48, s42
	s_add_u32 s8, s8, s50
	s_addc_u32 s49, 0, s49
	s_add_u32 s8, s8, s47
	s_mul_hi_u32 s43, s45, s42
	s_addc_u32 s8, s49, s44
	s_addc_u32 s43, s43, 0
	s_mul_i32 s42, s45, s42
	s_add_u32 s8, s8, s42
	s_addc_u32 s44, 0, s43
	s_add_u32 s8, s48, s8
	s_cselect_b64 s[42:43], -1, 0
	s_cmp_lg_u64 s[42:43], 0
	s_addc_u32 s42, s45, s44
	s_mul_i32 s44, s46, s42
	s_mul_hi_u32 s45, s46, s8
	s_mul_hi_u32 s43, s46, s42
	s_add_u32 s44, s45, s44
	s_addc_u32 s43, 0, s43
	s_mul_hi_u32 s47, s9, s8
	s_mul_i32 s8, s9, s8
	s_add_u32 s8, s44, s8
	s_mul_hi_u32 s45, s9, s42
	s_addc_u32 s8, s43, s47
	s_addc_u32 s43, s45, 0
	s_mul_i32 s42, s9, s42
	s_add_u32 s8, s8, s42
	s_addc_u32 s42, 0, s43
	s_mul_i32 s42, s94, s42
	s_mul_hi_u32 s43, s94, s8
	s_add_i32 s44, s43, s42
	s_mul_i32 s8, s94, s8
	s_sub_u32 s8, s46, s8
	s_cselect_b64 s[42:43], -1, 0
	s_cmp_lg_u64 s[42:43], 0
	s_subb_u32 s44, s9, s44
	s_sub_u32 s45, s8, s94
	s_cselect_b64 s[42:43], -1, 0
	s_cmp_lg_u64 s[42:43], 0
	s_subb_u32 s47, s44, 0
	;; [unrolled: 4-line block ×3, first 2 shown]
	s_cmp_ge_u32 s45, s94
	s_cselect_b32 s43, -1, 0
	s_cmp_eq_u32 s47, 0
	s_cselect_b32 s43, s43, -1
	s_cmp_lg_u32 s43, 0
	s_cselect_b32 s42, s42, s47
	s_cselect_b32 s45, s48, s45
	s_cmp_ge_u32 s8, s94
	s_cselect_b32 s43, -1, 0
	s_cmp_eq_u32 s44, 0
	s_cselect_b32 s43, s43, -1
	s_cmp_lg_u32 s43, 0
	s_cselect_b32 s43, s42, s44
	s_cselect_b32 s42, s45, s8
	s_cbranch_execnz .LBB78_191
.LBB78_190:                             ;   in Loop: Header=BB78_21 Depth=1
	v_cvt_f32_u32_e32 v6, s94
	s_sub_i32 s8, 0, s94
	v_rcp_iflag_f32_e32 v6, v6
	s_nop 0
	v_mul_f32_e32 v6, 0x4f7ffffe, v6
	v_cvt_u32_f32_e32 v6, v6
	s_nop 0
	v_readfirstlane_b32 s42, v6
	s_mul_i32 s8, s8, s42
	s_mul_hi_u32 s8, s42, s8
	s_add_i32 s42, s42, s8
	s_mul_hi_u32 s8, s46, s42
	s_mul_i32 s8, s8, s94
	s_sub_i32 s8, s46, s8
	s_sub_i32 s42, s8, s94
	s_cmp_ge_u32 s8, s94
	s_cselect_b32 s8, s42, s8
	s_sub_i32 s42, s8, s94
	s_cmp_ge_u32 s8, s94
	s_cselect_b32 s98, s42, s8
	s_mov_b64 s[42:43], s[98:99]
.LBB78_191:                             ;   in Loop: Header=BB78_21 Depth=1
	s_sub_u32 s46, s46, s42
	s_subb_u32 s47, s9, s43
	v_cmp_gt_u64_e32 vcc, s[46:47], v[0:1]
	s_mov_b64 s[42:43], 0
	s_mov_b64 s[8:9], 0
                                        ; implicit-def: $vgpr36
	s_and_saveexec_b64 s[44:45], vcc
	s_cbranch_execz .LBB78_202
; %bb.192:                              ;   in Loop: Header=BB78_21 Depth=1
	v_mov_b32_e32 v8, v0
	v_mov_b64_e32 v[6:7], v[0:1]
                                        ; implicit-def: $sgpr48_sgpr49
	s_branch .LBB78_195
.LBB78_193:                             ;   in Loop: Header=BB78_195 Depth=2
	s_or_b64 exec, exec, s[50:51]
	s_waitcnt lgkmcnt(0)
	s_barrier
	ds_read_u16 v9, v3 offset:3072
	s_mov_b64 s[50:51], -1
	s_waitcnt lgkmcnt(0)
	s_barrier
	v_cmp_ne_u32_sdwa s[52:53], v9, v3 src0_sel:BYTE_0 src1_sel:DWORD
	s_and_b64 vcc, exec, s[52:53]
	s_mov_b64 s[52:53], -1
	s_cbranch_vccz .LBB78_198
.LBB78_194:                             ;   in Loop: Header=BB78_195 Depth=2
	s_and_b64 s[50:51], exec, s[50:51]
	s_or_b64 s[8:9], s[50:51], s[8:9]
	s_andn2_b64 s[48:49], s[48:49], exec
	s_and_b64 s[50:51], s[52:53], exec
	s_or_b64 s[48:49], s[48:49], s[50:51]
	s_andn2_b64 exec, exec, s[8:9]
	s_cbranch_execz .LBB78_201
.LBB78_195:                             ;   Parent Loop BB78_21 Depth=1
                                        ; =>  This Inner Loop Header: Depth=2
	v_cmp_gt_u64_e32 vcc, s[30:31], v[6:7]
	s_and_saveexec_b64 s[50:51], vcc
	s_cbranch_execz .LBB78_193
; %bb.196:                              ;   in Loop: Header=BB78_195 Depth=2
	ds_read_u8 v9, v8
	s_waitcnt lgkmcnt(0)
	v_bitop3_b32 v10, v9, s76, v35 bitop3:0x80
	v_cmp_eq_u32_e32 vcc, v10, v31
	s_and_b64 exec, exec, vcc
	s_cbranch_execz .LBB78_193
; %bb.197:                              ;   in Loop: Header=BB78_195 Depth=2
	v_lshlrev_b16_e32 v9, 8, v9
	v_or_b32_e32 v9, 1, v9
	ds_write_b16 v3, v9 offset:3072
	s_branch .LBB78_193
.LBB78_198:                             ;   in Loop: Header=BB78_195 Depth=2
	v_lshl_add_u64 v[6:7], v[6:7], 0, s[94:95]
	v_cmp_le_u64_e32 vcc, s[46:47], v[6:7]
	v_add_u32_e32 v8, s94, v8
	s_mov_b64 s[52:53], 0
	s_orn2_b64 s[50:51], vcc, exec
	s_branch .LBB78_194
.LBB78_199:                             ;   in Loop: Header=BB78_21 Depth=1
                                        ; implicit-def: $sgpr34_sgpr35
	s_branch .LBB78_141
.LBB78_200:                             ;   in Loop: Header=BB78_21 Depth=1
                                        ; implicit-def: $sgpr0_sgpr1
	s_branch .LBB78_160
.LBB78_201:                             ;   in Loop: Header=BB78_21 Depth=1
	s_or_b64 exec, exec, s[8:9]
	v_lshrrev_b32_sdwa v36, v34, v9 dst_sel:DWORD dst_unused:UNUSED_PAD src0_sel:DWORD src1_sel:WORD_0
	s_and_b64 s[8:9], s[48:49], exec
.LBB78_202:                             ;   in Loop: Header=BB78_21 Depth=1
	s_or_b64 exec, exec, s[44:45]
.LBB78_203:                             ;   in Loop: Header=BB78_21 Depth=1
	s_and_b64 vcc, exec, s[42:43]
	s_cbranch_vccz .LBB78_217
; %bb.204:                              ;   in Loop: Header=BB78_21 Depth=1
	s_mov_b32 s68, s99
	s_cmp_lg_u64 s[68:69], 0
	s_cbranch_scc0 .LBB78_245
; %bb.205:                              ;   in Loop: Header=BB78_21 Depth=1
	v_cvt_f32_u32_e32 v6, s94
	s_sub_u32 s34, 0, s94
	s_subb_u32 s35, 0, 0
	v_fmac_f32_e32 v6, 0, v33
	v_rcp_f32_e32 v6, v6
	s_nop 0
	v_mul_f32_e32 v6, 0x5f7ffffc, v6
	v_mul_f32_e32 v7, 0x2f800000, v6
	v_trunc_f32_e32 v7, v7
	v_fmac_f32_e32 v6, 0xcf800000, v7
	v_cvt_u32_f32_e32 v7, v7
	v_cvt_u32_f32_e32 v6, v6
	v_readfirstlane_b32 s36, v7
	v_readfirstlane_b32 s30, v6
	s_mul_i32 s31, s34, s36
	s_mul_hi_u32 s42, s34, s30
	s_mul_i32 s37, s35, s30
	s_add_i32 s31, s42, s31
	s_mul_i32 s43, s34, s30
	s_add_i32 s31, s31, s37
	s_mul_hi_u32 s42, s30, s43
	s_mul_i32 s44, s30, s31
	s_mul_hi_u32 s37, s30, s31
	s_add_u32 s42, s42, s44
	s_addc_u32 s37, 0, s37
	s_mul_hi_u32 s45, s36, s43
	s_mul_i32 s43, s36, s43
	s_add_u32 s42, s42, s43
	s_mul_hi_u32 s44, s36, s31
	s_addc_u32 s37, s37, s45
	s_addc_u32 s42, s44, 0
	s_mul_i32 s31, s36, s31
	s_add_u32 s31, s37, s31
	s_addc_u32 s37, 0, s42
	s_add_u32 s42, s30, s31
	s_cselect_b64 s[30:31], -1, 0
	s_cmp_lg_u64 s[30:31], 0
	s_addc_u32 s36, s36, s37
	s_mul_i32 s30, s34, s36
	s_mul_hi_u32 s31, s34, s42
	s_add_i32 s30, s31, s30
	s_mul_i32 s35, s35, s42
	s_add_i32 s30, s30, s35
	s_mul_i32 s34, s34, s42
	s_mul_hi_u32 s35, s36, s34
	s_mul_i32 s37, s36, s34
	s_mul_i32 s44, s42, s30
	s_mul_hi_u32 s34, s42, s34
	s_mul_hi_u32 s43, s42, s30
	s_add_u32 s34, s34, s44
	s_addc_u32 s43, 0, s43
	s_add_u32 s34, s34, s37
	s_mul_hi_u32 s31, s36, s30
	s_addc_u32 s34, s43, s35
	s_addc_u32 s31, s31, 0
	s_mul_i32 s30, s36, s30
	s_add_u32 s30, s34, s30
	s_addc_u32 s34, 0, s31
	s_add_u32 s35, s42, s30
	s_cselect_b64 s[30:31], -1, 0
	s_cmp_lg_u64 s[30:31], 0
	s_addc_u32 s30, s36, s34
	s_mul_i32 s34, s14, s30
	s_mul_hi_u32 s36, s14, s35
	s_mul_hi_u32 s31, s14, s30
	s_add_u32 s34, s36, s34
	s_addc_u32 s31, 0, s31
	s_mul_hi_u32 s37, s69, s35
	s_mul_i32 s35, s69, s35
	s_add_u32 s34, s34, s35
	s_mul_hi_u32 s36, s69, s30
	s_addc_u32 s31, s31, s37
	s_addc_u32 s34, s36, 0
	s_mul_i32 s30, s69, s30
	s_add_u32 s30, s31, s30
	s_addc_u32 s31, 0, s34
	s_mul_i32 s31, s94, s31
	s_mul_hi_u32 s34, s94, s30
	s_add_i32 s34, s34, s31
	s_mul_i32 s30, s94, s30
	s_sub_u32 s35, s14, s30
	s_cselect_b64 s[30:31], -1, 0
	s_cmp_lg_u64 s[30:31], 0
	s_subb_u32 s34, s69, s34
	s_sub_u32 s36, s35, s94
	s_cselect_b64 s[30:31], -1, 0
	s_cmp_lg_u64 s[30:31], 0
	s_subb_u32 s37, s34, 0
	;; [unrolled: 4-line block ×3, first 2 shown]
	s_cmp_ge_u32 s36, s94
	s_cselect_b32 s31, -1, 0
	s_cmp_eq_u32 s37, 0
	s_cselect_b32 s31, s31, -1
	s_cmp_lg_u32 s31, 0
	s_cselect_b32 s30, s30, s37
	s_cselect_b32 s36, s42, s36
	s_cmp_ge_u32 s35, s94
	s_cselect_b32 s31, -1, 0
	s_cmp_eq_u32 s34, 0
	s_cselect_b32 s31, s31, -1
	s_cmp_lg_u32 s31, 0
	s_cselect_b32 s31, s30, s34
	s_cselect_b32 s30, s36, s35
	s_cbranch_execnz .LBB78_207
.LBB78_206:                             ;   in Loop: Header=BB78_21 Depth=1
	v_cvt_f32_u32_e32 v6, s94
	s_sub_i32 s30, 0, s94
	v_rcp_iflag_f32_e32 v6, v6
	s_nop 0
	v_mul_f32_e32 v6, 0x4f7ffffe, v6
	v_cvt_u32_f32_e32 v6, v6
	s_nop 0
	v_readfirstlane_b32 s31, v6
	s_mul_i32 s30, s30, s31
	s_mul_hi_u32 s30, s31, s30
	s_add_i32 s31, s31, s30
	s_mul_hi_u32 s30, s14, s31
	s_mul_i32 s30, s30, s94
	s_sub_i32 s30, s14, s30
	s_sub_i32 s31, s30, s94
	s_cmp_ge_u32 s30, s94
	s_cselect_b32 s30, s31, s30
	s_sub_i32 s31, s30, s94
	s_cmp_ge_u32 s30, s94
	s_cselect_b32 s98, s31, s30
	s_mov_b64 s[30:31], s[98:99]
.LBB78_207:                             ;   in Loop: Header=BB78_21 Depth=1
	s_sub_u32 s34, s14, s30
	s_subb_u32 s35, s69, s31
	v_cmp_gt_u64_e32 vcc, s[34:35], v[0:1]
                                        ; implicit-def: $vgpr36
	s_and_saveexec_b64 s[30:31], vcc
	s_cbranch_execz .LBB78_216
; %bb.208:                              ;   in Loop: Header=BB78_21 Depth=1
	s_mov_b64 s[36:37], 0
	v_mov_b64_e32 v[6:7], v[0:1]
                                        ; implicit-def: $sgpr42_sgpr43
	s_branch .LBB78_211
.LBB78_209:                             ;   in Loop: Header=BB78_211 Depth=2
	s_or_b64 exec, exec, s[44:45]
	s_waitcnt lgkmcnt(0)
	s_barrier
	ds_read_u16 v8, v3 offset:3072
	s_mov_b64 s[44:45], -1
	s_waitcnt lgkmcnt(0)
	s_barrier
	v_cmp_eq_u32_sdwa s[46:47], v8, v3 src0_sel:BYTE_0 src1_sel:DWORD
	s_and_b64 vcc, exec, s[46:47]
	s_mov_b64 s[46:47], -1
	s_cbranch_vccnz .LBB78_214
.LBB78_210:                             ;   in Loop: Header=BB78_211 Depth=2
	s_and_b64 s[44:45], exec, s[44:45]
	s_or_b64 s[36:37], s[44:45], s[36:37]
	s_andn2_b64 s[42:43], s[42:43], exec
	s_and_b64 s[44:45], s[46:47], exec
	s_or_b64 s[42:43], s[42:43], s[44:45]
	s_andn2_b64 exec, exec, s[36:37]
	s_cbranch_execz .LBB78_215
.LBB78_211:                             ;   Parent Loop BB78_21 Depth=1
                                        ; =>  This Inner Loop Header: Depth=2
	v_cmp_gt_u64_e32 vcc, s[56:57], v[6:7]
	s_and_saveexec_b64 s[44:45], vcc
	s_cbranch_execz .LBB78_209
; %bb.212:                              ;   in Loop: Header=BB78_211 Depth=2
	v_mov_b64_e32 v[8:9], s[96:97]
	v_mad_u64_u32 v[8:9], s[46:47], v6, s84, v[8:9]
	v_mul_lo_u32 v10, v6, s85
	v_mul_lo_u32 v11, v7, s84
	v_add3_u32 v9, v11, v9, v10
	global_load_ubyte v8, v[8:9], off
	s_waitcnt vmcnt(0)
	v_bitop3_b32 v9, v8, s76, v35 bitop3:0x80
	v_cmp_eq_u32_e32 vcc, v9, v31
	s_and_b64 exec, exec, vcc
	s_cbranch_execz .LBB78_209
; %bb.213:                              ;   in Loop: Header=BB78_211 Depth=2
	v_lshlrev_b16_e32 v8, 8, v8
	v_or_b32_e32 v8, 1, v8
	ds_write_b16 v3, v8 offset:3072
	s_branch .LBB78_209
.LBB78_214:                             ;   in Loop: Header=BB78_211 Depth=2
	v_lshl_add_u64 v[6:7], v[6:7], 0, s[94:95]
	v_cmp_le_u64_e32 vcc, s[34:35], v[6:7]
	s_mov_b64 s[46:47], 0
	s_orn2_b64 s[44:45], vcc, exec
	s_branch .LBB78_210
.LBB78_215:                             ;   in Loop: Header=BB78_21 Depth=1
	s_or_b64 exec, exec, s[36:37]
	s_andn2_b64 s[8:9], s[8:9], exec
	s_and_b64 s[34:35], s[42:43], exec
	v_lshrrev_b32_sdwa v36, v34, v8 dst_sel:DWORD dst_unused:UNUSED_PAD src0_sel:DWORD src1_sel:WORD_0
	s_or_b64 s[8:9], s[8:9], s[34:35]
.LBB78_216:                             ;   in Loop: Header=BB78_21 Depth=1
	s_or_b64 exec, exec, s[30:31]
	s_mov_b64 s[34:35], 0
	s_mov_b64 s[36:37], -1
.LBB78_217:                             ;   in Loop: Header=BB78_21 Depth=1
	s_orn2_b64 s[8:9], s[8:9], exec
.LBB78_218:                             ;   in Loop: Header=BB78_21 Depth=1
	s_or_b64 exec, exec, s[38:39]
	s_mov_b64 s[30:31], 0
	s_and_saveexec_b64 s[38:39], s[8:9]
	s_cbranch_execz .LBB78_276
; %bb.219:                              ;   in Loop: Header=BB78_21 Depth=1
	s_xor_b64 s[40:41], s[40:41], -1
	v_mov_b32_e32 v2, 1
	v_mov_b64_e32 v[6:7], 1
	s_and_saveexec_b64 s[8:9], s[40:41]
	s_cbranch_execz .LBB78_228
; %bb.220:                              ;   in Loop: Header=BB78_21 Depth=1
	v_cmp_ge_u64_e32 vcc, s[22:23], v[4:5]
	s_and_saveexec_b64 s[30:31], vcc
	s_xor_b64 s[30:31], exec, s[30:31]
	s_cbranch_execz .LBB78_225
; %bb.221:                              ;   in Loop: Header=BB78_21 Depth=1
	ds_read_b64 v[6:7], v3 offset:5120
	v_and_b32_e32 v2, s54, v31
	v_lshl_or_b32 v31, 2, s7, v2
	v_or_b32_e32 v35, s64, v35
	s_waitcnt lgkmcnt(0)
	v_cmp_ne_u64_e32 vcc, 0, v[6:7]
	s_cbranch_vccnz .LBB78_225
; %bb.222:                              ;   in Loop: Header=BB78_21 Depth=1
	s_mov_b64 s[40:41], exec
	v_readlane_b32 s42, v57, 28
	v_readlane_b32 s43, v57, 29
	s_and_b64 s[42:43], s[40:41], s[42:43]
	s_mov_b64 exec, s[42:43]
; %bb.223:                              ;   in Loop: Header=BB78_21 Depth=1
	v_mov_b64_e32 v[6:7], s[22:23]
	ds_write_b64 v3, v[6:7] offset:5128
; %bb.224:                              ;   in Loop: Header=BB78_21 Depth=1
	s_or_b64 exec, exec, s[40:41]
	s_waitcnt lgkmcnt(0)
	s_barrier
.LBB78_225:                             ;   in Loop: Header=BB78_21 Depth=1
	s_or_saveexec_b64 s[30:31], s[30:31]
	s_mov_b64 s[40:41], 0
	v_mov_b32_e32 v2, 8
	s_xor_b64 exec, exec, s[30:31]
; %bb.226:                              ;   in Loop: Header=BB78_21 Depth=1
	v_mov_b32_e32 v2, s23
	v_subrev_co_u32_e32 v4, vcc, s22, v4
	s_mov_b64 s[40:41], exec
	s_nop 0
	v_subb_co_u32_e32 v5, vcc, v5, v2, vcc
	v_mov_b32_e32 v2, 0
; %bb.227:                              ;   in Loop: Header=BB78_21 Depth=1
	s_or_b64 exec, exec, s[30:31]
	s_and_b64 s[30:31], s[40:41], exec
	v_mov_b64_e32 v[6:7], v[4:5]
.LBB78_228:                             ;   in Loop: Header=BB78_21 Depth=1
	s_or_b64 exec, exec, s[8:9]
	s_mov_b64 s[8:9], -1
                                        ; implicit-def: $sgpr46_sgpr47
                                        ; implicit-def: $sgpr44_sgpr45
	s_and_saveexec_b64 s[22:23], s[30:31]
	s_cbranch_execz .LBB78_275
; %bb.229:                              ;   in Loop: Header=BB78_21 Depth=1
	s_cmp_eq_u64 s[2:3], 1
	s_cselect_b64 s[8:9], -1, 0
	v_cmp_eq_u64_e32 vcc, 1, v[6:7]
	s_and_b64 s[40:41], s[8:9], vcc
	s_mov_b64 s[30:31], -1
                                        ; implicit-def: $sgpr46_sgpr47
                                        ; implicit-def: $sgpr44_sgpr45
	s_and_saveexec_b64 s[42:43], s[40:41]
	s_cbranch_execz .LBB78_263
; %bb.230:                              ;   in Loop: Header=BB78_21 Depth=1
	ds_read_b64 v[4:5], v3 offset:5120
	s_waitcnt lgkmcnt(0)
	s_barrier
	v_readfirstlane_b32 s30, v4
	v_readfirstlane_b32 s31, v5
	s_mov_b64 s[8:9], exec
	v_readlane_b32 s44, v57, 38
	v_readlane_b32 s45, v57, 39
	s_and_b64 s[44:45], s[8:9], s[44:45]
	s_mov_b64 exec, s[44:45]
; %bb.231:                              ;   in Loop: Header=BB78_21 Depth=1
	ds_write_b8 v0, v3 offset:3072
; %bb.232:                              ;   in Loop: Header=BB78_21 Depth=1
	s_or_b64 exec, exec, s[8:9]
	v_or_b32_e32 v31, s64, v31
	v_or_b32_e32 v35, s64, v35
	s_mov_b64 s[44:45], -1
	s_mov_b64 s[46:47], 0
	s_cmp_eq_u64 s[30:31], 0
	s_mov_b64 s[8:9], 0
	s_mov_b64 s[48:49], -1
	s_waitcnt lgkmcnt(0)
	s_barrier
                                        ; implicit-def: $vgpr36
	s_cbranch_scc1 .LBB78_248
; %bb.233:                              ;   in Loop: Header=BB78_21 Depth=1
	v_readlane_b32 s8, v57, 44
	s_add_u32 s52, s30, s8
	v_readlane_b32 s8, v57, 45
	s_addc_u32 s9, s31, s8
	s_mov_b32 s8, s99
	s_cmp_lg_u64 s[8:9], 0
	s_cbranch_scc0 .LBB78_282
; %bb.234:                              ;   in Loop: Header=BB78_21 Depth=1
	v_cvt_f32_u32_e32 v4, s94
	s_sub_u32 s8, 0, s94
	s_subb_u32 s50, 0, 0
	v_fmac_f32_e32 v4, 0, v33
	v_rcp_f32_e32 v4, v4
	s_nop 0
	v_mul_f32_e32 v4, 0x5f7ffffc, v4
	v_mul_f32_e32 v5, 0x2f800000, v4
	v_trunc_f32_e32 v5, v5
	v_fmac_f32_e32 v4, 0xcf800000, v5
	v_cvt_u32_f32_e32 v5, v5
	v_cvt_u32_f32_e32 v4, v4
	v_readfirstlane_b32 s51, v5
	v_readfirstlane_b32 s48, v4
	s_mul_i32 s49, s8, s51
	s_mul_hi_u32 s54, s8, s48
	s_mul_i32 s53, s50, s48
	s_add_i32 s49, s54, s49
	s_mul_i32 s55, s8, s48
	s_add_i32 s49, s49, s53
	s_mul_hi_u32 s54, s48, s55
	s_mul_i32 s60, s48, s49
	s_mul_hi_u32 s53, s48, s49
	s_add_u32 s54, s54, s60
	s_addc_u32 s53, 0, s53
	s_mul_hi_u32 s61, s51, s55
	s_mul_i32 s55, s51, s55
	s_add_u32 s54, s54, s55
	s_mul_hi_u32 s60, s51, s49
	s_addc_u32 s53, s53, s61
	s_addc_u32 s54, s60, 0
	s_mul_i32 s49, s51, s49
	s_add_u32 s49, s53, s49
	s_addc_u32 s53, 0, s54
	s_add_u32 s54, s48, s49
	s_cselect_b64 s[48:49], -1, 0
	s_cmp_lg_u64 s[48:49], 0
	s_addc_u32 s51, s51, s53
	s_mul_i32 s48, s8, s51
	s_mul_hi_u32 s49, s8, s54
	s_add_i32 s48, s49, s48
	s_mul_i32 s50, s50, s54
	s_add_i32 s48, s48, s50
	s_mul_i32 s8, s8, s54
	s_mul_hi_u32 s50, s51, s8
	s_mul_i32 s53, s51, s8
	s_mul_i32 s60, s54, s48
	s_mul_hi_u32 s8, s54, s8
	s_mul_hi_u32 s55, s54, s48
	s_add_u32 s8, s8, s60
	s_addc_u32 s55, 0, s55
	s_add_u32 s8, s8, s53
	s_mul_hi_u32 s49, s51, s48
	s_addc_u32 s8, s55, s50
	s_addc_u32 s49, s49, 0
	s_mul_i32 s48, s51, s48
	s_add_u32 s8, s8, s48
	s_addc_u32 s50, 0, s49
	s_add_u32 s8, s54, s8
	s_cselect_b64 s[48:49], -1, 0
	s_cmp_lg_u64 s[48:49], 0
	s_addc_u32 s48, s51, s50
	s_mul_i32 s50, s52, s48
	s_mul_hi_u32 s51, s52, s8
	s_mul_hi_u32 s49, s52, s48
	s_add_u32 s50, s51, s50
	s_addc_u32 s49, 0, s49
	s_mul_hi_u32 s53, s9, s8
	s_mul_i32 s8, s9, s8
	s_add_u32 s8, s50, s8
	s_mul_hi_u32 s51, s9, s48
	s_addc_u32 s8, s49, s53
	s_addc_u32 s49, s51, 0
	s_mul_i32 s48, s9, s48
	s_add_u32 s8, s8, s48
	s_addc_u32 s48, 0, s49
	s_mul_i32 s48, s94, s48
	s_mul_hi_u32 s49, s94, s8
	s_add_i32 s50, s49, s48
	s_mul_i32 s8, s94, s8
	s_sub_u32 s8, s52, s8
	s_cselect_b64 s[48:49], -1, 0
	s_cmp_lg_u64 s[48:49], 0
	s_subb_u32 s50, s9, s50
	s_sub_u32 s51, s8, s94
	s_cselect_b64 s[48:49], -1, 0
	s_cmp_lg_u64 s[48:49], 0
	s_subb_u32 s53, s50, 0
	;; [unrolled: 4-line block ×3, first 2 shown]
	s_cmp_ge_u32 s51, s94
	s_cselect_b32 s49, -1, 0
	s_cmp_eq_u32 s53, 0
	s_cselect_b32 s49, s49, -1
	s_cmp_lg_u32 s49, 0
	s_cselect_b32 s48, s48, s53
	s_cselect_b32 s51, s54, s51
	s_cmp_ge_u32 s8, s94
	s_cselect_b32 s49, -1, 0
	s_cmp_eq_u32 s50, 0
	s_cselect_b32 s49, s49, -1
	s_cmp_lg_u32 s49, 0
	s_cselect_b32 s49, s48, s50
	s_cselect_b32 s48, s51, s8
	s_cbranch_execnz .LBB78_236
.LBB78_235:                             ;   in Loop: Header=BB78_21 Depth=1
	v_cvt_f32_u32_e32 v4, s94
	s_sub_i32 s8, 0, s94
	v_rcp_iflag_f32_e32 v4, v4
	s_nop 0
	v_mul_f32_e32 v4, 0x4f7ffffe, v4
	v_cvt_u32_f32_e32 v4, v4
	s_nop 0
	v_readfirstlane_b32 s48, v4
	s_mul_i32 s8, s8, s48
	s_mul_hi_u32 s8, s48, s8
	s_add_i32 s48, s48, s8
	s_mul_hi_u32 s8, s52, s48
	s_mul_i32 s8, s8, s94
	s_sub_i32 s8, s52, s8
	s_sub_i32 s48, s8, s94
	s_cmp_ge_u32 s8, s94
	s_cselect_b32 s8, s48, s8
	s_sub_i32 s48, s8, s94
	s_cmp_ge_u32 s8, s94
	s_cselect_b32 s98, s48, s8
	s_mov_b64 s[48:49], s[98:99]
.LBB78_236:                             ;   in Loop: Header=BB78_21 Depth=1
	s_sub_u32 s52, s52, s48
	s_subb_u32 s53, s9, s49
	v_cmp_gt_u64_e32 vcc, s[52:53], v[0:1]
	s_mov_b64 s[48:49], 0
	s_mov_b64 s[8:9], 0
                                        ; implicit-def: $vgpr36
	s_and_saveexec_b64 s[50:51], vcc
	s_cbranch_execz .LBB78_247
; %bb.237:                              ;   in Loop: Header=BB78_21 Depth=1
	v_mov_b32_e32 v8, v0
	v_mov_b64_e32 v[4:5], v[0:1]
                                        ; implicit-def: $sgpr54_sgpr55
	s_branch .LBB78_240
.LBB78_238:                             ;   in Loop: Header=BB78_240 Depth=2
	s_or_b64 exec, exec, s[60:61]
	s_waitcnt lgkmcnt(0)
	s_barrier
	ds_read_u16 v9, v3 offset:3072
	s_mov_b64 s[60:61], -1
	s_waitcnt lgkmcnt(0)
	s_barrier
	v_cmp_ne_u32_sdwa s[62:63], v9, v3 src0_sel:BYTE_0 src1_sel:DWORD
	s_and_b64 vcc, exec, s[62:63]
	s_mov_b64 s[62:63], -1
	s_cbranch_vccz .LBB78_243
.LBB78_239:                             ;   in Loop: Header=BB78_240 Depth=2
	s_and_b64 s[60:61], exec, s[60:61]
	s_or_b64 s[8:9], s[60:61], s[8:9]
	s_andn2_b64 s[54:55], s[54:55], exec
	s_and_b64 s[60:61], s[62:63], exec
	s_or_b64 s[54:55], s[54:55], s[60:61]
	s_andn2_b64 exec, exec, s[8:9]
	s_cbranch_execz .LBB78_246
.LBB78_240:                             ;   Parent Loop BB78_21 Depth=1
                                        ; =>  This Inner Loop Header: Depth=2
	v_cmp_gt_u64_e32 vcc, s[30:31], v[4:5]
	s_and_saveexec_b64 s[60:61], vcc
	s_cbranch_execz .LBB78_238
; %bb.241:                              ;   in Loop: Header=BB78_240 Depth=2
	ds_read_u8 v9, v8
	s_waitcnt lgkmcnt(0)
	v_bitop3_b32 v10, v9, s76, v35 bitop3:0x80
	v_cmp_eq_u32_e32 vcc, v10, v31
	s_and_b64 exec, exec, vcc
	s_cbranch_execz .LBB78_238
; %bb.242:                              ;   in Loop: Header=BB78_240 Depth=2
	v_lshlrev_b16_e32 v9, 8, v9
	v_or_b32_e32 v9, 1, v9
	ds_write_b16 v3, v9 offset:3072
	s_branch .LBB78_238
.LBB78_243:                             ;   in Loop: Header=BB78_240 Depth=2
	v_lshl_add_u64 v[4:5], v[4:5], 0, s[94:95]
	v_cmp_le_u64_e32 vcc, s[52:53], v[4:5]
	v_add_u32_e32 v8, s94, v8
	s_mov_b64 s[62:63], 0
	s_orn2_b64 s[60:61], vcc, exec
	s_branch .LBB78_239
.LBB78_244:                             ;   in Loop: Header=BB78_21 Depth=1
                                        ; implicit-def: $sgpr42_sgpr43
	s_branch .LBB78_190
.LBB78_245:                             ;   in Loop: Header=BB78_21 Depth=1
                                        ; implicit-def: $sgpr30_sgpr31
	s_branch .LBB78_206
.LBB78_246:                             ;   in Loop: Header=BB78_21 Depth=1
	s_or_b64 exec, exec, s[8:9]
	v_lshrrev_b32_sdwa v36, v34, v9 dst_sel:DWORD dst_unused:UNUSED_PAD src0_sel:DWORD src1_sel:WORD_0
	s_and_b64 s[8:9], s[54:55], exec
.LBB78_247:                             ;   in Loop: Header=BB78_21 Depth=1
	s_or_b64 exec, exec, s[50:51]
.LBB78_248:                             ;   in Loop: Header=BB78_21 Depth=1
	s_and_b64 vcc, exec, s[48:49]
	s_cbranch_vccz .LBB78_262
; %bb.249:                              ;   in Loop: Header=BB78_21 Depth=1
	s_mov_b32 s68, s99
	s_cmp_lg_u64 s[68:69], 0
	s_cbranch_scc0 .LBB78_283
; %bb.250:                              ;   in Loop: Header=BB78_21 Depth=1
	v_cvt_f32_u32_e32 v4, s94
	s_sub_u32 s44, 0, s94
	s_subb_u32 s45, 0, 0
	v_fmac_f32_e32 v4, 0, v33
	v_rcp_f32_e32 v4, v4
	s_nop 0
	v_mul_f32_e32 v4, 0x5f7ffffc, v4
	v_mul_f32_e32 v5, 0x2f800000, v4
	v_trunc_f32_e32 v5, v5
	v_fmac_f32_e32 v4, 0xcf800000, v5
	v_cvt_u32_f32_e32 v5, v5
	v_cvt_u32_f32_e32 v4, v4
	v_readfirstlane_b32 s46, v5
	v_readfirstlane_b32 s30, v4
	s_mul_i32 s31, s44, s46
	s_mul_hi_u32 s48, s44, s30
	s_mul_i32 s47, s45, s30
	s_add_i32 s31, s48, s31
	s_mul_i32 s49, s44, s30
	s_add_i32 s31, s31, s47
	s_mul_hi_u32 s48, s30, s49
	s_mul_i32 s50, s30, s31
	s_mul_hi_u32 s47, s30, s31
	s_add_u32 s48, s48, s50
	s_addc_u32 s47, 0, s47
	s_mul_hi_u32 s51, s46, s49
	s_mul_i32 s49, s46, s49
	s_add_u32 s48, s48, s49
	s_mul_hi_u32 s50, s46, s31
	s_addc_u32 s47, s47, s51
	s_addc_u32 s48, s50, 0
	s_mul_i32 s31, s46, s31
	s_add_u32 s31, s47, s31
	s_addc_u32 s47, 0, s48
	s_add_u32 s48, s30, s31
	s_cselect_b64 s[30:31], -1, 0
	s_cmp_lg_u64 s[30:31], 0
	s_addc_u32 s46, s46, s47
	s_mul_i32 s30, s44, s46
	s_mul_hi_u32 s31, s44, s48
	s_add_i32 s30, s31, s30
	s_mul_i32 s45, s45, s48
	s_add_i32 s30, s30, s45
	s_mul_i32 s44, s44, s48
	s_mul_hi_u32 s45, s46, s44
	s_mul_i32 s47, s46, s44
	s_mul_i32 s50, s48, s30
	s_mul_hi_u32 s44, s48, s44
	s_mul_hi_u32 s49, s48, s30
	s_add_u32 s44, s44, s50
	s_addc_u32 s49, 0, s49
	s_add_u32 s44, s44, s47
	s_mul_hi_u32 s31, s46, s30
	s_addc_u32 s44, s49, s45
	s_addc_u32 s31, s31, 0
	s_mul_i32 s30, s46, s30
	s_add_u32 s30, s44, s30
	s_addc_u32 s44, 0, s31
	s_add_u32 s45, s48, s30
	s_cselect_b64 s[30:31], -1, 0
	s_cmp_lg_u64 s[30:31], 0
	s_addc_u32 s30, s46, s44
	s_mul_i32 s44, s14, s30
	s_mul_hi_u32 s46, s14, s45
	s_mul_hi_u32 s31, s14, s30
	s_add_u32 s44, s46, s44
	s_addc_u32 s31, 0, s31
	s_mul_hi_u32 s47, s69, s45
	s_mul_i32 s45, s69, s45
	s_add_u32 s44, s44, s45
	s_mul_hi_u32 s46, s69, s30
	s_addc_u32 s31, s31, s47
	s_addc_u32 s44, s46, 0
	s_mul_i32 s30, s69, s30
	s_add_u32 s30, s31, s30
	s_addc_u32 s31, 0, s44
	s_mul_i32 s31, s94, s31
	s_mul_hi_u32 s44, s94, s30
	s_add_i32 s44, s44, s31
	s_mul_i32 s30, s94, s30
	s_sub_u32 s45, s14, s30
	s_cselect_b64 s[30:31], -1, 0
	s_cmp_lg_u64 s[30:31], 0
	s_subb_u32 s44, s69, s44
	s_sub_u32 s46, s45, s94
	s_cselect_b64 s[30:31], -1, 0
	s_cmp_lg_u64 s[30:31], 0
	s_subb_u32 s47, s44, 0
	;; [unrolled: 4-line block ×3, first 2 shown]
	s_cmp_ge_u32 s46, s94
	s_cselect_b32 s31, -1, 0
	s_cmp_eq_u32 s47, 0
	s_cselect_b32 s31, s31, -1
	s_cmp_lg_u32 s31, 0
	s_cselect_b32 s30, s30, s47
	s_cselect_b32 s46, s48, s46
	s_cmp_ge_u32 s45, s94
	s_cselect_b32 s31, -1, 0
	s_cmp_eq_u32 s44, 0
	s_cselect_b32 s31, s31, -1
	s_cmp_lg_u32 s31, 0
	s_cselect_b32 s31, s30, s44
	s_cselect_b32 s30, s46, s45
	s_cbranch_execnz .LBB78_252
.LBB78_251:                             ;   in Loop: Header=BB78_21 Depth=1
	v_cvt_f32_u32_e32 v4, s94
	s_sub_i32 s30, 0, s94
	v_rcp_iflag_f32_e32 v4, v4
	s_nop 0
	v_mul_f32_e32 v4, 0x4f7ffffe, v4
	v_cvt_u32_f32_e32 v4, v4
	s_nop 0
	v_readfirstlane_b32 s31, v4
	s_mul_i32 s30, s30, s31
	s_mul_hi_u32 s30, s31, s30
	s_add_i32 s31, s31, s30
	s_mul_hi_u32 s30, s14, s31
	s_mul_i32 s30, s30, s94
	s_sub_i32 s30, s14, s30
	s_sub_i32 s31, s30, s94
	s_cmp_ge_u32 s30, s94
	s_cselect_b32 s30, s31, s30
	s_sub_i32 s31, s30, s94
	s_cmp_ge_u32 s30, s94
	s_cselect_b32 s98, s31, s30
	s_mov_b64 s[30:31], s[98:99]
.LBB78_252:                             ;   in Loop: Header=BB78_21 Depth=1
	s_sub_u32 s44, s14, s30
	s_subb_u32 s45, s69, s31
	v_cmp_gt_u64_e32 vcc, s[44:45], v[0:1]
                                        ; implicit-def: $vgpr36
	s_and_saveexec_b64 s[30:31], vcc
	s_cbranch_execz .LBB78_261
; %bb.253:                              ;   in Loop: Header=BB78_21 Depth=1
	s_mov_b64 s[46:47], 0
	v_mov_b64_e32 v[4:5], v[0:1]
                                        ; implicit-def: $sgpr48_sgpr49
	s_branch .LBB78_256
.LBB78_254:                             ;   in Loop: Header=BB78_256 Depth=2
	s_or_b64 exec, exec, s[50:51]
	s_waitcnt lgkmcnt(0)
	s_barrier
	ds_read_u16 v8, v3 offset:3072
	s_mov_b64 s[50:51], -1
	s_waitcnt lgkmcnt(0)
	s_barrier
	v_cmp_eq_u32_sdwa s[52:53], v8, v3 src0_sel:BYTE_0 src1_sel:DWORD
	s_and_b64 vcc, exec, s[52:53]
	s_mov_b64 s[52:53], -1
	s_cbranch_vccnz .LBB78_259
.LBB78_255:                             ;   in Loop: Header=BB78_256 Depth=2
	s_and_b64 s[50:51], exec, s[50:51]
	s_or_b64 s[46:47], s[50:51], s[46:47]
	s_andn2_b64 s[48:49], s[48:49], exec
	s_and_b64 s[50:51], s[52:53], exec
	s_or_b64 s[48:49], s[48:49], s[50:51]
	s_andn2_b64 exec, exec, s[46:47]
	s_cbranch_execz .LBB78_260
.LBB78_256:                             ;   Parent Loop BB78_21 Depth=1
                                        ; =>  This Inner Loop Header: Depth=2
	v_cmp_gt_u64_e32 vcc, s[56:57], v[4:5]
	s_and_saveexec_b64 s[50:51], vcc
	s_cbranch_execz .LBB78_254
; %bb.257:                              ;   in Loop: Header=BB78_256 Depth=2
	v_mov_b64_e32 v[8:9], s[96:97]
	v_mad_u64_u32 v[8:9], s[52:53], v4, s84, v[8:9]
	v_mul_lo_u32 v10, v4, s85
	v_mul_lo_u32 v11, v5, s84
	v_add3_u32 v9, v11, v9, v10
	global_load_ubyte v8, v[8:9], off
	s_waitcnt vmcnt(0)
	v_bitop3_b32 v9, v8, s76, v35 bitop3:0x80
	v_cmp_eq_u32_e32 vcc, v9, v31
	s_and_b64 exec, exec, vcc
	s_cbranch_execz .LBB78_254
; %bb.258:                              ;   in Loop: Header=BB78_256 Depth=2
	v_lshlrev_b16_e32 v8, 8, v8
	v_or_b32_e32 v8, 1, v8
	ds_write_b16 v3, v8 offset:3072
	s_branch .LBB78_254
.LBB78_259:                             ;   in Loop: Header=BB78_256 Depth=2
	v_lshl_add_u64 v[4:5], v[4:5], 0, s[94:95]
	v_cmp_le_u64_e32 vcc, s[44:45], v[4:5]
	s_mov_b64 s[52:53], 0
	s_orn2_b64 s[50:51], vcc, exec
	s_branch .LBB78_255
.LBB78_260:                             ;   in Loop: Header=BB78_21 Depth=1
	s_or_b64 exec, exec, s[46:47]
	s_andn2_b64 s[8:9], s[8:9], exec
	s_and_b64 s[44:45], s[48:49], exec
	v_lshrrev_b32_sdwa v36, v34, v8 dst_sel:DWORD dst_unused:UNUSED_PAD src0_sel:DWORD src1_sel:WORD_0
	s_or_b64 s[8:9], s[8:9], s[44:45]
.LBB78_261:                             ;   in Loop: Header=BB78_21 Depth=1
	s_or_b64 exec, exec, s[30:31]
	s_mov_b64 s[44:45], 0
	s_mov_b64 s[46:47], -1
.LBB78_262:                             ;   in Loop: Header=BB78_21 Depth=1
	s_orn2_b64 s[30:31], s[8:9], exec
.LBB78_263:                             ;   in Loop: Header=BB78_21 Depth=1
	s_or_b64 exec, exec, s[42:43]
	s_mov_b64 s[42:43], 0
	s_and_saveexec_b64 s[8:9], s[30:31]
	s_cbranch_execz .LBB78_274
; %bb.264:                              ;   in Loop: Header=BB78_21 Depth=1
	s_xor_b64 s[40:41], s[40:41], -1
	v_mov_b64_e32 v[4:5], 1
	v_mov_b32_e32 v2, 1
	s_and_saveexec_b64 s[30:31], s[40:41]
	s_cbranch_execz .LBB78_273
; %bb.265:                              ;   in Loop: Header=BB78_21 Depth=1
	v_cmp_ge_u64_e32 vcc, s[2:3], v[6:7]
	s_and_saveexec_b64 s[40:41], vcc
	s_xor_b64 s[40:41], exec, s[40:41]
	s_cbranch_execz .LBB78_270
; %bb.266:                              ;   in Loop: Header=BB78_21 Depth=1
	ds_read_b64 v[4:5], v3 offset:5120
	v_or_b32_e32 v31, s64, v31
	v_or_b32_e32 v35, s64, v35
	s_waitcnt lgkmcnt(0)
	v_cmp_ne_u64_e32 vcc, 0, v[4:5]
	s_cbranch_vccnz .LBB78_270
; %bb.267:                              ;   in Loop: Header=BB78_21 Depth=1
	s_mov_b64 s[42:43], exec
	v_readlane_b32 s48, v57, 28
	v_readlane_b32 s49, v57, 29
	s_and_b64 s[48:49], s[42:43], s[48:49]
	s_mov_b64 exec, s[48:49]
; %bb.268:                              ;   in Loop: Header=BB78_21 Depth=1
	v_mov_b64_e32 v[4:5], s[2:3]
	ds_write_b64 v3, v[4:5] offset:5128
; %bb.269:                              ;   in Loop: Header=BB78_21 Depth=1
	s_or_b64 exec, exec, s[42:43]
	s_waitcnt lgkmcnt(0)
	s_barrier
.LBB78_270:                             ;   in Loop: Header=BB78_21 Depth=1
	s_andn2_saveexec_b64 s[40:41], s[40:41]
; %bb.271:                              ;   in Loop: Header=BB78_21 Depth=1
	v_mov_b32_e32 v2, s3
	v_subrev_co_u32_e32 v6, vcc, s2, v6
	s_nop 1
	v_subb_co_u32_e32 v7, vcc, v7, v2, vcc
; %bb.272:                              ;   in Loop: Header=BB78_21 Depth=1
	s_or_b64 exec, exec, s[40:41]
	v_mov_b32_e32 v2, 8
	v_mov_b64_e32 v[4:5], v[6:7]
.LBB78_273:                             ;   in Loop: Header=BB78_21 Depth=1
	s_or_b64 exec, exec, s[30:31]
	s_mov_b64 s[42:43], exec
	v_mov_b64_e32 v[6:7], v[4:5]
.LBB78_274:                             ;   in Loop: Header=BB78_21 Depth=1
	s_or_b64 exec, exec, s[8:9]
	s_orn2_b64 s[8:9], s[42:43], exec
.LBB78_275:                             ;   in Loop: Header=BB78_21 Depth=1
	s_or_b64 exec, exec, s[22:23]
	s_andn2_b64 s[2:3], s[36:37], exec
	s_and_b64 s[22:23], s[46:47], exec
	s_or_b64 s[36:37], s[2:3], s[22:23]
	s_andn2_b64 s[2:3], s[34:35], exec
	s_and_b64 s[22:23], s[44:45], exec
	s_or_b64 s[34:35], s[2:3], s[22:23]
	s_and_b64 s[30:31], s[8:9], exec
	v_mov_b64_e32 v[4:5], v[6:7]
.LBB78_276:                             ;   in Loop: Header=BB78_21 Depth=1
	s_or_b64 exec, exec, s[38:39]
	s_orn2_b64 s[8:9], s[30:31], exec
.LBB78_277:                             ;   in Loop: Header=BB78_21 Depth=1
	s_or_b64 exec, exec, s[28:29]
	s_andn2_b64 s[2:3], s[24:25], exec
	s_and_b64 s[22:23], s[36:37], exec
	s_or_b64 s[24:25], s[2:3], s[22:23]
	s_andn2_b64 s[0:1], s[0:1], exec
	s_and_b64 s[2:3], s[34:35], exec
	s_or_b64 s[0:1], s[0:1], s[2:3]
	s_and_b64 s[30:31], s[8:9], exec
	v_mov_b64_e32 v[8:9], v[4:5]
.LBB78_278:                             ;   in Loop: Header=BB78_21 Depth=1
	s_or_b64 exec, exec, s[26:27]
	s_orn2_b64 s[8:9], s[30:31], exec
.LBB78_279:                             ;   in Loop: Header=BB78_21 Depth=1
	s_or_b64 exec, exec, s[20:21]
	s_mov_b64 s[20:21], 0
	s_and_saveexec_b64 s[2:3], s[8:9]
	s_xor_b64 s[2:3], exec, s[2:3]
	s_cbranch_execz .LBB78_19
; %bb.280:                              ;   in Loop: Header=BB78_21 Depth=1
	v_and_b32_e32 v2, 7, v2
	v_cmp_eq_u32_e32 vcc, 0, v2
	s_mov_b64 s[8:9], -1
	s_mov_b64 s[18:19], -1
	s_and_saveexec_b64 s[20:21], vcc
	s_cbranch_execz .LBB78_18
; %bb.281:                              ;   in Loop: Header=BB78_21 Depth=1
	s_xor_b32 s87, s87, 1
	s_add_i32 s22, s7, -2
	s_cmp_eq_u32 s7, 0
	s_cselect_b64 s[8:9], -1, 0
	s_xor_b64 s[18:19], exec, -1
	s_orn2_b64 s[8:9], s[8:9], exec
	s_mov_b32 s7, s22
	s_branch .LBB78_18
.LBB78_282:                             ;   in Loop: Header=BB78_21 Depth=1
                                        ; implicit-def: $sgpr48_sgpr49
	s_branch .LBB78_235
.LBB78_283:                             ;   in Loop: Header=BB78_21 Depth=1
                                        ; implicit-def: $sgpr30_sgpr31
	s_branch .LBB78_251
.LBB78_284:
	s_or_b64 exec, exec, s[12:13]
	s_xor_b64 s[6:7], s[72:73], -1
	s_xor_b64 s[0:1], s[90:91], -1
	;; [unrolled: 1-line block ×3, first 2 shown]
	s_mov_b64 s[2:3], 0
	s_and_saveexec_b64 s[8:9], s[0:1]
	s_xor_b64 s[0:1], exec, s[8:9]
	s_cbranch_execnz .LBB78_289
; %bb.285:
	s_andn2_saveexec_b64 s[0:1], s[0:1]
	s_cbranch_execnz .LBB78_302
.LBB78_286:
	s_or_b64 exec, exec, s[0:1]
	s_and_saveexec_b64 s[0:1], s[2:3]
.LBB78_287:
	; divergent unreachable
.LBB78_288:
	s_endpgm
.LBB78_289:
	s_and_saveexec_b64 s[2:3], s[6:7]
	s_xor_b64 s[2:3], exec, s[2:3]
	s_cbranch_execz .LBB78_300
; %bb.290:
	s_and_saveexec_b64 s[6:7], s[4:5]
	s_xor_b64 s[4:5], exec, s[6:7]
; %bb.291:
	v_mov_b32_e32 v36, v31
; %bb.292:
	s_or_b64 exec, exec, s[4:5]
	v_readlane_b32 s8, v57, 2
	v_readlane_b32 s4, v57, 0
	;; [unrolled: 1-line block ×4, first 2 shown]
	s_mov_b32 s14, s4
	s_mul_i32 s4, s4, s9
	s_mul_hi_u32 s5, s14, s8
	s_add_i32 s5, s5, s4
	s_mul_i32 s4, s14, s8
	v_readlane_b32 s12, v57, 6
	v_readlane_b32 s16, v57, 24
	;; [unrolled: 1-line block ×3, first 2 shown]
	s_sub_u32 s4, s12, s4
	v_readlane_b32 s18, v57, 26
	v_readlane_b32 s19, v57, 27
	s_subb_u32 s5, s13, s5
	s_mul_i32 s6, s4, s19
	s_mul_hi_u32 s7, s4, s18
	v_readlane_b32 s10, v57, 4
	v_readlane_b32 s11, v57, 5
	;; [unrolled: 1-line block ×3, first 2 shown]
	s_add_i32 s6, s7, s6
	s_mul_i32 s5, s5, s18
	s_add_i32 s6, s6, s5
	s_mul_i32 s5, s14, s17
	s_mul_hi_u32 s7, s14, s16
	s_mul_i32 s8, s12, s11
	s_mul_hi_u32 s9, s12, s10
	s_mul_i32 s4, s4, s18
	s_add_i32 s7, s7, s5
	s_add_i32 s9, s9, s8
	s_mul_i32 s8, s12, s10
	v_readlane_b32 s18, v57, 34
	v_readlane_b32 s12, v57, 22
	s_sub_u32 s8, s18, s8
	v_readlane_b32 s13, v57, 23
	s_subb_u32 s9, 0, s9
	s_mul_i32 s10, s8, s13
	s_mul_hi_u32 s11, s8, s12
	s_add_i32 s10, s11, s10
	s_mul_i32 s9, s9, s12
	s_mul_i32 s5, s14, s16
	s_add_i32 s10, s10, s9
	s_mul_i32 s8, s8, s12
	v_readlane_b32 s12, v57, 32
	v_readlane_b32 s13, v57, 33
	s_add_u32 s5, s12, s5
	s_addc_u32 s7, s13, s7
	s_add_u32 s4, s5, s4
	s_addc_u32 s5, s7, s6
	;; [unrolled: 2-line block ×3, first 2 shown]
	v_mov_b32_e32 v2, 0
	v_readlane_b32 s19, v57, 35
	global_store_byte v2, v36, s[4:5]
	s_mov_b64 s[4:5], exec
	v_readlane_b32 s6, v57, 36
	v_readlane_b32 s7, v57, 37
	s_and_b64 s[6:7], s[4:5], s[6:7]
	s_mov_b64 exec, s[6:7]
	s_cbranch_execz .LBB78_299
; %bb.293:
	s_mov_b64 s[6:7], 0
	v_mov_b64_e32 v[4:5], s[96:97]
                                        ; implicit-def: $sgpr8_sgpr9
                                        ; implicit-def: $sgpr12_sgpr13
                                        ; implicit-def: $sgpr10_sgpr11
	s_branch .LBB78_295
.LBB78_294:                             ;   in Loop: Header=BB78_295 Depth=1
	s_or_b64 exec, exec, s[14:15]
	s_and_b64 s[14:15], exec, s[12:13]
	s_or_b64 s[6:7], s[14:15], s[6:7]
	s_andn2_b64 s[8:9], s[8:9], exec
	s_and_b64 s[14:15], s[10:11], exec
	s_or_b64 s[8:9], s[8:9], s[14:15]
	s_andn2_b64 exec, exec, s[6:7]
	s_cbranch_execz .LBB78_297
.LBB78_295:                             ; =>This Inner Loop Header: Depth=1
	v_mov_b64_e32 v[2:3], v[0:1]
	v_mad_u64_u32 v[0:1], s[14:15], v2, s84, v[4:5]
	v_mul_lo_u32 v6, v2, s85
	v_mul_lo_u32 v7, v3, s84
	v_add3_u32 v1, v7, v1, v6
	global_load_ubyte v0, v[0:1], off
	s_or_b64 s[10:11], s[10:11], exec
	s_or_b64 s[12:13], s[12:13], exec
	s_waitcnt vmcnt(0)
	v_cmp_ne_u16_sdwa s[16:17], v0, v36 src0_sel:DWORD src1_sel:BYTE_0
                                        ; implicit-def: $vgpr0_vgpr1
	s_and_saveexec_b64 s[14:15], s[16:17]
	s_cbranch_execz .LBB78_294
; %bb.296:                              ;   in Loop: Header=BB78_295 Depth=1
	v_lshl_add_u64 v[0:1], v[2:3], 0, s[94:95]
	v_cmp_le_u64_e32 vcc, s[56:57], v[0:1]
	s_andn2_b64 s[12:13], s[12:13], exec
	s_and_b64 s[16:17], vcc, exec
	s_andn2_b64 s[10:11], s[10:11], exec
	s_or_b64 s[12:13], s[12:13], s[16:17]
	s_branch .LBB78_294
.LBB78_297:
	s_or_b64 exec, exec, s[6:7]
	s_and_saveexec_b64 s[6:7], s[8:9]
	s_xor_b64 s[6:7], exec, s[6:7]
	s_cbranch_execz .LBB78_299
; %bb.298:
	v_readlane_b32 s12, v57, 8
	v_readlane_b32 s6, v57, 12
	;; [unrolled: 1-line block ×4, first 2 shown]
	s_mov_b32 s10, s6
	s_mul_i32 s6, s6, s13
	s_mul_hi_u32 s7, s10, s12
	s_add_i32 s7, s7, s6
	s_mul_i32 s6, s10, s12
	v_readlane_b32 s12, v57, 14
	v_readlane_b32 s20, v57, 18
	;; [unrolled: 1-line block ×3, first 2 shown]
	s_sub_u32 s6, s12, s6
	v_readlane_b32 s22, v57, 20
	v_readlane_b32 s23, v57, 21
	s_subb_u32 s7, s13, s7
	s_mul_i32 s8, s6, s23
	s_mul_hi_u32 s9, s6, s22
	v_readlane_b32 s21, v57, 19
	s_add_i32 s8, s9, s8
	s_mul_i32 s7, s7, s22
	v_readlane_b32 s14, v57, 10
	v_readlane_b32 s15, v57, 11
	s_add_i32 s7, s8, s7
	s_mul_i32 s8, s10, s21
	s_mul_hi_u32 s9, s10, s20
	s_add_i32 s9, s9, s8
	s_mul_i32 s8, s10, s20
	s_mul_i32 s10, s12, s15
	s_mul_hi_u32 s11, s12, s14
	s_add_i32 s11, s11, s10
	s_mul_i32 s10, s12, s14
	v_readlane_b32 s14, v57, 16
	s_sub_u32 s10, s18, s10
	v_readlane_b32 s15, v57, 17
	s_subb_u32 s11, 0, s11
	s_mul_i32 s12, s10, s15
	s_mul_hi_u32 s13, s10, s14
	s_add_i32 s12, s13, s12
	s_mul_i32 s11, s11, s14
	s_add_i32 s11, s12, s11
	s_lshl_b64 s[8:9], s[8:9], 3
	v_readlane_b32 s12, v57, 30
	s_mul_i32 s6, s6, s22
	v_readlane_b32 s13, v57, 31
	s_add_u32 s8, s12, s8
	s_addc_u32 s9, s13, s9
	s_lshl_b64 s[6:7], s[6:7], 3
	s_mul_i32 s10, s10, s14
	s_add_u32 s8, s8, s6
	s_addc_u32 s9, s9, s7
	s_lshl_b64 s[6:7], s[10:11], 3
	s_add_u32 s6, s8, s6
	s_addc_u32 s7, s9, s7
	v_mov_b32_e32 v0, 0
	global_store_dwordx2 v0, v[2:3], s[6:7]
.LBB78_299:
	s_or_b64 exec, exec, s[4:5]
.LBB78_300:
	s_or_saveexec_b64 s[2:3], s[2:3]
	s_mov_b64 s[4:5], 0
	s_xor_b64 exec, exec, s[2:3]
	s_cbranch_execnz .LBB78_303
.LBB78_301:
	s_or_b64 exec, exec, s[2:3]
	s_and_b64 s[2:3], s[4:5], exec
	s_andn2_saveexec_b64 s[0:1], s[0:1]
	s_cbranch_execz .LBB78_286
.LBB78_302:
	s_or_b64 s[2:3], s[2:3], exec
	s_trap 2
	s_or_b64 exec, exec, s[0:1]
	s_and_saveexec_b64 s[0:1], s[2:3]
	s_cbranch_execnz .LBB78_287
	s_branch .LBB78_288
.LBB78_303:
	s_mov_b64 s[4:5], exec
	s_trap 2
	s_branch .LBB78_301
	.section	.rodata,"a",@progbits
	.p2align	6, 0x0
	.amdhsa_kernel _ZN2at6native12_GLOBAL__N_112gatherMedianIhmLi3EEEvNS_4cuda6detail10TensorInfoIT_T0_EENS5_IlS7_EENS5_IKS6_S7_EES7_S7_S7_b
		.amdhsa_group_segment_fixed_size 5152
		.amdhsa_private_segment_fixed_size 0
		.amdhsa_kernarg_size 1536
		.amdhsa_user_sgpr_count 2
		.amdhsa_user_sgpr_dispatch_ptr 0
		.amdhsa_user_sgpr_queue_ptr 0
		.amdhsa_user_sgpr_kernarg_segment_ptr 1
		.amdhsa_user_sgpr_dispatch_id 0
		.amdhsa_user_sgpr_kernarg_preload_length 0
		.amdhsa_user_sgpr_kernarg_preload_offset 0
		.amdhsa_user_sgpr_private_segment_size 0
		.amdhsa_uses_dynamic_stack 0
		.amdhsa_enable_private_segment 0
		.amdhsa_system_sgpr_workgroup_id_x 1
		.amdhsa_system_sgpr_workgroup_id_y 1
		.amdhsa_system_sgpr_workgroup_id_z 1
		.amdhsa_system_sgpr_workgroup_info 0
		.amdhsa_system_vgpr_workitem_id 0
		.amdhsa_next_free_vgpr 58
		.amdhsa_next_free_sgpr 100
		.amdhsa_accum_offset 60
		.amdhsa_reserve_vcc 1
		.amdhsa_float_round_mode_32 0
		.amdhsa_float_round_mode_16_64 0
		.amdhsa_float_denorm_mode_32 3
		.amdhsa_float_denorm_mode_16_64 3
		.amdhsa_dx10_clamp 1
		.amdhsa_ieee_mode 1
		.amdhsa_fp16_overflow 0
		.amdhsa_tg_split 0
		.amdhsa_exception_fp_ieee_invalid_op 0
		.amdhsa_exception_fp_denorm_src 0
		.amdhsa_exception_fp_ieee_div_zero 0
		.amdhsa_exception_fp_ieee_overflow 0
		.amdhsa_exception_fp_ieee_underflow 0
		.amdhsa_exception_fp_ieee_inexact 0
		.amdhsa_exception_int_div_zero 0
	.end_amdhsa_kernel
	.section	.text._ZN2at6native12_GLOBAL__N_112gatherMedianIhmLi3EEEvNS_4cuda6detail10TensorInfoIT_T0_EENS5_IlS7_EENS5_IKS6_S7_EES7_S7_S7_b,"axG",@progbits,_ZN2at6native12_GLOBAL__N_112gatherMedianIhmLi3EEEvNS_4cuda6detail10TensorInfoIT_T0_EENS5_IlS7_EENS5_IKS6_S7_EES7_S7_S7_b,comdat
.Lfunc_end78:
	.size	_ZN2at6native12_GLOBAL__N_112gatherMedianIhmLi3EEEvNS_4cuda6detail10TensorInfoIT_T0_EENS5_IlS7_EENS5_IKS6_S7_EES7_S7_S7_b, .Lfunc_end78-_ZN2at6native12_GLOBAL__N_112gatherMedianIhmLi3EEEvNS_4cuda6detail10TensorInfoIT_T0_EENS5_IlS7_EENS5_IKS6_S7_EES7_S7_S7_b
                                        ; -- End function
	.set _ZN2at6native12_GLOBAL__N_112gatherMedianIhmLi3EEEvNS_4cuda6detail10TensorInfoIT_T0_EENS5_IlS7_EENS5_IKS6_S7_EES7_S7_S7_b.num_vgpr, 58
	.set _ZN2at6native12_GLOBAL__N_112gatherMedianIhmLi3EEEvNS_4cuda6detail10TensorInfoIT_T0_EENS5_IlS7_EENS5_IKS6_S7_EES7_S7_S7_b.num_agpr, 0
	.set _ZN2at6native12_GLOBAL__N_112gatherMedianIhmLi3EEEvNS_4cuda6detail10TensorInfoIT_T0_EENS5_IlS7_EENS5_IKS6_S7_EES7_S7_S7_b.numbered_sgpr, 100
	.set _ZN2at6native12_GLOBAL__N_112gatherMedianIhmLi3EEEvNS_4cuda6detail10TensorInfoIT_T0_EENS5_IlS7_EENS5_IKS6_S7_EES7_S7_S7_b.num_named_barrier, 0
	.set _ZN2at6native12_GLOBAL__N_112gatherMedianIhmLi3EEEvNS_4cuda6detail10TensorInfoIT_T0_EENS5_IlS7_EENS5_IKS6_S7_EES7_S7_S7_b.private_seg_size, 0
	.set _ZN2at6native12_GLOBAL__N_112gatherMedianIhmLi3EEEvNS_4cuda6detail10TensorInfoIT_T0_EENS5_IlS7_EENS5_IKS6_S7_EES7_S7_S7_b.uses_vcc, 1
	.set _ZN2at6native12_GLOBAL__N_112gatherMedianIhmLi3EEEvNS_4cuda6detail10TensorInfoIT_T0_EENS5_IlS7_EENS5_IKS6_S7_EES7_S7_S7_b.uses_flat_scratch, 0
	.set _ZN2at6native12_GLOBAL__N_112gatherMedianIhmLi3EEEvNS_4cuda6detail10TensorInfoIT_T0_EENS5_IlS7_EENS5_IKS6_S7_EES7_S7_S7_b.has_dyn_sized_stack, 0
	.set _ZN2at6native12_GLOBAL__N_112gatherMedianIhmLi3EEEvNS_4cuda6detail10TensorInfoIT_T0_EENS5_IlS7_EENS5_IKS6_S7_EES7_S7_S7_b.has_recursion, 0
	.set _ZN2at6native12_GLOBAL__N_112gatherMedianIhmLi3EEEvNS_4cuda6detail10TensorInfoIT_T0_EENS5_IlS7_EENS5_IKS6_S7_EES7_S7_S7_b.has_indirect_call, 0
	.section	.AMDGPU.csdata,"",@progbits
; Kernel info:
; codeLenInByte = 16460
; TotalNumSgprs: 106
; NumVgprs: 58
; NumAgprs: 0
; TotalNumVgprs: 58
; ScratchSize: 0
; MemoryBound: 0
; FloatMode: 240
; IeeeMode: 1
; LDSByteSize: 5152 bytes/workgroup (compile time only)
; SGPRBlocks: 13
; VGPRBlocks: 7
; NumSGPRsForWavesPerEU: 106
; NumVGPRsForWavesPerEU: 58
; AccumOffset: 60
; Occupancy: 7
; WaveLimiterHint : 1
; COMPUTE_PGM_RSRC2:SCRATCH_EN: 0
; COMPUTE_PGM_RSRC2:USER_SGPR: 2
; COMPUTE_PGM_RSRC2:TRAP_HANDLER: 0
; COMPUTE_PGM_RSRC2:TGID_X_EN: 1
; COMPUTE_PGM_RSRC2:TGID_Y_EN: 1
; COMPUTE_PGM_RSRC2:TGID_Z_EN: 1
; COMPUTE_PGM_RSRC2:TIDIG_COMP_CNT: 0
; COMPUTE_PGM_RSRC3_GFX90A:ACCUM_OFFSET: 14
; COMPUTE_PGM_RSRC3_GFX90A:TG_SPLIT: 0
	.section	.text._ZN2at6native12_GLOBAL__N_112gatherMedianIhmLin1EEEvNS_4cuda6detail10TensorInfoIT_T0_EENS5_IlS7_EENS5_IKS6_S7_EES7_S7_S7_b,"axG",@progbits,_ZN2at6native12_GLOBAL__N_112gatherMedianIhmLin1EEEvNS_4cuda6detail10TensorInfoIT_T0_EENS5_IlS7_EENS5_IKS6_S7_EES7_S7_S7_b,comdat
	.globl	_ZN2at6native12_GLOBAL__N_112gatherMedianIhmLin1EEEvNS_4cuda6detail10TensorInfoIT_T0_EENS5_IlS7_EENS5_IKS6_S7_EES7_S7_S7_b ; -- Begin function _ZN2at6native12_GLOBAL__N_112gatherMedianIhmLin1EEEvNS_4cuda6detail10TensorInfoIT_T0_EENS5_IlS7_EENS5_IKS6_S7_EES7_S7_S7_b
	.p2align	8
	.type	_ZN2at6native12_GLOBAL__N_112gatherMedianIhmLin1EEEvNS_4cuda6detail10TensorInfoIT_T0_EENS5_IlS7_EENS5_IKS6_S7_EES7_S7_S7_b,@function
_ZN2at6native12_GLOBAL__N_112gatherMedianIhmLin1EEEvNS_4cuda6detail10TensorInfoIT_T0_EENS5_IlS7_EENS5_IKS6_S7_EES7_S7_S7_b: ; @_ZN2at6native12_GLOBAL__N_112gatherMedianIhmLin1EEEvNS_4cuda6detail10TensorInfoIT_T0_EENS5_IlS7_EENS5_IKS6_S7_EES7_S7_S7_b
; %bb.0:
	s_load_dwordx2 s[10:11], s[0:1], 0x500
	s_load_dwordx4 s[56:59], s[0:1], 0x4e0
	s_add_u32 s12, s0, 0x500
	s_addc_u32 s13, s1, 0
	s_mov_b32 s5, 0
	s_waitcnt lgkmcnt(0)
	s_mul_i32 s4, s11, s4
	s_add_i32 s3, s4, s3
	s_mul_i32 s3, s3, s10
	s_add_i32 s4, s3, s2
	v_mov_b64_e32 v[2:3], s[4:5]
	v_cmp_le_u64_e32 vcc, s[58:59], v[2:3]
	s_cbranch_vccnz .LBB79_305
; %bb.1:
	s_load_dword s6, s[0:1], 0x198
	s_load_dwordx2 s[60:61], s[0:1], 0x4f0
	s_mov_b64 s[58:59], 0
	s_mov_b64 s[64:65], s[4:5]
	s_waitcnt lgkmcnt(0)
	s_cmp_lt_i32 s6, 2
	s_cbranch_scc1 .LBB79_9
; %bb.2:
	s_add_i32 s3, s6, 1
	s_add_i32 s8, s6, -1
	s_mov_b32 s6, 0
	s_mov_b32 s9, s6
	s_lshl_b64 s[8:9], s[8:9], 3
	s_add_u32 s7, s0, s8
	s_addc_u32 s9, s1, s9
	s_add_u32 s8, s7, 8
	s_addc_u32 s9, s9, 0
	s_mov_b64 s[14:15], s[4:5]
.LBB79_3:                               ; =>This Inner Loop Header: Depth=1
	s_load_dwordx2 s[16:17], s[8:9], 0x0
	s_waitcnt lgkmcnt(0)
	s_or_b64 s[18:19], s[14:15], s[16:17]
	s_mov_b32 s7, s19
	s_cmp_lg_u64 s[6:7], 0
	s_cbranch_scc0 .LBB79_8
; %bb.4:                                ;   in Loop: Header=BB79_3 Depth=1
	v_cvt_f32_u32_e32 v1, s16
	v_cvt_f32_u32_e32 v2, s17
	s_sub_u32 s7, 0, s16
	s_subb_u32 s11, 0, s17
	v_fmac_f32_e32 v1, 0x4f800000, v2
	v_rcp_f32_e32 v1, v1
	s_nop 0
	v_mul_f32_e32 v1, 0x5f7ffffc, v1
	v_mul_f32_e32 v2, 0x2f800000, v1
	v_trunc_f32_e32 v2, v2
	v_fmac_f32_e32 v1, 0xcf800000, v2
	v_cvt_u32_f32_e32 v2, v2
	v_cvt_u32_f32_e32 v1, v1
	v_readfirstlane_b32 s20, v2
	v_readfirstlane_b32 s18, v1
	s_mul_i32 s19, s7, s20
	s_mul_hi_u32 s22, s7, s18
	s_mul_i32 s21, s11, s18
	s_add_i32 s19, s22, s19
	s_mul_i32 s23, s7, s18
	s_add_i32 s19, s19, s21
	s_mul_i32 s22, s18, s19
	s_mul_hi_u32 s24, s18, s23
	s_mul_hi_u32 s21, s18, s19
	s_add_u32 s22, s24, s22
	s_addc_u32 s21, 0, s21
	s_mul_hi_u32 s25, s20, s23
	s_mul_i32 s23, s20, s23
	s_add_u32 s22, s22, s23
	s_mul_hi_u32 s24, s20, s19
	s_addc_u32 s21, s21, s25
	s_addc_u32 s22, s24, 0
	s_mul_i32 s19, s20, s19
	s_add_u32 s19, s21, s19
	s_addc_u32 s21, 0, s22
	s_add_u32 s22, s18, s19
	s_cselect_b64 s[18:19], -1, 0
	s_cmp_lg_u64 s[18:19], 0
	s_addc_u32 s20, s20, s21
	s_mul_i32 s18, s7, s20
	s_mul_hi_u32 s19, s7, s22
	s_add_i32 s18, s19, s18
	s_mul_i32 s11, s11, s22
	s_add_i32 s18, s18, s11
	s_mul_i32 s7, s7, s22
	s_mul_hi_u32 s19, s20, s7
	s_mul_i32 s21, s20, s7
	s_mul_i32 s24, s22, s18
	s_mul_hi_u32 s7, s22, s7
	s_mul_hi_u32 s23, s22, s18
	s_add_u32 s7, s7, s24
	s_addc_u32 s23, 0, s23
	s_add_u32 s7, s7, s21
	s_mul_hi_u32 s11, s20, s18
	s_addc_u32 s7, s23, s19
	s_addc_u32 s11, s11, 0
	s_mul_i32 s18, s20, s18
	s_add_u32 s7, s7, s18
	s_addc_u32 s11, 0, s11
	s_add_u32 s7, s22, s7
	s_cselect_b64 s[18:19], -1, 0
	s_cmp_lg_u64 s[18:19], 0
	s_addc_u32 s11, s20, s11
	s_mul_i32 s19, s14, s11
	s_mul_hi_u32 s20, s14, s7
	s_mul_hi_u32 s18, s14, s11
	s_add_u32 s19, s20, s19
	s_addc_u32 s18, 0, s18
	s_mul_hi_u32 s21, s15, s7
	s_mul_i32 s7, s15, s7
	s_add_u32 s7, s19, s7
	s_mul_hi_u32 s20, s15, s11
	s_addc_u32 s7, s18, s21
	s_addc_u32 s18, s20, 0
	s_mul_i32 s11, s15, s11
	s_add_u32 s7, s7, s11
	s_addc_u32 s11, 0, s18
	s_mul_i32 s18, s16, s11
	s_mul_hi_u32 s19, s16, s7
	s_add_i32 s18, s19, s18
	s_mul_i32 s19, s17, s7
	s_add_i32 s22, s18, s19
	s_sub_i32 s20, s15, s22
	s_mul_i32 s18, s16, s7
	s_sub_u32 s23, s14, s18
	s_cselect_b64 s[18:19], -1, 0
	s_cmp_lg_u64 s[18:19], 0
	s_subb_u32 s24, s20, s17
	s_sub_u32 s25, s23, s16
	s_cselect_b64 s[20:21], -1, 0
	s_cmp_lg_u64 s[20:21], 0
	s_subb_u32 s20, s24, 0
	s_cmp_ge_u32 s20, s17
	s_cselect_b32 s21, -1, 0
	s_cmp_ge_u32 s25, s16
	s_cselect_b32 s24, -1, 0
	s_cmp_eq_u32 s20, s17
	s_cselect_b32 s20, s24, s21
	s_add_u32 s21, s7, 1
	s_addc_u32 s24, s11, 0
	s_add_u32 s25, s7, 2
	s_addc_u32 s26, s11, 0
	s_cmp_lg_u32 s20, 0
	s_cselect_b32 s20, s25, s21
	s_cselect_b32 s21, s26, s24
	s_cmp_lg_u64 s[18:19], 0
	s_subb_u32 s18, s15, s22
	s_cmp_ge_u32 s18, s17
	s_cselect_b32 s19, -1, 0
	s_cmp_ge_u32 s23, s16
	s_cselect_b32 s22, -1, 0
	s_cmp_eq_u32 s18, s17
	s_cselect_b32 s18, s22, s19
	s_cmp_lg_u32 s18, 0
	s_cselect_b32 s65, s21, s11
	s_cselect_b32 s64, s20, s7
	s_cbranch_execnz .LBB79_6
.LBB79_5:                               ;   in Loop: Header=BB79_3 Depth=1
	v_cvt_f32_u32_e32 v1, s16
	s_sub_i32 s7, 0, s16
	s_mov_b32 s65, s6
	v_rcp_iflag_f32_e32 v1, v1
	s_nop 0
	v_mul_f32_e32 v1, 0x4f7ffffe, v1
	v_cvt_u32_f32_e32 v1, v1
	s_nop 0
	v_readfirstlane_b32 s11, v1
	s_mul_i32 s7, s7, s11
	s_mul_hi_u32 s7, s11, s7
	s_add_i32 s11, s11, s7
	s_mul_hi_u32 s7, s14, s11
	s_mul_i32 s18, s7, s16
	s_sub_i32 s18, s14, s18
	s_add_i32 s11, s7, 1
	s_sub_i32 s19, s18, s16
	s_cmp_ge_u32 s18, s16
	s_cselect_b32 s7, s11, s7
	s_cselect_b32 s18, s19, s18
	s_add_i32 s11, s7, 1
	s_cmp_ge_u32 s18, s16
	s_cselect_b32 s64, s11, s7
.LBB79_6:                               ;   in Loop: Header=BB79_3 Depth=1
	s_mul_i32 s7, s64, s17
	s_mul_hi_u32 s11, s64, s16
	s_load_dwordx2 s[18:19], s[8:9], 0xc8
	s_add_i32 s7, s11, s7
	s_mul_i32 s11, s65, s16
	s_add_i32 s7, s7, s11
	s_mul_i32 s11, s64, s16
	s_sub_u32 s11, s14, s11
	s_subb_u32 s7, s15, s7
	s_waitcnt lgkmcnt(0)
	s_mul_i32 s7, s18, s7
	s_mul_hi_u32 s14, s18, s11
	s_add_i32 s7, s14, s7
	s_mul_i32 s14, s19, s11
	s_add_i32 s7, s7, s14
	s_mul_i32 s11, s18, s11
	s_add_u32 s58, s11, s58
	s_addc_u32 s59, s7, s59
	s_add_i32 s3, s3, -1
	s_add_u32 s8, s8, -8
	s_addc_u32 s9, s9, -1
	s_cmp_gt_u32 s3, 2
	s_cbranch_scc0 .LBB79_9
; %bb.7:                                ;   in Loop: Header=BB79_3 Depth=1
	s_mov_b64 s[14:15], s[64:65]
	s_branch .LBB79_3
.LBB79_8:                               ;   in Loop: Header=BB79_3 Depth=1
                                        ; implicit-def: $sgpr64_sgpr65
	s_branch .LBB79_5
.LBB79_9:
	s_load_dword s8, s[0:1], 0x338
	s_load_dwordx2 s[6:7], s[0:1], 0xd0
                                        ; implicit-def: $vgpr65 : SGPR spill to VGPR lane
	s_mov_b64 s[62:63], 0
	s_mov_b64 s[68:69], s[4:5]
	s_waitcnt lgkmcnt(0)
	v_writelane_b32 v65, s6, 0
	s_nop 1
	v_writelane_b32 v65, s7, 1
	s_add_u32 s6, s0, 0x1a0
	s_addc_u32 s7, s1, 0
	s_cmp_lt_i32 s8, 2
	s_cbranch_scc1 .LBB79_17
; %bb.10:
	s_add_i32 s3, s8, 1
	s_add_i32 s14, s8, -1
	s_mov_b32 s8, 0
	s_mov_b32 s15, s8
	s_lshl_b64 s[14:15], s[14:15], 3
	s_add_u32 s9, s6, s14
	s_addc_u32 s11, s7, s15
	s_add_u32 s14, s9, 8
	s_addc_u32 s15, s11, 0
	s_mov_b64 s[16:17], s[4:5]
.LBB79_11:                              ; =>This Inner Loop Header: Depth=1
	s_load_dwordx2 s[18:19], s[14:15], 0x0
	s_waitcnt lgkmcnt(0)
	s_or_b64 s[20:21], s[16:17], s[18:19]
	s_mov_b32 s9, s21
	s_cmp_lg_u64 s[8:9], 0
	s_cbranch_scc0 .LBB79_16
; %bb.12:                               ;   in Loop: Header=BB79_11 Depth=1
	v_cvt_f32_u32_e32 v1, s18
	v_cvt_f32_u32_e32 v2, s19
	s_sub_u32 s9, 0, s18
	s_subb_u32 s11, 0, s19
	v_fmac_f32_e32 v1, 0x4f800000, v2
	v_rcp_f32_e32 v1, v1
	s_nop 0
	v_mul_f32_e32 v1, 0x5f7ffffc, v1
	v_mul_f32_e32 v2, 0x2f800000, v1
	v_trunc_f32_e32 v2, v2
	v_fmac_f32_e32 v1, 0xcf800000, v2
	v_cvt_u32_f32_e32 v2, v2
	v_cvt_u32_f32_e32 v1, v1
	v_readfirstlane_b32 s22, v2
	v_readfirstlane_b32 s20, v1
	s_mul_i32 s21, s9, s22
	s_mul_hi_u32 s24, s9, s20
	s_mul_i32 s23, s11, s20
	s_add_i32 s21, s24, s21
	s_mul_i32 s25, s9, s20
	s_add_i32 s21, s21, s23
	s_mul_i32 s24, s20, s21
	s_mul_hi_u32 s26, s20, s25
	s_mul_hi_u32 s23, s20, s21
	s_add_u32 s24, s26, s24
	s_addc_u32 s23, 0, s23
	s_mul_hi_u32 s27, s22, s25
	s_mul_i32 s25, s22, s25
	s_add_u32 s24, s24, s25
	s_mul_hi_u32 s26, s22, s21
	s_addc_u32 s23, s23, s27
	s_addc_u32 s24, s26, 0
	s_mul_i32 s21, s22, s21
	s_add_u32 s21, s23, s21
	s_addc_u32 s23, 0, s24
	s_add_u32 s24, s20, s21
	s_cselect_b64 s[20:21], -1, 0
	s_cmp_lg_u64 s[20:21], 0
	s_addc_u32 s22, s22, s23
	s_mul_i32 s20, s9, s22
	s_mul_hi_u32 s21, s9, s24
	s_add_i32 s20, s21, s20
	s_mul_i32 s11, s11, s24
	s_add_i32 s20, s20, s11
	s_mul_i32 s9, s9, s24
	s_mul_hi_u32 s21, s22, s9
	s_mul_i32 s23, s22, s9
	s_mul_i32 s26, s24, s20
	s_mul_hi_u32 s9, s24, s9
	s_mul_hi_u32 s25, s24, s20
	s_add_u32 s9, s9, s26
	s_addc_u32 s25, 0, s25
	s_add_u32 s9, s9, s23
	s_mul_hi_u32 s11, s22, s20
	s_addc_u32 s9, s25, s21
	s_addc_u32 s11, s11, 0
	s_mul_i32 s20, s22, s20
	s_add_u32 s9, s9, s20
	s_addc_u32 s11, 0, s11
	s_add_u32 s9, s24, s9
	s_cselect_b64 s[20:21], -1, 0
	s_cmp_lg_u64 s[20:21], 0
	s_addc_u32 s11, s22, s11
	s_mul_i32 s21, s16, s11
	s_mul_hi_u32 s22, s16, s9
	s_mul_hi_u32 s20, s16, s11
	s_add_u32 s21, s22, s21
	s_addc_u32 s20, 0, s20
	s_mul_hi_u32 s23, s17, s9
	s_mul_i32 s9, s17, s9
	s_add_u32 s9, s21, s9
	s_mul_hi_u32 s22, s17, s11
	s_addc_u32 s9, s20, s23
	s_addc_u32 s20, s22, 0
	s_mul_i32 s11, s17, s11
	s_add_u32 s9, s9, s11
	s_addc_u32 s11, 0, s20
	s_mul_i32 s20, s18, s11
	s_mul_hi_u32 s21, s18, s9
	s_add_i32 s20, s21, s20
	s_mul_i32 s21, s19, s9
	s_add_i32 s24, s20, s21
	s_sub_i32 s22, s17, s24
	s_mul_i32 s20, s18, s9
	s_sub_u32 s25, s16, s20
	s_cselect_b64 s[20:21], -1, 0
	s_cmp_lg_u64 s[20:21], 0
	s_subb_u32 s26, s22, s19
	s_sub_u32 s27, s25, s18
	s_cselect_b64 s[22:23], -1, 0
	s_cmp_lg_u64 s[22:23], 0
	s_subb_u32 s22, s26, 0
	s_cmp_ge_u32 s22, s19
	s_cselect_b32 s23, -1, 0
	s_cmp_ge_u32 s27, s18
	s_cselect_b32 s26, -1, 0
	s_cmp_eq_u32 s22, s19
	s_cselect_b32 s22, s26, s23
	s_add_u32 s23, s9, 1
	s_addc_u32 s26, s11, 0
	s_add_u32 s27, s9, 2
	s_addc_u32 s28, s11, 0
	s_cmp_lg_u32 s22, 0
	s_cselect_b32 s22, s27, s23
	s_cselect_b32 s23, s28, s26
	s_cmp_lg_u64 s[20:21], 0
	s_subb_u32 s20, s17, s24
	s_cmp_ge_u32 s20, s19
	s_cselect_b32 s21, -1, 0
	s_cmp_ge_u32 s25, s18
	s_cselect_b32 s24, -1, 0
	s_cmp_eq_u32 s20, s19
	s_cselect_b32 s20, s24, s21
	s_cmp_lg_u32 s20, 0
	s_cselect_b32 s69, s23, s11
	s_cselect_b32 s68, s22, s9
	s_cbranch_execnz .LBB79_14
.LBB79_13:                              ;   in Loop: Header=BB79_11 Depth=1
	v_cvt_f32_u32_e32 v1, s18
	s_sub_i32 s9, 0, s18
	s_mov_b32 s69, s8
	v_rcp_iflag_f32_e32 v1, v1
	s_nop 0
	v_mul_f32_e32 v1, 0x4f7ffffe, v1
	v_cvt_u32_f32_e32 v1, v1
	s_nop 0
	v_readfirstlane_b32 s11, v1
	s_mul_i32 s9, s9, s11
	s_mul_hi_u32 s9, s11, s9
	s_add_i32 s11, s11, s9
	s_mul_hi_u32 s9, s16, s11
	s_mul_i32 s20, s9, s18
	s_sub_i32 s20, s16, s20
	s_add_i32 s11, s9, 1
	s_sub_i32 s21, s20, s18
	s_cmp_ge_u32 s20, s18
	s_cselect_b32 s9, s11, s9
	s_cselect_b32 s20, s21, s20
	s_add_i32 s11, s9, 1
	s_cmp_ge_u32 s20, s18
	s_cselect_b32 s68, s11, s9
.LBB79_14:                              ;   in Loop: Header=BB79_11 Depth=1
	s_mul_i32 s9, s68, s19
	s_mul_hi_u32 s11, s68, s18
	s_load_dwordx2 s[20:21], s[14:15], 0xc8
	s_add_i32 s9, s11, s9
	s_mul_i32 s11, s69, s18
	s_add_i32 s9, s9, s11
	s_mul_i32 s11, s68, s18
	s_sub_u32 s11, s16, s11
	s_subb_u32 s9, s17, s9
	s_waitcnt lgkmcnt(0)
	s_mul_i32 s9, s20, s9
	s_mul_hi_u32 s16, s20, s11
	s_add_i32 s9, s16, s9
	s_mul_i32 s16, s21, s11
	s_add_i32 s9, s9, s16
	s_mul_i32 s11, s20, s11
	s_add_u32 s62, s11, s62
	s_addc_u32 s63, s9, s63
	s_add_i32 s3, s3, -1
	s_add_u32 s14, s14, -8
	s_addc_u32 s15, s15, -1
	s_cmp_gt_u32 s3, 2
	s_cbranch_scc0 .LBB79_17
; %bb.15:                               ;   in Loop: Header=BB79_11 Depth=1
	s_mov_b64 s[16:17], s[68:69]
	s_branch .LBB79_11
.LBB79_16:                              ;   in Loop: Header=BB79_11 Depth=1
                                        ; implicit-def: $sgpr68_sgpr69
	s_branch .LBB79_13
.LBB79_17:
	s_load_dword s9, s[0:1], 0x4d8
	s_load_dwordx2 s[14:15], s[6:7], 0xd0
                                        ; kill: killed $sgpr6 killed $sgpr7
	s_add_u32 s7, s0, 0x340
	s_addc_u32 s8, s1, 0
	s_mov_b64 s[16:17], 0
	s_waitcnt lgkmcnt(0)
	s_cmp_lt_i32 s9, 2
	v_writelane_b32 v65, s14, 2
	s_nop 1
	v_writelane_b32 v65, s15, 3
	s_cbranch_scc1 .LBB79_25
; %bb.18:
	s_mov_b32 s6, 0
	s_add_i32 s14, s9, -1
	s_mov_b32 s15, s6
	s_add_i32 s3, s9, 1
	s_lshl_b64 s[14:15], s[14:15], 3
	s_add_u32 s7, s7, s14
	s_addc_u32 s9, s8, s15
	s_add_u32 s8, s7, 8
	s_addc_u32 s9, s9, 0
.LBB79_19:                              ; =>This Inner Loop Header: Depth=1
	s_load_dwordx2 s[14:15], s[8:9], 0x0
	s_waitcnt lgkmcnt(0)
	s_or_b64 s[18:19], s[4:5], s[14:15]
	s_mov_b32 s7, s19
	s_cmp_lg_u64 s[6:7], 0
	s_cbranch_scc0 .LBB79_24
; %bb.20:                               ;   in Loop: Header=BB79_19 Depth=1
	v_cvt_f32_u32_e32 v1, s14
	v_cvt_f32_u32_e32 v2, s15
	s_sub_u32 s7, 0, s14
	s_subb_u32 s11, 0, s15
	v_fmac_f32_e32 v1, 0x4f800000, v2
	v_rcp_f32_e32 v1, v1
	s_nop 0
	v_mul_f32_e32 v1, 0x5f7ffffc, v1
	v_mul_f32_e32 v2, 0x2f800000, v1
	v_trunc_f32_e32 v2, v2
	v_fmac_f32_e32 v1, 0xcf800000, v2
	v_cvt_u32_f32_e32 v2, v2
	v_cvt_u32_f32_e32 v1, v1
	v_readfirstlane_b32 s20, v2
	v_readfirstlane_b32 s18, v1
	s_mul_i32 s19, s7, s20
	s_mul_hi_u32 s22, s7, s18
	s_mul_i32 s21, s11, s18
	s_add_i32 s19, s22, s19
	s_mul_i32 s23, s7, s18
	s_add_i32 s19, s19, s21
	s_mul_i32 s22, s18, s19
	s_mul_hi_u32 s24, s18, s23
	s_mul_hi_u32 s21, s18, s19
	s_add_u32 s22, s24, s22
	s_addc_u32 s21, 0, s21
	s_mul_hi_u32 s25, s20, s23
	s_mul_i32 s23, s20, s23
	s_add_u32 s22, s22, s23
	s_mul_hi_u32 s24, s20, s19
	s_addc_u32 s21, s21, s25
	s_addc_u32 s22, s24, 0
	s_mul_i32 s19, s20, s19
	s_add_u32 s19, s21, s19
	s_addc_u32 s21, 0, s22
	s_add_u32 s22, s18, s19
	s_cselect_b64 s[18:19], -1, 0
	s_cmp_lg_u64 s[18:19], 0
	s_addc_u32 s20, s20, s21
	s_mul_i32 s18, s7, s20
	s_mul_hi_u32 s19, s7, s22
	s_add_i32 s18, s19, s18
	s_mul_i32 s11, s11, s22
	s_add_i32 s18, s18, s11
	s_mul_i32 s7, s7, s22
	s_mul_hi_u32 s19, s20, s7
	s_mul_i32 s21, s20, s7
	s_mul_i32 s24, s22, s18
	s_mul_hi_u32 s7, s22, s7
	s_mul_hi_u32 s23, s22, s18
	s_add_u32 s7, s7, s24
	s_addc_u32 s23, 0, s23
	s_add_u32 s7, s7, s21
	s_mul_hi_u32 s11, s20, s18
	s_addc_u32 s7, s23, s19
	s_addc_u32 s11, s11, 0
	s_mul_i32 s18, s20, s18
	s_add_u32 s7, s7, s18
	s_addc_u32 s11, 0, s11
	s_add_u32 s7, s22, s7
	s_cselect_b64 s[18:19], -1, 0
	s_cmp_lg_u64 s[18:19], 0
	s_addc_u32 s11, s20, s11
	s_mul_i32 s19, s4, s11
	s_mul_hi_u32 s20, s4, s7
	s_mul_hi_u32 s18, s4, s11
	s_add_u32 s19, s20, s19
	s_addc_u32 s18, 0, s18
	s_mul_hi_u32 s21, s5, s7
	s_mul_i32 s7, s5, s7
	s_add_u32 s7, s19, s7
	s_mul_hi_u32 s20, s5, s11
	s_addc_u32 s7, s18, s21
	s_addc_u32 s18, s20, 0
	s_mul_i32 s11, s5, s11
	s_add_u32 s7, s7, s11
	s_addc_u32 s11, 0, s18
	s_mul_i32 s18, s14, s11
	s_mul_hi_u32 s19, s14, s7
	s_add_i32 s18, s19, s18
	s_mul_i32 s19, s15, s7
	s_add_i32 s22, s18, s19
	s_sub_i32 s20, s5, s22
	s_mul_i32 s18, s14, s7
	s_sub_u32 s23, s4, s18
	s_cselect_b64 s[18:19], -1, 0
	s_cmp_lg_u64 s[18:19], 0
	s_subb_u32 s24, s20, s15
	s_sub_u32 s25, s23, s14
	s_cselect_b64 s[20:21], -1, 0
	s_cmp_lg_u64 s[20:21], 0
	s_subb_u32 s20, s24, 0
	s_cmp_ge_u32 s20, s15
	s_cselect_b32 s21, -1, 0
	s_cmp_ge_u32 s25, s14
	s_cselect_b32 s24, -1, 0
	s_cmp_eq_u32 s20, s15
	s_cselect_b32 s20, s24, s21
	s_add_u32 s21, s7, 1
	s_addc_u32 s24, s11, 0
	s_add_u32 s25, s7, 2
	s_addc_u32 s26, s11, 0
	s_cmp_lg_u32 s20, 0
	s_cselect_b32 s20, s25, s21
	s_cselect_b32 s21, s26, s24
	s_cmp_lg_u64 s[18:19], 0
	s_subb_u32 s18, s5, s22
	s_cmp_ge_u32 s18, s15
	s_cselect_b32 s19, -1, 0
	s_cmp_ge_u32 s23, s14
	s_cselect_b32 s22, -1, 0
	s_cmp_eq_u32 s18, s15
	s_cselect_b32 s18, s22, s19
	s_cmp_lg_u32 s18, 0
	s_cselect_b32 s19, s21, s11
	s_cselect_b32 s18, s20, s7
	s_cbranch_execnz .LBB79_22
.LBB79_21:                              ;   in Loop: Header=BB79_19 Depth=1
	v_cvt_f32_u32_e32 v1, s14
	s_sub_i32 s7, 0, s14
	v_rcp_iflag_f32_e32 v1, v1
	s_nop 0
	v_mul_f32_e32 v1, 0x4f7ffffe, v1
	v_cvt_u32_f32_e32 v1, v1
	s_nop 0
	v_readfirstlane_b32 s11, v1
	s_mul_i32 s7, s7, s11
	s_mul_hi_u32 s7, s11, s7
	s_add_i32 s11, s11, s7
	s_mul_hi_u32 s7, s4, s11
	s_mul_i32 s18, s7, s14
	s_sub_i32 s18, s4, s18
	s_add_i32 s11, s7, 1
	s_sub_i32 s19, s18, s14
	s_cmp_ge_u32 s18, s14
	s_cselect_b32 s7, s11, s7
	s_cselect_b32 s18, s19, s18
	s_add_i32 s11, s7, 1
	s_cmp_ge_u32 s18, s14
	s_cselect_b32 s18, s11, s7
	s_mov_b32 s19, s6
.LBB79_22:                              ;   in Loop: Header=BB79_19 Depth=1
	s_mul_i32 s7, s18, s15
	s_mul_hi_u32 s11, s18, s14
	s_load_dwordx2 s[20:21], s[8:9], 0xc8
	s_add_i32 s7, s11, s7
	s_mul_i32 s11, s19, s14
	s_add_i32 s7, s7, s11
	s_mul_i32 s11, s18, s14
	s_sub_u32 s4, s4, s11
	s_subb_u32 s5, s5, s7
	s_waitcnt lgkmcnt(0)
	s_mul_i32 s5, s20, s5
	s_mul_hi_u32 s7, s20, s4
	s_add_i32 s5, s7, s5
	s_mul_i32 s7, s21, s4
	s_add_i32 s5, s5, s7
	s_mul_i32 s4, s20, s4
	s_add_u32 s16, s4, s16
	s_addc_u32 s17, s5, s17
	s_add_i32 s3, s3, -1
	s_add_u32 s8, s8, -8
	s_addc_u32 s9, s9, -1
	s_cmp_gt_u32 s3, 2
	s_cbranch_scc0 .LBB79_26
; %bb.23:                               ;   in Loop: Header=BB79_19 Depth=1
	s_mov_b64 s[4:5], s[18:19]
	s_branch .LBB79_19
.LBB79_24:                              ;   in Loop: Header=BB79_19 Depth=1
                                        ; implicit-def: $sgpr18_sgpr19
	s_branch .LBB79_21
.LBB79_25:
	s_mov_b64 s[18:19], s[4:5]
.LBB79_26:
	s_load_dwordx2 s[4:5], s[0:1], 0x410
	s_load_dwordx2 s[6:7], s[0:1], 0x340
	v_cmp_eq_u32_e64 s[14:15], 0, v0
	s_mov_b64 s[8:9], exec
	s_nop 0
	v_writelane_b32 v65, s14, 4
	s_nop 1
	v_writelane_b32 v65, s15, 5
	s_and_b64 s[14:15], s[8:9], s[14:15]
	s_mov_b64 exec, s[14:15]
; %bb.27:
	v_mov_b32_e32 v2, 0
	v_mov_b32_e32 v3, v2
	ds_write_b64 v2, v[2:3] offset:5136
; %bb.28:
	s_or_b64 exec, exec, s[8:9]
	s_load_dwordx2 s[8:9], s[0:1], 0x0
	v_mov_b32_e32 v3, 0
	s_waitcnt lgkmcnt(0)
	s_barrier
	v_writelane_b32 v65, s8, 6
	s_barrier
	s_nop 0
	v_writelane_b32 v65, s9, 7
	s_load_dwordx2 s[8:9], s[0:1], 0x1a0
	s_waitcnt lgkmcnt(0)
	ds_read_b64 v[4:5], v3 offset:5136
	v_writelane_b32 v65, s8, 8
	s_nop 1
	v_writelane_b32 v65, s9, 9
	s_waitcnt lgkmcnt(0)
	v_readfirstlane_b32 s8, v4
	v_readfirstlane_b32 s9, v5
	s_mov_b64 s[14:15], exec
	v_readlane_b32 s20, v65, 4
	v_readlane_b32 s21, v65, 5
	s_and_b64 s[20:21], s[14:15], s[20:21]
	s_mov_b64 exec, s[20:21]
	s_cbranch_execz .LBB79_30
; %bb.29:
	v_mov_b32_e32 v4, 0
	v_mov_b32_e32 v6, s56
	;; [unrolled: 1-line block ×4, first 2 shown]
	ds_write_b32 v4, v4 offset:5144
	ds_write_b128 v4, v[4:7] offset:5120
.LBB79_30:
	s_or_b64 exec, exec, s[14:15]
	s_load_dword s3, s[0:1], 0x4f8
	v_cmp_lt_i64_e64 s[0:1], s[8:9], 1
	s_mul_i32 s11, s4, s19
	v_mov_b32_e32 v1, v3
	v_mbcnt_lo_u32_b32 v2, -1, 0
	s_waitcnt lgkmcnt(0)
	s_bitcmp1_b32 s3, 0
	s_cselect_b64 s[14:15], -1, 0
	s_not_b64 s[8:9], s[8:9]
	s_or_b64 s[0:1], s[14:15], s[0:1]
	s_add_u32 s8, s56, s8
	s_addc_u32 s9, s57, s9
	s_lshr_b64 s[8:9], s[8:9], 1
	s_add_u32 s3, s8, 1
	s_addc_u32 s8, s9, 0
	s_and_b64 s[0:1], s[0:1], exec
	s_mul_hi_u32 s0, s4, s18
	s_cselect_b32 s9, s8, s57
	s_cselect_b32 s8, s3, s56
	s_add_i32 s0, s0, s11
	s_mul_i32 s1, s5, s18
	s_add_i32 s3, s0, s1
	s_mul_i32 s11, s4, s18
	s_add_u32 s0, s6, s11
	s_addc_u32 s1, s7, s3
	s_add_u32 s78, s0, s16
	s_addc_u32 s79, s1, s17
	v_cmp_gt_u64_e64 s[0:1], s[56:57], v[0:1]
	v_mbcnt_hi_u32_b32 v40, -1, v2
	v_cmp_gt_u32_e32 vcc, 64, v0
	v_writelane_b32 v65, s0, 10
	v_mov_b64_e32 v[4:5], 0xc00
	v_mov_b64_e32 v[6:7], s[78:79]
	v_writelane_b32 v65, s1, 11
	v_cmp_gt_i32_e64 s[0:1], 4, v40
	s_and_b64 s[98:99], vcc, s[0:1]
	v_cmp_gt_u32_e64 s[0:1], 2, v0
	s_barrier
	s_nop 0
	v_writelane_b32 v65, s0, 12
	v_lshlrev_b32_e32 v2, 2, v40
	s_nop 0
	v_writelane_b32 v65, s1, 13
	v_cmp_gt_u64_e64 s[0:1], s[56:57], v[4:5]
	v_and_b32_e32 v41, 0x100, v2
	v_lshrrev_b32_e32 v2, 1, v0
	v_writelane_b32 v65, s0, 14
	v_and_b32_e32 v2, 0x1e0, v2
	v_or_b32_e32 v42, 0xc00, v2
	v_writelane_b32 v65, s1, 15
	v_mad_u64_u32 v[4:5], s[0:1], s60, v0, 0
	v_mad_u64_u32 v[12:13], s[0:1], s60, v0, v[6:7]
	s_load_dword s0, s[12:13], 0xc
	v_lshlrev_b64 v[6:7], v40, -1
	v_add_u32_e32 v2, 2, v0
	v_not_b32_e32 v18, v6
	v_mov_b32_e32 v6, s57
	s_waitcnt lgkmcnt(0)
	s_and_b32 s76, s0, 0xffff
	s_bfe_u32 s0, s0, 0xa0006
	s_cmp_gt_u32 s76, 63
	s_cselect_b64 s[14:15], -1, 0
	v_writelane_b32 v65, s14, 16
	s_add_u32 s1, s76, -1
	v_cmp_gt_u64_e32 vcc, s[56:57], v[2:3]
	v_writelane_b32 v65, s15, 17
	s_addc_u32 s14, 0, -1
	v_writelane_b32 v65, s1, 18
	s_add_u32 s1, s1, s56
	s_addc_u32 s89, s14, s57
	v_not_b32_e32 v19, v7
	s_cmp_lt_u32 s2, s10
	v_cndmask_b32_e32 v7, 0, v6, vcc
	v_mov_b32_e32 v6, s56
	v_writelane_b32 v65, s1, 19
	s_cselect_b32 s1, 12, 18
	v_cndmask_b32_e32 v6, v2, v6, vcc
	v_mov_b32_e32 v9, -1
	v_not_b32_e32 v8, v0
	s_add_u32 s54, s12, s1
	v_lshl_add_u64 v[6:7], v[6:7], 0, v[8:9]
	v_writelane_b32 v65, s14, 20
	s_addc_u32 s55, s13, 0
	v_cmp_lt_u64_e64 s[12:13], 3, v[6:7]
	v_and_b32_e32 v20, -4, v6
	v_mov_b32_e32 v21, v7
	v_writelane_b32 v65, s12, 21
	s_add_i32 s1, s0, -1
	s_bfe_u32 s2, s76, 0x30006
	v_writelane_b32 v65, s13, 22
	v_cmp_ne_u64_e64 s[12:13], v[6:7], v[20:21]
	s_and_b32 s1, s1, 0xffff
	s_cmp_gt_u32 s1, 6
	v_writelane_b32 v65, s12, 23
	v_lshlrev_b32_e32 v14, 2, v0
	v_or_b32_e32 v6, 3, v14
	v_writelane_b32 v65, s13, 24
	s_cselect_b64 s[12:13], -1, 0
	v_writelane_b32 v65, s12, 25
	s_and_b32 s90, s0, 0x3f8
	s_cmp_lg_u32 s2, 0
	v_writelane_b32 v65, s13, 26
	v_writelane_b32 v65, s2, 27
	s_cselect_b64 s[0:1], -1, 0
	v_writelane_b32 v65, s0, 28
	v_mul_lo_u32 v10, s61, v0
	v_add_u32_e32 v5, v5, v10
	v_writelane_b32 v65, s1, 29
	s_add_u32 s0, s16, s11
	s_addc_u32 s1, s17, s3
	s_add_u32 s2, s6, s0
	s_addc_u32 s3, s7, s1
	v_mad_u64_u32 v[24:25], s[0:1], s60, v6, 0
	v_mov_b32_e32 v2, v25
	v_mad_u64_u32 v[6:7], s[0:1], s61, v6, v[2:3]
	s_lshl_b64 s[0:1], s[60:61], 2
	v_mov_b32_e32 v25, v6
	v_writelane_b32 v65, s0, 30
	v_or_b32_e32 v6, 2, v14
	v_lshlrev_b64 v[30:31], 2, v[4:5]
	v_writelane_b32 v65, s1, 31
	v_mad_u64_u32 v[26:27], s[0:1], s60, v6, 0
	v_mov_b32_e32 v2, v27
	v_mad_u64_u32 v[6:7], s[0:1], s61, v6, v[2:3]
	v_mov_b32_e32 v27, v6
	v_mov_b64_e32 v[6:7], s[60:61]
	v_mad_u64_u32 v[28:29], s[0:1], s60, v14, v[6:7]
	v_mov_b32_e32 v2, v29
	v_writelane_b32 v65, s2, 32
	v_mad_u64_u32 v[6:7], s[0:1], s61, v14, v[2:3]
	s_nop 0
	v_mov_b64_e32 v[4:5], s[2:3]
	v_mad_u64_u32 v[16:17], s[0:1], s60, v0, v[4:5]
	s_mul_i32 s0, s61, s76
	s_mul_hi_u32 s1, s60, s76
	v_writelane_b32 v65, s3, 33
	s_add_i32 s83, s1, s0
	s_mov_b32 s0, 0
	s_mul_i32 s82, s60, s76
	v_writelane_b32 v65, s0, 34
	v_writelane_b32 v65, s82, 35
	s_mov_b32 s84, s60
	s_mov_b32 s85, s61
	v_writelane_b32 v65, s83, 36
	v_writelane_b32 v65, s54, 37
	s_mov_b32 s87, s60
	s_mov_b32 s50, s61
	v_writelane_b32 v65, s55, 38
	v_writelane_b32 v65, s84, 39
	;; [unrolled: 1-line block ×4, first 2 shown]
	s_mov_b32 s81, 0
	s_mov_b32 s51, s60
	v_mov_b32_e32 v2, 0xc00
	v_writelane_b32 v65, s50, 42
	v_cmp_eq_u32_e64 s[4:5], 0, v40
	v_add_u32_e32 v13, v10, v13
	v_mov_b32_e32 v15, v3
	s_mov_b32 s77, s81
	v_lshl_add_u64 v[22:23], v[20:21], 0, v[0:1]
	s_mov_b32 s88, s61
	s_mov_b32 s91, 6
	v_mov_b32_e32 v29, v6
	v_lshl_or_b32 v43, v40, 3, v2
	v_add_u32_e32 v17, v10, v17
	s_mov_b64 s[72:73], 0
	v_mov_b64_e32 v[32:33], s[8:9]
	s_movk_i32 s33, 0xff
	s_mov_b32 s92, 0xc0c0004
	v_mov_b64_e32 v[50:51], s[56:57]
	v_mov_b32_e32 v45, 0x4f800000
	v_mov_b32_e32 v46, 8
	;; [unrolled: 1-line block ×5, first 2 shown]
	v_writelane_b32 v65, s51, 43
                                        ; implicit-def: $sgpr70_sgpr71
                                        ; implicit-def: $sgpr12_sgpr13
                                        ; implicit-def: $sgpr74_sgpr75
                                        ; implicit-def: $sgpr10_sgpr11
                                        ; implicit-def: $sgpr30_sgpr31
                                        ; implicit-def: $sgpr66_sgpr67
	v_writelane_b32 v65, s88, 44
	s_branch .LBB79_34
.LBB79_31:                              ;   in Loop: Header=BB79_34 Depth=1
	s_or_b64 exec, exec, s[14:15]
	s_and_b64 s[8:9], s[8:9], exec
	s_andn2_b64 s[24:25], s[24:25], exec
	s_andn2_b64 s[0:1], s[0:1], exec
	s_orn2_b64 s[18:19], s[6:7], exec
.LBB79_32:                              ;   in Loop: Header=BB79_34 Depth=1
	s_or_b64 exec, exec, s[2:3]
	s_andn2_b64 s[2:3], s[66:67], exec
	s_and_b64 s[6:7], s[8:9], exec
	s_or_b64 s[66:67], s[2:3], s[6:7]
	s_andn2_b64 s[2:3], s[30:31], exec
	s_and_b64 s[6:7], s[24:25], exec
	s_or_b64 s[30:31], s[2:3], s[6:7]
	s_andn2_b64 s[2:3], s[10:11], exec
	s_and_b64 s[0:1], s[0:1], exec
	s_or_b64 s[10:11], s[2:3], s[0:1]
	s_orn2_b64 s[0:1], s[18:19], exec
.LBB79_33:                              ;   in Loop: Header=BB79_34 Depth=1
	s_or_b64 exec, exec, s[16:17]
	s_and_b64 s[0:1], exec, s[0:1]
	s_or_b64 s[72:73], s[0:1], s[72:73]
	s_andn2_b64 s[0:1], s[74:75], exec
	s_and_b64 s[2:3], s[66:67], exec
	s_or_b64 s[74:75], s[0:1], s[2:3]
	s_andn2_b64 s[0:1], s[12:13], exec
	s_and_b64 s[2:3], s[30:31], exec
	;; [unrolled: 3-line block ×3, first 2 shown]
	s_or_b64 s[70:71], s[0:1], s[2:3]
	v_mov_b64_e32 v[32:33], v[8:9]
	s_andn2_b64 exec, exec, s[72:73]
	s_cbranch_execz .LBB79_301
.LBB79_34:                              ; =>This Loop Header: Depth=1
                                        ;     Child Loop BB79_39 Depth 2
                                        ;     Child Loop BB79_53 Depth 2
	;; [unrolled: 1-line block ×17, first 2 shown]
	ds_read_b128 v[4:7], v3 offset:5120
	s_waitcnt lgkmcnt(0)
	v_readfirstlane_b32 s97, v5
	v_readfirstlane_b32 s96, v4
	s_cmp_lg_u64 s[96:97], 0
	s_cbranch_scc1 .LBB79_66
; %bb.35:                               ;   in Loop: Header=BB79_34 Depth=1
	v_readlane_b32 s0, v65, 14
	v_readlane_b32 s1, v65, 15
	s_and_b64 vcc, exec, s[0:1]
	s_cbranch_vccz .LBB79_47
; %bb.36:                               ;   in Loop: Header=BB79_34 Depth=1
	s_mov_b64 s[0:1], 0xc01
	v_cmp_gt_u64_e32 vcc, s[0:1], v[6:7]
	s_mov_b64 s[6:7], 0
	s_mov_b64 s[0:1], 0
	s_cbranch_vccz .LBB79_48
; %bb.37:                               ;   in Loop: Header=BB79_34 Depth=1
	global_load_ushort v6, v3, s[54:55]
	global_load_ubyte v8, v[12:13], off
	v_readlane_b32 s0, v65, 32
	v_readlane_b32 s1, v65, 33
	s_mov_b64 s[8:9], 0
	s_waitcnt vmcnt(1)
	v_and_b32_e32 v2, 0xffff, v6
	v_mov_b64_e32 v[4:5], s[0:1]
	v_readfirstlane_b32 s0, v6
	v_lshl_add_u64 v[6:7], v[0:1], 0, v[2:3]
	s_and_b32 s2, 0xffff, s0
	v_mad_u64_u32 v[4:5], s[0:1], s60, v6, v[4:5]
	v_mul_lo_u32 v7, s60, v7
	v_mul_lo_u32 v9, s61, v6
	s_mul_i32 s0, s61, s2
	s_mul_hi_u32 s1, s60, s2
	s_mul_i32 s14, s60, s2
	v_add3_u32 v5, v9, v5, v7
	s_add_i32 s15, s1, s0
	v_mov_b64_e32 v[6:7], v[0:1]
	s_branch .LBB79_39
.LBB79_38:                              ;   in Loop: Header=BB79_39 Depth=2
	s_or_b64 exec, exec, s[2:3]
	v_lshl_add_u64 v[4:5], v[4:5], 0, s[14:15]
	v_mov_b32_e32 v8, v9
	s_andn2_b64 exec, exec, s[8:9]
	s_cbranch_execz .LBB79_126
.LBB79_39:                              ;   Parent Loop BB79_34 Depth=1
                                        ; =>  This Inner Loop Header: Depth=2
	v_lshl_add_u64 v[6:7], v[6:7], 0, v[2:3]
	v_cmp_gt_u64_e64 s[0:1], s[56:57], v[6:7]
	v_cmp_le_u64_e32 vcc, s[56:57], v[6:7]
	s_waitcnt lgkmcnt(0)
	v_mov_b32_e32 v10, 0
	v_mov_b32_e32 v9, 0
	s_and_saveexec_b64 s[2:3], s[0:1]
	s_cbranch_execz .LBB79_41
; %bb.40:                               ;   in Loop: Header=BB79_39 Depth=2
	global_load_ubyte v9, v[4:5], off
.LBB79_41:                              ;   in Loop: Header=BB79_39 Depth=2
	s_or_b64 exec, exec, s[2:3]
	s_waitcnt vmcnt(0)
	v_bitop3_b32 v11, v8, s33, v47 bitop3:0x80
	v_cmp_eq_u32_e64 s[0:1], v11, v44
	s_cmp_lg_u64 s[0:1], 0
	s_cselect_b64 s[2:3], -1, 0
	s_and_b64 s[2:3], s[4:5], s[2:3]
	s_and_saveexec_b64 s[16:17], s[2:3]
	s_cbranch_execz .LBB79_45
; %bb.42:                               ;   in Loop: Header=BB79_39 Depth=2
	s_mov_b64 s[20:21], exec
	v_mbcnt_lo_u32_b32 v10, s20, 0
	v_mbcnt_hi_u32_b32 v10, s21, v10
	s_bcnt1_i32_b64 s22, s[0:1]
	v_cmp_eq_u32_e64 s[2:3], 0, v10
                                        ; implicit-def: $vgpr11
	s_and_saveexec_b64 s[18:19], s[2:3]
; %bb.43:                               ;   in Loop: Header=BB79_39 Depth=2
	s_bcnt1_i32_b64 s2, s[20:21]
	s_mul_i32 s2, s22, s2
	v_mov_b32_e32 v11, s2
	ds_add_rtn_u32 v11, v3, v11 offset:5144
; %bb.44:                               ;   in Loop: Header=BB79_39 Depth=2
	s_or_b64 exec, exec, s[18:19]
	s_waitcnt lgkmcnt(0)
	v_readfirstlane_b32 s2, v11
	s_nop 1
	v_mov_b32_e32 v11, s2
	v_mad_u32_u24 v10, s22, v10, v11
.LBB79_45:                              ;   in Loop: Header=BB79_39 Depth=2
	s_or_b64 exec, exec, s[16:17]
	ds_bpermute_b32 v10, v41, v10
	s_and_b64 s[2:3], exec, vcc
	s_or_b64 s[8:9], s[2:3], s[8:9]
	s_and_saveexec_b64 s[2:3], s[0:1]
	s_cbranch_execz .LBB79_38
; %bb.46:                               ;   in Loop: Header=BB79_39 Depth=2
	v_and_b32_e32 v34, s0, v18
	v_and_b32_e32 v11, s1, v19
	v_bcnt_u32_b32 v34, v34, 0
	v_bcnt_u32_b32 v11, v11, v34
	s_waitcnt lgkmcnt(0)
	v_add_u32_e32 v10, v10, v11
	ds_write_b8 v10, v8
	s_branch .LBB79_38
.LBB79_47:                              ;   in Loop: Header=BB79_34 Depth=1
	s_mov_b64 s[6:7], -1
	s_mov_b64 s[0:1], 0
.LBB79_48:                              ;   in Loop: Header=BB79_34 Depth=1
	s_and_b64 vcc, exec, s[6:7]
	s_cbranch_vccz .LBB79_64
.LBB79_49:                              ;   in Loop: Header=BB79_34 Depth=1
	s_mov_b64 s[0:1], exec
	v_readlane_b32 s2, v65, 10
	v_readlane_b32 s3, v65, 11
	s_and_b64 s[2:3], s[0:1], s[2:3]
	s_mov_b64 exec, s[2:3]
	s_cbranch_execz .LBB79_61
; %bb.50:                               ;   in Loop: Header=BB79_34 Depth=1
	global_load_ushort v2, v3, s[54:55]
	global_load_ubyte v36, v[12:13], off
	v_mov_b32_e32 v8, v0
	s_waitcnt vmcnt(1)
	v_readfirstlane_b32 s6, v2
	v_add_u32_sdwa v2, v2, v0 dst_sel:DWORD dst_unused:UNUSED_PAD src0_sel:WORD_0 src1_sel:DWORD
	v_cmp_gt_u64_e32 vcc, s[56:57], v[2:3]
	s_and_saveexec_b64 s[2:3], vcc
	s_cbranch_execz .LBB79_60
; %bb.51:                               ;   in Loop: Header=BB79_34 Depth=1
	s_and_b32 s80, s6, 0xffff
	s_cmp_eq_u32 s80, 1
	v_readlane_b32 s8, v65, 21
	s_cselect_b64 s[6:7], -1, 0
	v_readlane_b32 s9, v65, 22
	s_and_b64 s[14:15], s[8:9], s[6:7]
	s_mov_b64 s[8:9], -1
	v_mov_b64_e32 v[6:7], v[0:1]
	v_mov_b64_e32 v[4:5], v[2:3]
                                        ; implicit-def: $vgpr8_vgpr9
	s_and_saveexec_b64 s[6:7], s[14:15]
	s_cbranch_execz .LBB79_55
; %bb.52:                               ;   in Loop: Header=BB79_34 Depth=1
	v_lshl_add_u64 v[8:9], v[2:3], 0, 3
	v_lshl_add_u64 v[6:7], v[2:3], 0, 2
	;; [unrolled: 1-line block ×3, first 2 shown]
	v_mov_b64_e32 v[10:11], v[8:9]
	s_waitcnt vmcnt(0)
	v_lshlrev_b32_e32 v38, 24, v36
	s_mov_b64 s[8:9], 0
	v_mov_b64_e32 v[34:35], v[20:21]
	v_mov_b32_e32 v37, v0
	v_mov_b64_e32 v[8:9], v[6:7]
	v_mov_b64_e32 v[6:7], v[4:5]
	v_mov_b64_e32 v[4:5], v[2:3]
.LBB79_53:                              ;   Parent Loop BB79_34 Depth=1
                                        ; =>  This Inner Loop Header: Depth=2
	v_mov_b64_e32 v[52:53], s[78:79]
	v_mul_lo_u32 v63, v10, s88
	v_mul_lo_u32 v64, v11, s51
	v_mad_u64_u32 v[54:55], s[14:15], v4, s60, v[52:53]
	v_mad_u64_u32 v[56:57], s[14:15], v6, s84, v[52:53]
	;; [unrolled: 1-line block ×4, first 2 shown]
	v_mul_lo_u32 v36, v4, s61
	v_mul_lo_u32 v39, v5, s60
	v_mul_lo_u32 v49, v6, s85
	v_mul_lo_u32 v60, v7, s84
	v_mul_lo_u32 v61, v8, s50
	v_mul_lo_u32 v62, v9, s87
	v_add3_u32 v53, v64, v53, v63
	v_add3_u32 v55, v39, v55, v36
	;; [unrolled: 1-line block ×4, first 2 shown]
	global_load_ubyte v36, v[52:53], off
	global_load_ubyte v39, v[56:57], off
	;; [unrolled: 1-line block ×3, first 2 shown]
	s_nop 0
	global_load_ubyte v52, v[58:59], off
	s_mov_b32 s14, 0xc0c0007
	v_lshl_add_u64 v[34:35], v[34:35], 0, -4
	v_cmp_eq_u64_e32 vcc, 0, v[34:35]
	v_lshl_add_u64 v[10:11], v[10:11], 0, 4
	v_lshl_add_u64 v[8:9], v[8:9], 0, 4
	;; [unrolled: 1-line block ×4, first 2 shown]
	s_or_b64 s[8:9], vcc, s[8:9]
	s_waitcnt vmcnt(1)
	v_perm_b32 v53, v49, v39, s92
	s_waitcnt vmcnt(0)
	v_perm_b32 v54, v52, v36, s92
	v_perm_b32 v39, v39, v52, s92
	;; [unrolled: 1-line block ×3, first 2 shown]
	v_lshl_or_b32 v49, v54, 16, v53
	v_lshl_or_b32 v38, v39, 16, v38
	ds_write_b32 v37, v38
	v_add_u32_e32 v37, 4, v37
	v_mov_b32_e32 v38, v49
	s_andn2_b64 exec, exec, s[8:9]
	s_cbranch_execnz .LBB79_53
; %bb.54:                               ;   in Loop: Header=BB79_34 Depth=1
	s_or_b64 exec, exec, s[8:9]
	v_readlane_b32 s8, v65, 23
	v_lshl_add_u64 v[4:5], v[2:3], 0, v[20:21]
	v_readlane_b32 s9, v65, 24
	v_lshl_add_u64 v[8:9], v[4:5], 0, -1
	s_orn2_b64 s[8:9], s[8:9], exec
	v_mov_b64_e32 v[6:7], v[22:23]
.LBB79_55:                              ;   in Loop: Header=BB79_34 Depth=1
	s_or_b64 exec, exec, s[6:7]
	s_and_saveexec_b64 s[6:7], s[8:9]
	s_cbranch_execz .LBB79_59
; %bb.56:                               ;   in Loop: Header=BB79_34 Depth=1
	v_readlane_b32 s16, v65, 32
	v_readlane_b32 s17, v65, 33
	s_sub_u32 s8, 0, s80
	v_mul_lo_u32 v2, s60, v5
	v_mov_b64_e32 v[8:9], s[16:17]
	v_mad_u64_u32 v[8:9], s[16:17], s60, v4, v[8:9]
	v_mul_lo_u32 v7, s61, v4
	s_mul_i32 s16, s61, s80
	s_mul_hi_u32 s17, s60, s80
	s_mov_b64 s[14:15], 0
	s_subb_u32 s9, 0, 0
	v_add3_u32 v9, v7, v9, v2
	s_add_i32 s17, s17, s16
	s_mul_i32 s16, s60, s80
.LBB79_57:                              ;   Parent Loop BB79_34 Depth=1
                                        ; =>  This Inner Loop Header: Depth=2
	global_load_ubyte v2, v[8:9], off
	v_mov_b64_e32 v[10:11], v[4:5]
	v_lshl_add_u64 v[4:5], v[10:11], 0, s[80:81]
	v_cmp_le_u64_e32 vcc, s[56:57], v[4:5]
	s_waitcnt vmcnt(1)
	ds_write_b8 v6, v36
	v_lshl_add_u64 v[8:9], v[8:9], 0, s[16:17]
	v_mov_b64_e32 v[6:7], v[10:11]
	s_or_b64 s[14:15], vcc, s[14:15]
	s_waitcnt vmcnt(0)
	v_mov_b32_e32 v36, v2
	s_andn2_b64 exec, exec, s[14:15]
	s_cbranch_execnz .LBB79_57
; %bb.58:                               ;   in Loop: Header=BB79_34 Depth=1
	s_or_b64 exec, exec, s[14:15]
	v_lshl_add_u64 v[8:9], s[8:9], 0, v[4:5]
	v_mov_b32_e32 v36, v2
.LBB79_59:                              ;   in Loop: Header=BB79_34 Depth=1
	s_or_b64 exec, exec, s[6:7]
.LBB79_60:                              ;   in Loop: Header=BB79_34 Depth=1
	s_or_b64 exec, exec, s[2:3]
	s_waitcnt vmcnt(0)
	ds_write_b8 v8, v36
.LBB79_61:                              ;   in Loop: Header=BB79_34 Depth=1
	s_or_b64 exec, exec, s[0:1]
	s_waitcnt lgkmcnt(0)
	s_barrier
	s_mov_b64 s[0:1], exec
	v_readlane_b32 s2, v65, 4
	v_readlane_b32 s3, v65, 5
	s_and_b64 s[2:3], s[0:1], s[2:3]
	s_mov_b64 exec, s[2:3]
; %bb.62:                               ;   in Loop: Header=BB79_34 Depth=1
	ds_write_b64 v3, v[50:51] offset:5120
; %bb.63:                               ;   in Loop: Header=BB79_34 Depth=1
	s_or_b64 exec, exec, s[0:1]
	s_waitcnt lgkmcnt(0)
	s_barrier
	s_mov_b64 s[0:1], -1
.LBB79_64:                              ;   in Loop: Header=BB79_34 Depth=1
	s_mov_b64 s[96:97], 0
	s_and_b64 vcc, exec, s[0:1]
	s_cbranch_vccz .LBB79_66
; %bb.65:                               ;   in Loop: Header=BB79_34 Depth=1
	ds_read_b64 v[4:5], v3 offset:5120
	s_waitcnt lgkmcnt(0)
	v_readfirstlane_b32 s96, v4
.LBB79_66:                              ;   in Loop: Header=BB79_34 Depth=1
	s_cmp_lt_i32 s96, 1
	s_mov_b64 s[0:1], -1
                                        ; implicit-def: $vgpr10_vgpr11
                                        ; implicit-def: $vgpr6_vgpr7
	s_cbranch_scc0 .LBB79_81
; %bb.67:                               ;   in Loop: Header=BB79_34 Depth=1
	global_load_ushort v2, v3, s[54:55]
	s_mov_b32 s0, s81
	s_waitcnt vmcnt(0)
	v_readfirstlane_b32 s1, v2
	s_and_b32 s1, 0xffff, s1
	s_lshl_b32 s80, s1, 2
	s_mov_b32 s1, s57
	s_cmp_lg_u64 s[0:1], 0
	s_cbranch_scc0 .LBB79_99
; %bb.68:                               ;   in Loop: Header=BB79_34 Depth=1
	v_cvt_f32_u32_e32 v4, s80
	s_sub_u32 s2, 0, s80
	s_subb_u32 s3, 0, 0
	v_fmac_f32_e32 v4, 0, v45
	v_rcp_f32_e32 v4, v4
	s_nop 0
	v_mul_f32_e32 v4, 0x5f7ffffc, v4
	v_mul_f32_e32 v5, 0x2f800000, v4
	v_trunc_f32_e32 v5, v5
	v_fmac_f32_e32 v4, 0xcf800000, v5
	v_cvt_u32_f32_e32 v5, v5
	v_cvt_u32_f32_e32 v4, v4
	v_readfirstlane_b32 s6, v5
	v_readfirstlane_b32 s0, v4
	s_mul_i32 s1, s2, s6
	s_mul_hi_u32 s8, s2, s0
	s_mul_i32 s7, s3, s0
	s_add_i32 s1, s8, s1
	s_mul_i32 s9, s2, s0
	s_add_i32 s1, s1, s7
	s_mul_hi_u32 s8, s0, s9
	s_mul_i32 s14, s0, s1
	s_mul_hi_u32 s7, s0, s1
	s_add_u32 s8, s8, s14
	s_addc_u32 s7, 0, s7
	s_mul_hi_u32 s15, s6, s9
	s_mul_i32 s9, s6, s9
	s_add_u32 s8, s8, s9
	s_mul_hi_u32 s14, s6, s1
	s_addc_u32 s7, s7, s15
	s_addc_u32 s8, s14, 0
	s_mul_i32 s1, s6, s1
	s_add_u32 s1, s7, s1
	s_addc_u32 s7, 0, s8
	s_add_u32 s8, s0, s1
	s_cselect_b64 s[0:1], -1, 0
	s_cmp_lg_u64 s[0:1], 0
	s_addc_u32 s6, s6, s7
	s_mul_i32 s0, s2, s6
	s_mul_hi_u32 s1, s2, s8
	s_add_i32 s0, s1, s0
	s_mul_i32 s3, s3, s8
	s_add_i32 s0, s0, s3
	s_mul_i32 s2, s2, s8
	s_mul_hi_u32 s3, s6, s2
	s_mul_i32 s7, s6, s2
	s_mul_i32 s14, s8, s0
	s_mul_hi_u32 s2, s8, s2
	s_mul_hi_u32 s9, s8, s0
	s_add_u32 s2, s2, s14
	s_addc_u32 s9, 0, s9
	s_add_u32 s2, s2, s7
	s_mul_hi_u32 s1, s6, s0
	s_addc_u32 s2, s9, s3
	s_addc_u32 s1, s1, 0
	s_mul_i32 s0, s6, s0
	s_add_u32 s0, s2, s0
	s_addc_u32 s2, 0, s1
	s_add_u32 s3, s8, s0
	s_cselect_b64 s[0:1], -1, 0
	s_cmp_lg_u64 s[0:1], 0
	s_addc_u32 s0, s6, s2
	s_mul_i32 s2, s56, s0
	s_mul_hi_u32 s6, s56, s3
	s_mul_hi_u32 s1, s56, s0
	s_add_u32 s2, s6, s2
	s_addc_u32 s1, 0, s1
	s_mul_hi_u32 s7, s57, s3
	s_mul_i32 s3, s57, s3
	s_add_u32 s2, s2, s3
	s_mul_hi_u32 s6, s57, s0
	s_addc_u32 s1, s1, s7
	s_addc_u32 s2, s6, 0
	s_mul_i32 s0, s57, s0
	s_add_u32 s0, s1, s0
	s_addc_u32 s1, 0, s2
	s_mul_i32 s1, s80, s1
	s_mul_hi_u32 s2, s80, s0
	s_add_i32 s2, s2, s1
	s_mul_i32 s0, s80, s0
	s_sub_u32 s3, s56, s0
	s_cselect_b64 s[0:1], -1, 0
	s_cmp_lg_u64 s[0:1], 0
	s_subb_u32 s2, s57, s2
	s_sub_u32 s6, s3, s80
	s_cselect_b64 s[0:1], -1, 0
	s_cmp_lg_u64 s[0:1], 0
	s_subb_u32 s7, s2, 0
	;; [unrolled: 4-line block ×3, first 2 shown]
	s_cmp_ge_u32 s6, s80
	s_cselect_b32 s1, -1, 0
	s_cmp_eq_u32 s7, 0
	s_cselect_b32 s1, s1, -1
	s_cmp_lg_u32 s1, 0
	s_cselect_b32 s0, s0, s7
	s_cselect_b32 s6, s8, s6
	s_cmp_ge_u32 s3, s80
	s_cselect_b32 s1, -1, 0
	s_cmp_eq_u32 s2, 0
	s_cselect_b32 s1, s1, -1
	s_cmp_lg_u32 s1, 0
	s_cselect_b32 s1, s0, s2
	s_cselect_b32 s0, s6, s3
	s_cbranch_execnz .LBB79_70
.LBB79_69:                              ;   in Loop: Header=BB79_34 Depth=1
	v_cvt_f32_u32_e32 v4, s80
	s_sub_i32 s0, 0, s80
	v_rcp_iflag_f32_e32 v4, v4
	s_nop 0
	v_mul_f32_e32 v4, 0x4f7ffffe, v4
	v_cvt_u32_f32_e32 v4, v4
	s_nop 0
	v_readfirstlane_b32 s1, v4
	s_mul_i32 s0, s0, s1
	s_mul_hi_u32 s0, s1, s0
	s_add_i32 s1, s1, s0
	s_mul_hi_u32 s0, s56, s1
	s_mul_i32 s0, s0, s80
	s_sub_i32 s0, s56, s0
	s_sub_i32 s1, s0, s80
	s_cmp_ge_u32 s0, s80
	s_cselect_b32 s0, s1, s0
	s_sub_i32 s1, s0, s80
	s_cmp_ge_u32 s0, s80
	s_cselect_b32 s0, s1, s0
	s_mov_b32 s1, s81
.LBB79_70:                              ;   in Loop: Header=BB79_34 Depth=1
	s_sub_u32 s92, s56, s0
	s_subb_u32 s93, s57, s1
	v_and_b32_e32 v2, 0xffff, v2
	v_cmp_gt_u64_e32 vcc, s[92:93], v[14:15]
	v_mov_b64_e32 v[4:5], 0
	v_mov_b64_e32 v[6:7], 0
	;; [unrolled: 1-line block ×4, first 2 shown]
	s_and_saveexec_b64 s[94:95], vcc
	s_cbranch_execz .LBB79_74
; %bb.71:                               ;   in Loop: Header=BB79_34 Depth=1
	v_readlane_b32 s0, v65, 30
	v_readlane_b32 s1, v65, 31
	s_mov_b64 s[8:9], 0
	v_mul_hi_u32 v5, s0, v2
	v_mul_lo_u32 v4, s1, v2
	v_add_u32_e32 v35, v5, v4
	v_mul_lo_u32 v34, s0, v2
	v_mov_b64_e32 v[36:37], s[78:79]
	s_mov_b64 s[6:7], 0
	s_mov_b64 s[14:15], 0
	;; [unrolled: 1-line block ×4, first 2 shown]
	v_mov_b64_e32 v[38:39], v[14:15]
.LBB79_72:                              ;   Parent Loop BB79_34 Depth=1
                                        ; =>  This Inner Loop Header: Depth=2
	v_lshl_add_u64 v[4:5], v[36:37], 0, v[30:31]
	v_lshl_add_u64 v[6:7], v[36:37], 0, v[28:29]
	;; [unrolled: 1-line block ×4, first 2 shown]
	global_load_ubyte v4, v[4:5], off
	s_nop 0
	global_load_ubyte v5, v[6:7], off
	s_nop 0
	global_load_ubyte v6, v[8:9], off
	global_load_ubyte v7, v[10:11], off
	v_lshl_add_u64 v[38:39], v[38:39], 0, s[80:81]
	v_cmp_le_u64_e32 vcc, s[92:93], v[38:39]
	v_lshl_add_u64 v[36:37], v[36:37], 0, v[34:35]
	s_waitcnt vmcnt(3)
	v_and_b32_e32 v8, v47, v4
	v_bfe_u32 v4, v4, s91, 2
	s_waitcnt vmcnt(2)
	v_and_b32_e32 v9, v47, v5
	v_bfe_u32 v5, v5, s91, 2
	v_cmp_eq_u32_e64 s[20:21], v8, v44
	v_cmp_eq_u32_e64 s[2:3], 0, v4
	s_waitcnt vmcnt(1)
	v_and_b32_e32 v10, v47, v6
	v_bfe_u32 v6, v6, s91, 2
	v_cmp_eq_u32_e64 s[18:19], v9, v44
	v_cmp_eq_u32_e64 s[34:35], 0, v5
	s_and_b64 s[2:3], s[20:21], s[2:3]
	s_waitcnt vmcnt(0)
	v_and_b32_e32 v11, v47, v7
	v_bfe_u32 v7, v7, s91, 2
	v_cmp_eq_u32_e64 s[16:17], v10, v44
	v_cmp_eq_u32_e64 s[36:37], 0, v6
	;; [unrolled: 1-line block ×5, first 2 shown]
	v_cndmask_b32_e64 v4, 0, 1, s[2:3]
	s_and_b64 s[2:3], s[18:19], s[34:35]
	v_cmp_eq_u32_e64 s[0:1], v11, v44
	v_cmp_eq_u32_e64 s[38:39], 0, v7
	;; [unrolled: 1-line block ×5, first 2 shown]
	v_cndmask_b32_e64 v5, 0, 1, s[2:3]
	s_and_b64 s[2:3], s[16:17], s[36:37]
	v_cmp_eq_u32_e64 s[44:45], 1, v6
	v_cmp_eq_u32_e64 s[52:53], 2, v6
	;; [unrolled: 1-line block ×3, first 2 shown]
	v_cndmask_b32_e64 v6, 0, 1, s[2:3]
	s_and_b64 s[2:3], s[0:1], s[38:39]
	v_cmp_eq_u32_e64 s[46:47], 1, v7
	v_cmp_eq_u32_e64 s[54:55], 2, v7
	;; [unrolled: 1-line block ×3, first 2 shown]
	v_cndmask_b32_e64 v7, 0, 1, s[2:3]
	v_cmp_ne_u32_e64 s[2:3], 0, v4
	v_cmp_ne_u32_e64 s[34:35], 0, v5
	;; [unrolled: 1-line block ×4, first 2 shown]
	s_bcnt1_i32_b64 s2, s[2:3]
	s_bcnt1_i32_b64 s3, s[34:35]
	;; [unrolled: 1-line block ×4, first 2 shown]
	s_add_u32 s2, s2, s86
	s_addc_u32 s36, 0, s87
	s_add_u32 s2, s2, s3
	s_addc_u32 s3, s36, 0
	;; [unrolled: 2-line block ×4, first 2 shown]
	s_and_b64 s[2:3], s[20:21], s[40:41]
	v_cndmask_b32_e64 v6, 0, 1, s[2:3]
	s_and_b64 s[2:3], s[18:19], s[42:43]
	v_cndmask_b32_e64 v7, 0, 1, s[2:3]
	;; [unrolled: 2-line block ×4, first 2 shown]
	v_cmp_ne_u32_e64 s[2:3], 0, v6
	v_cmp_ne_u32_e64 s[34:35], 0, v7
	;; [unrolled: 1-line block ×4, first 2 shown]
	s_bcnt1_i32_b64 s2, s[2:3]
	s_bcnt1_i32_b64 s3, s[34:35]
	;; [unrolled: 1-line block ×4, first 2 shown]
	s_add_u32 s2, s2, s82
	s_addc_u32 s36, 0, s83
	s_add_u32 s2, s2, s3
	s_addc_u32 s3, s36, 0
	;; [unrolled: 2-line block ×4, first 2 shown]
	s_and_b64 s[2:3], s[20:21], s[48:49]
	v_cndmask_b32_e64 v8, 0, 1, s[2:3]
	s_and_b64 s[2:3], s[18:19], s[50:51]
	v_cndmask_b32_e64 v9, 0, 1, s[2:3]
	;; [unrolled: 2-line block ×4, first 2 shown]
	v_cmp_ne_u32_e64 s[2:3], 0, v8
	v_cmp_ne_u32_e64 s[34:35], 0, v9
	;; [unrolled: 1-line block ×4, first 2 shown]
	s_bcnt1_i32_b64 s2, s[2:3]
	s_bcnt1_i32_b64 s3, s[34:35]
	;; [unrolled: 1-line block ×4, first 2 shown]
	s_add_u32 s2, s2, s14
	s_addc_u32 s14, 0, s15
	s_add_u32 s2, s2, s3
	s_addc_u32 s3, s14, 0
	;; [unrolled: 2-line block ×4, first 2 shown]
	s_and_b64 s[2:3], s[20:21], s[28:29]
	v_cndmask_b32_e64 v10, 0, 1, s[2:3]
	s_and_b64 s[2:3], s[18:19], s[26:27]
	v_cndmask_b32_e64 v11, 0, 1, s[2:3]
	s_and_b64 s[2:3], s[16:17], s[24:25]
	s_and_b64 s[0:1], s[0:1], s[22:23]
	v_cndmask_b32_e64 v49, 0, 1, s[2:3]
	v_cndmask_b32_e64 v52, 0, 1, s[0:1]
	v_cmp_ne_u32_e64 s[0:1], 0, v10
	v_cmp_ne_u32_e64 s[2:3], 0, v11
	;; [unrolled: 1-line block ×4, first 2 shown]
	s_bcnt1_i32_b64 s0, s[0:1]
	s_bcnt1_i32_b64 s1, s[2:3]
	;; [unrolled: 1-line block ×4, first 2 shown]
	s_add_u32 s0, s0, s6
	s_addc_u32 s6, 0, s7
	s_add_u32 s0, s0, s1
	s_addc_u32 s1, s6, 0
	s_add_u32 s0, s0, s2
	s_addc_u32 s1, s1, 0
	s_add_u32 s6, s0, s3
	s_addc_u32 s7, s1, 0
	v_mov_b64_e32 v[4:5], s[86:87]
	v_mov_b64_e32 v[6:7], s[82:83]
	;; [unrolled: 1-line block ×3, first 2 shown]
	s_or_b64 s[8:9], vcc, s[8:9]
	v_mov_b64_e32 v[10:11], s[6:7]
	s_andn2_b64 exec, exec, s[8:9]
	s_cbranch_execnz .LBB79_72
; %bb.73:                               ;   in Loop: Header=BB79_34 Depth=1
	s_or_b64 exec, exec, s[8:9]
	v_readlane_b32 s82, v65, 35
	v_readlane_b32 s54, v65, 37
	;; [unrolled: 1-line block ×9, first 2 shown]
.LBB79_74:                              ;   in Loop: Header=BB79_34 Depth=1
	s_or_b64 exec, exec, s[94:95]
	v_lshl_add_u64 v[34:35], s[92:93], 0, v[0:1]
	v_cmp_gt_u64_e32 vcc, s[56:57], v[34:35]
	s_and_saveexec_b64 s[2:3], vcc
	s_mov_b32 s92, 0xc0c0004
	s_cbranch_execz .LBB79_80
; %bb.75:                               ;   in Loop: Header=BB79_34 Depth=1
	v_mov_b64_e32 v[36:37], s[78:79]
	v_mad_u64_u32 v[36:37], s[0:1], v34, s60, v[36:37]
	v_mul_lo_u32 v38, v34, s61
	v_mul_lo_u32 v39, v35, s60
	v_add3_u32 v37, v39, v37, v38
	global_load_ubyte v37, v[36:37], off
	s_mov_b64 s[6:7], 0
	s_branch .LBB79_77
.LBB79_76:                              ;   in Loop: Header=BB79_77 Depth=2
	s_or_b64 exec, exec, s[8:9]
	s_waitcnt vmcnt(0)
	v_and_b32_e32 v38, 0xff, v37
	v_bitop3_b32 v37, v47, v37, s33 bitop3:0x80
	s_and_b64 s[0:1], exec, vcc
	v_cmp_eq_u32_e32 vcc, v37, v44
	v_bfe_u32 v37, v38, s91, 2
	s_or_b64 s[6:7], s[0:1], s[6:7]
	v_cmp_eq_u32_e64 s[0:1], 0, v37
	s_and_b64 s[0:1], vcc, s[0:1]
	s_nop 0
	v_cndmask_b32_e64 v38, 0, 1, s[0:1]
	v_cmp_ne_u32_e64 s[0:1], 0, v38
	s_bcnt1_i32_b64 s80, s[0:1]
	v_cmp_eq_u32_e64 s[0:1], 1, v37
	s_and_b64 s[0:1], vcc, s[0:1]
	v_lshl_add_u64 v[4:5], s[80:81], 0, v[4:5]
	v_cndmask_b32_e64 v38, 0, 1, s[0:1]
	v_cmp_ne_u32_e64 s[0:1], 0, v38
	s_bcnt1_i32_b64 s80, s[0:1]
	v_cmp_eq_u32_e64 s[0:1], 2, v37
	s_and_b64 s[0:1], vcc, s[0:1]
	v_lshl_add_u64 v[6:7], s[80:81], 0, v[6:7]
	;; [unrolled: 6-line block ×3, first 2 shown]
	v_cndmask_b32_e64 v37, 0, 1, s[0:1]
	v_cmp_ne_u32_e32 vcc, 0, v37
	s_bcnt1_i32_b64 s80, vcc
	v_lshl_add_u64 v[10:11], s[80:81], 0, v[10:11]
	v_mov_b32_e32 v37, v36
	s_andn2_b64 exec, exec, s[6:7]
	s_cbranch_execz .LBB79_79
.LBB79_77:                              ;   Parent Loop BB79_34 Depth=1
                                        ; =>  This Inner Loop Header: Depth=2
	v_lshl_add_u64 v[34:35], v[34:35], 0, v[2:3]
	v_cmp_gt_u64_e64 s[0:1], s[56:57], v[34:35]
	v_cmp_le_u64_e32 vcc, s[56:57], v[34:35]
	v_mov_b32_e32 v36, 0
	s_and_saveexec_b64 s[8:9], s[0:1]
	s_cbranch_execz .LBB79_76
; %bb.78:                               ;   in Loop: Header=BB79_77 Depth=2
	v_mov_b64_e32 v[38:39], s[78:79]
	v_mad_u64_u32 v[38:39], s[0:1], v34, s60, v[38:39]
	v_mul_lo_u32 v36, v34, s61
	v_mul_lo_u32 v49, v35, s60
	v_add3_u32 v39, v49, v39, v36
	global_load_ubyte v36, v[38:39], off
	s_branch .LBB79_76
.LBB79_79:                              ;   in Loop: Header=BB79_34 Depth=1
	s_or_b64 exec, exec, s[6:7]
.LBB79_80:                              ;   in Loop: Header=BB79_34 Depth=1
	s_or_b64 exec, exec, s[2:3]
	s_mov_b64 s[0:1], 0
.LBB79_81:                              ;   in Loop: Header=BB79_34 Depth=1
	s_and_b64 vcc, exec, s[0:1]
	s_cbranch_vccz .LBB79_91
; %bb.82:                               ;   in Loop: Header=BB79_34 Depth=1
	global_load_ushort v2, v3, s[54:55]
	v_mov_b64_e32 v[8:9], 0
	s_waitcnt vmcnt(0)
	v_readfirstlane_b32 s0, v2
	s_and_b32 s88, 0xffff, s0
	s_lshl_b32 s80, s88, 2
	v_cvt_f32_u32_e32 v4, s80
	s_sub_i32 s0, 0, s80
	v_rcp_iflag_f32_e32 v6, v4
	v_mov_b64_e32 v[4:5], 0
	v_mul_f32_e32 v6, 0x4f7ffffe, v6
	v_cvt_u32_f32_e32 v10, v6
	v_mov_b64_e32 v[6:7], 0
	v_readfirstlane_b32 s1, v10
	s_mul_i32 s0, s0, s1
	s_mul_hi_u32 s0, s1, s0
	s_add_i32 s1, s1, s0
	s_mul_hi_u32 s0, s96, s1
	s_mul_i32 s1, s0, s80
	s_sub_i32 s1, s96, s1
	s_add_i32 s2, s0, 1
	s_sub_i32 s3, s1, s80
	s_cmp_ge_u32 s1, s80
	s_cselect_b32 s0, s2, s0
	s_cselect_b32 s1, s3, s1
	s_add_i32 s2, s0, 1
	s_cmp_ge_u32 s1, s80
	s_cselect_b32 s0, s2, s0
	s_mul_hi_u32 s93, s88, s0
	s_mul_i32 s92, s88, s0
	s_lshl_b64 s[94:95], s[92:93], 2
	v_cmp_gt_u64_e32 vcc, s[94:95], v[14:15]
	v_mov_b64_e32 v[10:11], 0
	s_and_saveexec_b64 s[8:9], vcc
	s_cbranch_execz .LBB79_86
; %bb.83:                               ;   in Loop: Header=BB79_34 Depth=1
	s_mov_b64 s[84:85], s[98:99]
	s_mov_b64 s[14:15], 0
	v_mov_b32_e32 v36, v14
	s_mov_b64 s[86:87], 0
	s_mov_b64 s[6:7], 0
	;; [unrolled: 1-line block ×4, first 2 shown]
	v_mov_b64_e32 v[34:35], v[14:15]
.LBB79_84:                              ;   Parent Loop BB79_34 Depth=1
                                        ; =>  This Inner Loop Header: Depth=2
	ds_read_b32 v4, v36
	v_lshl_add_u64 v[34:35], v[34:35], 0, s[80:81]
	v_cmp_le_u64_e32 vcc, s[94:95], v[34:35]
	v_add_u32_e32 v36, s80, v36
	s_waitcnt lgkmcnt(0)
	v_and_b32_e32 v8, 0xff, v4
	v_lshrrev_b32_e32 v5, 16, v4
	v_lshrrev_b32_e32 v6, 8, v4
	;; [unrolled: 1-line block ×3, first 2 shown]
	v_bfe_u32 v9, v4, 8, 8
	v_bfe_u32 v10, v4, 16, 8
	v_bitop3_b32 v4, v47, v4, s33 bitop3:0x80
	v_bfe_u32 v8, v8, s91, 2
	v_cmp_eq_u32_e64 s[18:19], v4, v44
	v_bitop3_b32 v4, v47, v6, s33 bitop3:0x80
	v_bfe_u32 v9, v9, s91, 2
	v_cmp_eq_u32_e64 s[2:3], 0, v8
	;; [unrolled: 3-line block ×3, first 2 shown]
	v_cmp_eq_u32_e64 s[34:35], 0, v9
	s_and_b64 s[2:3], s[18:19], s[2:3]
	v_and_b32_e32 v6, v47, v7
	v_bfe_u32 v7, v7, s91, 2
	v_cmp_eq_u32_e64 s[16:17], v5, v44
	v_cmp_eq_u32_e64 s[36:37], 0, v10
	v_cndmask_b32_e64 v4, 0, 1, s[2:3]
	s_and_b64 s[2:3], s[20:21], s[34:35]
	v_cmp_eq_u32_e64 s[0:1], v6, v44
	v_cmp_eq_u32_e64 s[38:39], 0, v7
	v_cndmask_b32_e64 v5, 0, 1, s[2:3]
	s_and_b64 s[2:3], s[16:17], s[36:37]
	v_cndmask_b32_e64 v6, 0, 1, s[2:3]
	s_and_b64 s[2:3], s[0:1], s[38:39]
	v_cmp_eq_u32_e64 s[46:47], 1, v7
	v_cmp_eq_u32_e64 s[54:55], 2, v7
	;; [unrolled: 1-line block ×3, first 2 shown]
	v_cndmask_b32_e64 v7, 0, 1, s[2:3]
	v_cmp_ne_u32_e64 s[2:3], 0, v4
	v_cmp_ne_u32_e64 s[34:35], 0, v5
	;; [unrolled: 1-line block ×4, first 2 shown]
	s_bcnt1_i32_b64 s2, s[2:3]
	s_bcnt1_i32_b64 s3, s[34:35]
	s_bcnt1_i32_b64 s34, s[36:37]
	s_bcnt1_i32_b64 s35, s[38:39]
	s_add_u32 s2, s2, s82
	s_addc_u32 s36, 0, s83
	s_add_u32 s2, s2, s3
	s_addc_u32 s3, s36, 0
	;; [unrolled: 2-line block ×3, first 2 shown]
	v_cmp_eq_u32_e64 s[40:41], 1, v8
	s_add_u32 s82, s2, s35
	v_cmp_eq_u32_e64 s[42:43], 1, v9
	s_addc_u32 s83, s3, 0
	s_and_b64 s[2:3], s[18:19], s[40:41]
	v_cmp_eq_u32_e64 s[44:45], 1, v10
	v_cndmask_b32_e64 v6, 0, 1, s[2:3]
	s_and_b64 s[2:3], s[20:21], s[42:43]
	v_cndmask_b32_e64 v7, 0, 1, s[2:3]
	s_and_b64 s[2:3], s[16:17], s[44:45]
	v_cmp_eq_u32_e64 s[48:49], 2, v8
	v_cmp_eq_u32_e64 s[28:29], 3, v8
	v_cndmask_b32_e64 v8, 0, 1, s[2:3]
	s_and_b64 s[2:3], s[0:1], s[46:47]
	v_cmp_eq_u32_e64 s[50:51], 2, v9
	v_cmp_eq_u32_e64 s[26:27], 3, v9
	v_cndmask_b32_e64 v9, 0, 1, s[2:3]
	v_cmp_ne_u32_e64 s[2:3], 0, v6
	v_cmp_ne_u32_e64 s[34:35], 0, v7
	v_cmp_ne_u32_e64 s[36:37], 0, v8
	v_cmp_ne_u32_e64 s[38:39], 0, v9
	s_bcnt1_i32_b64 s2, s[2:3]
	s_bcnt1_i32_b64 s3, s[34:35]
	;; [unrolled: 1-line block ×4, first 2 shown]
	s_add_u32 s2, s2, s98
	s_addc_u32 s36, 0, s99
	s_add_u32 s2, s2, s3
	s_addc_u32 s3, s36, 0
	s_add_u32 s2, s2, s34
	s_addc_u32 s3, s3, 0
	s_add_u32 s98, s2, s35
	s_addc_u32 s99, s3, 0
	s_and_b64 s[2:3], s[18:19], s[48:49]
	v_cmp_eq_u32_e64 s[52:53], 2, v10
	v_cndmask_b32_e64 v8, 0, 1, s[2:3]
	s_and_b64 s[2:3], s[20:21], s[50:51]
	v_cndmask_b32_e64 v9, 0, 1, s[2:3]
	s_and_b64 s[2:3], s[16:17], s[52:53]
	v_cmp_eq_u32_e64 s[24:25], 3, v10
	v_cndmask_b32_e64 v10, 0, 1, s[2:3]
	s_and_b64 s[2:3], s[0:1], s[54:55]
	v_cndmask_b32_e64 v11, 0, 1, s[2:3]
	v_cmp_ne_u32_e64 s[2:3], 0, v8
	v_cmp_ne_u32_e64 s[34:35], 0, v9
	v_cmp_ne_u32_e64 s[36:37], 0, v10
	v_cmp_ne_u32_e64 s[38:39], 0, v11
	s_bcnt1_i32_b64 s2, s[2:3]
	s_bcnt1_i32_b64 s3, s[34:35]
	;; [unrolled: 1-line block ×4, first 2 shown]
	s_add_u32 s2, s2, s6
	s_addc_u32 s6, 0, s7
	s_add_u32 s2, s2, s3
	s_addc_u32 s3, s6, 0
	s_add_u32 s2, s2, s34
	s_addc_u32 s3, s3, 0
	s_add_u32 s6, s2, s35
	s_addc_u32 s7, s3, 0
	s_and_b64 s[2:3], s[18:19], s[28:29]
	v_cndmask_b32_e64 v10, 0, 1, s[2:3]
	s_and_b64 s[2:3], s[20:21], s[26:27]
	v_cndmask_b32_e64 v11, 0, 1, s[2:3]
	s_and_b64 s[2:3], s[16:17], s[24:25]
	s_and_b64 s[0:1], s[0:1], s[22:23]
	v_cndmask_b32_e64 v37, 0, 1, s[2:3]
	v_cndmask_b32_e64 v38, 0, 1, s[0:1]
	v_cmp_ne_u32_e64 s[0:1], 0, v10
	v_cmp_ne_u32_e64 s[2:3], 0, v11
	;; [unrolled: 1-line block ×4, first 2 shown]
	s_bcnt1_i32_b64 s0, s[0:1]
	s_bcnt1_i32_b64 s1, s[2:3]
	;; [unrolled: 1-line block ×4, first 2 shown]
	s_add_u32 s0, s0, s86
	s_addc_u32 s16, 0, s87
	s_add_u32 s0, s0, s1
	s_addc_u32 s1, s16, 0
	;; [unrolled: 2-line block ×4, first 2 shown]
	v_mov_b64_e32 v[4:5], s[82:83]
	v_mov_b64_e32 v[6:7], s[98:99]
	;; [unrolled: 1-line block ×3, first 2 shown]
	s_or_b64 s[14:15], vcc, s[14:15]
	v_mov_b64_e32 v[10:11], s[86:87]
	s_andn2_b64 exec, exec, s[14:15]
	s_cbranch_execnz .LBB79_84
; %bb.85:                               ;   in Loop: Header=BB79_34 Depth=1
	s_or_b64 exec, exec, s[14:15]
	v_readlane_b32 s82, v65, 35
	v_readlane_b32 s54, v65, 37
	s_mov_b64 s[98:99], s[84:85]
	v_readlane_b32 s83, v65, 36
	v_readlane_b32 s55, v65, 38
	;; [unrolled: 1-line block ×7, first 2 shown]
.LBB79_86:                              ;   in Loop: Header=BB79_34 Depth=1
	s_or_b64 exec, exec, s[8:9]
	s_and_b32 s6, s96, 0x7fffffff
	s_mov_b32 s7, s81
	v_lshl_add_u64 v[34:35], s[94:95], 0, v[0:1]
	v_and_b32_e32 v2, 0xffff, v2
	v_cmp_gt_u64_e32 vcc, s[6:7], v[34:35]
	s_and_saveexec_b64 s[8:9], vcc
	s_cbranch_execz .LBB79_90
; %bb.87:                               ;   in Loop: Header=BB79_34 Depth=1
	v_lshl_add_u32 v36, s92, 2, v0
	s_mov_b64 s[14:15], 0
.LBB79_88:                              ;   Parent Loop BB79_34 Depth=1
                                        ; =>  This Inner Loop Header: Depth=2
	ds_read_u8 v37, v36
	v_lshl_add_u64 v[34:35], v[34:35], 0, v[2:3]
	v_cmp_le_u64_e32 vcc, s[6:7], v[34:35]
	v_add_u32_e32 v36, s88, v36
	s_waitcnt lgkmcnt(0)
	v_and_b32_e32 v38, v47, v37
	v_bfe_u32 v37, v37, s91, 2
	v_cmp_eq_u32_e64 s[0:1], v38, v44
	v_cmp_eq_u32_e64 s[2:3], 0, v37
	;; [unrolled: 1-line block ×3, first 2 shown]
	s_and_b64 s[2:3], s[0:1], s[2:3]
	v_cmp_eq_u32_e64 s[18:19], 2, v37
	v_cmp_eq_u32_e64 s[20:21], 3, v37
	v_cndmask_b32_e64 v37, 0, 1, s[2:3]
	s_and_b64 s[2:3], s[0:1], s[16:17]
	v_cndmask_b32_e64 v38, 0, 1, s[2:3]
	s_and_b64 s[2:3], s[0:1], s[18:19]
	s_and_b64 s[0:1], s[0:1], s[20:21]
	v_cndmask_b32_e64 v49, 0, 1, s[0:1]
	v_cmp_ne_u32_e64 s[0:1], 0, v37
	v_cndmask_b32_e64 v39, 0, 1, s[2:3]
	v_cmp_ne_u32_e64 s[2:3], 0, v38
	s_bcnt1_i32_b64 s80, s[0:1]
	v_cmp_ne_u32_e64 s[16:17], 0, v39
	v_lshl_add_u64 v[4:5], s[80:81], 0, v[4:5]
	s_bcnt1_i32_b64 s80, s[2:3]
	v_cmp_ne_u32_e64 s[18:19], 0, v49
	v_lshl_add_u64 v[6:7], s[80:81], 0, v[6:7]
	s_bcnt1_i32_b64 s80, s[16:17]
	v_lshl_add_u64 v[8:9], s[80:81], 0, v[8:9]
	s_bcnt1_i32_b64 s80, s[18:19]
	s_or_b64 s[14:15], vcc, s[14:15]
	v_lshl_add_u64 v[10:11], s[80:81], 0, v[10:11]
	s_andn2_b64 exec, exec, s[14:15]
	s_cbranch_execnz .LBB79_88
; %bb.89:                               ;   in Loop: Header=BB79_34 Depth=1
	s_or_b64 exec, exec, s[14:15]
.LBB79_90:                              ;   in Loop: Header=BB79_34 Depth=1
	s_or_b64 exec, exec, s[8:9]
	v_readlane_b32 s88, v65, 44
	s_mov_b32 s92, 0xc0c0004
.LBB79_91:                              ;   in Loop: Header=BB79_34 Depth=1
	v_readlane_b32 s0, v65, 34
	s_lshl_b32 s2, s0, 6
	s_and_saveexec_b64 s[0:1], s[4:5]
	s_cbranch_execz .LBB79_93
; %bb.92:                               ;   in Loop: Header=BB79_34 Depth=1
	v_lshl_add_u32 v2, s2, 3, v42
	ds_write_b128 v2, v[4:7]
	ds_write_b128 v2, v[8:11] offset:16
.LBB79_93:                              ;   in Loop: Header=BB79_34 Depth=1
	s_or_b64 exec, exec, s[0:1]
	s_waitcnt lgkmcnt(0)
	s_barrier
	s_and_saveexec_b64 s[0:1], s[98:99]
	s_cbranch_execz .LBB79_105
; %bb.94:                               ;   in Loop: Header=BB79_34 Depth=1
	v_readlane_b32 s6, v65, 16
	v_readlane_b32 s7, v65, 17
	s_andn2_b64 vcc, exec, s[6:7]
	v_mov_b64_e32 v[4:5], 0
	s_cbranch_vccnz .LBB79_104
; %bb.95:                               ;   in Loop: Header=BB79_34 Depth=1
	v_readlane_b32 s6, v65, 25
	v_readlane_b32 s7, v65, 26
	s_andn2_b64 vcc, exec, s[6:7]
	s_cbranch_vccnz .LBB79_100
; %bb.96:                               ;   in Loop: Header=BB79_34 Depth=1
	v_readlane_b32 s3, v65, 34
	v_mov_b64_e32 v[4:5], 0
	s_nop 0
	v_lshl_add_u32 v2, s3, 9, v43
	s_mov_b32 s3, 0
.LBB79_97:                              ;   Parent Loop BB79_34 Depth=1
                                        ; =>  This Inner Loop Header: Depth=2
	ds_read2_b64 v[6:9], v2 offset1:4
	ds_read2_b64 v[34:37], v2 offset0:8 offset1:12
	ds_read2_b64 v[52:55], v2 offset0:16 offset1:20
	;; [unrolled: 1-line block ×3, first 2 shown]
	s_add_i32 s3, s3, 8
	s_waitcnt lgkmcnt(3)
	v_lshl_add_u64 v[4:5], v[6:7], 0, v[4:5]
	v_lshl_add_u64 v[4:5], v[8:9], 0, v[4:5]
	s_waitcnt lgkmcnt(2)
	v_lshl_add_u64 v[4:5], v[34:35], 0, v[4:5]
	v_lshl_add_u64 v[4:5], v[36:37], 0, v[4:5]
	;; [unrolled: 3-line block ×3, first 2 shown]
	s_waitcnt lgkmcnt(0)
	v_lshl_add_u64 v[4:5], v[56:57], 0, v[4:5]
	v_add_u32_e32 v2, 0x100, v2
	s_cmp_eq_u32 s90, s3
	v_lshl_add_u64 v[4:5], v[58:59], 0, v[4:5]
	s_cbranch_scc0 .LBB79_97
; %bb.98:                               ;   in Loop: Header=BB79_34 Depth=1
	s_mov_b32 s3, s90
	s_branch .LBB79_101
.LBB79_99:                              ;   in Loop: Header=BB79_34 Depth=1
                                        ; implicit-def: $sgpr0_sgpr1
	s_branch .LBB79_69
.LBB79_100:                             ;   in Loop: Header=BB79_34 Depth=1
	s_mov_b32 s3, 0
	v_mov_b64_e32 v[4:5], 0
.LBB79_101:                             ;   in Loop: Header=BB79_34 Depth=1
	v_readlane_b32 s6, v65, 28
	v_readlane_b32 s7, v65, 29
	s_andn2_b64 vcc, exec, s[6:7]
	s_cbranch_vccnz .LBB79_104
; %bb.102:                              ;   in Loop: Header=BB79_34 Depth=1
	v_readlane_b32 s6, v65, 34
	s_lshl_b32 s6, s6, 9
	s_lshl_b32 s3, s3, 5
	s_add_i32 s6, s6, s3
	v_add_u32_e32 v2, s6, v43
	v_readlane_b32 s3, v65, 27
.LBB79_103:                             ;   Parent Loop BB79_34 Depth=1
                                        ; =>  This Inner Loop Header: Depth=2
	ds_read_b64 v[6:7], v2
	s_add_i32 s3, s3, -1
	v_add_u32_e32 v2, 32, v2
	s_cmp_lg_u32 s3, 0
	s_waitcnt lgkmcnt(0)
	v_lshl_add_u64 v[4:5], v[6:7], 0, v[4:5]
	s_cbranch_scc1 .LBB79_103
.LBB79_104:                             ;   in Loop: Header=BB79_34 Depth=1
	v_add_lshl_u32 v2, s2, v40, 3
	ds_write_b64 v2, v[4:5] offset:3072
.LBB79_105:                             ;   in Loop: Header=BB79_34 Depth=1
	s_or_b64 exec, exec, s[0:1]
	s_lshl_b32 s0, s2, 3
	v_mov_b32_e32 v2, s0
	s_waitcnt lgkmcnt(0)
	s_barrier
	ds_read_b128 v[8:11], v2 offset:3088
	ds_read_b128 v[4:7], v2 offset:3072
	s_lshl_b32 s86, 3, s91
	v_cmp_eq_u64_e64 s[0:1], 1, v[32:33]
	s_not_b32 s52, s86
	s_waitcnt lgkmcnt(1)
	v_readfirstlane_b32 s22, v8
	s_waitcnt lgkmcnt(0)
	v_cmp_eq_u64_e32 vcc, 1, v[4:5]
	v_readfirstlane_b32 s23, v9
	v_readfirstlane_b32 s2, v10
	;; [unrolled: 1-line block ×3, first 2 shown]
	s_and_b64 s[18:19], vcc, s[0:1]
	s_mov_b64 s[0:1], -1
	s_mov_b64 s[6:7], -1
                                        ; implicit-def: $sgpr14_sgpr15
                                        ; implicit-def: $sgpr8_sgpr9
	s_and_saveexec_b64 s[16:17], s[18:19]
	s_cbranch_execz .LBB79_143
; %bb.106:                              ;   in Loop: Header=BB79_34 Depth=1
	ds_read_b64 v[8:9], v3 offset:5120
	s_waitcnt lgkmcnt(0)
	s_barrier
	v_readfirstlane_b32 s20, v8
	v_readfirstlane_b32 s21, v9
	s_mov_b64 s[6:7], exec
	v_readlane_b32 s8, v65, 12
	v_readlane_b32 s9, v65, 13
	s_and_b64 s[8:9], s[6:7], s[8:9]
	s_mov_b64 exec, s[8:9]
; %bb.107:                              ;   in Loop: Header=BB79_34 Depth=1
	ds_write_b8 v0, v3 offset:3072
; %bb.108:                              ;   in Loop: Header=BB79_34 Depth=1
	s_or_b64 exec, exec, s[6:7]
	v_and_b32_e32 v44, s52, v44
	v_or_b32_e32 v47, s86, v47
	s_mov_b64 s[8:9], -1
	s_mov_b64 s[14:15], 0
	s_cmp_eq_u64 s[20:21], 0
	s_mov_b64 s[6:7], 0
	s_mov_b64 s[24:25], -1
	s_waitcnt lgkmcnt(0)
	s_barrier
                                        ; implicit-def: $vgpr48
	s_cbranch_scc1 .LBB79_122
; %bb.109:                              ;   in Loop: Header=BB79_34 Depth=1
	v_readlane_b32 s6, v65, 18
	s_add_u32 s28, s20, s6
	v_readlane_b32 s6, v65, 20
	s_addc_u32 s7, s21, s6
	s_mov_b32 s6, s81
	s_cmp_lg_u64 s[6:7], 0
	s_cbranch_scc0 .LBB79_125
; %bb.110:                              ;   in Loop: Header=BB79_34 Depth=1
	v_cvt_f32_u32_e32 v2, s76
	s_sub_u32 s6, 0, s76
	s_subb_u32 s26, 0, 0
	v_fmac_f32_e32 v2, 0, v45
	v_rcp_f32_e32 v2, v2
	s_nop 0
	v_mul_f32_e32 v2, 0x5f7ffffc, v2
	v_mul_f32_e32 v8, 0x2f800000, v2
	v_trunc_f32_e32 v8, v8
	v_fmac_f32_e32 v2, 0xcf800000, v8
	v_cvt_u32_f32_e32 v8, v8
	v_cvt_u32_f32_e32 v2, v2
	v_readfirstlane_b32 s27, v8
	v_readfirstlane_b32 s24, v2
	s_mul_i32 s25, s6, s27
	s_mul_hi_u32 s34, s6, s24
	s_mul_i32 s29, s26, s24
	s_add_i32 s25, s34, s25
	s_mul_i32 s35, s6, s24
	s_add_i32 s25, s25, s29
	s_mul_hi_u32 s34, s24, s35
	s_mul_i32 s36, s24, s25
	s_mul_hi_u32 s29, s24, s25
	s_add_u32 s34, s34, s36
	s_addc_u32 s29, 0, s29
	s_mul_hi_u32 s37, s27, s35
	s_mul_i32 s35, s27, s35
	s_add_u32 s34, s34, s35
	s_mul_hi_u32 s36, s27, s25
	s_addc_u32 s29, s29, s37
	s_addc_u32 s34, s36, 0
	s_mul_i32 s25, s27, s25
	s_add_u32 s25, s29, s25
	s_addc_u32 s29, 0, s34
	s_add_u32 s34, s24, s25
	s_cselect_b64 s[24:25], -1, 0
	s_cmp_lg_u64 s[24:25], 0
	s_addc_u32 s27, s27, s29
	s_mul_i32 s24, s6, s27
	s_mul_hi_u32 s25, s6, s34
	s_add_i32 s24, s25, s24
	s_mul_i32 s26, s26, s34
	s_add_i32 s24, s24, s26
	s_mul_i32 s6, s6, s34
	s_mul_hi_u32 s26, s27, s6
	s_mul_i32 s29, s27, s6
	s_mul_i32 s36, s34, s24
	s_mul_hi_u32 s6, s34, s6
	s_mul_hi_u32 s35, s34, s24
	s_add_u32 s6, s6, s36
	s_addc_u32 s35, 0, s35
	s_add_u32 s6, s6, s29
	s_mul_hi_u32 s25, s27, s24
	s_addc_u32 s6, s35, s26
	s_addc_u32 s25, s25, 0
	s_mul_i32 s24, s27, s24
	s_add_u32 s6, s6, s24
	s_addc_u32 s26, 0, s25
	s_add_u32 s6, s34, s6
	s_cselect_b64 s[24:25], -1, 0
	s_cmp_lg_u64 s[24:25], 0
	s_addc_u32 s24, s27, s26
	s_mul_i32 s26, s28, s24
	s_mul_hi_u32 s27, s28, s6
	s_mul_hi_u32 s25, s28, s24
	s_add_u32 s26, s27, s26
	s_addc_u32 s25, 0, s25
	s_mul_hi_u32 s29, s7, s6
	s_mul_i32 s6, s7, s6
	s_add_u32 s6, s26, s6
	s_mul_hi_u32 s27, s7, s24
	s_addc_u32 s6, s25, s29
	s_addc_u32 s25, s27, 0
	s_mul_i32 s24, s7, s24
	s_add_u32 s6, s6, s24
	s_addc_u32 s24, 0, s25
	s_mul_i32 s24, s76, s24
	s_mul_hi_u32 s25, s76, s6
	s_add_i32 s26, s25, s24
	s_mul_i32 s6, s76, s6
	s_sub_u32 s6, s28, s6
	s_cselect_b64 s[24:25], -1, 0
	s_cmp_lg_u64 s[24:25], 0
	s_subb_u32 s26, s7, s26
	s_sub_u32 s27, s6, s76
	s_cselect_b64 s[24:25], -1, 0
	s_cmp_lg_u64 s[24:25], 0
	s_subb_u32 s29, s26, 0
	;; [unrolled: 4-line block ×3, first 2 shown]
	s_cmp_ge_u32 s27, s76
	s_cselect_b32 s25, -1, 0
	s_cmp_eq_u32 s29, 0
	s_cselect_b32 s25, s25, -1
	s_cmp_lg_u32 s25, 0
	s_cselect_b32 s24, s24, s29
	s_cselect_b32 s27, s34, s27
	s_cmp_ge_u32 s6, s76
	s_cselect_b32 s25, -1, 0
	s_cmp_eq_u32 s26, 0
	s_cselect_b32 s25, s25, -1
	s_cmp_lg_u32 s25, 0
	s_cselect_b32 s25, s24, s26
	s_cselect_b32 s24, s27, s6
	s_cbranch_execnz .LBB79_112
.LBB79_111:                             ;   in Loop: Header=BB79_34 Depth=1
	v_cvt_f32_u32_e32 v2, s76
	s_sub_i32 s6, 0, s76
	v_rcp_iflag_f32_e32 v2, v2
	s_nop 0
	v_mul_f32_e32 v2, 0x4f7ffffe, v2
	v_cvt_u32_f32_e32 v2, v2
	s_nop 0
	v_readfirstlane_b32 s24, v2
	s_mul_i32 s6, s6, s24
	s_mul_hi_u32 s6, s24, s6
	s_add_i32 s24, s24, s6
	s_mul_hi_u32 s6, s28, s24
	s_mul_i32 s6, s6, s76
	s_sub_i32 s6, s28, s6
	s_sub_i32 s24, s6, s76
	s_cmp_ge_u32 s6, s76
	s_cselect_b32 s6, s24, s6
	s_sub_i32 s24, s6, s76
	s_cmp_ge_u32 s6, s76
	s_cselect_b32 s80, s24, s6
	s_mov_b64 s[24:25], s[80:81]
.LBB79_112:                             ;   in Loop: Header=BB79_34 Depth=1
	s_sub_u32 s28, s28, s24
	s_subb_u32 s29, s7, s25
	v_cmp_gt_u64_e32 vcc, s[28:29], v[0:1]
	s_mov_b64 s[24:25], 0
	s_mov_b64 s[6:7], 0
                                        ; implicit-def: $vgpr48
	s_and_saveexec_b64 s[26:27], vcc
	s_cbranch_execz .LBB79_121
; %bb.113:                              ;   in Loop: Header=BB79_34 Depth=1
	v_mov_b32_e32 v2, v0
	v_mov_b64_e32 v[8:9], v[0:1]
                                        ; implicit-def: $sgpr34_sgpr35
	s_branch .LBB79_116
.LBB79_114:                             ;   in Loop: Header=BB79_116 Depth=2
	s_or_b64 exec, exec, s[36:37]
	s_waitcnt lgkmcnt(0)
	s_barrier
	ds_read_u16 v10, v3 offset:3072
	s_mov_b64 s[36:37], -1
	s_waitcnt lgkmcnt(0)
	s_barrier
	v_cmp_ne_u32_sdwa s[38:39], v10, v3 src0_sel:BYTE_0 src1_sel:DWORD
	s_and_b64 vcc, exec, s[38:39]
	s_mov_b64 s[38:39], -1
	s_cbranch_vccz .LBB79_119
.LBB79_115:                             ;   in Loop: Header=BB79_116 Depth=2
	s_and_b64 s[36:37], exec, s[36:37]
	s_or_b64 s[6:7], s[36:37], s[6:7]
	s_andn2_b64 s[34:35], s[34:35], exec
	s_and_b64 s[36:37], s[38:39], exec
	s_or_b64 s[34:35], s[34:35], s[36:37]
	s_andn2_b64 exec, exec, s[6:7]
	s_cbranch_execz .LBB79_120
.LBB79_116:                             ;   Parent Loop BB79_34 Depth=1
                                        ; =>  This Inner Loop Header: Depth=2
	v_cmp_gt_u64_e32 vcc, s[20:21], v[8:9]
	s_and_saveexec_b64 s[36:37], vcc
	s_cbranch_execz .LBB79_114
; %bb.117:                              ;   in Loop: Header=BB79_116 Depth=2
	ds_read_u8 v10, v2
	s_waitcnt lgkmcnt(0)
	v_bitop3_b32 v11, v10, s33, v47 bitop3:0x80
	v_cmp_eq_u32_e32 vcc, v11, v44
	s_and_b64 exec, exec, vcc
	s_cbranch_execz .LBB79_114
; %bb.118:                              ;   in Loop: Header=BB79_116 Depth=2
	v_lshlrev_b16_e32 v10, 8, v10
	v_or_b32_e32 v10, 1, v10
	ds_write_b16 v3, v10 offset:3072
	s_branch .LBB79_114
.LBB79_119:                             ;   in Loop: Header=BB79_116 Depth=2
	v_lshl_add_u64 v[8:9], v[8:9], 0, s[76:77]
	v_cmp_le_u64_e32 vcc, s[28:29], v[8:9]
	v_add_u32_e32 v2, s76, v2
	s_mov_b64 s[38:39], 0
	s_orn2_b64 s[36:37], vcc, exec
	s_branch .LBB79_115
.LBB79_120:                             ;   in Loop: Header=BB79_34 Depth=1
	s_or_b64 exec, exec, s[6:7]
	v_lshrrev_b32_sdwa v48, v46, v10 dst_sel:DWORD dst_unused:UNUSED_PAD src0_sel:DWORD src1_sel:WORD_0
	s_and_b64 s[6:7], s[34:35], exec
.LBB79_121:                             ;   in Loop: Header=BB79_34 Depth=1
	s_or_b64 exec, exec, s[26:27]
.LBB79_122:                             ;   in Loop: Header=BB79_34 Depth=1
	s_and_b64 vcc, exec, s[24:25]
	s_cbranch_vccz .LBB79_142
; %bb.123:                              ;   in Loop: Header=BB79_34 Depth=1
	s_mov_b32 s88, s81
	s_cmp_lg_u64 s[88:89], 0
	s_cbranch_scc0 .LBB79_129
; %bb.124:                              ;   in Loop: Header=BB79_34 Depth=1
	v_cvt_f32_u32_e32 v2, s76
	s_sub_u32 s14, 0, s76
	s_subb_u32 s15, 0, 0
	v_fmac_f32_e32 v2, 0, v45
	v_rcp_f32_e32 v2, v2
	s_nop 0
	v_mul_f32_e32 v2, 0x5f7ffffc, v2
	v_mul_f32_e32 v8, 0x2f800000, v2
	v_trunc_f32_e32 v8, v8
	v_fmac_f32_e32 v2, 0xcf800000, v8
	v_cvt_u32_f32_e32 v8, v8
	v_cvt_u32_f32_e32 v2, v2
	v_readfirstlane_b32 s20, v8
	v_readfirstlane_b32 s8, v2
	s_mul_i32 s9, s14, s20
	s_mul_hi_u32 s24, s14, s8
	s_mul_i32 s21, s15, s8
	s_add_i32 s9, s24, s9
	s_mul_i32 s25, s14, s8
	s_add_i32 s9, s9, s21
	s_mul_hi_u32 s24, s8, s25
	s_mul_i32 s26, s8, s9
	s_mul_hi_u32 s21, s8, s9
	s_add_u32 s24, s24, s26
	s_addc_u32 s21, 0, s21
	s_mul_hi_u32 s27, s20, s25
	s_mul_i32 s25, s20, s25
	s_add_u32 s24, s24, s25
	s_mul_hi_u32 s26, s20, s9
	s_addc_u32 s21, s21, s27
	s_addc_u32 s24, s26, 0
	s_mul_i32 s9, s20, s9
	s_add_u32 s9, s21, s9
	s_addc_u32 s21, 0, s24
	s_add_u32 s24, s8, s9
	s_cselect_b64 s[8:9], -1, 0
	s_cmp_lg_u64 s[8:9], 0
	s_addc_u32 s20, s20, s21
	s_mul_i32 s8, s14, s20
	s_mul_hi_u32 s9, s14, s24
	s_add_i32 s8, s9, s8
	s_mul_i32 s15, s15, s24
	s_add_i32 s8, s8, s15
	s_mul_i32 s14, s14, s24
	s_mul_hi_u32 s15, s20, s14
	s_mul_i32 s21, s20, s14
	s_mul_i32 s26, s24, s8
	s_mul_hi_u32 s14, s24, s14
	s_mul_hi_u32 s25, s24, s8
	s_add_u32 s14, s14, s26
	s_addc_u32 s25, 0, s25
	s_add_u32 s14, s14, s21
	s_mul_hi_u32 s9, s20, s8
	s_addc_u32 s14, s25, s15
	s_addc_u32 s9, s9, 0
	s_mul_i32 s8, s20, s8
	s_add_u32 s8, s14, s8
	s_addc_u32 s14, 0, s9
	s_add_u32 s15, s24, s8
	s_cselect_b64 s[8:9], -1, 0
	s_cmp_lg_u64 s[8:9], 0
	s_addc_u32 s8, s20, s14
	v_readlane_b32 s24, v65, 19
	s_mul_i32 s14, s24, s8
	s_mul_hi_u32 s20, s24, s15
	s_mul_hi_u32 s9, s24, s8
	s_add_u32 s14, s20, s14
	s_addc_u32 s9, 0, s9
	s_mul_hi_u32 s21, s89, s15
	s_mul_i32 s15, s89, s15
	s_add_u32 s14, s14, s15
	s_mul_hi_u32 s20, s89, s8
	s_addc_u32 s9, s9, s21
	s_addc_u32 s14, s20, 0
	s_mul_i32 s8, s89, s8
	s_add_u32 s8, s9, s8
	s_addc_u32 s9, 0, s14
	s_mul_i32 s9, s76, s9
	s_mul_hi_u32 s14, s76, s8
	s_add_i32 s14, s14, s9
	s_mul_i32 s8, s76, s8
	s_sub_u32 s15, s24, s8
	s_cselect_b64 s[8:9], -1, 0
	s_cmp_lg_u64 s[8:9], 0
	s_subb_u32 s14, s89, s14
	s_sub_u32 s20, s15, s76
	s_cselect_b64 s[8:9], -1, 0
	s_cmp_lg_u64 s[8:9], 0
	s_subb_u32 s21, s14, 0
	;; [unrolled: 4-line block ×3, first 2 shown]
	s_cmp_ge_u32 s20, s76
	s_cselect_b32 s9, -1, 0
	s_cmp_eq_u32 s21, 0
	s_cselect_b32 s9, s9, -1
	s_cmp_lg_u32 s9, 0
	s_cselect_b32 s8, s8, s21
	s_cselect_b32 s20, s24, s20
	s_cmp_ge_u32 s15, s76
	s_cselect_b32 s9, -1, 0
	s_cmp_eq_u32 s14, 0
	s_cselect_b32 s9, s9, -1
	s_cmp_lg_u32 s9, 0
	s_cselect_b32 s9, s8, s14
	s_cselect_b32 s8, s20, s15
	s_mov_b64 s[14:15], 0
	s_branch .LBB79_130
.LBB79_125:                             ;   in Loop: Header=BB79_34 Depth=1
                                        ; implicit-def: $sgpr24_sgpr25
	s_branch .LBB79_111
.LBB79_126:                             ;   in Loop: Header=BB79_34 Depth=1
	s_or_b64 exec, exec, s[8:9]
	s_waitcnt lgkmcnt(0)
	s_barrier
	s_mov_b64 s[0:1], exec
	v_readlane_b32 s2, v65, 4
	v_readlane_b32 s3, v65, 5
	s_and_b64 s[2:3], s[0:1], s[2:3]
	s_mov_b64 exec, s[2:3]
	s_cbranch_execz .LBB79_128
; %bb.127:                              ;   in Loop: Header=BB79_34 Depth=1
	ds_read_b32 v4, v3 offset:5144
	s_waitcnt lgkmcnt(0)
	v_ashrrev_i32_e32 v5, 31, v4
	ds_write_b64 v3, v[4:5] offset:5120
.LBB79_128:                             ;   in Loop: Header=BB79_34 Depth=1
	s_or_b64 exec, exec, s[0:1]
	s_waitcnt lgkmcnt(0)
	s_barrier
	s_mov_b64 s[0:1], -1
	s_and_b64 vcc, exec, s[6:7]
	s_cbranch_vccnz .LBB79_49
	s_branch .LBB79_64
.LBB79_129:                             ;   in Loop: Header=BB79_34 Depth=1
	s_mov_b64 s[14:15], -1
                                        ; implicit-def: $sgpr8_sgpr9
.LBB79_130:                             ;   in Loop: Header=BB79_34 Depth=1
	s_andn2_b64 vcc, exec, s[14:15]
	v_readlane_b32 s88, v65, 44
	s_cbranch_vccnz .LBB79_132
; %bb.131:                              ;   in Loop: Header=BB79_34 Depth=1
	v_cvt_f32_u32_e32 v2, s76
	s_sub_i32 s8, 0, s76
	v_readlane_b32 s14, v65, 19
	v_rcp_iflag_f32_e32 v2, v2
	s_nop 0
	v_mul_f32_e32 v2, 0x4f7ffffe, v2
	v_cvt_u32_f32_e32 v2, v2
	s_nop 0
	v_readfirstlane_b32 s9, v2
	s_mul_i32 s8, s8, s9
	s_mul_hi_u32 s8, s9, s8
	s_add_i32 s9, s9, s8
	s_mul_hi_u32 s8, s14, s9
	s_mul_i32 s8, s8, s76
	s_sub_i32 s8, s14, s8
	s_sub_i32 s9, s8, s76
	s_cmp_ge_u32 s8, s76
	s_cselect_b32 s8, s9, s8
	s_sub_i32 s9, s8, s76
	s_cmp_ge_u32 s8, s76
	s_cselect_b32 s80, s9, s8
	s_mov_b64 s[8:9], s[80:81]
.LBB79_132:                             ;   in Loop: Header=BB79_34 Depth=1
	v_readlane_b32 s14, v65, 19
	s_sub_u32 s14, s14, s8
	s_subb_u32 s15, s89, s9
	v_cmp_gt_u64_e32 vcc, s[14:15], v[0:1]
                                        ; implicit-def: $vgpr48
	s_and_saveexec_b64 s[8:9], vcc
	s_cbranch_execz .LBB79_141
; %bb.133:                              ;   in Loop: Header=BB79_34 Depth=1
	s_mov_b64 s[20:21], 0
	v_mov_b64_e32 v[8:9], v[16:17]
	v_mov_b64_e32 v[10:11], v[0:1]
                                        ; implicit-def: $sgpr24_sgpr25
	s_branch .LBB79_136
.LBB79_134:                             ;   in Loop: Header=BB79_136 Depth=2
	s_or_b64 exec, exec, s[26:27]
	s_waitcnt lgkmcnt(0)
	s_barrier
	ds_read_u16 v2, v3 offset:3072
	s_mov_b64 s[26:27], -1
	s_waitcnt lgkmcnt(0)
	s_barrier
	v_cmp_ne_u32_sdwa s[28:29], v2, v3 src0_sel:BYTE_0 src1_sel:DWORD
	s_and_b64 vcc, exec, s[28:29]
	s_mov_b64 s[28:29], -1
	s_cbranch_vccz .LBB79_139
.LBB79_135:                             ;   in Loop: Header=BB79_136 Depth=2
	s_and_b64 s[26:27], exec, s[26:27]
	s_or_b64 s[20:21], s[26:27], s[20:21]
	s_andn2_b64 s[24:25], s[24:25], exec
	s_and_b64 s[26:27], s[28:29], exec
	s_or_b64 s[24:25], s[24:25], s[26:27]
	s_andn2_b64 exec, exec, s[20:21]
	s_cbranch_execz .LBB79_140
.LBB79_136:                             ;   Parent Loop BB79_34 Depth=1
                                        ; =>  This Inner Loop Header: Depth=2
	v_cmp_gt_u64_e32 vcc, s[56:57], v[10:11]
	s_and_saveexec_b64 s[26:27], vcc
	s_cbranch_execz .LBB79_134
; %bb.137:                              ;   in Loop: Header=BB79_136 Depth=2
	global_load_ubyte v2, v[8:9], off
	s_waitcnt vmcnt(0)
	v_bitop3_b32 v34, v2, s33, v47 bitop3:0x80
	v_cmp_eq_u32_e32 vcc, v34, v44
	s_and_b64 exec, exec, vcc
	s_cbranch_execz .LBB79_134
; %bb.138:                              ;   in Loop: Header=BB79_136 Depth=2
	v_lshlrev_b16_e32 v2, 8, v2
	v_or_b32_e32 v2, 1, v2
	ds_write_b16 v3, v2 offset:3072
	s_branch .LBB79_134
.LBB79_139:                             ;   in Loop: Header=BB79_136 Depth=2
	v_lshl_add_u64 v[10:11], v[10:11], 0, s[76:77]
	v_cmp_le_u64_e32 vcc, s[14:15], v[10:11]
	v_lshl_add_u64 v[8:9], v[8:9], 0, s[82:83]
	s_mov_b64 s[28:29], 0
	s_orn2_b64 s[26:27], vcc, exec
	s_branch .LBB79_135
.LBB79_140:                             ;   in Loop: Header=BB79_34 Depth=1
	s_or_b64 exec, exec, s[20:21]
	s_andn2_b64 s[6:7], s[6:7], exec
	s_and_b64 s[14:15], s[24:25], exec
	v_lshrrev_b32_sdwa v48, v46, v2 dst_sel:DWORD dst_unused:UNUSED_PAD src0_sel:DWORD src1_sel:WORD_0
	s_or_b64 s[6:7], s[6:7], s[14:15]
.LBB79_141:                             ;   in Loop: Header=BB79_34 Depth=1
	s_or_b64 exec, exec, s[8:9]
	s_mov_b64 s[8:9], 0
	s_mov_b64 s[14:15], -1
.LBB79_142:                             ;   in Loop: Header=BB79_34 Depth=1
	s_orn2_b64 s[6:7], s[6:7], exec
.LBB79_143:                             ;   in Loop: Header=BB79_34 Depth=1
	s_or_b64 exec, exec, s[16:17]
	s_andn2_b64 s[16:17], s[30:31], exec
	s_and_b64 s[14:15], s[14:15], exec
	s_andn2_b64 s[10:11], s[10:11], exec
	s_and_b64 s[8:9], s[8:9], exec
	s_andn2_b64 s[66:67], s[66:67], exec
	s_or_b64 s[30:31], s[16:17], s[14:15]
	s_or_b64 s[10:11], s[10:11], s[8:9]
                                        ; implicit-def: $vgpr8_vgpr9
	s_and_saveexec_b64 s[16:17], s[6:7]
	s_cbranch_execz .LBB79_33
; %bb.144:                              ;   in Loop: Header=BB79_34 Depth=1
	s_xor_b64 s[6:7], s[18:19], -1
	v_mov_b32_e32 v2, 1
	s_mov_b64 s[8:9], 0
	v_mov_b64_e32 v[8:9], 1
	s_and_saveexec_b64 s[0:1], s[6:7]
	s_cbranch_execz .LBB79_153
; %bb.145:                              ;   in Loop: Header=BB79_34 Depth=1
	v_cmp_le_u64_e32 vcc, v[32:33], v[4:5]
	s_and_saveexec_b64 s[6:7], vcc
	s_xor_b64 s[6:7], exec, s[6:7]
	s_cbranch_execz .LBB79_150
; %bb.146:                              ;   in Loop: Header=BB79_34 Depth=1
	ds_read_b64 v[8:9], v3 offset:5120
	v_and_b32_e32 v44, s52, v44
	v_or_b32_e32 v47, s86, v47
	s_waitcnt lgkmcnt(0)
	v_cmp_ne_u64_e32 vcc, 0, v[8:9]
	s_cbranch_vccnz .LBB79_150
; %bb.147:                              ;   in Loop: Header=BB79_34 Depth=1
	s_mov_b64 s[8:9], exec
	v_readlane_b32 s14, v65, 4
	v_readlane_b32 s15, v65, 5
	s_and_b64 s[14:15], s[8:9], s[14:15]
	s_mov_b64 exec, s[14:15]
; %bb.148:                              ;   in Loop: Header=BB79_34 Depth=1
	ds_write_b64 v3, v[4:5] offset:5128
; %bb.149:                              ;   in Loop: Header=BB79_34 Depth=1
	s_or_b64 exec, exec, s[8:9]
	s_waitcnt lgkmcnt(0)
	s_barrier
.LBB79_150:                             ;   in Loop: Header=BB79_34 Depth=1
	s_or_saveexec_b64 s[6:7], s[6:7]
	s_mov_b64 s[8:9], 0
	v_mov_b32_e32 v2, 8
	s_xor_b64 exec, exec, s[6:7]
; %bb.151:                              ;   in Loop: Header=BB79_34 Depth=1
	v_sub_co_u32_e32 v32, vcc, v32, v4
	s_mov_b64 s[8:9], exec
	s_nop 0
	v_subb_co_u32_e32 v33, vcc, v33, v5, vcc
	v_mov_b32_e32 v2, 0
; %bb.152:                              ;   in Loop: Header=BB79_34 Depth=1
	s_or_b64 exec, exec, s[6:7]
	s_and_b64 s[8:9], s[8:9], exec
	v_mov_b64_e32 v[8:9], v[32:33]
.LBB79_153:                             ;   in Loop: Header=BB79_34 Depth=1
	s_or_b64 exec, exec, s[0:1]
	s_mov_b64 s[18:19], -1
	s_mov_b64 s[6:7], -1
                                        ; implicit-def: $sgpr0_sgpr1
                                        ; implicit-def: $sgpr24_sgpr25
	s_and_saveexec_b64 s[14:15], s[8:9]
	s_xor_b64 s[20:21], exec, s[14:15]
	s_cbranch_execz .LBB79_298
; %bb.154:                              ;   in Loop: Header=BB79_34 Depth=1
	v_cmp_eq_u64_e32 vcc, 1, v[6:7]
	v_cmp_eq_u64_e64 s[0:1], 1, v[8:9]
	s_and_b64 s[28:29], vcc, s[0:1]
                                        ; implicit-def: $sgpr24_sgpr25
                                        ; implicit-def: $sgpr0_sgpr1
	s_and_saveexec_b64 s[26:27], s[28:29]
	s_cbranch_execz .LBB79_189
; %bb.155:                              ;   in Loop: Header=BB79_34 Depth=1
	ds_read_b64 v[4:5], v3 offset:5120
	s_waitcnt lgkmcnt(0)
	s_barrier
	v_readfirstlane_b32 s8, v4
	v_readfirstlane_b32 s9, v5
	s_mov_b64 s[0:1], exec
	v_readlane_b32 s6, v65, 12
	v_readlane_b32 s7, v65, 13
	s_and_b64 s[6:7], s[0:1], s[6:7]
	s_mov_b64 exec, s[6:7]
; %bb.156:                              ;   in Loop: Header=BB79_34 Depth=1
	ds_write_b8 v0, v3 offset:3072
; %bb.157:                              ;   in Loop: Header=BB79_34 Depth=1
	s_or_b64 exec, exec, s[0:1]
	v_and_b32_e32 v4, s52, v44
	v_lshl_or_b32 v44, 1, s91, v4
	v_or_b32_e32 v47, s86, v47
	s_mov_b64 s[0:1], -1
	s_mov_b64 s[24:25], 0
	s_cmp_eq_u64 s[8:9], 0
	s_mov_b64 s[6:7], 0
	s_mov_b64 s[14:15], -1
	s_waitcnt lgkmcnt(0)
	s_barrier
                                        ; implicit-def: $vgpr48
	s_cbranch_scc1 .LBB79_171
; %bb.158:                              ;   in Loop: Header=BB79_34 Depth=1
	v_readlane_b32 s6, v65, 18
	s_add_u32 s36, s8, s6
	v_readlane_b32 s6, v65, 20
	s_addc_u32 s7, s9, s6
	s_mov_b32 s6, s81
	s_cmp_lg_u64 s[6:7], 0
	s_cbranch_scc0 .LBB79_174
; %bb.159:                              ;   in Loop: Header=BB79_34 Depth=1
	v_cvt_f32_u32_e32 v4, s76
	s_sub_u32 s6, 0, s76
	s_subb_u32 s34, 0, 0
	v_fmac_f32_e32 v4, 0, v45
	v_rcp_f32_e32 v4, v4
	s_nop 0
	v_mul_f32_e32 v4, 0x5f7ffffc, v4
	v_mul_f32_e32 v5, 0x2f800000, v4
	v_trunc_f32_e32 v5, v5
	v_fmac_f32_e32 v4, 0xcf800000, v5
	v_cvt_u32_f32_e32 v5, v5
	v_cvt_u32_f32_e32 v4, v4
	v_readfirstlane_b32 s35, v5
	v_readfirstlane_b32 s14, v4
	s_mul_i32 s15, s6, s35
	s_mul_hi_u32 s38, s6, s14
	s_mul_i32 s37, s34, s14
	s_add_i32 s15, s38, s15
	s_mul_i32 s39, s6, s14
	s_add_i32 s15, s15, s37
	s_mul_hi_u32 s38, s14, s39
	s_mul_i32 s40, s14, s15
	s_mul_hi_u32 s37, s14, s15
	s_add_u32 s38, s38, s40
	s_addc_u32 s37, 0, s37
	s_mul_hi_u32 s41, s35, s39
	s_mul_i32 s39, s35, s39
	s_add_u32 s38, s38, s39
	s_mul_hi_u32 s40, s35, s15
	s_addc_u32 s37, s37, s41
	s_addc_u32 s38, s40, 0
	s_mul_i32 s15, s35, s15
	s_add_u32 s15, s37, s15
	s_addc_u32 s37, 0, s38
	s_add_u32 s38, s14, s15
	s_cselect_b64 s[14:15], -1, 0
	s_cmp_lg_u64 s[14:15], 0
	s_addc_u32 s35, s35, s37
	s_mul_i32 s14, s6, s35
	s_mul_hi_u32 s15, s6, s38
	s_add_i32 s14, s15, s14
	s_mul_i32 s34, s34, s38
	s_add_i32 s14, s14, s34
	s_mul_i32 s6, s6, s38
	s_mul_hi_u32 s34, s35, s6
	s_mul_i32 s37, s35, s6
	s_mul_i32 s40, s38, s14
	s_mul_hi_u32 s6, s38, s6
	s_mul_hi_u32 s39, s38, s14
	s_add_u32 s6, s6, s40
	s_addc_u32 s39, 0, s39
	s_add_u32 s6, s6, s37
	s_mul_hi_u32 s15, s35, s14
	s_addc_u32 s6, s39, s34
	s_addc_u32 s15, s15, 0
	s_mul_i32 s14, s35, s14
	s_add_u32 s6, s6, s14
	s_addc_u32 s34, 0, s15
	s_add_u32 s6, s38, s6
	s_cselect_b64 s[14:15], -1, 0
	s_cmp_lg_u64 s[14:15], 0
	s_addc_u32 s14, s35, s34
	s_mul_i32 s34, s36, s14
	s_mul_hi_u32 s35, s36, s6
	s_mul_hi_u32 s15, s36, s14
	s_add_u32 s34, s35, s34
	s_addc_u32 s15, 0, s15
	s_mul_hi_u32 s37, s7, s6
	s_mul_i32 s6, s7, s6
	s_add_u32 s6, s34, s6
	s_mul_hi_u32 s35, s7, s14
	s_addc_u32 s6, s15, s37
	s_addc_u32 s15, s35, 0
	s_mul_i32 s14, s7, s14
	s_add_u32 s6, s6, s14
	s_addc_u32 s14, 0, s15
	s_mul_i32 s14, s76, s14
	s_mul_hi_u32 s15, s76, s6
	s_add_i32 s34, s15, s14
	s_mul_i32 s6, s76, s6
	s_sub_u32 s6, s36, s6
	s_cselect_b64 s[14:15], -1, 0
	s_cmp_lg_u64 s[14:15], 0
	s_subb_u32 s34, s7, s34
	s_sub_u32 s35, s6, s76
	s_cselect_b64 s[14:15], -1, 0
	s_cmp_lg_u64 s[14:15], 0
	s_subb_u32 s37, s34, 0
	;; [unrolled: 4-line block ×3, first 2 shown]
	s_cmp_ge_u32 s35, s76
	s_cselect_b32 s15, -1, 0
	s_cmp_eq_u32 s37, 0
	s_cselect_b32 s15, s15, -1
	s_cmp_lg_u32 s15, 0
	s_cselect_b32 s14, s14, s37
	s_cselect_b32 s35, s38, s35
	s_cmp_ge_u32 s6, s76
	s_cselect_b32 s15, -1, 0
	s_cmp_eq_u32 s34, 0
	s_cselect_b32 s15, s15, -1
	s_cmp_lg_u32 s15, 0
	s_cselect_b32 s15, s14, s34
	s_cselect_b32 s14, s35, s6
	s_cbranch_execnz .LBB79_161
.LBB79_160:                             ;   in Loop: Header=BB79_34 Depth=1
	v_cvt_f32_u32_e32 v4, s76
	s_sub_i32 s6, 0, s76
	v_rcp_iflag_f32_e32 v4, v4
	s_nop 0
	v_mul_f32_e32 v4, 0x4f7ffffe, v4
	v_cvt_u32_f32_e32 v4, v4
	s_nop 0
	v_readfirstlane_b32 s14, v4
	s_mul_i32 s6, s6, s14
	s_mul_hi_u32 s6, s14, s6
	s_add_i32 s14, s14, s6
	s_mul_hi_u32 s6, s36, s14
	s_mul_i32 s6, s6, s76
	s_sub_i32 s6, s36, s6
	s_sub_i32 s14, s6, s76
	s_cmp_ge_u32 s6, s76
	s_cselect_b32 s6, s14, s6
	s_sub_i32 s14, s6, s76
	s_cmp_ge_u32 s6, s76
	s_cselect_b32 s80, s14, s6
	s_mov_b64 s[14:15], s[80:81]
.LBB79_161:                             ;   in Loop: Header=BB79_34 Depth=1
	s_sub_u32 s36, s36, s14
	s_subb_u32 s37, s7, s15
	v_cmp_gt_u64_e32 vcc, s[36:37], v[0:1]
	s_mov_b64 s[14:15], 0
	s_mov_b64 s[6:7], 0
                                        ; implicit-def: $vgpr48
	s_and_saveexec_b64 s[34:35], vcc
	s_cbranch_execz .LBB79_170
; %bb.162:                              ;   in Loop: Header=BB79_34 Depth=1
	v_mov_b32_e32 v10, v0
	v_mov_b64_e32 v[4:5], v[0:1]
                                        ; implicit-def: $sgpr38_sgpr39
	s_branch .LBB79_165
.LBB79_163:                             ;   in Loop: Header=BB79_165 Depth=2
	s_or_b64 exec, exec, s[40:41]
	s_waitcnt lgkmcnt(0)
	s_barrier
	ds_read_u16 v11, v3 offset:3072
	s_mov_b64 s[40:41], -1
	s_waitcnt lgkmcnt(0)
	s_barrier
	v_cmp_ne_u32_sdwa s[42:43], v11, v3 src0_sel:BYTE_0 src1_sel:DWORD
	s_and_b64 vcc, exec, s[42:43]
	s_mov_b64 s[42:43], -1
	s_cbranch_vccz .LBB79_168
.LBB79_164:                             ;   in Loop: Header=BB79_165 Depth=2
	s_and_b64 s[40:41], exec, s[40:41]
	s_or_b64 s[6:7], s[40:41], s[6:7]
	s_andn2_b64 s[38:39], s[38:39], exec
	s_and_b64 s[40:41], s[42:43], exec
	s_or_b64 s[38:39], s[38:39], s[40:41]
	s_andn2_b64 exec, exec, s[6:7]
	s_cbranch_execz .LBB79_169
.LBB79_165:                             ;   Parent Loop BB79_34 Depth=1
                                        ; =>  This Inner Loop Header: Depth=2
	v_cmp_gt_u64_e32 vcc, s[8:9], v[4:5]
	s_and_saveexec_b64 s[40:41], vcc
	s_cbranch_execz .LBB79_163
; %bb.166:                              ;   in Loop: Header=BB79_165 Depth=2
	ds_read_u8 v11, v10
	s_waitcnt lgkmcnt(0)
	v_bitop3_b32 v32, v11, s33, v47 bitop3:0x80
	v_cmp_eq_u32_e32 vcc, v32, v44
	s_and_b64 exec, exec, vcc
	s_cbranch_execz .LBB79_163
; %bb.167:                              ;   in Loop: Header=BB79_165 Depth=2
	v_lshlrev_b16_e32 v11, 8, v11
	v_or_b32_e32 v11, 1, v11
	ds_write_b16 v3, v11 offset:3072
	s_branch .LBB79_163
.LBB79_168:                             ;   in Loop: Header=BB79_165 Depth=2
	v_lshl_add_u64 v[4:5], v[4:5], 0, s[76:77]
	v_cmp_le_u64_e32 vcc, s[36:37], v[4:5]
	v_add_u32_e32 v10, s76, v10
	s_mov_b64 s[42:43], 0
	s_orn2_b64 s[40:41], vcc, exec
	s_branch .LBB79_164
.LBB79_169:                             ;   in Loop: Header=BB79_34 Depth=1
	s_or_b64 exec, exec, s[6:7]
	v_lshrrev_b32_sdwa v48, v46, v11 dst_sel:DWORD dst_unused:UNUSED_PAD src0_sel:DWORD src1_sel:WORD_0
	s_and_b64 s[6:7], s[38:39], exec
.LBB79_170:                             ;   in Loop: Header=BB79_34 Depth=1
	s_or_b64 exec, exec, s[34:35]
.LBB79_171:                             ;   in Loop: Header=BB79_34 Depth=1
	s_and_b64 vcc, exec, s[14:15]
	s_cbranch_vccz .LBB79_188
; %bb.172:                              ;   in Loop: Header=BB79_34 Depth=1
	s_mov_b32 s88, s81
	s_cmp_lg_u64 s[88:89], 0
	s_cbranch_scc0 .LBB79_175
; %bb.173:                              ;   in Loop: Header=BB79_34 Depth=1
	v_cvt_f32_u32_e32 v4, s76
	s_sub_u32 s8, 0, s76
	s_subb_u32 s9, 0, 0
	v_fmac_f32_e32 v4, 0, v45
	v_rcp_f32_e32 v4, v4
	s_nop 0
	v_mul_f32_e32 v4, 0x5f7ffffc, v4
	v_mul_f32_e32 v5, 0x2f800000, v4
	v_trunc_f32_e32 v5, v5
	v_fmac_f32_e32 v4, 0xcf800000, v5
	v_cvt_u32_f32_e32 v5, v5
	v_cvt_u32_f32_e32 v4, v4
	v_readfirstlane_b32 s14, v5
	v_readfirstlane_b32 s0, v4
	s_mul_i32 s1, s8, s14
	s_mul_hi_u32 s24, s8, s0
	s_mul_i32 s15, s9, s0
	s_add_i32 s1, s24, s1
	s_mul_i32 s25, s8, s0
	s_add_i32 s1, s1, s15
	s_mul_hi_u32 s24, s0, s25
	s_mul_i32 s34, s0, s1
	s_mul_hi_u32 s15, s0, s1
	s_add_u32 s24, s24, s34
	s_addc_u32 s15, 0, s15
	s_mul_hi_u32 s35, s14, s25
	s_mul_i32 s25, s14, s25
	s_add_u32 s24, s24, s25
	s_mul_hi_u32 s34, s14, s1
	s_addc_u32 s15, s15, s35
	s_addc_u32 s24, s34, 0
	s_mul_i32 s1, s14, s1
	s_add_u32 s1, s15, s1
	s_addc_u32 s15, 0, s24
	s_add_u32 s24, s0, s1
	s_cselect_b64 s[0:1], -1, 0
	s_cmp_lg_u64 s[0:1], 0
	s_addc_u32 s14, s14, s15
	s_mul_i32 s0, s8, s14
	s_mul_hi_u32 s1, s8, s24
	s_add_i32 s0, s1, s0
	s_mul_i32 s9, s9, s24
	s_add_i32 s0, s0, s9
	s_mul_i32 s8, s8, s24
	s_mul_hi_u32 s9, s14, s8
	s_mul_i32 s15, s14, s8
	s_mul_i32 s34, s24, s0
	s_mul_hi_u32 s8, s24, s8
	s_mul_hi_u32 s25, s24, s0
	s_add_u32 s8, s8, s34
	s_addc_u32 s25, 0, s25
	s_add_u32 s8, s8, s15
	s_mul_hi_u32 s1, s14, s0
	s_addc_u32 s8, s25, s9
	s_addc_u32 s1, s1, 0
	s_mul_i32 s0, s14, s0
	s_add_u32 s0, s8, s0
	s_addc_u32 s8, 0, s1
	s_add_u32 s9, s24, s0
	s_cselect_b64 s[0:1], -1, 0
	s_cmp_lg_u64 s[0:1], 0
	s_addc_u32 s0, s14, s8
	v_readlane_b32 s24, v65, 19
	s_mul_i32 s8, s24, s0
	s_mul_hi_u32 s14, s24, s9
	s_mul_hi_u32 s1, s24, s0
	s_add_u32 s8, s14, s8
	s_addc_u32 s1, 0, s1
	s_mul_hi_u32 s15, s89, s9
	s_mul_i32 s9, s89, s9
	s_add_u32 s8, s8, s9
	s_mul_hi_u32 s14, s89, s0
	s_addc_u32 s1, s1, s15
	s_addc_u32 s8, s14, 0
	s_mul_i32 s0, s89, s0
	s_add_u32 s0, s1, s0
	s_addc_u32 s1, 0, s8
	s_mul_i32 s1, s76, s1
	s_mul_hi_u32 s8, s76, s0
	s_add_i32 s8, s8, s1
	s_mul_i32 s0, s76, s0
	s_sub_u32 s9, s24, s0
	s_cselect_b64 s[0:1], -1, 0
	s_cmp_lg_u64 s[0:1], 0
	s_subb_u32 s8, s89, s8
	s_sub_u32 s14, s9, s76
	s_cselect_b64 s[0:1], -1, 0
	s_cmp_lg_u64 s[0:1], 0
	s_subb_u32 s15, s8, 0
	;; [unrolled: 4-line block ×3, first 2 shown]
	s_cmp_ge_u32 s14, s76
	s_cselect_b32 s1, -1, 0
	s_cmp_eq_u32 s15, 0
	s_cselect_b32 s1, s1, -1
	s_cmp_lg_u32 s1, 0
	s_cselect_b32 s0, s0, s15
	s_cselect_b32 s14, s24, s14
	s_cmp_ge_u32 s9, s76
	s_cselect_b32 s1, -1, 0
	s_cmp_eq_u32 s8, 0
	s_cselect_b32 s1, s1, -1
	s_cmp_lg_u32 s1, 0
	s_cselect_b32 s1, s0, s8
	s_cselect_b32 s0, s14, s9
	s_mov_b64 s[8:9], 0
	s_branch .LBB79_176
.LBB79_174:                             ;   in Loop: Header=BB79_34 Depth=1
                                        ; implicit-def: $sgpr14_sgpr15
	s_branch .LBB79_160
.LBB79_175:                             ;   in Loop: Header=BB79_34 Depth=1
	s_mov_b64 s[8:9], -1
                                        ; implicit-def: $sgpr0_sgpr1
.LBB79_176:                             ;   in Loop: Header=BB79_34 Depth=1
	s_andn2_b64 vcc, exec, s[8:9]
	v_readlane_b32 s88, v65, 44
	s_cbranch_vccnz .LBB79_178
; %bb.177:                              ;   in Loop: Header=BB79_34 Depth=1
	v_cvt_f32_u32_e32 v4, s76
	s_sub_i32 s0, 0, s76
	v_readlane_b32 s8, v65, 19
	v_rcp_iflag_f32_e32 v4, v4
	s_nop 0
	v_mul_f32_e32 v4, 0x4f7ffffe, v4
	v_cvt_u32_f32_e32 v4, v4
	s_nop 0
	v_readfirstlane_b32 s1, v4
	s_mul_i32 s0, s0, s1
	s_mul_hi_u32 s0, s1, s0
	s_add_i32 s1, s1, s0
	s_mul_hi_u32 s0, s8, s1
	s_mul_i32 s0, s0, s76
	s_sub_i32 s0, s8, s0
	s_sub_i32 s1, s0, s76
	s_cmp_ge_u32 s0, s76
	s_cselect_b32 s0, s1, s0
	s_sub_i32 s1, s0, s76
	s_cmp_ge_u32 s0, s76
	s_cselect_b32 s80, s1, s0
	s_mov_b64 s[0:1], s[80:81]
.LBB79_178:                             ;   in Loop: Header=BB79_34 Depth=1
	v_readlane_b32 s8, v65, 19
	s_sub_u32 s8, s8, s0
	s_subb_u32 s9, s89, s1
	v_cmp_gt_u64_e32 vcc, s[8:9], v[0:1]
                                        ; implicit-def: $vgpr48
	s_and_saveexec_b64 s[0:1], vcc
	s_cbranch_execz .LBB79_187
; %bb.179:                              ;   in Loop: Header=BB79_34 Depth=1
	s_mov_b64 s[14:15], 0
	v_mov_b64_e32 v[4:5], v[16:17]
	v_mov_b64_e32 v[10:11], v[0:1]
                                        ; implicit-def: $sgpr24_sgpr25
	s_branch .LBB79_182
.LBB79_180:                             ;   in Loop: Header=BB79_182 Depth=2
	s_or_b64 exec, exec, s[34:35]
	s_waitcnt lgkmcnt(0)
	s_barrier
	ds_read_u16 v32, v3 offset:3072
	s_mov_b64 s[34:35], -1
	s_waitcnt lgkmcnt(0)
	s_barrier
	v_cmp_eq_u32_sdwa s[36:37], v32, v3 src0_sel:BYTE_0 src1_sel:DWORD
	s_and_b64 vcc, exec, s[36:37]
	s_mov_b64 s[36:37], -1
	s_cbranch_vccnz .LBB79_185
.LBB79_181:                             ;   in Loop: Header=BB79_182 Depth=2
	s_and_b64 s[34:35], exec, s[34:35]
	s_or_b64 s[14:15], s[34:35], s[14:15]
	s_andn2_b64 s[24:25], s[24:25], exec
	s_and_b64 s[34:35], s[36:37], exec
	s_or_b64 s[24:25], s[24:25], s[34:35]
	s_andn2_b64 exec, exec, s[14:15]
	s_cbranch_execz .LBB79_186
.LBB79_182:                             ;   Parent Loop BB79_34 Depth=1
                                        ; =>  This Inner Loop Header: Depth=2
	v_cmp_gt_u64_e32 vcc, s[56:57], v[10:11]
	s_and_saveexec_b64 s[34:35], vcc
	s_cbranch_execz .LBB79_180
; %bb.183:                              ;   in Loop: Header=BB79_182 Depth=2
	global_load_ubyte v32, v[4:5], off
	s_waitcnt vmcnt(0)
	v_bitop3_b32 v33, v32, s33, v47 bitop3:0x80
	v_cmp_eq_u32_e32 vcc, v33, v44
	s_and_b64 exec, exec, vcc
	s_cbranch_execz .LBB79_180
; %bb.184:                              ;   in Loop: Header=BB79_182 Depth=2
	v_lshlrev_b16_e32 v32, 8, v32
	v_or_b32_e32 v32, 1, v32
	ds_write_b16 v3, v32 offset:3072
	s_branch .LBB79_180
.LBB79_185:                             ;   in Loop: Header=BB79_182 Depth=2
	v_lshl_add_u64 v[10:11], v[10:11], 0, s[76:77]
	v_cmp_le_u64_e32 vcc, s[8:9], v[10:11]
	v_lshl_add_u64 v[4:5], v[4:5], 0, s[82:83]
	s_mov_b64 s[36:37], 0
	s_orn2_b64 s[34:35], vcc, exec
	s_branch .LBB79_181
.LBB79_186:                             ;   in Loop: Header=BB79_34 Depth=1
	s_or_b64 exec, exec, s[14:15]
	s_andn2_b64 s[6:7], s[6:7], exec
	s_and_b64 s[8:9], s[24:25], exec
	v_lshrrev_b32_sdwa v48, v46, v32 dst_sel:DWORD dst_unused:UNUSED_PAD src0_sel:DWORD src1_sel:WORD_0
	s_or_b64 s[6:7], s[6:7], s[8:9]
.LBB79_187:                             ;   in Loop: Header=BB79_34 Depth=1
	s_or_b64 exec, exec, s[0:1]
	s_mov_b64 s[0:1], 0
	s_mov_b64 s[24:25], -1
.LBB79_188:                             ;   in Loop: Header=BB79_34 Depth=1
	s_orn2_b64 s[6:7], s[6:7], exec
.LBB79_189:                             ;   in Loop: Header=BB79_34 Depth=1
	s_or_b64 exec, exec, s[26:27]
	s_mov_b64 s[8:9], 0
	s_and_saveexec_b64 s[26:27], s[6:7]
	s_cbranch_execz .LBB79_297
; %bb.190:                              ;   in Loop: Header=BB79_34 Depth=1
	s_xor_b64 s[14:15], s[28:29], -1
	v_mov_b32_e32 v2, 1
	v_mov_b64_e32 v[4:5], 1
	s_and_saveexec_b64 s[6:7], s[14:15]
	s_cbranch_execz .LBB79_200
; %bb.191:                              ;   in Loop: Header=BB79_34 Depth=1
	v_cmp_le_u64_e32 vcc, v[8:9], v[6:7]
	s_and_saveexec_b64 s[8:9], vcc
	s_xor_b64 s[8:9], exec, s[8:9]
	s_cbranch_execz .LBB79_197
; %bb.192:                              ;   in Loop: Header=BB79_34 Depth=1
	ds_read_b64 v[4:5], v3 offset:5120
	v_and_b32_e32 v2, s52, v44
	v_lshl_or_b32 v44, 1, s91, v2
	v_or_b32_e32 v47, s86, v47
	s_waitcnt lgkmcnt(0)
	v_cmp_ne_u64_e32 vcc, 0, v[4:5]
	s_cbranch_vccnz .LBB79_196
; %bb.193:                              ;   in Loop: Header=BB79_34 Depth=1
	s_mov_b64 s[14:15], exec
	v_readlane_b32 s28, v65, 4
	v_readlane_b32 s29, v65, 5
	s_and_b64 s[28:29], s[14:15], s[28:29]
	s_mov_b64 exec, s[28:29]
; %bb.194:                              ;   in Loop: Header=BB79_34 Depth=1
	ds_write_b64 v3, v[6:7] offset:5128
; %bb.195:                              ;   in Loop: Header=BB79_34 Depth=1
	s_or_b64 exec, exec, s[14:15]
	s_waitcnt lgkmcnt(0)
	s_barrier
.LBB79_196:                             ;   in Loop: Header=BB79_34 Depth=1
                                        ; implicit-def: $vgpr4_vgpr5_vgpr6_vgpr7
.LBB79_197:                             ;   in Loop: Header=BB79_34 Depth=1
	s_or_saveexec_b64 s[8:9], s[8:9]
	s_mov_b64 s[14:15], 0
	v_mov_b32_e32 v2, 8
	s_xor_b64 exec, exec, s[8:9]
; %bb.198:                              ;   in Loop: Header=BB79_34 Depth=1
	v_sub_co_u32_e32 v8, vcc, v8, v6
	s_mov_b64 s[14:15], exec
	s_nop 0
	v_subb_co_u32_e32 v9, vcc, v9, v7, vcc
	v_mov_b32_e32 v2, 0
; %bb.199:                              ;   in Loop: Header=BB79_34 Depth=1
	s_or_b64 exec, exec, s[8:9]
	s_and_b64 s[8:9], s[14:15], exec
	v_mov_b64_e32 v[4:5], v[8:9]
.LBB79_200:                             ;   in Loop: Header=BB79_34 Depth=1
	s_or_b64 exec, exec, s[6:7]
	s_mov_b64 s[6:7], -1
                                        ; implicit-def: $sgpr34_sgpr35
                                        ; implicit-def: $sgpr36_sgpr37
	s_and_saveexec_b64 s[28:29], s[8:9]
	s_cbranch_execz .LBB79_296
; %bb.201:                              ;   in Loop: Header=BB79_34 Depth=1
	s_cmp_eq_u64 s[22:23], 1
	s_cselect_b64 s[6:7], -1, 0
	v_cmp_eq_u64_e32 vcc, 1, v[4:5]
	s_and_b64 s[40:41], s[6:7], vcc
	s_mov_b64 s[6:7], -1
                                        ; implicit-def: $sgpr36_sgpr37
                                        ; implicit-def: $sgpr34_sgpr35
	s_and_saveexec_b64 s[38:39], s[40:41]
	s_cbranch_execz .LBB79_236
; %bb.202:                              ;   in Loop: Header=BB79_34 Depth=1
	ds_read_b64 v[6:7], v3 offset:5120
	s_waitcnt lgkmcnt(0)
	s_barrier
	v_readfirstlane_b32 s8, v6
	v_readfirstlane_b32 s9, v7
	s_mov_b64 s[6:7], exec
	v_readlane_b32 s14, v65, 12
	v_readlane_b32 s15, v65, 13
	s_and_b64 s[14:15], s[6:7], s[14:15]
	s_mov_b64 exec, s[14:15]
; %bb.203:                              ;   in Loop: Header=BB79_34 Depth=1
	ds_write_b8 v0, v3 offset:3072
; %bb.204:                              ;   in Loop: Header=BB79_34 Depth=1
	s_or_b64 exec, exec, s[6:7]
	v_and_b32_e32 v6, s52, v44
	v_lshl_or_b32 v44, 2, s91, v6
	v_or_b32_e32 v47, s86, v47
	s_mov_b64 s[34:35], -1
	s_mov_b64 s[36:37], 0
	s_cmp_eq_u64 s[8:9], 0
	s_mov_b64 s[6:7], 0
	s_mov_b64 s[14:15], -1
	s_waitcnt lgkmcnt(0)
	s_barrier
                                        ; implicit-def: $vgpr48
	s_cbranch_scc1 .LBB79_218
; %bb.205:                              ;   in Loop: Header=BB79_34 Depth=1
	v_readlane_b32 s6, v65, 18
	s_add_u32 s44, s8, s6
	v_readlane_b32 s6, v65, 20
	s_addc_u32 s7, s9, s6
	s_mov_b32 s6, s81
	s_cmp_lg_u64 s[6:7], 0
	s_cbranch_scc0 .LBB79_221
; %bb.206:                              ;   in Loop: Header=BB79_34 Depth=1
	v_cvt_f32_u32_e32 v6, s76
	s_sub_u32 s6, 0, s76
	s_subb_u32 s42, 0, 0
	v_fmac_f32_e32 v6, 0, v45
	v_rcp_f32_e32 v6, v6
	s_nop 0
	v_mul_f32_e32 v6, 0x5f7ffffc, v6
	v_mul_f32_e32 v7, 0x2f800000, v6
	v_trunc_f32_e32 v7, v7
	v_fmac_f32_e32 v6, 0xcf800000, v7
	v_cvt_u32_f32_e32 v7, v7
	v_cvt_u32_f32_e32 v6, v6
	v_readfirstlane_b32 s43, v7
	v_readfirstlane_b32 s14, v6
	s_mul_i32 s15, s6, s43
	s_mul_hi_u32 s46, s6, s14
	s_mul_i32 s45, s42, s14
	s_add_i32 s15, s46, s15
	s_mul_i32 s47, s6, s14
	s_add_i32 s15, s15, s45
	s_mul_hi_u32 s46, s14, s47
	s_mul_i32 s48, s14, s15
	s_mul_hi_u32 s45, s14, s15
	s_add_u32 s46, s46, s48
	s_addc_u32 s45, 0, s45
	s_mul_hi_u32 s49, s43, s47
	s_mul_i32 s47, s43, s47
	s_add_u32 s46, s46, s47
	s_mul_hi_u32 s48, s43, s15
	s_addc_u32 s45, s45, s49
	s_addc_u32 s46, s48, 0
	s_mul_i32 s15, s43, s15
	s_add_u32 s15, s45, s15
	s_addc_u32 s45, 0, s46
	s_add_u32 s46, s14, s15
	s_cselect_b64 s[14:15], -1, 0
	s_cmp_lg_u64 s[14:15], 0
	s_addc_u32 s43, s43, s45
	s_mul_i32 s14, s6, s43
	s_mul_hi_u32 s15, s6, s46
	s_add_i32 s14, s15, s14
	s_mul_i32 s42, s42, s46
	s_add_i32 s14, s14, s42
	s_mul_i32 s6, s6, s46
	s_mul_hi_u32 s42, s43, s6
	s_mul_i32 s45, s43, s6
	s_mul_i32 s48, s46, s14
	s_mul_hi_u32 s6, s46, s6
	s_mul_hi_u32 s47, s46, s14
	s_add_u32 s6, s6, s48
	s_addc_u32 s47, 0, s47
	s_add_u32 s6, s6, s45
	s_mul_hi_u32 s15, s43, s14
	s_addc_u32 s6, s47, s42
	s_addc_u32 s15, s15, 0
	s_mul_i32 s14, s43, s14
	s_add_u32 s6, s6, s14
	s_addc_u32 s42, 0, s15
	s_add_u32 s6, s46, s6
	s_cselect_b64 s[14:15], -1, 0
	s_cmp_lg_u64 s[14:15], 0
	s_addc_u32 s14, s43, s42
	s_mul_i32 s42, s44, s14
	s_mul_hi_u32 s43, s44, s6
	s_mul_hi_u32 s15, s44, s14
	s_add_u32 s42, s43, s42
	s_addc_u32 s15, 0, s15
	s_mul_hi_u32 s45, s7, s6
	s_mul_i32 s6, s7, s6
	s_add_u32 s6, s42, s6
	s_mul_hi_u32 s43, s7, s14
	s_addc_u32 s6, s15, s45
	s_addc_u32 s15, s43, 0
	s_mul_i32 s14, s7, s14
	s_add_u32 s6, s6, s14
	s_addc_u32 s14, 0, s15
	s_mul_i32 s14, s76, s14
	s_mul_hi_u32 s15, s76, s6
	s_add_i32 s42, s15, s14
	s_mul_i32 s6, s76, s6
	s_sub_u32 s6, s44, s6
	s_cselect_b64 s[14:15], -1, 0
	s_cmp_lg_u64 s[14:15], 0
	s_subb_u32 s42, s7, s42
	s_sub_u32 s43, s6, s76
	s_cselect_b64 s[14:15], -1, 0
	s_cmp_lg_u64 s[14:15], 0
	s_subb_u32 s45, s42, 0
	;; [unrolled: 4-line block ×3, first 2 shown]
	s_cmp_ge_u32 s43, s76
	s_cselect_b32 s15, -1, 0
	s_cmp_eq_u32 s45, 0
	s_cselect_b32 s15, s15, -1
	s_cmp_lg_u32 s15, 0
	s_cselect_b32 s14, s14, s45
	s_cselect_b32 s43, s46, s43
	s_cmp_ge_u32 s6, s76
	s_cselect_b32 s15, -1, 0
	s_cmp_eq_u32 s42, 0
	s_cselect_b32 s15, s15, -1
	s_cmp_lg_u32 s15, 0
	s_cselect_b32 s15, s14, s42
	s_cselect_b32 s14, s43, s6
	s_cbranch_execnz .LBB79_208
.LBB79_207:                             ;   in Loop: Header=BB79_34 Depth=1
	v_cvt_f32_u32_e32 v6, s76
	s_sub_i32 s6, 0, s76
	v_rcp_iflag_f32_e32 v6, v6
	s_nop 0
	v_mul_f32_e32 v6, 0x4f7ffffe, v6
	v_cvt_u32_f32_e32 v6, v6
	s_nop 0
	v_readfirstlane_b32 s14, v6
	s_mul_i32 s6, s6, s14
	s_mul_hi_u32 s6, s14, s6
	s_add_i32 s14, s14, s6
	s_mul_hi_u32 s6, s44, s14
	s_mul_i32 s6, s6, s76
	s_sub_i32 s6, s44, s6
	s_sub_i32 s14, s6, s76
	s_cmp_ge_u32 s6, s76
	s_cselect_b32 s6, s14, s6
	s_sub_i32 s14, s6, s76
	s_cmp_ge_u32 s6, s76
	s_cselect_b32 s80, s14, s6
	s_mov_b64 s[14:15], s[80:81]
.LBB79_208:                             ;   in Loop: Header=BB79_34 Depth=1
	s_sub_u32 s44, s44, s14
	s_subb_u32 s45, s7, s15
	v_cmp_gt_u64_e32 vcc, s[44:45], v[0:1]
	s_mov_b64 s[14:15], 0
	s_mov_b64 s[6:7], 0
                                        ; implicit-def: $vgpr48
	s_and_saveexec_b64 s[42:43], vcc
	s_cbranch_execz .LBB79_217
; %bb.209:                              ;   in Loop: Header=BB79_34 Depth=1
	v_mov_b32_e32 v8, v0
	v_mov_b64_e32 v[6:7], v[0:1]
                                        ; implicit-def: $sgpr46_sgpr47
	s_branch .LBB79_212
.LBB79_210:                             ;   in Loop: Header=BB79_212 Depth=2
	s_or_b64 exec, exec, s[48:49]
	s_waitcnt lgkmcnt(0)
	s_barrier
	ds_read_u16 v9, v3 offset:3072
	s_mov_b64 s[48:49], -1
	s_waitcnt lgkmcnt(0)
	s_barrier
	v_cmp_ne_u32_sdwa s[50:51], v9, v3 src0_sel:BYTE_0 src1_sel:DWORD
	s_and_b64 vcc, exec, s[50:51]
	s_mov_b64 s[50:51], -1
	s_cbranch_vccz .LBB79_215
.LBB79_211:                             ;   in Loop: Header=BB79_212 Depth=2
	s_and_b64 s[48:49], exec, s[48:49]
	s_or_b64 s[6:7], s[48:49], s[6:7]
	s_andn2_b64 s[46:47], s[46:47], exec
	s_and_b64 s[48:49], s[50:51], exec
	s_or_b64 s[46:47], s[46:47], s[48:49]
	s_andn2_b64 exec, exec, s[6:7]
	s_cbranch_execz .LBB79_216
.LBB79_212:                             ;   Parent Loop BB79_34 Depth=1
                                        ; =>  This Inner Loop Header: Depth=2
	v_cmp_gt_u64_e32 vcc, s[8:9], v[6:7]
	s_and_saveexec_b64 s[48:49], vcc
	s_cbranch_execz .LBB79_210
; %bb.213:                              ;   in Loop: Header=BB79_212 Depth=2
	ds_read_u8 v9, v8
	s_waitcnt lgkmcnt(0)
	v_bitop3_b32 v10, v9, s33, v47 bitop3:0x80
	v_cmp_eq_u32_e32 vcc, v10, v44
	s_and_b64 exec, exec, vcc
	s_cbranch_execz .LBB79_210
; %bb.214:                              ;   in Loop: Header=BB79_212 Depth=2
	v_lshlrev_b16_e32 v9, 8, v9
	v_or_b32_e32 v9, 1, v9
	ds_write_b16 v3, v9 offset:3072
	s_branch .LBB79_210
.LBB79_215:                             ;   in Loop: Header=BB79_212 Depth=2
	v_lshl_add_u64 v[6:7], v[6:7], 0, s[76:77]
	v_cmp_le_u64_e32 vcc, s[44:45], v[6:7]
	v_add_u32_e32 v8, s76, v8
	s_mov_b64 s[50:51], 0
	s_orn2_b64 s[48:49], vcc, exec
	s_branch .LBB79_211
.LBB79_216:                             ;   in Loop: Header=BB79_34 Depth=1
	s_or_b64 exec, exec, s[6:7]
	v_lshrrev_b32_sdwa v48, v46, v9 dst_sel:DWORD dst_unused:UNUSED_PAD src0_sel:DWORD src1_sel:WORD_0
	s_and_b64 s[6:7], s[46:47], exec
	v_readlane_b32 s50, v65, 42
	v_readlane_b32 s51, v65, 43
.LBB79_217:                             ;   in Loop: Header=BB79_34 Depth=1
	s_or_b64 exec, exec, s[42:43]
.LBB79_218:                             ;   in Loop: Header=BB79_34 Depth=1
	s_and_b64 vcc, exec, s[14:15]
	s_cbranch_vccz .LBB79_235
; %bb.219:                              ;   in Loop: Header=BB79_34 Depth=1
	s_mov_b32 s88, s81
	s_cmp_lg_u64 s[88:89], 0
	s_cbranch_scc0 .LBB79_222
; %bb.220:                              ;   in Loop: Header=BB79_34 Depth=1
	v_cvt_f32_u32_e32 v6, s76
	s_sub_u32 s14, 0, s76
	s_subb_u32 s15, 0, 0
	v_fmac_f32_e32 v6, 0, v45
	v_rcp_f32_e32 v6, v6
	s_nop 0
	v_mul_f32_e32 v6, 0x5f7ffffc, v6
	v_mul_f32_e32 v7, 0x2f800000, v6
	v_trunc_f32_e32 v7, v7
	v_fmac_f32_e32 v6, 0xcf800000, v7
	v_cvt_u32_f32_e32 v7, v7
	v_cvt_u32_f32_e32 v6, v6
	v_readfirstlane_b32 s34, v7
	v_readfirstlane_b32 s8, v6
	s_mul_i32 s9, s14, s34
	s_mul_hi_u32 s36, s14, s8
	s_mul_i32 s35, s15, s8
	s_add_i32 s9, s36, s9
	s_mul_i32 s37, s14, s8
	s_add_i32 s9, s9, s35
	s_mul_hi_u32 s36, s8, s37
	s_mul_i32 s42, s8, s9
	s_mul_hi_u32 s35, s8, s9
	s_add_u32 s36, s36, s42
	s_addc_u32 s35, 0, s35
	s_mul_hi_u32 s43, s34, s37
	s_mul_i32 s37, s34, s37
	s_add_u32 s36, s36, s37
	s_mul_hi_u32 s42, s34, s9
	s_addc_u32 s35, s35, s43
	s_addc_u32 s36, s42, 0
	s_mul_i32 s9, s34, s9
	s_add_u32 s9, s35, s9
	s_addc_u32 s35, 0, s36
	s_add_u32 s36, s8, s9
	s_cselect_b64 s[8:9], -1, 0
	s_cmp_lg_u64 s[8:9], 0
	s_addc_u32 s34, s34, s35
	s_mul_i32 s8, s14, s34
	s_mul_hi_u32 s9, s14, s36
	s_add_i32 s8, s9, s8
	s_mul_i32 s15, s15, s36
	s_add_i32 s8, s8, s15
	s_mul_i32 s14, s14, s36
	s_mul_hi_u32 s15, s34, s14
	s_mul_i32 s35, s34, s14
	s_mul_i32 s42, s36, s8
	s_mul_hi_u32 s14, s36, s14
	s_mul_hi_u32 s37, s36, s8
	s_add_u32 s14, s14, s42
	s_addc_u32 s37, 0, s37
	s_add_u32 s14, s14, s35
	s_mul_hi_u32 s9, s34, s8
	s_addc_u32 s14, s37, s15
	s_addc_u32 s9, s9, 0
	s_mul_i32 s8, s34, s8
	s_add_u32 s8, s14, s8
	s_addc_u32 s14, 0, s9
	s_add_u32 s15, s36, s8
	s_cselect_b64 s[8:9], -1, 0
	s_cmp_lg_u64 s[8:9], 0
	s_addc_u32 s8, s34, s14
	v_readlane_b32 s36, v65, 19
	s_mul_i32 s14, s36, s8
	s_mul_hi_u32 s34, s36, s15
	s_mul_hi_u32 s9, s36, s8
	s_add_u32 s14, s34, s14
	s_addc_u32 s9, 0, s9
	s_mul_hi_u32 s35, s89, s15
	s_mul_i32 s15, s89, s15
	s_add_u32 s14, s14, s15
	s_mul_hi_u32 s34, s89, s8
	s_addc_u32 s9, s9, s35
	s_addc_u32 s14, s34, 0
	s_mul_i32 s8, s89, s8
	s_add_u32 s8, s9, s8
	s_addc_u32 s9, 0, s14
	s_mul_i32 s9, s76, s9
	s_mul_hi_u32 s14, s76, s8
	s_add_i32 s14, s14, s9
	s_mul_i32 s8, s76, s8
	s_sub_u32 s15, s36, s8
	s_cselect_b64 s[8:9], -1, 0
	s_cmp_lg_u64 s[8:9], 0
	s_subb_u32 s14, s89, s14
	s_sub_u32 s34, s15, s76
	s_cselect_b64 s[8:9], -1, 0
	s_cmp_lg_u64 s[8:9], 0
	s_subb_u32 s35, s14, 0
	;; [unrolled: 4-line block ×3, first 2 shown]
	s_cmp_ge_u32 s34, s76
	s_cselect_b32 s9, -1, 0
	s_cmp_eq_u32 s35, 0
	s_cselect_b32 s9, s9, -1
	s_cmp_lg_u32 s9, 0
	s_cselect_b32 s8, s8, s35
	s_cselect_b32 s34, s36, s34
	s_cmp_ge_u32 s15, s76
	s_cselect_b32 s9, -1, 0
	s_cmp_eq_u32 s14, 0
	s_cselect_b32 s9, s9, -1
	s_cmp_lg_u32 s9, 0
	s_cselect_b32 s9, s8, s14
	s_cselect_b32 s8, s34, s15
	s_mov_b64 s[14:15], 0
	s_branch .LBB79_223
.LBB79_221:                             ;   in Loop: Header=BB79_34 Depth=1
                                        ; implicit-def: $sgpr14_sgpr15
	s_branch .LBB79_207
.LBB79_222:                             ;   in Loop: Header=BB79_34 Depth=1
	s_mov_b64 s[14:15], -1
                                        ; implicit-def: $sgpr8_sgpr9
.LBB79_223:                             ;   in Loop: Header=BB79_34 Depth=1
	s_andn2_b64 vcc, exec, s[14:15]
	v_readlane_b32 s88, v65, 44
	s_cbranch_vccnz .LBB79_225
; %bb.224:                              ;   in Loop: Header=BB79_34 Depth=1
	v_cvt_f32_u32_e32 v6, s76
	s_sub_i32 s8, 0, s76
	v_readlane_b32 s14, v65, 19
	v_rcp_iflag_f32_e32 v6, v6
	s_nop 0
	v_mul_f32_e32 v6, 0x4f7ffffe, v6
	v_cvt_u32_f32_e32 v6, v6
	s_nop 0
	v_readfirstlane_b32 s9, v6
	s_mul_i32 s8, s8, s9
	s_mul_hi_u32 s8, s9, s8
	s_add_i32 s9, s9, s8
	s_mul_hi_u32 s8, s14, s9
	s_mul_i32 s8, s8, s76
	s_sub_i32 s8, s14, s8
	s_sub_i32 s9, s8, s76
	s_cmp_ge_u32 s8, s76
	s_cselect_b32 s8, s9, s8
	s_sub_i32 s9, s8, s76
	s_cmp_ge_u32 s8, s76
	s_cselect_b32 s80, s9, s8
	s_mov_b64 s[8:9], s[80:81]
.LBB79_225:                             ;   in Loop: Header=BB79_34 Depth=1
	v_readlane_b32 s14, v65, 19
	s_sub_u32 s14, s14, s8
	s_subb_u32 s15, s89, s9
	v_cmp_gt_u64_e32 vcc, s[14:15], v[0:1]
                                        ; implicit-def: $vgpr48
	s_and_saveexec_b64 s[8:9], vcc
	s_cbranch_execz .LBB79_234
; %bb.226:                              ;   in Loop: Header=BB79_34 Depth=1
	s_mov_b64 s[34:35], 0
	v_mov_b64_e32 v[6:7], v[16:17]
	v_mov_b64_e32 v[8:9], v[0:1]
                                        ; implicit-def: $sgpr36_sgpr37
	s_branch .LBB79_229
.LBB79_227:                             ;   in Loop: Header=BB79_229 Depth=2
	s_or_b64 exec, exec, s[42:43]
	s_waitcnt lgkmcnt(0)
	s_barrier
	ds_read_u16 v10, v3 offset:3072
	s_mov_b64 s[42:43], -1
	s_waitcnt lgkmcnt(0)
	s_barrier
	v_cmp_eq_u32_sdwa s[44:45], v10, v3 src0_sel:BYTE_0 src1_sel:DWORD
	s_and_b64 vcc, exec, s[44:45]
	s_mov_b64 s[44:45], -1
	s_cbranch_vccnz .LBB79_232
.LBB79_228:                             ;   in Loop: Header=BB79_229 Depth=2
	s_and_b64 s[42:43], exec, s[42:43]
	s_or_b64 s[34:35], s[42:43], s[34:35]
	s_andn2_b64 s[36:37], s[36:37], exec
	s_and_b64 s[42:43], s[44:45], exec
	s_or_b64 s[36:37], s[36:37], s[42:43]
	s_andn2_b64 exec, exec, s[34:35]
	s_cbranch_execz .LBB79_233
.LBB79_229:                             ;   Parent Loop BB79_34 Depth=1
                                        ; =>  This Inner Loop Header: Depth=2
	v_cmp_gt_u64_e32 vcc, s[56:57], v[8:9]
	s_and_saveexec_b64 s[42:43], vcc
	s_cbranch_execz .LBB79_227
; %bb.230:                              ;   in Loop: Header=BB79_229 Depth=2
	global_load_ubyte v10, v[6:7], off
	s_waitcnt vmcnt(0)
	v_bitop3_b32 v11, v10, s33, v47 bitop3:0x80
	v_cmp_eq_u32_e32 vcc, v11, v44
	s_and_b64 exec, exec, vcc
	s_cbranch_execz .LBB79_227
; %bb.231:                              ;   in Loop: Header=BB79_229 Depth=2
	v_lshlrev_b16_e32 v10, 8, v10
	v_or_b32_e32 v10, 1, v10
	ds_write_b16 v3, v10 offset:3072
	s_branch .LBB79_227
.LBB79_232:                             ;   in Loop: Header=BB79_229 Depth=2
	v_lshl_add_u64 v[8:9], v[8:9], 0, s[76:77]
	v_cmp_le_u64_e32 vcc, s[14:15], v[8:9]
	v_lshl_add_u64 v[6:7], v[6:7], 0, s[82:83]
	s_mov_b64 s[44:45], 0
	s_orn2_b64 s[42:43], vcc, exec
	s_branch .LBB79_228
.LBB79_233:                             ;   in Loop: Header=BB79_34 Depth=1
	s_or_b64 exec, exec, s[34:35]
	s_andn2_b64 s[6:7], s[6:7], exec
	s_and_b64 s[14:15], s[36:37], exec
	v_lshrrev_b32_sdwa v48, v46, v10 dst_sel:DWORD dst_unused:UNUSED_PAD src0_sel:DWORD src1_sel:WORD_0
	s_or_b64 s[6:7], s[6:7], s[14:15]
.LBB79_234:                             ;   in Loop: Header=BB79_34 Depth=1
	s_or_b64 exec, exec, s[8:9]
	s_mov_b64 s[34:35], 0
	s_mov_b64 s[36:37], -1
.LBB79_235:                             ;   in Loop: Header=BB79_34 Depth=1
	s_orn2_b64 s[6:7], s[6:7], exec
.LBB79_236:                             ;   in Loop: Header=BB79_34 Depth=1
	s_or_b64 exec, exec, s[38:39]
	s_mov_b64 s[8:9], 0
	s_and_saveexec_b64 s[38:39], s[6:7]
	s_cbranch_execz .LBB79_295
; %bb.237:                              ;   in Loop: Header=BB79_34 Depth=1
	s_xor_b64 s[14:15], s[40:41], -1
	v_mov_b32_e32 v2, 1
	v_mov_b64_e32 v[6:7], 1
	s_and_saveexec_b64 s[6:7], s[14:15]
	s_cbranch_execz .LBB79_246
; %bb.238:                              ;   in Loop: Header=BB79_34 Depth=1
	v_cmp_ge_u64_e32 vcc, s[22:23], v[4:5]
	s_and_saveexec_b64 s[8:9], vcc
	s_xor_b64 s[8:9], exec, s[8:9]
	s_cbranch_execz .LBB79_243
; %bb.239:                              ;   in Loop: Header=BB79_34 Depth=1
	ds_read_b64 v[6:7], v3 offset:5120
	v_and_b32_e32 v2, s52, v44
	v_lshl_or_b32 v44, 2, s91, v2
	v_or_b32_e32 v47, s86, v47
	s_waitcnt lgkmcnt(0)
	v_cmp_ne_u64_e32 vcc, 0, v[6:7]
	s_cbranch_vccnz .LBB79_243
; %bb.240:                              ;   in Loop: Header=BB79_34 Depth=1
	s_mov_b64 s[14:15], exec
	v_readlane_b32 s40, v65, 4
	v_readlane_b32 s41, v65, 5
	s_and_b64 s[40:41], s[14:15], s[40:41]
	s_mov_b64 exec, s[40:41]
; %bb.241:                              ;   in Loop: Header=BB79_34 Depth=1
	v_mov_b64_e32 v[6:7], s[22:23]
	ds_write_b64 v3, v[6:7] offset:5128
; %bb.242:                              ;   in Loop: Header=BB79_34 Depth=1
	s_or_b64 exec, exec, s[14:15]
	s_waitcnt lgkmcnt(0)
	s_barrier
.LBB79_243:                             ;   in Loop: Header=BB79_34 Depth=1
	s_or_saveexec_b64 s[8:9], s[8:9]
	s_mov_b64 s[14:15], 0
	v_mov_b32_e32 v2, 8
	s_xor_b64 exec, exec, s[8:9]
; %bb.244:                              ;   in Loop: Header=BB79_34 Depth=1
	v_mov_b32_e32 v2, s23
	v_subrev_co_u32_e32 v4, vcc, s22, v4
	s_mov_b64 s[14:15], exec
	s_nop 0
	v_subb_co_u32_e32 v5, vcc, v5, v2, vcc
	v_mov_b32_e32 v2, 0
; %bb.245:                              ;   in Loop: Header=BB79_34 Depth=1
	s_or_b64 exec, exec, s[8:9]
	s_and_b64 s[8:9], s[14:15], exec
	v_mov_b64_e32 v[6:7], v[4:5]
.LBB79_246:                             ;   in Loop: Header=BB79_34 Depth=1
	s_or_b64 exec, exec, s[6:7]
	s_mov_b64 s[6:7], -1
                                        ; implicit-def: $sgpr46_sgpr47
                                        ; implicit-def: $sgpr44_sgpr45
	s_and_saveexec_b64 s[22:23], s[8:9]
	s_cbranch_execz .LBB79_294
; %bb.247:                              ;   in Loop: Header=BB79_34 Depth=1
	s_cmp_eq_u64 s[2:3], 1
	s_cselect_b64 s[6:7], -1, 0
	v_cmp_eq_u64_e32 vcc, 1, v[6:7]
	s_and_b64 s[40:41], s[6:7], vcc
	s_mov_b64 s[8:9], -1
                                        ; implicit-def: $sgpr46_sgpr47
                                        ; implicit-def: $sgpr44_sgpr45
	s_and_saveexec_b64 s[42:43], s[40:41]
	s_cbranch_execz .LBB79_282
; %bb.248:                              ;   in Loop: Header=BB79_34 Depth=1
	ds_read_b64 v[4:5], v3 offset:5120
	s_waitcnt lgkmcnt(0)
	s_barrier
	v_readfirstlane_b32 s8, v4
	v_readfirstlane_b32 s9, v5
	s_mov_b64 s[6:7], exec
	v_readlane_b32 s14, v65, 12
	v_readlane_b32 s15, v65, 13
	s_and_b64 s[14:15], s[6:7], s[14:15]
	s_mov_b64 exec, s[14:15]
; %bb.249:                              ;   in Loop: Header=BB79_34 Depth=1
	ds_write_b8 v0, v3 offset:3072
; %bb.250:                              ;   in Loop: Header=BB79_34 Depth=1
	s_or_b64 exec, exec, s[6:7]
	v_or_b32_e32 v44, s86, v44
	v_or_b32_e32 v47, s86, v47
	s_mov_b64 s[44:45], -1
	s_mov_b64 s[46:47], 0
	s_cmp_eq_u64 s[8:9], 0
	s_mov_b64 s[6:7], 0
	s_mov_b64 s[14:15], -1
	s_waitcnt lgkmcnt(0)
	s_barrier
                                        ; implicit-def: $vgpr48
	s_cbranch_scc1 .LBB79_264
; %bb.251:                              ;   in Loop: Header=BB79_34 Depth=1
	v_readlane_b32 s6, v65, 18
	s_add_u32 s50, s8, s6
	v_readlane_b32 s6, v65, 20
	s_addc_u32 s7, s9, s6
	s_mov_b32 s6, s81
	s_cmp_lg_u64 s[6:7], 0
	s_cbranch_scc0 .LBB79_267
; %bb.252:                              ;   in Loop: Header=BB79_34 Depth=1
	v_cvt_f32_u32_e32 v4, s76
	s_sub_u32 s6, 0, s76
	s_subb_u32 s48, 0, 0
	v_fmac_f32_e32 v4, 0, v45
	v_rcp_f32_e32 v4, v4
	s_nop 0
	v_mul_f32_e32 v4, 0x5f7ffffc, v4
	v_mul_f32_e32 v5, 0x2f800000, v4
	v_trunc_f32_e32 v5, v5
	v_fmac_f32_e32 v4, 0xcf800000, v5
	v_cvt_u32_f32_e32 v5, v5
	v_cvt_u32_f32_e32 v4, v4
	v_readfirstlane_b32 s49, v5
	v_readfirstlane_b32 s14, v4
	s_mul_i32 s15, s6, s49
	s_mul_hi_u32 s52, s6, s14
	s_mul_i32 s51, s48, s14
	s_add_i32 s15, s52, s15
	s_mul_i32 s53, s6, s14
	s_add_i32 s15, s15, s51
	s_mul_hi_u32 s52, s14, s53
	s_mul_i32 s54, s14, s15
	s_mul_hi_u32 s51, s14, s15
	s_add_u32 s52, s52, s54
	s_addc_u32 s51, 0, s51
	s_mul_hi_u32 s55, s49, s53
	s_mul_i32 s53, s49, s53
	s_add_u32 s52, s52, s53
	s_mul_hi_u32 s54, s49, s15
	s_addc_u32 s51, s51, s55
	s_addc_u32 s52, s54, 0
	s_mul_i32 s15, s49, s15
	s_add_u32 s15, s51, s15
	s_addc_u32 s51, 0, s52
	s_add_u32 s52, s14, s15
	s_cselect_b64 s[14:15], -1, 0
	s_cmp_lg_u64 s[14:15], 0
	s_addc_u32 s49, s49, s51
	s_mul_i32 s14, s6, s49
	s_mul_hi_u32 s15, s6, s52
	s_add_i32 s14, s15, s14
	s_mul_i32 s48, s48, s52
	s_add_i32 s14, s14, s48
	s_mul_i32 s6, s6, s52
	s_mul_hi_u32 s48, s49, s6
	s_mul_i32 s51, s49, s6
	s_mul_i32 s54, s52, s14
	s_mul_hi_u32 s6, s52, s6
	s_mul_hi_u32 s53, s52, s14
	s_add_u32 s6, s6, s54
	s_addc_u32 s53, 0, s53
	s_add_u32 s6, s6, s51
	s_mul_hi_u32 s15, s49, s14
	s_addc_u32 s6, s53, s48
	s_addc_u32 s15, s15, 0
	s_mul_i32 s14, s49, s14
	s_add_u32 s6, s6, s14
	s_addc_u32 s48, 0, s15
	s_add_u32 s6, s52, s6
	s_cselect_b64 s[14:15], -1, 0
	s_cmp_lg_u64 s[14:15], 0
	s_addc_u32 s14, s49, s48
	s_mul_i32 s48, s50, s14
	s_mul_hi_u32 s49, s50, s6
	s_mul_hi_u32 s15, s50, s14
	s_add_u32 s48, s49, s48
	s_addc_u32 s15, 0, s15
	s_mul_hi_u32 s51, s7, s6
	s_mul_i32 s6, s7, s6
	s_add_u32 s6, s48, s6
	s_mul_hi_u32 s49, s7, s14
	s_addc_u32 s6, s15, s51
	s_addc_u32 s15, s49, 0
	s_mul_i32 s14, s7, s14
	s_add_u32 s6, s6, s14
	s_addc_u32 s14, 0, s15
	s_mul_i32 s14, s76, s14
	s_mul_hi_u32 s15, s76, s6
	s_add_i32 s48, s15, s14
	s_mul_i32 s6, s76, s6
	s_sub_u32 s6, s50, s6
	s_cselect_b64 s[14:15], -1, 0
	s_cmp_lg_u64 s[14:15], 0
	s_subb_u32 s48, s7, s48
	s_sub_u32 s49, s6, s76
	s_cselect_b64 s[14:15], -1, 0
	s_cmp_lg_u64 s[14:15], 0
	s_subb_u32 s51, s48, 0
	;; [unrolled: 4-line block ×3, first 2 shown]
	s_cmp_ge_u32 s49, s76
	s_cselect_b32 s15, -1, 0
	s_cmp_eq_u32 s51, 0
	s_cselect_b32 s15, s15, -1
	s_cmp_lg_u32 s15, 0
	s_cselect_b32 s14, s14, s51
	s_cselect_b32 s49, s52, s49
	s_cmp_ge_u32 s6, s76
	s_cselect_b32 s15, -1, 0
	s_cmp_eq_u32 s48, 0
	s_cselect_b32 s15, s15, -1
	s_cmp_lg_u32 s15, 0
	s_cselect_b32 s15, s14, s48
	s_cselect_b32 s14, s49, s6
	s_cbranch_execnz .LBB79_254
.LBB79_253:                             ;   in Loop: Header=BB79_34 Depth=1
	v_cvt_f32_u32_e32 v4, s76
	s_sub_i32 s6, 0, s76
	v_rcp_iflag_f32_e32 v4, v4
	s_nop 0
	v_mul_f32_e32 v4, 0x4f7ffffe, v4
	v_cvt_u32_f32_e32 v4, v4
	s_nop 0
	v_readfirstlane_b32 s14, v4
	s_mul_i32 s6, s6, s14
	s_mul_hi_u32 s6, s14, s6
	s_add_i32 s14, s14, s6
	s_mul_hi_u32 s6, s50, s14
	s_mul_i32 s6, s6, s76
	s_sub_i32 s6, s50, s6
	s_sub_i32 s14, s6, s76
	s_cmp_ge_u32 s6, s76
	s_cselect_b32 s6, s14, s6
	s_sub_i32 s14, s6, s76
	s_cmp_ge_u32 s6, s76
	s_cselect_b32 s80, s14, s6
	s_mov_b64 s[14:15], s[80:81]
.LBB79_254:                             ;   in Loop: Header=BB79_34 Depth=1
	s_sub_u32 s50, s50, s14
	s_subb_u32 s51, s7, s15
	v_cmp_gt_u64_e32 vcc, s[50:51], v[0:1]
	s_mov_b64 s[14:15], 0
	s_mov_b64 s[6:7], 0
                                        ; implicit-def: $vgpr48
	s_and_saveexec_b64 s[48:49], vcc
	s_cbranch_execz .LBB79_263
; %bb.255:                              ;   in Loop: Header=BB79_34 Depth=1
	v_mov_b32_e32 v8, v0
	v_mov_b64_e32 v[4:5], v[0:1]
                                        ; implicit-def: $sgpr52_sgpr53
	s_branch .LBB79_258
.LBB79_256:                             ;   in Loop: Header=BB79_258 Depth=2
	s_or_b64 exec, exec, s[54:55]
	s_waitcnt lgkmcnt(0)
	s_barrier
	ds_read_u16 v9, v3 offset:3072
	s_mov_b64 s[54:55], -1
	s_waitcnt lgkmcnt(0)
	s_barrier
	v_cmp_ne_u32_sdwa s[82:83], v9, v3 src0_sel:BYTE_0 src1_sel:DWORD
	s_and_b64 vcc, exec, s[82:83]
	s_mov_b64 s[82:83], -1
	s_cbranch_vccz .LBB79_261
.LBB79_257:                             ;   in Loop: Header=BB79_258 Depth=2
	s_and_b64 s[54:55], exec, s[54:55]
	s_or_b64 s[6:7], s[54:55], s[6:7]
	s_andn2_b64 s[52:53], s[52:53], exec
	s_and_b64 s[54:55], s[82:83], exec
	s_or_b64 s[52:53], s[52:53], s[54:55]
	s_andn2_b64 exec, exec, s[6:7]
	s_cbranch_execz .LBB79_262
.LBB79_258:                             ;   Parent Loop BB79_34 Depth=1
                                        ; =>  This Inner Loop Header: Depth=2
	v_cmp_gt_u64_e32 vcc, s[8:9], v[4:5]
	s_and_saveexec_b64 s[54:55], vcc
	s_cbranch_execz .LBB79_256
; %bb.259:                              ;   in Loop: Header=BB79_258 Depth=2
	ds_read_u8 v9, v8
	s_waitcnt lgkmcnt(0)
	v_bitop3_b32 v10, v9, s33, v47 bitop3:0x80
	v_cmp_eq_u32_e32 vcc, v10, v44
	s_and_b64 exec, exec, vcc
	s_cbranch_execz .LBB79_256
; %bb.260:                              ;   in Loop: Header=BB79_258 Depth=2
	v_lshlrev_b16_e32 v9, 8, v9
	v_or_b32_e32 v9, 1, v9
	ds_write_b16 v3, v9 offset:3072
	s_branch .LBB79_256
.LBB79_261:                             ;   in Loop: Header=BB79_258 Depth=2
	v_lshl_add_u64 v[4:5], v[4:5], 0, s[76:77]
	v_cmp_le_u64_e32 vcc, s[50:51], v[4:5]
	v_add_u32_e32 v8, s76, v8
	s_mov_b64 s[82:83], 0
	s_orn2_b64 s[54:55], vcc, exec
	s_branch .LBB79_257
.LBB79_262:                             ;   in Loop: Header=BB79_34 Depth=1
	s_or_b64 exec, exec, s[6:7]
	v_readlane_b32 s82, v65, 35
	v_lshrrev_b32_sdwa v48, v46, v9 dst_sel:DWORD dst_unused:UNUSED_PAD src0_sel:DWORD src1_sel:WORD_0
	s_and_b64 s[6:7], s[52:53], exec
	v_readlane_b32 s83, v65, 36
.LBB79_263:                             ;   in Loop: Header=BB79_34 Depth=1
	s_or_b64 exec, exec, s[48:49]
	v_readlane_b32 s54, v65, 37
	v_readlane_b32 s55, v65, 38
	;; [unrolled: 1-line block ×4, first 2 shown]
.LBB79_264:                             ;   in Loop: Header=BB79_34 Depth=1
	s_and_b64 vcc, exec, s[14:15]
	s_cbranch_vccz .LBB79_281
; %bb.265:                              ;   in Loop: Header=BB79_34 Depth=1
	s_mov_b32 s88, s81
	s_cmp_lg_u64 s[88:89], 0
	s_cbranch_scc0 .LBB79_268
; %bb.266:                              ;   in Loop: Header=BB79_34 Depth=1
	v_cvt_f32_u32_e32 v4, s76
	s_sub_u32 s14, 0, s76
	s_subb_u32 s15, 0, 0
	v_fmac_f32_e32 v4, 0, v45
	v_rcp_f32_e32 v4, v4
	s_nop 0
	v_mul_f32_e32 v4, 0x5f7ffffc, v4
	v_mul_f32_e32 v5, 0x2f800000, v4
	v_trunc_f32_e32 v5, v5
	v_fmac_f32_e32 v4, 0xcf800000, v5
	v_cvt_u32_f32_e32 v5, v5
	v_cvt_u32_f32_e32 v4, v4
	v_readfirstlane_b32 s44, v5
	v_readfirstlane_b32 s8, v4
	s_mul_i32 s9, s14, s44
	s_mul_hi_u32 s46, s14, s8
	s_mul_i32 s45, s15, s8
	s_add_i32 s9, s46, s9
	s_mul_i32 s47, s14, s8
	s_add_i32 s9, s9, s45
	s_mul_hi_u32 s46, s8, s47
	s_mul_i32 s48, s8, s9
	s_mul_hi_u32 s45, s8, s9
	s_add_u32 s46, s46, s48
	s_addc_u32 s45, 0, s45
	s_mul_hi_u32 s49, s44, s47
	s_mul_i32 s47, s44, s47
	s_add_u32 s46, s46, s47
	s_mul_hi_u32 s48, s44, s9
	s_addc_u32 s45, s45, s49
	s_addc_u32 s46, s48, 0
	s_mul_i32 s9, s44, s9
	s_add_u32 s9, s45, s9
	s_addc_u32 s45, 0, s46
	s_add_u32 s46, s8, s9
	s_cselect_b64 s[8:9], -1, 0
	s_cmp_lg_u64 s[8:9], 0
	s_addc_u32 s44, s44, s45
	s_mul_i32 s8, s14, s44
	s_mul_hi_u32 s9, s14, s46
	s_add_i32 s8, s9, s8
	s_mul_i32 s15, s15, s46
	s_add_i32 s8, s8, s15
	s_mul_i32 s14, s14, s46
	s_mul_hi_u32 s15, s44, s14
	s_mul_i32 s45, s44, s14
	s_mul_i32 s48, s46, s8
	s_mul_hi_u32 s14, s46, s14
	s_mul_hi_u32 s47, s46, s8
	s_add_u32 s14, s14, s48
	s_addc_u32 s47, 0, s47
	s_add_u32 s14, s14, s45
	s_mul_hi_u32 s9, s44, s8
	s_addc_u32 s14, s47, s15
	s_addc_u32 s9, s9, 0
	s_mul_i32 s8, s44, s8
	s_add_u32 s8, s14, s8
	s_addc_u32 s14, 0, s9
	s_add_u32 s15, s46, s8
	s_cselect_b64 s[8:9], -1, 0
	s_cmp_lg_u64 s[8:9], 0
	s_addc_u32 s8, s44, s14
	v_readlane_b32 s46, v65, 19
	s_mul_i32 s14, s46, s8
	s_mul_hi_u32 s44, s46, s15
	s_mul_hi_u32 s9, s46, s8
	s_add_u32 s14, s44, s14
	s_addc_u32 s9, 0, s9
	s_mul_hi_u32 s45, s89, s15
	s_mul_i32 s15, s89, s15
	s_add_u32 s14, s14, s15
	s_mul_hi_u32 s44, s89, s8
	s_addc_u32 s9, s9, s45
	s_addc_u32 s14, s44, 0
	s_mul_i32 s8, s89, s8
	s_add_u32 s8, s9, s8
	s_addc_u32 s9, 0, s14
	s_mul_i32 s9, s76, s9
	s_mul_hi_u32 s14, s76, s8
	s_add_i32 s14, s14, s9
	s_mul_i32 s8, s76, s8
	s_sub_u32 s15, s46, s8
	s_cselect_b64 s[8:9], -1, 0
	s_cmp_lg_u64 s[8:9], 0
	s_subb_u32 s14, s89, s14
	s_sub_u32 s44, s15, s76
	s_cselect_b64 s[8:9], -1, 0
	s_cmp_lg_u64 s[8:9], 0
	s_subb_u32 s45, s14, 0
	;; [unrolled: 4-line block ×3, first 2 shown]
	s_cmp_ge_u32 s44, s76
	s_cselect_b32 s9, -1, 0
	s_cmp_eq_u32 s45, 0
	s_cselect_b32 s9, s9, -1
	s_cmp_lg_u32 s9, 0
	s_cselect_b32 s8, s8, s45
	s_cselect_b32 s44, s46, s44
	s_cmp_ge_u32 s15, s76
	s_cselect_b32 s9, -1, 0
	s_cmp_eq_u32 s14, 0
	s_cselect_b32 s9, s9, -1
	s_cmp_lg_u32 s9, 0
	s_cselect_b32 s9, s8, s14
	s_cselect_b32 s8, s44, s15
	s_mov_b64 s[14:15], 0
	s_branch .LBB79_269
.LBB79_267:                             ;   in Loop: Header=BB79_34 Depth=1
                                        ; implicit-def: $sgpr14_sgpr15
	s_branch .LBB79_253
.LBB79_268:                             ;   in Loop: Header=BB79_34 Depth=1
	s_mov_b64 s[14:15], -1
                                        ; implicit-def: $sgpr8_sgpr9
.LBB79_269:                             ;   in Loop: Header=BB79_34 Depth=1
	s_andn2_b64 vcc, exec, s[14:15]
	v_readlane_b32 s88, v65, 44
	s_cbranch_vccnz .LBB79_271
; %bb.270:                              ;   in Loop: Header=BB79_34 Depth=1
	v_cvt_f32_u32_e32 v4, s76
	s_sub_i32 s8, 0, s76
	v_readlane_b32 s14, v65, 19
	v_rcp_iflag_f32_e32 v4, v4
	s_nop 0
	v_mul_f32_e32 v4, 0x4f7ffffe, v4
	v_cvt_u32_f32_e32 v4, v4
	s_nop 0
	v_readfirstlane_b32 s9, v4
	s_mul_i32 s8, s8, s9
	s_mul_hi_u32 s8, s9, s8
	s_add_i32 s9, s9, s8
	s_mul_hi_u32 s8, s14, s9
	s_mul_i32 s8, s8, s76
	s_sub_i32 s8, s14, s8
	s_sub_i32 s9, s8, s76
	s_cmp_ge_u32 s8, s76
	s_cselect_b32 s8, s9, s8
	s_sub_i32 s9, s8, s76
	s_cmp_ge_u32 s8, s76
	s_cselect_b32 s80, s9, s8
	s_mov_b64 s[8:9], s[80:81]
.LBB79_271:                             ;   in Loop: Header=BB79_34 Depth=1
	v_readlane_b32 s14, v65, 19
	s_sub_u32 s14, s14, s8
	s_subb_u32 s15, s89, s9
	v_cmp_gt_u64_e32 vcc, s[14:15], v[0:1]
                                        ; implicit-def: $vgpr48
	s_and_saveexec_b64 s[8:9], vcc
	s_cbranch_execz .LBB79_280
; %bb.272:                              ;   in Loop: Header=BB79_34 Depth=1
	s_mov_b64 s[44:45], 0
	v_mov_b64_e32 v[4:5], v[16:17]
	v_mov_b64_e32 v[8:9], v[0:1]
                                        ; implicit-def: $sgpr46_sgpr47
	s_branch .LBB79_275
.LBB79_273:                             ;   in Loop: Header=BB79_275 Depth=2
	s_or_b64 exec, exec, s[48:49]
	s_waitcnt lgkmcnt(0)
	s_barrier
	ds_read_u16 v10, v3 offset:3072
	s_mov_b64 s[48:49], -1
	s_waitcnt lgkmcnt(0)
	s_barrier
	v_cmp_eq_u32_sdwa s[50:51], v10, v3 src0_sel:BYTE_0 src1_sel:DWORD
	s_and_b64 vcc, exec, s[50:51]
	s_mov_b64 s[50:51], -1
	s_cbranch_vccnz .LBB79_278
.LBB79_274:                             ;   in Loop: Header=BB79_275 Depth=2
	s_and_b64 s[48:49], exec, s[48:49]
	s_or_b64 s[44:45], s[48:49], s[44:45]
	s_andn2_b64 s[46:47], s[46:47], exec
	s_and_b64 s[48:49], s[50:51], exec
	s_or_b64 s[46:47], s[46:47], s[48:49]
	s_andn2_b64 exec, exec, s[44:45]
	s_cbranch_execz .LBB79_279
.LBB79_275:                             ;   Parent Loop BB79_34 Depth=1
                                        ; =>  This Inner Loop Header: Depth=2
	v_cmp_gt_u64_e32 vcc, s[56:57], v[8:9]
	s_and_saveexec_b64 s[48:49], vcc
	s_cbranch_execz .LBB79_273
; %bb.276:                              ;   in Loop: Header=BB79_275 Depth=2
	global_load_ubyte v10, v[4:5], off
	s_waitcnt vmcnt(0)
	v_bitop3_b32 v11, v10, s33, v47 bitop3:0x80
	v_cmp_eq_u32_e32 vcc, v11, v44
	s_and_b64 exec, exec, vcc
	s_cbranch_execz .LBB79_273
; %bb.277:                              ;   in Loop: Header=BB79_275 Depth=2
	v_lshlrev_b16_e32 v10, 8, v10
	v_or_b32_e32 v10, 1, v10
	ds_write_b16 v3, v10 offset:3072
	s_branch .LBB79_273
.LBB79_278:                             ;   in Loop: Header=BB79_275 Depth=2
	v_lshl_add_u64 v[8:9], v[8:9], 0, s[76:77]
	v_cmp_le_u64_e32 vcc, s[14:15], v[8:9]
	v_lshl_add_u64 v[4:5], v[4:5], 0, s[82:83]
	s_mov_b64 s[50:51], 0
	s_orn2_b64 s[48:49], vcc, exec
	s_branch .LBB79_274
.LBB79_279:                             ;   in Loop: Header=BB79_34 Depth=1
	s_or_b64 exec, exec, s[44:45]
	s_andn2_b64 s[6:7], s[6:7], exec
	s_and_b64 s[14:15], s[46:47], exec
	v_lshrrev_b32_sdwa v48, v46, v10 dst_sel:DWORD dst_unused:UNUSED_PAD src0_sel:DWORD src1_sel:WORD_0
	s_or_b64 s[6:7], s[6:7], s[14:15]
	v_readlane_b32 s50, v65, 42
	v_readlane_b32 s51, v65, 43
.LBB79_280:                             ;   in Loop: Header=BB79_34 Depth=1
	s_or_b64 exec, exec, s[8:9]
	s_mov_b64 s[44:45], 0
	s_mov_b64 s[46:47], -1
.LBB79_281:                             ;   in Loop: Header=BB79_34 Depth=1
	s_orn2_b64 s[8:9], s[6:7], exec
.LBB79_282:                             ;   in Loop: Header=BB79_34 Depth=1
	s_or_b64 exec, exec, s[42:43]
	s_mov_b64 s[14:15], 0
	s_and_saveexec_b64 s[6:7], s[8:9]
	s_cbranch_execz .LBB79_293
; %bb.283:                              ;   in Loop: Header=BB79_34 Depth=1
	s_xor_b64 s[14:15], s[40:41], -1
	v_mov_b64_e32 v[4:5], 1
	v_mov_b32_e32 v2, 1
	s_and_saveexec_b64 s[8:9], s[14:15]
	s_cbranch_execz .LBB79_292
; %bb.284:                              ;   in Loop: Header=BB79_34 Depth=1
	v_cmp_ge_u64_e32 vcc, s[2:3], v[6:7]
	s_and_saveexec_b64 s[14:15], vcc
	s_xor_b64 s[14:15], exec, s[14:15]
	s_cbranch_execz .LBB79_289
; %bb.285:                              ;   in Loop: Header=BB79_34 Depth=1
	ds_read_b64 v[4:5], v3 offset:5120
	v_or_b32_e32 v44, s86, v44
	v_or_b32_e32 v47, s86, v47
	s_waitcnt lgkmcnt(0)
	v_cmp_ne_u64_e32 vcc, 0, v[4:5]
	s_cbranch_vccnz .LBB79_289
; %bb.286:                              ;   in Loop: Header=BB79_34 Depth=1
	s_mov_b64 s[40:41], exec
	v_readlane_b32 s42, v65, 4
	v_readlane_b32 s43, v65, 5
	s_and_b64 s[42:43], s[40:41], s[42:43]
	s_mov_b64 exec, s[42:43]
; %bb.287:                              ;   in Loop: Header=BB79_34 Depth=1
	v_mov_b64_e32 v[4:5], s[2:3]
	ds_write_b64 v3, v[4:5] offset:5128
; %bb.288:                              ;   in Loop: Header=BB79_34 Depth=1
	s_or_b64 exec, exec, s[40:41]
	s_waitcnt lgkmcnt(0)
	s_barrier
.LBB79_289:                             ;   in Loop: Header=BB79_34 Depth=1
	s_andn2_saveexec_b64 s[14:15], s[14:15]
; %bb.290:                              ;   in Loop: Header=BB79_34 Depth=1
	v_mov_b32_e32 v2, s3
	v_subrev_co_u32_e32 v6, vcc, s2, v6
	s_nop 1
	v_subb_co_u32_e32 v7, vcc, v7, v2, vcc
; %bb.291:                              ;   in Loop: Header=BB79_34 Depth=1
	s_or_b64 exec, exec, s[14:15]
	v_mov_b32_e32 v2, 8
	v_mov_b64_e32 v[4:5], v[6:7]
.LBB79_292:                             ;   in Loop: Header=BB79_34 Depth=1
	s_or_b64 exec, exec, s[8:9]
	s_mov_b64 s[14:15], exec
	v_mov_b64_e32 v[6:7], v[4:5]
.LBB79_293:                             ;   in Loop: Header=BB79_34 Depth=1
	s_or_b64 exec, exec, s[6:7]
	s_orn2_b64 s[6:7], s[14:15], exec
.LBB79_294:                             ;   in Loop: Header=BB79_34 Depth=1
	s_or_b64 exec, exec, s[22:23]
	s_andn2_b64 s[2:3], s[36:37], exec
	s_and_b64 s[8:9], s[46:47], exec
	s_or_b64 s[36:37], s[2:3], s[8:9]
	s_andn2_b64 s[2:3], s[34:35], exec
	s_and_b64 s[8:9], s[44:45], exec
	s_or_b64 s[34:35], s[2:3], s[8:9]
	s_and_b64 s[8:9], s[6:7], exec
	v_mov_b64_e32 v[4:5], v[6:7]
.LBB79_295:                             ;   in Loop: Header=BB79_34 Depth=1
	s_or_b64 exec, exec, s[38:39]
	s_orn2_b64 s[6:7], s[8:9], exec
.LBB79_296:                             ;   in Loop: Header=BB79_34 Depth=1
	s_or_b64 exec, exec, s[28:29]
	s_andn2_b64 s[2:3], s[24:25], exec
	s_and_b64 s[8:9], s[36:37], exec
	s_or_b64 s[24:25], s[2:3], s[8:9]
	s_andn2_b64 s[0:1], s[0:1], exec
	s_and_b64 s[2:3], s[34:35], exec
	s_or_b64 s[0:1], s[0:1], s[2:3]
	s_and_b64 s[8:9], s[6:7], exec
	v_mov_b64_e32 v[8:9], v[4:5]
.LBB79_297:                             ;   in Loop: Header=BB79_34 Depth=1
	s_or_b64 exec, exec, s[26:27]
	s_orn2_b64 s[6:7], s[8:9], exec
.LBB79_298:                             ;   in Loop: Header=BB79_34 Depth=1
	s_or_b64 exec, exec, s[20:21]
	s_mov_b64 s[8:9], 0
	s_and_saveexec_b64 s[2:3], s[6:7]
	s_xor_b64 s[2:3], exec, s[2:3]
	s_cbranch_execz .LBB79_32
; %bb.299:                              ;   in Loop: Header=BB79_34 Depth=1
	v_and_b32_e32 v2, 7, v2
	v_cmp_eq_u32_e32 vcc, 0, v2
	s_mov_b64 s[6:7], -1
	s_mov_b64 s[8:9], -1
	s_and_saveexec_b64 s[14:15], vcc
	s_cbranch_execz .LBB79_31
; %bb.300:                              ;   in Loop: Header=BB79_34 Depth=1
	v_readlane_b32 s6, v65, 34
	s_xor_b32 s6, s6, 1
	s_add_i32 s18, s91, -2
	s_cmp_eq_u32 s91, 0
	v_writelane_b32 v65, s6, 34
	s_cselect_b64 s[6:7], -1, 0
	s_xor_b64 s[8:9], exec, -1
	s_orn2_b64 s[6:7], s[6:7], exec
	s_mov_b32 s91, s18
	s_branch .LBB79_31
.LBB79_301:
	s_or_b64 exec, exec, s[72:73]
	s_xor_b64 s[6:7], s[12:13], -1
	s_xor_b64 s[0:1], s[70:71], -1
	;; [unrolled: 1-line block ×3, first 2 shown]
	s_mov_b64 s[2:3], 0
	s_and_saveexec_b64 s[8:9], s[0:1]
	s_xor_b64 s[0:1], exec, s[8:9]
	s_cbranch_execnz .LBB79_306
; %bb.302:
	s_andn2_saveexec_b64 s[0:1], s[0:1]
	s_cbranch_execnz .LBB79_319
.LBB79_303:
	s_or_b64 exec, exec, s[0:1]
	s_and_saveexec_b64 s[0:1], s[2:3]
.LBB79_304:
	; divergent unreachable
.LBB79_305:
	s_endpgm
.LBB79_306:
	s_and_saveexec_b64 s[2:3], s[6:7]
	s_xor_b64 s[2:3], exec, s[2:3]
	s_cbranch_execz .LBB79_317
; %bb.307:
	s_and_saveexec_b64 s[6:7], s[4:5]
	s_xor_b64 s[4:5], exec, s[6:7]
; %bb.308:
	v_mov_b32_e32 v48, v44
; %bb.309:
	s_or_b64 exec, exec, s[4:5]
	v_readlane_b32 s6, v65, 0
	v_readlane_b32 s7, v65, 1
	s_mul_i32 s4, s6, s65
	s_mul_hi_u32 s5, s6, s64
	s_add_i32 s4, s5, s4
	s_mul_i32 s5, s7, s64
	s_add_i32 s4, s4, s5
	s_mul_i32 s5, s6, s64
	v_readlane_b32 s6, v65, 6
	v_readlane_b32 s7, v65, 7
	s_add_u32 s5, s6, s5
	s_addc_u32 s6, s7, s4
	s_add_u32 s4, s5, s58
	s_addc_u32 s5, s6, s59
	v_mov_b32_e32 v2, 0
	global_store_byte v2, v48, s[4:5]
	s_mov_b64 s[4:5], exec
	v_readlane_b32 s6, v65, 10
	v_readlane_b32 s7, v65, 11
	s_and_b64 s[6:7], s[4:5], s[6:7]
	s_mov_b64 exec, s[6:7]
	s_cbranch_execz .LBB79_316
; %bb.310:
	s_mov_b64 s[6:7], 0
                                        ; implicit-def: $sgpr8_sgpr9
                                        ; implicit-def: $sgpr12_sgpr13
                                        ; implicit-def: $sgpr10_sgpr11
	s_branch .LBB79_312
.LBB79_311:                             ;   in Loop: Header=BB79_312 Depth=1
	s_or_b64 exec, exec, s[14:15]
	s_and_b64 s[14:15], exec, s[12:13]
	s_or_b64 s[6:7], s[14:15], s[6:7]
	s_andn2_b64 s[8:9], s[8:9], exec
	s_and_b64 s[14:15], s[10:11], exec
	s_or_b64 s[8:9], s[8:9], s[14:15]
	s_andn2_b64 exec, exec, s[6:7]
	s_cbranch_execz .LBB79_314
.LBB79_312:                             ; =>This Inner Loop Header: Depth=1
	global_load_ubyte v4, v[16:17], off
	v_mov_b64_e32 v[2:3], v[0:1]
	s_or_b64 s[10:11], s[10:11], exec
	s_or_b64 s[12:13], s[12:13], exec
                                        ; implicit-def: $vgpr0_vgpr1
	s_waitcnt vmcnt(0)
	v_cmp_ne_u16_sdwa s[16:17], v4, v48 src0_sel:DWORD src1_sel:BYTE_0
	s_and_saveexec_b64 s[14:15], s[16:17]
	s_cbranch_execz .LBB79_311
; %bb.313:                              ;   in Loop: Header=BB79_312 Depth=1
	v_lshl_add_u64 v[0:1], v[2:3], 0, s[76:77]
	v_cmp_le_u64_e32 vcc, s[56:57], v[0:1]
	s_andn2_b64 s[12:13], s[12:13], exec
	s_and_b64 s[16:17], vcc, exec
	v_lshl_add_u64 v[16:17], v[16:17], 0, s[82:83]
	s_andn2_b64 s[10:11], s[10:11], exec
	s_or_b64 s[12:13], s[12:13], s[16:17]
	s_branch .LBB79_311
.LBB79_314:
	s_or_b64 exec, exec, s[6:7]
	s_and_saveexec_b64 s[6:7], s[8:9]
	s_xor_b64 s[6:7], exec, s[6:7]
	s_cbranch_execz .LBB79_316
; %bb.315:
	v_readlane_b32 s8, v65, 2
	v_readlane_b32 s9, v65, 3
	s_mul_i32 s6, s8, s69
	s_mul_hi_u32 s7, s8, s68
	s_add_i32 s6, s7, s6
	s_mul_i32 s7, s9, s68
	s_add_i32 s7, s6, s7
	s_mul_i32 s6, s8, s68
	s_lshl_b64 s[6:7], s[6:7], 3
	v_readlane_b32 s8, v65, 8
	v_readlane_b32 s9, v65, 9
	s_add_u32 s8, s8, s6
	s_addc_u32 s9, s9, s7
	s_lshl_b64 s[6:7], s[62:63], 3
	s_add_u32 s6, s8, s6
	s_addc_u32 s7, s9, s7
	v_mov_b32_e32 v0, 0
	global_store_dwordx2 v0, v[2:3], s[6:7]
.LBB79_316:
	s_or_b64 exec, exec, s[4:5]
.LBB79_317:
	s_or_saveexec_b64 s[2:3], s[2:3]
	s_mov_b64 s[4:5], 0
	s_xor_b64 exec, exec, s[2:3]
	s_cbranch_execnz .LBB79_320
.LBB79_318:
	s_or_b64 exec, exec, s[2:3]
	s_and_b64 s[2:3], s[4:5], exec
	s_andn2_saveexec_b64 s[0:1], s[0:1]
	s_cbranch_execz .LBB79_303
.LBB79_319:
	s_or_b64 s[2:3], s[2:3], exec
	s_trap 2
	s_or_b64 exec, exec, s[0:1]
	s_and_saveexec_b64 s[0:1], s[2:3]
	s_cbranch_execnz .LBB79_304
	s_branch .LBB79_305
.LBB79_320:
	s_mov_b64 s[4:5], exec
	s_trap 2
	s_branch .LBB79_318
	.section	.rodata,"a",@progbits
	.p2align	6, 0x0
	.amdhsa_kernel _ZN2at6native12_GLOBAL__N_112gatherMedianIhmLin1EEEvNS_4cuda6detail10TensorInfoIT_T0_EENS5_IlS7_EENS5_IKS6_S7_EES7_S7_S7_b
		.amdhsa_group_segment_fixed_size 5152
		.amdhsa_private_segment_fixed_size 0
		.amdhsa_kernarg_size 1536
		.amdhsa_user_sgpr_count 2
		.amdhsa_user_sgpr_dispatch_ptr 0
		.amdhsa_user_sgpr_queue_ptr 0
		.amdhsa_user_sgpr_kernarg_segment_ptr 1
		.amdhsa_user_sgpr_dispatch_id 0
		.amdhsa_user_sgpr_kernarg_preload_length 0
		.amdhsa_user_sgpr_kernarg_preload_offset 0
		.amdhsa_user_sgpr_private_segment_size 0
		.amdhsa_uses_dynamic_stack 0
		.amdhsa_enable_private_segment 0
		.amdhsa_system_sgpr_workgroup_id_x 1
		.amdhsa_system_sgpr_workgroup_id_y 1
		.amdhsa_system_sgpr_workgroup_id_z 1
		.amdhsa_system_sgpr_workgroup_info 0
		.amdhsa_system_vgpr_workitem_id 0
		.amdhsa_next_free_vgpr 66
		.amdhsa_next_free_sgpr 100
		.amdhsa_accum_offset 68
		.amdhsa_reserve_vcc 1
		.amdhsa_float_round_mode_32 0
		.amdhsa_float_round_mode_16_64 0
		.amdhsa_float_denorm_mode_32 3
		.amdhsa_float_denorm_mode_16_64 3
		.amdhsa_dx10_clamp 1
		.amdhsa_ieee_mode 1
		.amdhsa_fp16_overflow 0
		.amdhsa_tg_split 0
		.amdhsa_exception_fp_ieee_invalid_op 0
		.amdhsa_exception_fp_denorm_src 0
		.amdhsa_exception_fp_ieee_div_zero 0
		.amdhsa_exception_fp_ieee_overflow 0
		.amdhsa_exception_fp_ieee_underflow 0
		.amdhsa_exception_fp_ieee_inexact 0
		.amdhsa_exception_int_div_zero 0
	.end_amdhsa_kernel
	.section	.text._ZN2at6native12_GLOBAL__N_112gatherMedianIhmLin1EEEvNS_4cuda6detail10TensorInfoIT_T0_EENS5_IlS7_EENS5_IKS6_S7_EES7_S7_S7_b,"axG",@progbits,_ZN2at6native12_GLOBAL__N_112gatherMedianIhmLin1EEEvNS_4cuda6detail10TensorInfoIT_T0_EENS5_IlS7_EENS5_IKS6_S7_EES7_S7_S7_b,comdat
.Lfunc_end79:
	.size	_ZN2at6native12_GLOBAL__N_112gatherMedianIhmLin1EEEvNS_4cuda6detail10TensorInfoIT_T0_EENS5_IlS7_EENS5_IKS6_S7_EES7_S7_S7_b, .Lfunc_end79-_ZN2at6native12_GLOBAL__N_112gatherMedianIhmLin1EEEvNS_4cuda6detail10TensorInfoIT_T0_EENS5_IlS7_EENS5_IKS6_S7_EES7_S7_S7_b
                                        ; -- End function
	.set _ZN2at6native12_GLOBAL__N_112gatherMedianIhmLin1EEEvNS_4cuda6detail10TensorInfoIT_T0_EENS5_IlS7_EENS5_IKS6_S7_EES7_S7_S7_b.num_vgpr, 66
	.set _ZN2at6native12_GLOBAL__N_112gatherMedianIhmLin1EEEvNS_4cuda6detail10TensorInfoIT_T0_EENS5_IlS7_EENS5_IKS6_S7_EES7_S7_S7_b.num_agpr, 0
	.set _ZN2at6native12_GLOBAL__N_112gatherMedianIhmLin1EEEvNS_4cuda6detail10TensorInfoIT_T0_EENS5_IlS7_EENS5_IKS6_S7_EES7_S7_S7_b.numbered_sgpr, 100
	.set _ZN2at6native12_GLOBAL__N_112gatherMedianIhmLin1EEEvNS_4cuda6detail10TensorInfoIT_T0_EENS5_IlS7_EENS5_IKS6_S7_EES7_S7_S7_b.num_named_barrier, 0
	.set _ZN2at6native12_GLOBAL__N_112gatherMedianIhmLin1EEEvNS_4cuda6detail10TensorInfoIT_T0_EENS5_IlS7_EENS5_IKS6_S7_EES7_S7_S7_b.private_seg_size, 0
	.set _ZN2at6native12_GLOBAL__N_112gatherMedianIhmLin1EEEvNS_4cuda6detail10TensorInfoIT_T0_EENS5_IlS7_EENS5_IKS6_S7_EES7_S7_S7_b.uses_vcc, 1
	.set _ZN2at6native12_GLOBAL__N_112gatherMedianIhmLin1EEEvNS_4cuda6detail10TensorInfoIT_T0_EENS5_IlS7_EENS5_IKS6_S7_EES7_S7_S7_b.uses_flat_scratch, 0
	.set _ZN2at6native12_GLOBAL__N_112gatherMedianIhmLin1EEEvNS_4cuda6detail10TensorInfoIT_T0_EENS5_IlS7_EENS5_IKS6_S7_EES7_S7_S7_b.has_dyn_sized_stack, 0
	.set _ZN2at6native12_GLOBAL__N_112gatherMedianIhmLin1EEEvNS_4cuda6detail10TensorInfoIT_T0_EENS5_IlS7_EENS5_IKS6_S7_EES7_S7_S7_b.has_recursion, 0
	.set _ZN2at6native12_GLOBAL__N_112gatherMedianIhmLin1EEEvNS_4cuda6detail10TensorInfoIT_T0_EENS5_IlS7_EENS5_IKS6_S7_EES7_S7_S7_b.has_indirect_call, 0
	.section	.AMDGPU.csdata,"",@progbits
; Kernel info:
; codeLenInByte = 17900
; TotalNumSgprs: 106
; NumVgprs: 66
; NumAgprs: 0
; TotalNumVgprs: 66
; ScratchSize: 0
; MemoryBound: 0
; FloatMode: 240
; IeeeMode: 1
; LDSByteSize: 5152 bytes/workgroup (compile time only)
; SGPRBlocks: 13
; VGPRBlocks: 8
; NumSGPRsForWavesPerEU: 106
; NumVGPRsForWavesPerEU: 66
; AccumOffset: 68
; Occupancy: 7
; WaveLimiterHint : 1
; COMPUTE_PGM_RSRC2:SCRATCH_EN: 0
; COMPUTE_PGM_RSRC2:USER_SGPR: 2
; COMPUTE_PGM_RSRC2:TRAP_HANDLER: 0
; COMPUTE_PGM_RSRC2:TGID_X_EN: 1
; COMPUTE_PGM_RSRC2:TGID_Y_EN: 1
; COMPUTE_PGM_RSRC2:TGID_Z_EN: 1
; COMPUTE_PGM_RSRC2:TIDIG_COMP_CNT: 0
; COMPUTE_PGM_RSRC3_GFX90A:ACCUM_OFFSET: 16
; COMPUTE_PGM_RSRC3_GFX90A:TG_SPLIT: 0
	.section	.text._ZN2at6native12_GLOBAL__N_112gatherMedianIajLi1EEEvNS_4cuda6detail10TensorInfoIT_T0_EENS5_IlS7_EENS5_IKS6_S7_EES7_S7_S7_b,"axG",@progbits,_ZN2at6native12_GLOBAL__N_112gatherMedianIajLi1EEEvNS_4cuda6detail10TensorInfoIT_T0_EENS5_IlS7_EENS5_IKS6_S7_EES7_S7_S7_b,comdat
	.globl	_ZN2at6native12_GLOBAL__N_112gatherMedianIajLi1EEEvNS_4cuda6detail10TensorInfoIT_T0_EENS5_IlS7_EENS5_IKS6_S7_EES7_S7_S7_b ; -- Begin function _ZN2at6native12_GLOBAL__N_112gatherMedianIajLi1EEEvNS_4cuda6detail10TensorInfoIT_T0_EENS5_IlS7_EENS5_IKS6_S7_EES7_S7_S7_b
	.p2align	8
	.type	_ZN2at6native12_GLOBAL__N_112gatherMedianIajLi1EEEvNS_4cuda6detail10TensorInfoIT_T0_EENS5_IlS7_EENS5_IKS6_S7_EES7_S7_S7_b,@function
_ZN2at6native12_GLOBAL__N_112gatherMedianIajLi1EEEvNS_4cuda6detail10TensorInfoIT_T0_EENS5_IlS7_EENS5_IKS6_S7_EES7_S7_S7_b: ; @_ZN2at6native12_GLOBAL__N_112gatherMedianIajLi1EEEvNS_4cuda6detail10TensorInfoIT_T0_EENS5_IlS7_EENS5_IKS6_S7_EES7_S7_S7_b
; %bb.0:
	s_load_dwordx2 s[10:11], s[0:1], 0x298
	s_load_dwordx4 s[64:67], s[0:1], 0x288
	s_add_u32 s8, s0, 0x298
	s_addc_u32 s9, s1, 0
	s_waitcnt lgkmcnt(0)
	s_mul_i32 s4, s11, s4
	s_add_i32 s3, s4, s3
	s_mul_i32 s3, s3, s10
	s_add_i32 s16, s3, s2
	s_cmp_ge_u32 s16, s65
	s_cbranch_scc1 .LBB80_252
; %bb.1:
	v_cmp_eq_u32_e64 s[6:7], 0, v0
	s_mov_b64 s[4:5], exec
                                        ; implicit-def: $vgpr81 : SGPR spill to VGPR lane
	s_nop 0
	v_writelane_b32 v81, s6, 0
	s_nop 1
	v_writelane_b32 v81, s7, 1
	s_and_b64 s[6:7], s[4:5], s[6:7]
	s_mov_b64 exec, s[6:7]
; %bb.2:
	v_mov_b32_e32 v2, 0
	v_mov_b32_e32 v3, v2
	ds_write_b64 v2, v[2:3] offset:4096
; %bb.3:
	s_or_b64 exec, exec, s[4:5]
	v_mov_b32_e32 v1, 0
	s_waitcnt lgkmcnt(0)
	s_barrier
	s_barrier
	ds_read_b64 v[2:3], v1 offset:4096
	s_load_dwordx2 s[4:5], s[0:1], 0x1b0
	s_bitcmp1_b32 s67, 0
	s_cselect_b64 s[12:13], -1, 0
	s_mov_b32 s3, s64
	s_waitcnt lgkmcnt(0)
	v_readfirstlane_b32 s6, v2
	v_readfirstlane_b32 s7, v3
	s_nop 1
	v_cmp_lt_i64_e64 s[14:15], s[6:7], 1
	s_or_b64 s[12:13], s[12:13], s[14:15]
	s_andn2_b64 vcc, exec, s[12:13]
	s_cbranch_vccnz .LBB80_5
; %bb.4:
	s_not_b64 s[6:7], s[6:7]
	s_add_u32 s3, s6, s64
	s_addc_u32 s7, s7, 0
	s_lshr_b32 s6, s7, 31
	s_add_u32 s6, s3, s6
	s_addc_u32 s7, s7, 0
	s_lshr_b64 s[6:7], s[6:7], 1
	s_add_i32 s3, s6, 1
.LBB80_5:
	s_load_dwordx2 s[6:7], s[0:1], 0xd8
	s_waitcnt lgkmcnt(0)
	v_writelane_b32 v81, s6, 2
	s_nop 1
	v_writelane_b32 v81, s7, 3
	s_load_dword s11, s[0:1], 0x21c
	s_load_dwordx2 s[6:7], s[0:1], 0x0
	s_waitcnt lgkmcnt(0)
	v_writelane_b32 v81, s6, 4
	s_nop 1
	v_writelane_b32 v81, s7, 5
	s_mov_b64 s[6:7], exec
	v_readlane_b32 s12, v81, 0
	v_readlane_b32 s13, v81, 1
	s_and_b64 s[12:13], s[6:7], s[12:13]
	s_mov_b64 exec, s[12:13]
	s_cbranch_execz .LBB80_7
; %bb.6:
	v_mov_b32_e32 v2, 0
	v_mov_b32_e32 v3, s64
	ds_write_b32 v2, v2 offset:4112
	ds_write_b64 v2, v[2:3] offset:4104
.LBB80_7:
	s_or_b64 exec, exec, s[6:7]
	s_load_dword s6, s[0:1], 0x144
	s_waitcnt lgkmcnt(0)
	s_barrier
	s_load_dword s12, s[8:9], 0xc
	v_writelane_b32 v81, s6, 6
	s_load_dword s6, s[0:1], 0x6c
                                        ; kill: killed $sgpr0 killed $sgpr1
	s_mul_i32 s11, s11, s16
	v_cmp_gt_u32_e64 s[0:1], s64, v0
	v_mbcnt_lo_u32_b32 v1, -1, 0
	s_add_u32 s70, s4, s11
	s_waitcnt lgkmcnt(0)
	v_writelane_b32 v81, s6, 7
	v_writelane_b32 v81, s16, 8
	;; [unrolled: 1-line block ×3, first 2 shown]
	v_mbcnt_hi_u32_b32 v28, -1, v1
	s_addc_u32 s71, s5, 0
	v_writelane_b32 v81, s1, 10
	s_and_b32 s67, s12, 0xffff
	v_cmp_gt_u32_e32 vcc, 64, v0
	v_cmp_gt_i32_e64 s[0:1], 4, v28
	s_and_b64 s[76:77], vcc, s[0:1]
	s_add_i32 s0, s67, -1
	s_lshl_b32 s65, s67, 2
	v_writelane_b32 v81, s0, 11
	s_add_i32 s0, s0, s64
	s_cmpk_gt_u32 s64, 0xc00
	s_cselect_b64 s[16:17], -1, 0
	s_cmp_gt_u32 s67, 63
	v_lshlrev_b64 v[2:3], v28, -1
	s_cselect_b64 s[80:81], -1, 0
	v_not_b32_e32 v24, v2
	v_lshrrev_b32_e32 v2, 2, v0
	s_cmp_lt_u32 s2, s10
	v_and_b32_e32 v2, 0xf0, v2
	s_cselect_b32 s1, 12, 18
	v_writelane_b32 v81, s16, 12
	v_or_b32_e32 v29, 0xc00, v2
	s_add_u32 s8, s8, s1
	v_add_u32_e32 v2, 2, v0
	v_writelane_b32 v81, s17, 13
	s_addc_u32 s9, s9, 0
	v_max_u32_e32 v2, s64, v2
	v_writelane_b32 v81, s8, 14
	v_xad_u32 v2, v0, -1, v2
	v_cmp_lt_u32_e64 s[10:11], 31, v2
	v_writelane_b32 v81, s9, 15
	v_not_b32_e32 v1, v3
	v_add_u32_e32 v3, -8, v2
	v_writelane_b32 v81, s10, 16
	v_lshrrev_b32_e32 v5, 3, v3
	s_bfe_u32 s8, s12, 0xa0006
	v_writelane_b32 v81, s11, 17
	v_cmp_lt_u32_e64 s[10:11], 7, v3
	v_and_b32_e32 v3, 8, v3
	s_add_i32 s1, s8, -2
	v_writelane_b32 v81, s10, 18
	s_lshr_b32 s2, s1, 1
	v_and_b32_e32 v30, -8, v2
	v_writelane_b32 v81, s11, 19
	v_cmp_eq_u32_e64 s[10:11], 0, v3
	s_add_i32 s2, s2, 1
	s_cmpk_gt_u32 s67, 0x7f
	v_writelane_b32 v81, s10, 20
	v_lshlrev_b32_e32 v25, 2, v0
	v_mov_b32_e32 v21, 0
	v_writelane_b32 v81, s11, 21
	v_cmp_ne_u32_e64 s[10:11], v2, v30
	v_cvt_f32_u32_e32 v2, s65
	s_mov_b32 s14, 0
	v_writelane_b32 v81, s10, 22
	v_mul_lo_u32 v18, s66, v0
	v_rcp_iflag_f32_e32 v2, v2
	v_writelane_b32 v81, s11, 23
	s_cselect_b64 s[10:11], -1, 0
	v_writelane_b32 v81, s10, 24
	s_and_b32 s9, s8, 0x3fe
	v_mul_f32_e32 v2, 0x4f7ffffe, v2
	v_writelane_b32 v81, s11, 25
	s_and_b32 s10, s2, 7
	s_cmp_gt_u32 s1, 13
	s_cselect_b64 s[12:13], -1, 0
	v_writelane_b32 v81, s12, 26
	s_and_b32 s1, s2, -8
	s_cmp_lg_u32 s10, 0
	v_writelane_b32 v81, s13, 27
	v_writelane_b32 v81, s1, 28
	v_cvt_u32_f32_e32 v2, v2
	v_writelane_b32 v81, s10, 29
	s_cselect_b64 s[10:11], -1, 0
	v_writelane_b32 v81, s10, 30
	s_cmp_lg_u32 s9, s8
	v_readfirstlane_b32 s2, v2
	v_writelane_b32 v81, s11, 31
	v_writelane_b32 v81, s8, 32
	v_cvt_f32_u32_e32 v2, s67
	v_writelane_b32 v81, s9, 33
	s_cselect_b64 s[8:9], -1, 0
	s_sub_i32 s1, 0, s65
	s_mul_i32 s1, s1, s2
	s_mul_hi_u32 s1, s2, s1
	s_add_i32 s24, s2, s1
	v_rcp_iflag_f32_e32 v2, v2
	s_mul_hi_u32 s1, s64, s24
	s_mul_i32 s1, s1, s65
	s_sub_i32 s1, s64, s1
	s_sub_i32 s2, s1, s65
	v_mul_f32_e32 v2, 0x4f7ffffe, v2
	s_cmp_ge_u32 s1, s65
	v_cvt_u32_f32_e32 v2, v2
	s_cselect_b32 s1, s2, s1
	s_sub_i32 s2, s1, s65
	v_writelane_b32 v81, s8, 34
	s_cmp_ge_u32 s1, s65
	s_cselect_b32 s1, s2, s1
	v_writelane_b32 v81, s9, 35
	s_sub_i32 s2, 0, s67
	v_readfirstlane_b32 s8, v2
	s_mul_i32 s2, s2, s8
	s_mul_hi_u32 s2, s8, s2
	s_add_i32 s2, s8, s2
	v_writelane_b32 v81, s2, 36
	s_mul_hi_u32 s2, s0, s2
	s_mul_i32 s2, s2, s67
	s_sub_i32 s2, s0, s2
	s_sub_i32 s25, s64, s1
	;; [unrolled: 1-line block ×3, first 2 shown]
	s_cmp_ge_u32 s2, s67
	s_cselect_b32 s2, s9, s2
	s_sub_i32 s9, s2, s67
	s_cmp_ge_u32 s2, s67
	v_mul_lo_u32 v2, s66, v25
	s_cselect_b32 s2, s9, s2
	v_add_u32_e32 v34, s66, v2
	v_or_b32_e32 v2, 2, v25
	s_sub_i32 s82, s0, s2
	v_mul_lo_u32 v35, s66, v2
	v_or_b32_e32 v2, 3, v25
	s_add_i32 s0, s67, s64
	v_add_u32_e32 v33, s25, v0
	v_cmp_gt_u32_e64 s[8:9], s82, v0
	v_mul_lo_u32 v36, s66, v2
	v_add_u32_e32 v2, s0, v0
	v_mov_b32_e32 v19, v21
	v_lshlrev_b32_e32 v4, 2, v28
	v_add_u32_e32 v5, 1, v5
	v_mul_lo_u32 v20, v33, s66
	v_writelane_b32 v81, s8, 37
	s_mul_i32 s75, s66, s67
	v_subrev_u32_e32 v2, s1, v2
	s_mov_b32 s15, 1
	v_cmp_eq_u32_e64 s[4:5], 0, v28
	v_cmp_gt_u32_e64 s[6:7], 2, v0
	v_lshl_add_u64 v[22:23], s[70:71], 0, v[18:19]
	v_and_b32_e32 v19, 0x100, v4
	v_add_u32_e32 v31, v0, v30
	s_mov_b32 s62, s66
	s_mov_b32 s63, s66
	;; [unrolled: 1-line block ×8, first 2 shown]
	v_and_b32_e32 v32, 0x3ffffffe, v5
	v_cmp_gt_u32_e64 s[16:17], s25, v25
	v_cmp_gt_u32_e64 s[18:19], s64, v33
	v_lshl_add_u64 v[26:27], s[70:71], 0, v[20:21]
	v_writelane_b32 v81, s9, 38
	s_lshl_b32 s83, s75, 2
	v_lshlrev_b32_e32 v37, 2, v18
	v_mul_lo_u32 v39, s66, v2
	v_or_b32_e32 v40, 0xc00, v4
	s_mov_b64 s[92:93], 0
	v_mov_b32_e32 v41, 6
	v_mov_b32_e32 v46, s3
	s_movk_i32 s84, 0x80
	s_mov_b32 s85, 0xc0c0004
	s_mov_b32 s61, 0xc0c0007
	v_mov_b32_e32 v50, s64
	v_mov_b32_e32 v42, 0xc00
	;; [unrolled: 1-line block ×6, first 2 shown]
	s_mov_b32 s20, s14
	s_mov_b32 s87, s66
	;; [unrolled: 1-line block ×9, first 2 shown]
                                        ; implicit-def: $sgpr94_sgpr95
                                        ; implicit-def: $sgpr98_sgpr99
                                        ; implicit-def: $sgpr96_sgpr97
                                        ; implicit-def: $sgpr72_sgpr73
                                        ; implicit-def: $sgpr10_sgpr11
                                        ; implicit-def: $sgpr68_sgpr69
	s_branch .LBB80_11
.LBB80_8:                               ;   in Loop: Header=BB80_11 Depth=1
	s_or_b64 exec, exec, s[26:27]
	s_and_b64 s[14:15], s[14:15], exec
	s_andn2_b64 s[30:31], s[30:31], exec
	s_andn2_b64 s[28:29], s[28:29], exec
	s_orn2_b64 s[2:3], s[2:3], exec
.LBB80_9:                               ;   in Loop: Header=BB80_11 Depth=1
	s_or_b64 exec, exec, s[12:13]
	s_andn2_b64 s[12:13], s[68:69], exec
	s_and_b64 s[14:15], s[14:15], exec
	s_or_b64 s[68:69], s[12:13], s[14:15]
	s_andn2_b64 s[10:11], s[10:11], exec
	s_and_b64 s[12:13], s[30:31], exec
	s_or_b64 s[10:11], s[10:11], s[12:13]
	s_andn2_b64 s[12:13], s[72:73], exec
	s_and_b64 s[14:15], s[28:29], exec
	s_or_b64 s[72:73], s[12:13], s[14:15]
	s_orn2_b64 s[2:3], s[2:3], exec
.LBB80_10:                              ;   in Loop: Header=BB80_11 Depth=1
	s_or_b64 exec, exec, s[0:1]
	s_and_b64 s[0:1], exec, s[2:3]
	s_or_b64 s[92:93], s[0:1], s[92:93]
	s_andn2_b64 s[0:1], s[96:97], exec
	s_and_b64 s[2:3], s[68:69], exec
	s_or_b64 s[96:97], s[0:1], s[2:3]
	s_andn2_b64 s[0:1], s[98:99], exec
	s_and_b64 s[2:3], s[10:11], exec
	;; [unrolled: 3-line block ×3, first 2 shown]
	s_or_b64 s[94:95], s[0:1], s[2:3]
	s_mov_b32 s20, s9
	v_mov_b32_e32 v46, v5
	s_andn2_b64 exec, exec, s[92:93]
	s_cbranch_execz .LBB80_248
.LBB80_11:                              ; =>This Loop Header: Depth=1
                                        ;     Child Loop BB80_16 Depth 2
                                        ;     Child Loop BB80_37 Depth 2
	;; [unrolled: 1-line block ×18, first 2 shown]
	ds_read_b64 v[2:3], v21 offset:4104
	s_waitcnt lgkmcnt(0)
	v_readfirstlane_b32 s21, v2
	s_cmp_lg_u32 s21, 0
	s_cbranch_scc1 .LBB80_54
; %bb.12:                               ;   in Loop: Header=BB80_11 Depth=1
	v_readlane_b32 s0, v81, 12
	v_readlane_b32 s1, v81, 13
	s_and_b64 vcc, exec, s[0:1]
	s_cbranch_vccz .LBB80_24
; %bb.13:                               ;   in Loop: Header=BB80_11 Depth=1
	s_movk_i32 s0, 0xc01
	v_cmp_gt_u32_e32 vcc, s0, v3
	s_mov_b64 s[12:13], 0
	s_mov_b64 s[0:1], 0
	s_cbranch_vccz .LBB80_25
; %bb.14:                               ;   in Loop: Header=BB80_11 Depth=1
	v_readlane_b32 s0, v81, 14
	v_readlane_b32 s1, v81, 15
	s_nop 4
	global_load_ushort v2, v21, s[0:1]
	global_load_ubyte v4, v[22:23], off
	s_mov_b64 s[14:15], 0
	v_mov_b32_e32 v6, v0
	s_waitcnt vmcnt(1)
	v_add_u32_e32 v5, v0, v2
	v_mul_lo_u32 v3, s66, v2
	v_mul_lo_u32 v5, s66, v5
	s_branch .LBB80_16
.LBB80_15:                              ;   in Loop: Header=BB80_16 Depth=2
	s_or_b64 exec, exec, s[2:3]
	v_add_u32_e32 v5, v5, v3
	v_mov_b32_e32 v4, v7
	s_andn2_b64 exec, exec, s[14:15]
	s_cbranch_execz .LBB80_31
.LBB80_16:                              ;   Parent Loop BB80_11 Depth=1
                                        ; =>  This Inner Loop Header: Depth=2
	v_add_u32_e32 v6, v6, v2
	v_cmp_gt_u32_e64 s[0:1], s64, v6
	v_cmp_le_u32_e32 vcc, s64, v6
	s_waitcnt lgkmcnt(0)
	v_mov_b32_e32 v8, 0
	v_mov_b32_e32 v7, 0
	s_and_saveexec_b64 s[2:3], s[0:1]
	s_cbranch_execz .LBB80_18
; %bb.17:                               ;   in Loop: Header=BB80_16 Depth=2
	global_load_ubyte v7, v5, s[70:71]
.LBB80_18:                              ;   in Loop: Header=BB80_16 Depth=2
	s_or_b64 exec, exec, s[2:3]
	s_waitcnt vmcnt(0)
	v_add_u32_sdwa v9, sext(v4), s84 dst_sel:DWORD dst_unused:UNUSED_PAD src0_sel:BYTE_0 src1_sel:DWORD
	v_and_b32_e32 v9, v9, v44
	v_cmp_eq_u32_e64 s[0:1], v9, v38
	s_cmp_lg_u64 s[0:1], 0
	s_cselect_b64 s[2:3], -1, 0
	s_and_b64 s[2:3], s[4:5], s[2:3]
	s_and_saveexec_b64 s[26:27], s[2:3]
	s_cbranch_execz .LBB80_22
; %bb.19:                               ;   in Loop: Header=BB80_16 Depth=2
	s_mov_b64 s[30:31], exec
	v_mbcnt_lo_u32_b32 v8, s30, 0
	v_mbcnt_hi_u32_b32 v8, s31, v8
	s_bcnt1_i32_b64 s9, s[0:1]
	v_cmp_eq_u32_e64 s[2:3], 0, v8
                                        ; implicit-def: $vgpr9
	s_and_saveexec_b64 s[28:29], s[2:3]
; %bb.20:                               ;   in Loop: Header=BB80_16 Depth=2
	s_bcnt1_i32_b64 s2, s[30:31]
	s_mul_i32 s2, s9, s2
	v_mov_b32_e32 v9, s2
	ds_add_rtn_u32 v9, v21, v9 offset:4112
; %bb.21:                               ;   in Loop: Header=BB80_16 Depth=2
	s_or_b64 exec, exec, s[28:29]
	s_waitcnt lgkmcnt(0)
	v_readfirstlane_b32 s2, v9
	s_nop 1
	v_mov_b32_e32 v9, s2
	v_mad_u32_u24 v8, s9, v8, v9
.LBB80_22:                              ;   in Loop: Header=BB80_16 Depth=2
	s_or_b64 exec, exec, s[26:27]
	ds_bpermute_b32 v8, v19, v8
	s_and_b64 s[2:3], exec, vcc
	s_or_b64 s[14:15], s[2:3], s[14:15]
	s_and_saveexec_b64 s[2:3], s[0:1]
	s_cbranch_execz .LBB80_15
; %bb.23:                               ;   in Loop: Header=BB80_16 Depth=2
	v_and_b32_e32 v10, s0, v24
	v_and_b32_e32 v9, s1, v1
	v_bcnt_u32_b32 v10, v10, 0
	v_bcnt_u32_b32 v9, v9, v10
	s_waitcnt lgkmcnt(0)
	v_add_u32_e32 v8, v8, v9
	ds_write_b8 v8, v4
	s_branch .LBB80_15
.LBB80_24:                              ;   in Loop: Header=BB80_11 Depth=1
	s_mov_b64 s[12:13], -1
	s_mov_b64 s[0:1], 0
.LBB80_25:                              ;   in Loop: Header=BB80_11 Depth=1
	s_and_b64 vcc, exec, s[12:13]
	s_cbranch_vccz .LBB80_52
.LBB80_26:                              ;   in Loop: Header=BB80_11 Depth=1
	s_mov_b64 s[2:3], exec
	v_readlane_b32 s0, v81, 9
	v_readlane_b32 s1, v81, 10
	s_and_b64 s[0:1], s[2:3], s[0:1]
	s_mov_b64 exec, s[0:1]
	s_cbranch_execz .LBB80_49
; %bb.27:                               ;   in Loop: Header=BB80_11 Depth=1
	v_readlane_b32 s0, v81, 14
	v_readlane_b32 s1, v81, 15
	s_nop 4
	global_load_ushort v2, v21, s[0:1]
	global_load_ubyte v20, v[22:23], off
	v_mov_b32_e32 v3, v0
	s_waitcnt vmcnt(1)
	v_readfirstlane_b32 s21, v2
	v_add_u32_e32 v2, v0, v2
	v_cmp_gt_u32_e32 vcc, s64, v2
	s_and_saveexec_b64 s[26:27], vcc
	s_cbranch_execz .LBB80_48
; %bb.28:                               ;   in Loop: Header=BB80_11 Depth=1
	s_mov_b64 s[0:1], 0
	s_mul_i32 s30, s66, s21
                                        ; implicit-def: $vgpr3
                                        ; implicit-def: $vgpr4
                                        ; implicit-def: $vgpr5
	s_mov_b64 s[12:13], exec
	v_readlane_b32 s14, v81, 16
	v_readlane_b32 s15, v81, 17
	s_and_b64 s[14:15], s[12:13], s[14:15]
	s_xor_b64 s[28:29], s[14:15], s[12:13]
	s_mov_b64 exec, s[14:15]
	s_cbranch_execnz .LBB80_34
; %bb.29:                               ;   in Loop: Header=BB80_11 Depth=1
	s_andn2_saveexec_b64 s[12:13], s[28:29]
	s_cbranch_execnz .LBB80_43
.LBB80_30:                              ;   in Loop: Header=BB80_11 Depth=1
	s_or_b64 exec, exec, s[12:13]
	s_and_saveexec_b64 s[12:13], s[0:1]
	s_cbranch_execnz .LBB80_44
	s_branch .LBB80_47
.LBB80_31:                              ;   in Loop: Header=BB80_11 Depth=1
	s_or_b64 exec, exec, s[14:15]
	s_waitcnt lgkmcnt(0)
	s_barrier
	s_mov_b64 s[0:1], exec
	v_readlane_b32 s2, v81, 0
	v_readlane_b32 s3, v81, 1
	s_and_b64 s[2:3], s[0:1], s[2:3]
	s_mov_b64 exec, s[2:3]
	s_cbranch_execz .LBB80_33
; %bb.32:                               ;   in Loop: Header=BB80_11 Depth=1
	ds_read_b32 v2, v21 offset:4112
	s_waitcnt lgkmcnt(0)
	ds_write_b32 v21, v2 offset:4104
.LBB80_33:                              ;   in Loop: Header=BB80_11 Depth=1
	s_or_b64 exec, exec, s[0:1]
	s_waitcnt lgkmcnt(0)
	s_barrier
	s_mov_b64 s[0:1], -1
	s_and_b64 vcc, exec, s[12:13]
	s_cbranch_vccnz .LBB80_26
	s_branch .LBB80_52
.LBB80_34:                              ;   in Loop: Header=BB80_11 Depth=1
	v_cvt_f32_u32_e32 v3, s21
	v_add_u32_e32 v4, s21, v2
	v_max_u32_e32 v4, s64, v4
	s_lshl_b32 s0, s21, 1
	v_rcp_iflag_f32_e32 v3, v3
	v_sub_u32_e32 v4, v4, v0
	v_cmp_ne_u32_e32 vcc, s0, v4
	s_sub_i32 s1, 0, s21
	v_mul_f32_e32 v3, 0x4f7ffffe, v3
	v_cvt_u32_f32_e32 v3, v3
	v_cndmask_b32_e64 v5, 0, 1, vcc
	v_or_b32_e32 v5, s0, v5
	v_sub_u32_e32 v4, v4, v5
	v_mul_lo_u32 v5, s1, v3
	v_mul_hi_u32 v5, v3, v5
	v_add_u32_e32 v3, v3, v5
	v_mul_hi_u32 v3, v4, v3
	v_mul_lo_u32 v5, v3, s21
	v_sub_u32_e32 v4, v4, v5
	v_add_u32_e32 v5, 1, v3
	v_cmp_le_u32_e64 s[0:1], s21, v4
	s_nop 1
	v_cndmask_b32_e64 v3, v3, v5, s[0:1]
	v_subrev_u32_e32 v5, s21, v4
	v_cndmask_b32_e64 v4, v4, v5, s[0:1]
	v_add_u32_e32 v5, 1, v3
	v_cmp_le_u32_e64 s[0:1], s21, v4
	v_mul_lo_u32 v4, s66, v2
	s_nop 0
	v_cndmask_b32_e64 v3, v3, v5, s[0:1]
	v_addc_co_u32_e32 v3, vcc, 0, v3, vcc
	s_abs_i32 s0, s30
	v_mul_hi_u32 v5, s0, v3
	v_mul_lo_u32 v3, s0, v3
	s_not_b32 s0, s30
	s_ashr_i32 s0, s0, 31
	s_cmp_eq_u32 s21, 1
	v_cmp_eq_u32_e32 vcc, 0, v5
	v_xor_b32_e32 v4, s0, v4
	s_cselect_b64 s[12:13], -1, 0
	v_cmp_le_u32_e64 s[0:1], v3, v4
	s_and_b64 s[12:13], vcc, s[12:13]
	s_and_b64 s[14:15], s[12:13], s[0:1]
	s_mov_b64 s[12:13], -1
	v_mov_b32_e32 v4, v0
                                        ; implicit-def: $vgpr3
	s_and_saveexec_b64 s[0:1], s[14:15]
	s_cbranch_execz .LBB80_42
; %bb.35:                               ;   in Loop: Header=BB80_11 Depth=1
	v_add_u32_e32 v9, 7, v2
	v_add_u32_e32 v8, 6, v2
	;; [unrolled: 1-line block ×7, first 2 shown]
	v_mov_b64_e32 v[16:17], v[8:9]
	s_waitcnt vmcnt(0)
	v_lshlrev_b32_e32 v47, 24, v20
	v_mov_b32_e32 v49, 0
	v_mov_b64_e32 v[14:15], v[6:7]
	v_mov_b64_e32 v[12:13], v[4:5]
	;; [unrolled: 1-line block ×3, first 2 shown]
                                        ; implicit-def: $vgpr20
	s_mov_b64 s[12:13], exec
	v_readlane_b32 s14, v81, 18
	v_readlane_b32 s15, v81, 19
	s_and_b64 s[14:15], s[12:13], s[14:15]
	s_mov_b64 exec, s[14:15]
	s_cbranch_execz .LBB80_39
; %bb.36:                               ;   in Loop: Header=BB80_11 Depth=1
	v_mov_b64_e32 v[16:17], v[8:9]
	s_mov_b32 s9, 0
	s_mov_b64 s[14:15], 0
	v_mov_b32_e32 v48, v32
	v_mov_b64_e32 v[14:15], v[6:7]
	v_mov_b64_e32 v[12:13], v[4:5]
	;; [unrolled: 1-line block ×3, first 2 shown]
.LBB80_37:                              ;   Parent Loop BB80_11 Depth=1
                                        ; =>  This Inner Loop Header: Depth=2
	v_mul_lo_u32 v6, v16, s59
	v_mul_lo_u32 v8, v15, s23
	;; [unrolled: 1-line block ×6, first 2 shown]
	v_mov_b32_e32 v57, v21
	v_mov_b32_e32 v55, v21
	;; [unrolled: 1-line block ×5, first 2 shown]
	v_add_u32_e32 v49, 8, v11
	v_add_u32_e32 v51, 8, v12
	;; [unrolled: 1-line block ×7, first 2 shown]
	v_mul_lo_u32 v4, v17, s60
	v_mul_lo_u32 v58, v11, s63
	v_mov_b32_e32 v59, v21
	v_mov_b32_e32 v5, v21
	v_add_u32_e32 v3, 8, v10
	v_mov_b32_e32 v61, v21
	v_mov_b32_e32 v63, v21
	;; [unrolled: 1-line block ×5, first 2 shown]
	v_lshl_add_u64 v[74:75], s[70:71], 0, v[20:21]
	v_lshl_add_u64 v[56:57], s[70:71], 0, v[56:57]
	;; [unrolled: 1-line block ×6, first 2 shown]
	v_mul_lo_u32 v72, v68, s60
	v_mul_lo_u32 v70, v66, s59
	v_mul_lo_u32 v68, v64, s23
	v_mul_lo_u32 v66, v62, s58
	v_mul_lo_u32 v64, v60, s86
	v_mul_lo_u32 v62, v51, s79
	v_mul_lo_u32 v60, v49, s63
	v_mov_b32_e32 v71, v21
	v_mov_b32_e32 v73, v21
	v_lshl_add_u64 v[58:59], s[70:71], 0, v[58:59]
	v_lshl_add_u64 v[4:5], s[70:71], 0, v[4:5]
	v_mul_lo_u32 v20, v3, s62
	global_load_ubyte v3, v[52:53], off
	global_load_ubyte v51, v[6:7], off
	;; [unrolled: 1-line block ×7, first 2 shown]
	s_nop 0
	global_load_ubyte v74, v[74:75], off
	v_lshl_add_u64 v[6:7], s[70:71], 0, v[60:61]
	v_lshl_add_u64 v[8:9], s[70:71], 0, v[62:63]
	;; [unrolled: 1-line block ×8, first 2 shown]
	global_load_ubyte v52, v[52:53], off
	s_nop 0
	global_load_ubyte v53, v[54:55], off
	s_nop 0
	global_load_ubyte v54, v[58:59], off
	global_load_ubyte v20, v[60:61], off
	;; [unrolled: 1-line block ×3, first 2 shown]
	s_nop 0
	global_load_ubyte v56, v[4:5], off
	s_nop 0
	global_load_ubyte v8, v[8:9], off
	;; [unrolled: 2-line block ×3, first 2 shown]
	v_add_u32_e32 v48, -2, v48
	v_add_u32_e32 v9, s9, v0
	s_add_i32 s9, s9, 16
	v_cmp_eq_u32_e32 vcc, 0, v48
	v_add_u32_e32 v17, 16, v17
	v_add_u32_e32 v16, 16, v16
	;; [unrolled: 1-line block ×8, first 2 shown]
	v_mov_b32_e32 v49, s9
	s_or_b64 s[14:15], vcc, s[14:15]
	s_waitcnt vmcnt(12)
	v_perm_b32 v4, v77, v51, s85
	s_waitcnt vmcnt(11)
	v_perm_b32 v3, v78, v3, s85
	v_lshl_or_b32 v5, v4, 16, v3
	s_waitcnt vmcnt(9)
	v_perm_b32 v7, v80, v79, s85
	s_waitcnt vmcnt(8)
	v_perm_b32 v47, v47, v74, s61
	v_lshl_or_b32 v4, v7, 16, v47
	s_waitcnt vmcnt(6)
	v_perm_b32 v3, v52, v53, s85
	s_waitcnt vmcnt(4)
	v_perm_b32 v51, v54, v20, s85
	;; [unrolled: 2-line block ×4, first 2 shown]
	v_lshl_or_b32 v7, v7, 16, v3
	s_waitcnt vmcnt(0)
	v_perm_b32 v6, v6, v8, s85
	v_perm_b32 v8, v53, v55, s85
	v_lshl_or_b32 v6, v6, 16, v47
	v_lshl_or_b32 v47, v51, 16, v8
	ds_write_b128 v9, v[4:7]
	s_andn2_b64 exec, exec, s[14:15]
	s_cbranch_execnz .LBB80_37
; %bb.38:                               ;   in Loop: Header=BB80_11 Depth=1
	s_or_b64 exec, exec, s[14:15]
.LBB80_39:                              ;   in Loop: Header=BB80_11 Depth=1
	s_or_b64 exec, exec, s[12:13]
	s_mov_b64 s[12:13], exec
	v_readlane_b32 s14, v81, 20
	v_readlane_b32 s15, v81, 21
	s_and_b64 s[14:15], s[12:13], s[14:15]
	s_mov_b64 exec, s[14:15]
	s_cbranch_execz .LBB80_41
; %bb.40:                               ;   in Loop: Header=BB80_11 Depth=1
	v_mul_lo_u32 v4, v16, s59
	v_mul_lo_u32 v6, v15, s23
	;; [unrolled: 1-line block ×3, first 2 shown]
	v_mov_b32_e32 v9, v21
	v_mov_b32_e32 v7, v21
	;; [unrolled: 1-line block ×3, first 2 shown]
	v_mul_lo_u32 v14, v13, s86
	v_mul_lo_u32 v12, v12, s79
	v_mul_lo_u32 v52, v11, s63
	v_mul_lo_u32 v20, v10, s62
	v_mov_b32_e32 v53, v21
	v_mov_b32_e32 v13, v21
	;; [unrolled: 1-line block ×3, first 2 shown]
	v_lshl_add_u64 v[8:9], s[70:71], 0, v[8:9]
	v_lshl_add_u64 v[6:7], s[70:71], 0, v[6:7]
	;; [unrolled: 1-line block ×3, first 2 shown]
	v_mul_lo_u32 v16, v17, s60
	v_mov_b32_e32 v17, v21
	v_lshl_add_u64 v[10:11], s[70:71], 0, v[20:21]
	v_lshl_add_u64 v[52:53], s[70:71], 0, v[52:53]
	;; [unrolled: 1-line block ×5, first 2 shown]
	global_load_ubyte v3, v[8:9], off
	s_nop 0
	global_load_ubyte v4, v[4:5], off
	s_nop 0
	global_load_ubyte v20, v[16:17], off
	global_load_ubyte v5, v[6:7], off
	s_nop 0
	global_load_ubyte v6, v[14:15], off
	global_load_ubyte v7, v[12:13], off
	;; [unrolled: 1-line block ×4, first 2 shown]
	s_waitcnt vmcnt(4)
	v_perm_b32 v4, v5, v4, s85
	s_waitcnt vmcnt(3)
	v_perm_b32 v3, v6, v3, s85
	v_lshl_or_b32 v5, v4, 16, v3
	s_waitcnt vmcnt(1)
	v_perm_b32 v6, v8, v7, s85
	s_waitcnt vmcnt(0)
	v_perm_b32 v7, v47, v9, s61
	v_lshl_or_b32 v4, v6, 16, v7
	v_add_u32_e32 v3, v0, v49
	ds_write_b64 v3, v[4:5]
.LBB80_41:                              ;   in Loop: Header=BB80_11 Depth=1
	s_or_b64 exec, exec, s[12:13]
	v_readlane_b32 s12, v81, 22
	v_add_u32_e32 v2, v2, v30
	v_readlane_b32 s13, v81, 23
	v_add_u32_e32 v3, -1, v2
	s_orn2_b64 s[12:13], s[12:13], exec
	v_mov_b32_e32 v4, v31
.LBB80_42:                              ;   in Loop: Header=BB80_11 Depth=1
	s_or_b64 exec, exec, s[0:1]
	v_mov_b32_e32 v5, s30
	s_and_b64 s[0:1], s[12:13], exec
	s_andn2_saveexec_b64 s[12:13], s[28:29]
	s_cbranch_execz .LBB80_30
.LBB80_43:                              ;   in Loop: Header=BB80_11 Depth=1
	v_mov_b32_e32 v5, s30
	s_or_b64 s[0:1], s[0:1], exec
	v_mov_b32_e32 v4, v0
	s_or_b64 exec, exec, s[12:13]
	s_and_saveexec_b64 s[12:13], s[0:1]
	s_cbranch_execz .LBB80_47
.LBB80_44:                              ;   in Loop: Header=BB80_11 Depth=1
	s_sub_i32 s9, 0, s21
	v_mul_lo_u32 v3, s66, v2
	s_mov_b64 s[0:1], 0
.LBB80_45:                              ;   Parent Loop BB80_11 Depth=1
                                        ; =>  This Inner Loop Header: Depth=2
	global_load_ubyte v6, v3, s[70:71]
	v_mov_b32_e32 v7, v2
	v_add_u32_e32 v2, s21, v7
	v_cmp_le_u32_e32 vcc, s64, v2
	s_waitcnt vmcnt(1)
	ds_write_b8 v4, v20
	v_add_u32_e32 v3, v3, v5
	v_mov_b32_e32 v4, v7
	s_or_b64 s[0:1], vcc, s[0:1]
	s_waitcnt vmcnt(0)
	v_mov_b32_e32 v20, v6
	s_andn2_b64 exec, exec, s[0:1]
	s_cbranch_execnz .LBB80_45
; %bb.46:                               ;   in Loop: Header=BB80_11 Depth=1
	s_or_b64 exec, exec, s[0:1]
	v_add_u32_e32 v3, s9, v2
	v_mov_b32_e32 v20, v6
.LBB80_47:                              ;   in Loop: Header=BB80_11 Depth=1
	s_or_b64 exec, exec, s[12:13]
.LBB80_48:                              ;   in Loop: Header=BB80_11 Depth=1
	s_or_b64 exec, exec, s[26:27]
	s_waitcnt vmcnt(0)
	ds_write_b8 v3, v20
.LBB80_49:                              ;   in Loop: Header=BB80_11 Depth=1
	s_or_b64 exec, exec, s[2:3]
	s_waitcnt lgkmcnt(0)
	s_barrier
	s_mov_b64 s[0:1], exec
	v_readlane_b32 s2, v81, 0
	v_readlane_b32 s3, v81, 1
	s_and_b64 s[2:3], s[0:1], s[2:3]
	s_mov_b64 exec, s[2:3]
; %bb.50:                               ;   in Loop: Header=BB80_11 Depth=1
	ds_write_b32 v21, v50 offset:4104
; %bb.51:                               ;   in Loop: Header=BB80_11 Depth=1
	s_or_b64 exec, exec, s[0:1]
	s_mov_b64 s[0:1], -1
	s_waitcnt lgkmcnt(0)
	s_barrier
.LBB80_52:                              ;   in Loop: Header=BB80_11 Depth=1
	s_mov_b32 s21, 0
	s_and_b64 vcc, exec, s[0:1]
	s_cbranch_vccz .LBB80_54
; %bb.53:                               ;   in Loop: Header=BB80_11 Depth=1
	ds_read_b32 v2, v21 offset:4104
	s_waitcnt lgkmcnt(0)
	v_readfirstlane_b32 s21, v2
.LBB80_54:                              ;   in Loop: Header=BB80_11 Depth=1
	s_cmp_lt_i32 s21, 1
	s_mov_b64 s[0:1], -1
                                        ; implicit-def: $vgpr5
	s_cbranch_scc1 .LBB80_64
; %bb.55:                               ;   in Loop: Header=BB80_11 Depth=1
	s_and_b64 vcc, exec, s[0:1]
	s_cbranch_vccnz .LBB80_75
.LBB80_56:                              ;   in Loop: Header=BB80_11 Depth=1
	s_lshl_b32 s9, s20, 6
	s_and_saveexec_b64 s[0:1], s[4:5]
.LBB80_57:                              ;   in Loop: Header=BB80_11 Depth=1
	v_lshl_add_u32 v6, s9, 2, v29
	ds_write_b128 v6, v[2:5]
.LBB80_58:                              ;   in Loop: Header=BB80_11 Depth=1
	s_or_b64 exec, exec, s[0:1]
	s_waitcnt lgkmcnt(0)
	s_barrier
	s_and_saveexec_b64 s[0:1], s[76:77]
	s_cbranch_execz .LBB80_92
; %bb.59:                               ;   in Loop: Header=BB80_11 Depth=1
	v_add_u32_e32 v4, s9, v28
	s_andn2_b64 vcc, exec, s[80:81]
	v_mov_b32_e32 v2, 0
	s_cbranch_vccnz .LBB80_91
; %bb.60:                               ;   in Loop: Header=BB80_11 Depth=1
	v_readlane_b32 s2, v81, 24
	v_readlane_b32 s3, v81, 25
	s_andn2_b64 vcc, exec, s[2:3]
	s_cbranch_vccnz .LBB80_84
; %bb.61:                               ;   in Loop: Header=BB80_11 Depth=1
	v_readlane_b32 s2, v81, 26
	v_readlane_b32 s3, v81, 27
	s_andn2_b64 vcc, exec, s[2:3]
	v_lshl_add_u32 v5, v4, 2, v42
	s_cbranch_vccnz .LBB80_85
; %bb.62:                               ;   in Loop: Header=BB80_11 Depth=1
	s_mov_b32 s3, 1
	s_mov_b32 s2, 0
	v_mov_b32_e32 v2, 0
	v_mov_b32_e32 v3, 0
	v_readlane_b32 s12, v81, 28
.LBB80_63:                              ;   Parent Loop BB80_11 Depth=1
                                        ; =>  This Inner Loop Header: Depth=2
	v_lshl_add_u32 v20, s2, 4, v5
	v_lshl_add_u32 v47, s3, 4, v5
	ds_read2_b32 v[6:7], v20 offset1:8
	ds_read2_b32 v[8:9], v47 offset1:8
	ds_read2_b32 v[10:11], v20 offset0:16 offset1:24
	ds_read2_b32 v[12:13], v47 offset0:16 offset1:24
	;; [unrolled: 1-line block ×6, first 2 shown]
	s_waitcnt lgkmcnt(7)
	v_add3_u32 v2, v6, v2, v7
	s_waitcnt lgkmcnt(6)
	v_add3_u32 v3, v8, v3, v9
	;; [unrolled: 2-line block ×3, first 2 shown]
	v_add3_u32 v2, v10, v2, v11
	s_add_i32 s3, s3, 16
	s_add_i32 s2, s2, 16
	s_add_i32 s12, s12, -8
	s_waitcnt lgkmcnt(3)
	v_add3_u32 v2, v14, v2, v15
	s_waitcnt lgkmcnt(2)
	v_add3_u32 v3, v16, v3, v17
	s_cmp_lg_u32 s12, 0
	s_waitcnt lgkmcnt(0)
	v_add3_u32 v3, v52, v3, v53
	v_add3_u32 v2, v48, v2, v49
	s_cbranch_scc1 .LBB80_63
	s_branch .LBB80_86
.LBB80_64:                              ;   in Loop: Header=BB80_11 Depth=1
	v_mov_b32_e32 v2, 0
	v_mov_b32_e32 v3, 0
	;; [unrolled: 1-line block ×4, first 2 shown]
	s_and_saveexec_b64 s[12:13], s[16:17]
	s_cbranch_execz .LBB80_68
; %bb.65:                               ;   in Loop: Header=BB80_11 Depth=1
	s_mov_b32 s78, 0
	s_mov_b64 s[14:15], 0
	s_mov_b32 s79, 0
	s_mov_b32 s9, 0
	;; [unrolled: 1-line block ×4, first 2 shown]
	v_mov_b32_e32 v6, v25
.LBB80_66:                              ;   Parent Loop BB80_11 Depth=1
                                        ; =>  This Inner Loop Header: Depth=2
	v_add_u32_e32 v2, s78, v37
	v_add_u32_e32 v3, s78, v34
	;; [unrolled: 1-line block ×4, first 2 shown]
	global_load_sbyte v2, v2, s[70:71]
	s_nop 0
	global_load_sbyte v3, v3, s[70:71]
	s_nop 0
	global_load_sbyte v4, v4, s[70:71]
	s_nop 0
	global_load_sbyte v5, v5, s[70:71]
	v_add_u32_e32 v6, s65, v6
	s_add_i32 s78, s78, s83
	v_cmp_le_u32_e32 vcc, s25, v6
	s_waitcnt vmcnt(3)
	v_add_u32_e32 v2, 0x80, v2
	s_waitcnt vmcnt(2)
	v_add_u32_e32 v3, 0x80, v3
	v_and_b32_e32 v7, v2, v44
	v_bfe_u32 v2, v2, v41, 2
	s_waitcnt vmcnt(1)
	v_add_u32_e32 v4, 0x80, v4
	v_and_b32_e32 v8, v3, v44
	v_bfe_u32 v3, v3, v41, 2
	v_cmp_eq_u32_e64 s[0:1], v7, v38
	v_cmp_eq_u32_e64 s[30:31], 0, v2
	s_waitcnt vmcnt(0)
	v_add_u32_e32 v5, 0x80, v5
	v_and_b32_e32 v9, v4, v44
	v_bfe_u32 v4, v4, v41, 2
	v_cmp_eq_u32_e64 s[2:3], v8, v38
	v_cmp_eq_u32_e64 s[34:35], 0, v3
	s_and_b64 s[30:31], s[0:1], s[30:31]
	v_and_b32_e32 v10, v5, v44
	v_bfe_u32 v5, v5, v41, 2
	v_cmp_eq_u32_e64 s[26:27], v9, v38
	v_cmp_eq_u32_e64 s[36:37], 0, v4
	;; [unrolled: 1-line block ×5, first 2 shown]
	v_cndmask_b32_e64 v2, 0, 1, s[30:31]
	s_and_b64 s[30:31], s[2:3], s[34:35]
	v_cmp_eq_u32_e64 s[28:29], v10, v38
	v_cmp_eq_u32_e64 s[38:39], 0, v5
	;; [unrolled: 1-line block ×5, first 2 shown]
	v_cndmask_b32_e64 v3, 0, 1, s[30:31]
	s_and_b64 s[30:31], s[26:27], s[36:37]
	v_cmp_eq_u32_e64 s[44:45], 1, v4
	v_cmp_eq_u32_e64 s[52:53], 2, v4
	;; [unrolled: 1-line block ×3, first 2 shown]
	v_cndmask_b32_e64 v4, 0, 1, s[30:31]
	s_and_b64 s[30:31], s[28:29], s[38:39]
	v_cmp_eq_u32_e64 s[46:47], 1, v5
	v_cmp_eq_u32_e64 s[54:55], 2, v5
	;; [unrolled: 1-line block ×3, first 2 shown]
	v_cndmask_b32_e64 v5, 0, 1, s[30:31]
	s_and_b64 s[30:31], s[0:1], s[40:41]
	v_cndmask_b32_e64 v7, 0, 1, s[30:31]
	s_and_b64 s[30:31], s[2:3], s[42:43]
	;; [unrolled: 2-line block ×5, first 2 shown]
	s_and_b64 s[0:1], s[0:1], s[56:57]
	v_cndmask_b32_e64 v11, 0, 1, s[30:31]
	s_and_b64 s[30:31], s[2:3], s[50:51]
	v_cndmask_b32_e64 v15, 0, 1, s[0:1]
	;; [unrolled: 2-line block ×7, first 2 shown]
	v_cndmask_b32_e64 v20, 0, 1, s[0:1]
	v_cmp_ne_u32_e64 s[0:1], 0, v2
	v_cmp_ne_u32_e64 s[2:3], 0, v3
	;; [unrolled: 1-line block ×11, first 2 shown]
	s_bcnt1_i32_b64 s0, s[0:1]
	s_bcnt1_i32_b64 s1, s[2:3]
	;; [unrolled: 1-line block ×8, first 2 shown]
	v_cmp_ne_u32_e64 s[38:39], 0, v10
	v_cmp_ne_u32_e64 s[44:45], 0, v13
	;; [unrolled: 1-line block ×3, first 2 shown]
	s_bcnt1_i32_b64 s27, s[34:35]
	s_bcnt1_i32_b64 s31, s[42:43]
	;; [unrolled: 1-line block ×3, first 2 shown]
	s_add_i32 s0, s86, s0
	s_add_i32 s26, s33, s26
	;; [unrolled: 1-line block ×4, first 2 shown]
	v_cmp_ne_u32_e64 s[46:47], 0, v14
	v_cmp_ne_u32_e64 s[54:55], 0, v20
	s_bcnt1_i32_b64 s29, s[38:39]
	s_bcnt1_i32_b64 s34, s[44:45]
	;; [unrolled: 1-line block ×3, first 2 shown]
	s_add_i32 s0, s0, s1
	s_add_i32 s1, s26, s27
	;; [unrolled: 1-line block ×4, first 2 shown]
	s_bcnt1_i32_b64 s35, s[46:47]
	s_bcnt1_i32_b64 s39, s[54:55]
	s_add_i32 s0, s0, s2
	s_add_i32 s1, s1, s28
	;; [unrolled: 1-line block ×8, first 2 shown]
	s_or_b64 s[14:15], vcc, s[14:15]
	v_mov_b32_e32 v2, s86
	v_mov_b32_e32 v3, s33
	;; [unrolled: 1-line block ×4, first 2 shown]
	s_andn2_b64 exec, exec, s[14:15]
	s_cbranch_execnz .LBB80_66
; %bb.67:                               ;   in Loop: Header=BB80_11 Depth=1
	s_or_b64 exec, exec, s[14:15]
	s_mov_b32 s62, s87
	s_mov_b32 s63, s88
	;; [unrolled: 1-line block ×9, first 2 shown]
.LBB80_68:                              ;   in Loop: Header=BB80_11 Depth=1
	s_or_b64 exec, exec, s[12:13]
	s_and_saveexec_b64 s[2:3], s[18:19]
	s_cbranch_execz .LBB80_74
; %bb.69:                               ;   in Loop: Header=BB80_11 Depth=1
	global_load_ubyte v9, v[26:27], off
	s_mov_b64 s[12:13], 0
	v_mov_b32_e32 v6, v39
	v_mov_b32_e32 v7, v33
	s_branch .LBB80_71
.LBB80_70:                              ;   in Loop: Header=BB80_71 Depth=2
	s_or_b64 exec, exec, s[14:15]
	s_waitcnt vmcnt(0)
	v_add_u32_sdwa v9, sext(v9), s84 dst_sel:DWORD dst_unused:UNUSED_PAD src0_sel:BYTE_0 src1_sel:DWORD
	s_and_b64 s[0:1], exec, vcc
	v_and_b32_e32 v10, v9, v44
	v_bfe_u32 v9, v9, v41, 2
	s_or_b64 s[12:13], s[0:1], s[12:13]
	v_cmp_eq_u32_e32 vcc, v10, v38
	v_cmp_eq_u32_e64 s[0:1], 0, v9
	s_and_b64 s[0:1], vcc, s[0:1]
	v_add_u32_e32 v6, s75, v6
	v_cndmask_b32_e64 v10, 0, 1, s[0:1]
	v_cmp_ne_u32_e64 s[0:1], 0, v10
	s_bcnt1_i32_b64 s0, s[0:1]
	s_nop 0
	v_add_u32_e32 v2, s0, v2
	v_cmp_eq_u32_e64 s[0:1], 1, v9
	s_and_b64 s[0:1], vcc, s[0:1]
	s_nop 0
	v_cndmask_b32_e64 v10, 0, 1, s[0:1]
	v_cmp_ne_u32_e64 s[0:1], 0, v10
	s_bcnt1_i32_b64 s0, s[0:1]
	s_nop 0
	v_add_u32_e32 v3, s0, v3
	v_cmp_eq_u32_e64 s[0:1], 2, v9
	s_and_b64 s[0:1], vcc, s[0:1]
	s_nop 0
	;; [unrolled: 8-line block ×3, first 2 shown]
	v_cndmask_b32_e64 v9, 0, 1, s[0:1]
	v_cmp_ne_u32_e32 vcc, 0, v9
	s_bcnt1_i32_b64 s0, vcc
	v_add_u32_e32 v5, s0, v5
	v_mov_b32_e32 v9, v8
	s_andn2_b64 exec, exec, s[12:13]
	s_cbranch_execz .LBB80_73
.LBB80_71:                              ;   Parent Loop BB80_11 Depth=1
                                        ; =>  This Inner Loop Header: Depth=2
	v_add_u32_e32 v7, s67, v7
	v_cmp_gt_u32_e64 s[0:1], s64, v7
	v_cmp_le_u32_e32 vcc, s64, v7
	v_mov_b32_e32 v8, 0
	s_and_saveexec_b64 s[14:15], s[0:1]
	s_cbranch_execz .LBB80_70
; %bb.72:                               ;   in Loop: Header=BB80_71 Depth=2
	global_load_ubyte v8, v6, s[70:71]
	s_branch .LBB80_70
.LBB80_73:                              ;   in Loop: Header=BB80_11 Depth=1
	s_or_b64 exec, exec, s[12:13]
.LBB80_74:                              ;   in Loop: Header=BB80_11 Depth=1
	s_or_b64 exec, exec, s[2:3]
	s_branch .LBB80_56
.LBB80_75:                              ;   in Loop: Header=BB80_11 Depth=1
	s_mul_hi_u32 s0, s21, s24
	s_mul_i32 s0, s0, s65
	s_sub_i32 s0, s21, s0
	s_sub_i32 s1, s0, s65
	s_cmp_ge_u32 s0, s65
	s_cselect_b32 s0, s1, s0
	s_sub_i32 s1, s0, s65
	s_cmp_ge_u32 s0, s65
	s_cselect_b32 s0, s1, s0
	s_sub_i32 s78, s21, s0
	v_cmp_gt_u32_e32 vcc, s78, v25
	v_mov_b32_e32 v2, 0
	v_mov_b32_e32 v3, 0
	;; [unrolled: 1-line block ×4, first 2 shown]
	s_and_saveexec_b64 s[12:13], vcc
	s_cbranch_execz .LBB80_79
; %bb.76:                               ;   in Loop: Header=BB80_11 Depth=1
	s_mov_b32 s9, 0
	s_mov_b64 s[14:15], 0
	s_mov_b32 s33, 0
	s_mov_b32 s79, 0
	;; [unrolled: 1-line block ×3, first 2 shown]
	v_mov_b32_e32 v6, v25
.LBB80_77:                              ;   Parent Loop BB80_11 Depth=1
                                        ; =>  This Inner Loop Header: Depth=2
	ds_read_b32 v2, v6
	v_add_u32_e32 v6, s65, v6
	v_cmp_le_u32_e32 vcc, s78, v6
	s_waitcnt lgkmcnt(0)
	v_add_u32_sdwa v3, sext(v2), s84 dst_sel:DWORD dst_unused:UNUSED_PAD src0_sel:BYTE_0 src1_sel:DWORD
	v_add_u32_sdwa v4, sext(v2), s84 dst_sel:DWORD dst_unused:UNUSED_PAD src0_sel:BYTE_1 src1_sel:DWORD
	v_and_b32_e32 v7, v3, v44
	v_bfe_u32 v3, v3, v41, 2
	v_add_u32_sdwa v5, sext(v2), s84 dst_sel:DWORD dst_unused:UNUSED_PAD src0_sel:BYTE_2 src1_sel:DWORD
	v_add_u32_sdwa v2, sext(v2), s84 dst_sel:DWORD dst_unused:UNUSED_PAD src0_sel:BYTE_3 src1_sel:DWORD
	v_and_b32_e32 v8, v4, v44
	v_bfe_u32 v4, v4, v41, 2
	v_cmp_eq_u32_e64 s[0:1], v7, v38
	v_cmp_eq_u32_e64 s[30:31], 0, v3
	v_and_b32_e32 v9, v5, v44
	v_and_b32_e32 v10, v2, v44
	v_bfe_u32 v5, v5, v41, 2
	v_bfe_u32 v2, v2, v41, 2
	v_cmp_eq_u32_e64 s[2:3], v8, v38
	v_cmp_eq_u32_e64 s[34:35], 0, v4
	s_and_b64 s[30:31], s[0:1], s[30:31]
	v_cmp_eq_u32_e64 s[26:27], v9, v38
	v_cmp_eq_u32_e64 s[36:37], 0, v5
	;; [unrolled: 1-line block ×6, first 2 shown]
	v_cndmask_b32_e64 v2, 0, 1, s[30:31]
	s_and_b64 s[30:31], s[2:3], s[34:35]
	v_cmp_eq_u32_e64 s[28:29], v10, v38
	v_cmp_eq_u32_e64 s[40:41], 1, v3
	;; [unrolled: 1-line block ×4, first 2 shown]
	v_cndmask_b32_e64 v3, 0, 1, s[30:31]
	s_and_b64 s[30:31], s[26:27], s[36:37]
	v_cmp_eq_u32_e64 s[42:43], 1, v4
	v_cmp_eq_u32_e64 s[50:51], 2, v4
	;; [unrolled: 1-line block ×3, first 2 shown]
	v_cndmask_b32_e64 v4, 0, 1, s[30:31]
	s_and_b64 s[30:31], s[28:29], s[38:39]
	v_cmp_eq_u32_e64 s[44:45], 1, v5
	v_cmp_eq_u32_e64 s[52:53], 2, v5
	;; [unrolled: 1-line block ×3, first 2 shown]
	v_cndmask_b32_e64 v5, 0, 1, s[30:31]
	s_and_b64 s[30:31], s[0:1], s[40:41]
	v_cndmask_b32_e64 v7, 0, 1, s[30:31]
	s_and_b64 s[30:31], s[2:3], s[42:43]
	;; [unrolled: 2-line block ×5, first 2 shown]
	s_and_b64 s[0:1], s[0:1], s[56:57]
	v_cndmask_b32_e64 v11, 0, 1, s[30:31]
	s_and_b64 s[30:31], s[2:3], s[50:51]
	v_cndmask_b32_e64 v15, 0, 1, s[0:1]
	;; [unrolled: 2-line block ×7, first 2 shown]
	v_cndmask_b32_e64 v20, 0, 1, s[0:1]
	v_cmp_ne_u32_e64 s[0:1], 0, v2
	v_cmp_ne_u32_e64 s[2:3], 0, v3
	;; [unrolled: 1-line block ×11, first 2 shown]
	s_bcnt1_i32_b64 s0, s[0:1]
	s_bcnt1_i32_b64 s1, s[2:3]
	;; [unrolled: 1-line block ×8, first 2 shown]
	v_cmp_ne_u32_e64 s[38:39], 0, v10
	v_cmp_ne_u32_e64 s[44:45], 0, v13
	;; [unrolled: 1-line block ×3, first 2 shown]
	s_bcnt1_i32_b64 s27, s[34:35]
	s_bcnt1_i32_b64 s31, s[42:43]
	;; [unrolled: 1-line block ×3, first 2 shown]
	s_add_i32 s0, s86, s0
	s_add_i32 s26, s79, s26
	;; [unrolled: 1-line block ×4, first 2 shown]
	v_cmp_ne_u32_e64 s[46:47], 0, v14
	v_cmp_ne_u32_e64 s[54:55], 0, v20
	s_bcnt1_i32_b64 s29, s[38:39]
	s_bcnt1_i32_b64 s34, s[44:45]
	s_bcnt1_i32_b64 s38, s[52:53]
	s_add_i32 s0, s0, s1
	s_add_i32 s1, s26, s27
	;; [unrolled: 1-line block ×4, first 2 shown]
	s_bcnt1_i32_b64 s35, s[46:47]
	s_bcnt1_i32_b64 s39, s[54:55]
	s_add_i32 s0, s0, s2
	s_add_i32 s1, s1, s28
	s_add_i32 s2, s26, s34
	s_add_i32 s9, s9, s38
	s_add_i32 s86, s0, s3
	s_add_i32 s79, s1, s29
	s_add_i32 s33, s2, s35
	s_add_i32 s9, s9, s39
	s_or_b64 s[14:15], vcc, s[14:15]
	v_mov_b32_e32 v2, s86
	v_mov_b32_e32 v3, s79
	;; [unrolled: 1-line block ×4, first 2 shown]
	s_andn2_b64 exec, exec, s[14:15]
	s_cbranch_execnz .LBB80_77
; %bb.78:                               ;   in Loop: Header=BB80_11 Depth=1
	s_or_b64 exec, exec, s[14:15]
	s_mov_b32 s62, s87
	s_mov_b32 s63, s88
	;; [unrolled: 1-line block ×9, first 2 shown]
.LBB80_79:                              ;   in Loop: Header=BB80_11 Depth=1
	s_or_b64 exec, exec, s[12:13]
	v_add_u32_e32 v6, s78, v0
	v_cmp_gt_u32_e32 vcc, s21, v6
	s_and_saveexec_b64 s[12:13], vcc
	s_cbranch_execz .LBB80_83
; %bb.80:                               ;   in Loop: Header=BB80_11 Depth=1
	s_mov_b64 s[14:15], 0
.LBB80_81:                              ;   Parent Loop BB80_11 Depth=1
                                        ; =>  This Inner Loop Header: Depth=2
	ds_read_i8 v7, v6
	v_add_u32_e32 v6, s67, v6
	v_cmp_le_u32_e32 vcc, s21, v6
	s_waitcnt lgkmcnt(0)
	v_add_u32_e32 v7, 0x80, v7
	v_and_b32_e32 v8, v7, v44
	v_bfe_u32 v7, v7, v41, 2
	v_cmp_eq_u32_e64 s[0:1], v8, v38
	v_cmp_eq_u32_e64 s[2:3], 0, v7
	v_cmp_eq_u32_e64 s[26:27], 1, v7
	s_and_b64 s[2:3], s[0:1], s[2:3]
	v_cmp_eq_u32_e64 s[28:29], 2, v7
	v_cmp_eq_u32_e64 s[30:31], 3, v7
	v_cndmask_b32_e64 v7, 0, 1, s[2:3]
	s_and_b64 s[2:3], s[0:1], s[26:27]
	v_cndmask_b32_e64 v8, 0, 1, s[2:3]
	s_and_b64 s[2:3], s[0:1], s[28:29]
	s_and_b64 s[0:1], s[0:1], s[30:31]
	v_cndmask_b32_e64 v9, 0, 1, s[2:3]
	v_cndmask_b32_e64 v10, 0, 1, s[0:1]
	v_cmp_ne_u32_e64 s[0:1], 0, v7
	v_cmp_ne_u32_e64 s[2:3], 0, v8
	;; [unrolled: 1-line block ×4, first 2 shown]
	s_bcnt1_i32_b64 s0, s[0:1]
	s_bcnt1_i32_b64 s1, s[2:3]
	s_bcnt1_i32_b64 s2, s[26:27]
	s_bcnt1_i32_b64 s3, s[28:29]
	v_add_u32_e32 v2, s0, v2
	v_add_u32_e32 v3, s1, v3
	;; [unrolled: 1-line block ×3, first 2 shown]
	s_or_b64 s[14:15], vcc, s[14:15]
	v_add_u32_e32 v5, s3, v5
	s_andn2_b64 exec, exec, s[14:15]
	s_cbranch_execnz .LBB80_81
; %bb.82:                               ;   in Loop: Header=BB80_11 Depth=1
	s_or_b64 exec, exec, s[14:15]
.LBB80_83:                              ;   in Loop: Header=BB80_11 Depth=1
	s_or_b64 exec, exec, s[12:13]
	s_lshl_b32 s9, s20, 6
	s_and_saveexec_b64 s[0:1], s[4:5]
	s_cbranch_execnz .LBB80_57
	s_branch .LBB80_58
.LBB80_84:                              ;   in Loop: Header=BB80_11 Depth=1
	v_mov_b32_e32 v2, 0
	s_mov_b32 s12, 0
	s_cbranch_execnz .LBB80_89
	s_branch .LBB80_91
.LBB80_85:                              ;   in Loop: Header=BB80_11 Depth=1
	v_mov_b32_e32 v20, v21
	s_mov_b32 s2, 0
	v_mov_b64_e32 v[2:3], v[20:21]
	s_mov_b32 s3, 1
.LBB80_86:                              ;   in Loop: Header=BB80_11 Depth=1
	v_readlane_b32 s12, v81, 30
	v_readlane_b32 s13, v81, 31
	s_andn2_b64 vcc, exec, s[12:13]
	v_readlane_b32 s12, v81, 29
	s_cbranch_vccnz .LBB80_88
.LBB80_87:                              ;   Parent Loop BB80_11 Depth=1
                                        ; =>  This Inner Loop Header: Depth=2
	v_lshl_add_u32 v6, s2, 4, v5
	v_lshl_add_u32 v7, s3, 4, v5
	ds_read_b32 v7, v7
	ds_read_b32 v6, v6
	s_add_i32 s3, s3, 2
	s_add_i32 s2, s2, 2
	s_add_i32 s12, s12, -1
	s_cmp_lg_u32 s12, 0
	s_waitcnt lgkmcnt(1)
	v_add_u32_e32 v3, v7, v3
	s_waitcnt lgkmcnt(0)
	v_add_u32_e32 v2, v6, v2
	s_cbranch_scc1 .LBB80_87
.LBB80_88:                              ;   in Loop: Header=BB80_11 Depth=1
	v_readlane_b32 s2, v81, 34
	v_add_u32_e32 v2, v2, v3
	v_readlane_b32 s12, v81, 33
	v_readlane_b32 s3, v81, 35
	s_and_b64 vcc, exec, s[2:3]
	s_cbranch_vccz .LBB80_91
.LBB80_89:                              ;   in Loop: Header=BB80_11 Depth=1
	s_lshl_b32 s2, s20, 8
	s_lshl_b32 s3, s12, 4
	s_add_i32 s2, s2, s3
	v_add_u32_e32 v3, s2, v40
	v_readlane_b32 s2, v81, 32
	s_sub_i32 s2, s2, s12
.LBB80_90:                              ;   Parent Loop BB80_11 Depth=1
                                        ; =>  This Inner Loop Header: Depth=2
	ds_read_b32 v5, v3
	s_add_i32 s2, s2, -1
	v_add_u32_e32 v3, 16, v3
	s_cmp_eq_u32 s2, 0
	s_waitcnt lgkmcnt(0)
	v_add_u32_e32 v2, v5, v2
	s_cbranch_scc0 .LBB80_90
.LBB80_91:                              ;   in Loop: Header=BB80_11 Depth=1
	v_lshlrev_b32_e32 v3, 2, v4
	ds_write_b32 v3, v2 offset:3072
.LBB80_92:                              ;   in Loop: Header=BB80_11 Depth=1
	s_or_b64 exec, exec, s[0:1]
	s_lshl_b32 s0, s9, 2
	v_mov_b32_e32 v2, s0
	s_waitcnt lgkmcnt(0)
	s_barrier
	ds_read_b128 v[2:5], v2 offset:3072
	v_cmp_eq_u32_e32 vcc, 1, v46
	s_mov_b64 s[2:3], -1
	s_mov_b64 s[28:29], -1
                                        ; implicit-def: $sgpr14_sgpr15
                                        ; implicit-def: $sgpr12_sgpr13
	s_waitcnt lgkmcnt(0)
	v_readfirstlane_b32 s42, v2
	s_cmp_eq_u32 s42, 1
	v_lshlrev_b32_e64 v2, v41, 3
	s_cselect_b64 s[0:1], -1, 0
	v_readfirstlane_b32 s46, v3
	v_readfirstlane_b32 s54, v4
	;; [unrolled: 1-line block ×3, first 2 shown]
	v_not_b32_e32 v4, v2
	s_and_b64 s[26:27], s[0:1], vcc
	s_and_saveexec_b64 s[0:1], s[26:27]
	s_cbranch_execz .LBB80_118
; %bb.93:                               ;   in Loop: Header=BB80_11 Depth=1
	ds_read_b32 v3, v21 offset:4104
	s_waitcnt lgkmcnt(0)
	s_barrier
	v_readfirstlane_b32 s9, v3
	s_and_saveexec_b64 s[12:13], s[6:7]
; %bb.94:                               ;   in Loop: Header=BB80_11 Depth=1
	ds_write_b8 v0, v21 offset:3072
; %bb.95:                               ;   in Loop: Header=BB80_11 Depth=1
	s_or_b64 exec, exec, s[12:13]
	v_and_b32_e32 v38, v38, v4
	v_or_b32_e32 v44, v44, v2
	s_mov_b64 s[12:13], -1
	s_mov_b64 s[14:15], 0
	s_cmp_eq_u32 s9, 0
	s_mov_b64 s[28:29], 0
	s_mov_b64 s[30:31], -1
	s_waitcnt lgkmcnt(0)
	s_barrier
                                        ; implicit-def: $vgpr45
	s_cbranch_scc1 .LBB80_106
; %bb.96:                               ;   in Loop: Header=BB80_11 Depth=1
	v_readlane_b32 s28, v81, 11
	s_add_i32 s28, s9, s28
	v_readlane_b32 s29, v81, 36
	s_mul_hi_u32 s29, s28, s29
	s_mul_i32 s29, s29, s67
	s_sub_i32 s29, s28, s29
	s_sub_i32 s30, s29, s67
	s_cmp_ge_u32 s29, s67
	s_cselect_b32 s29, s30, s29
	s_sub_i32 s30, s29, s67
	s_cmp_ge_u32 s29, s67
	s_cselect_b32 s29, s30, s29
	s_sub_i32 s33, s28, s29
	v_cmp_gt_u32_e32 vcc, s33, v0
	s_mov_b64 s[30:31], 0
	s_mov_b64 s[28:29], 0
                                        ; implicit-def: $vgpr45
	s_and_saveexec_b64 s[34:35], vcc
	s_cbranch_execz .LBB80_105
; %bb.97:                               ;   in Loop: Header=BB80_11 Depth=1
	v_mov_b32_e32 v3, v0
                                        ; implicit-def: $sgpr36_sgpr37
	s_branch .LBB80_100
.LBB80_98:                              ;   in Loop: Header=BB80_100 Depth=2
	s_or_b64 exec, exec, s[38:39]
	s_waitcnt lgkmcnt(0)
	s_barrier
	ds_read_u16 v5, v21 offset:3072
	s_mov_b64 s[38:39], -1
	s_waitcnt lgkmcnt(0)
	s_barrier
	v_cmp_ne_u32_sdwa s[40:41], v5, v21 src0_sel:BYTE_0 src1_sel:DWORD
	s_and_b64 vcc, exec, s[40:41]
	s_mov_b64 s[40:41], -1
	s_cbranch_vccz .LBB80_103
.LBB80_99:                              ;   in Loop: Header=BB80_100 Depth=2
	s_and_b64 s[38:39], exec, s[38:39]
	s_or_b64 s[28:29], s[38:39], s[28:29]
	s_andn2_b64 s[36:37], s[36:37], exec
	s_and_b64 s[38:39], s[40:41], exec
	s_or_b64 s[36:37], s[36:37], s[38:39]
	s_andn2_b64 exec, exec, s[28:29]
	s_cbranch_execz .LBB80_104
.LBB80_100:                             ;   Parent Loop BB80_11 Depth=1
                                        ; =>  This Inner Loop Header: Depth=2
	v_cmp_gt_u32_e32 vcc, s9, v3
	s_and_saveexec_b64 s[38:39], vcc
	s_cbranch_execz .LBB80_98
; %bb.101:                              ;   in Loop: Header=BB80_100 Depth=2
	ds_read_u8 v5, v3
	s_waitcnt lgkmcnt(0)
	v_add_u32_sdwa v6, sext(v5), s84 dst_sel:DWORD dst_unused:UNUSED_PAD src0_sel:BYTE_0 src1_sel:DWORD
	v_and_b32_e32 v6, v6, v44
	v_cmp_eq_u32_e32 vcc, v6, v38
	s_and_b64 exec, exec, vcc
	s_cbranch_execz .LBB80_98
; %bb.102:                              ;   in Loop: Header=BB80_100 Depth=2
	v_lshlrev_b16_e32 v5, 8, v5
	v_or_b32_e32 v5, 1, v5
	ds_write_b16 v21, v5 offset:3072
	s_branch .LBB80_98
.LBB80_103:                             ;   in Loop: Header=BB80_100 Depth=2
	v_add_u32_e32 v3, s67, v3
	v_cmp_le_u32_e32 vcc, s33, v3
	s_mov_b64 s[40:41], 0
	s_orn2_b64 s[38:39], vcc, exec
	s_branch .LBB80_99
.LBB80_104:                             ;   in Loop: Header=BB80_11 Depth=1
	s_or_b64 exec, exec, s[28:29]
	v_lshrrev_b32_sdwa v45, v43, v5 dst_sel:DWORD dst_unused:UNUSED_PAD src0_sel:DWORD src1_sel:WORD_0
	s_and_b64 s[28:29], s[36:37], exec
.LBB80_105:                             ;   in Loop: Header=BB80_11 Depth=1
	s_or_b64 exec, exec, s[34:35]
.LBB80_106:                             ;   in Loop: Header=BB80_11 Depth=1
	s_and_b64 vcc, exec, s[30:31]
	s_cbranch_vccz .LBB80_117
; %bb.107:                              ;   in Loop: Header=BB80_11 Depth=1
                                        ; implicit-def: $vgpr45
	s_mov_b64 s[12:13], exec
	v_readlane_b32 s14, v81, 37
	v_readlane_b32 s15, v81, 38
	s_and_b64 s[14:15], s[12:13], s[14:15]
	s_mov_b64 exec, s[14:15]
	s_cbranch_execz .LBB80_116
; %bb.108:                              ;   in Loop: Header=BB80_11 Depth=1
	s_mov_b64 s[14:15], 0
	v_mov_b32_e32 v3, v18
	v_mov_b32_e32 v5, v0
                                        ; implicit-def: $sgpr30_sgpr31
	s_branch .LBB80_111
.LBB80_109:                             ;   in Loop: Header=BB80_111 Depth=2
	s_or_b64 exec, exec, s[34:35]
	s_waitcnt lgkmcnt(0)
	s_barrier
	ds_read_u16 v6, v21 offset:3072
	s_mov_b64 s[34:35], -1
	s_waitcnt lgkmcnt(0)
	s_barrier
	v_cmp_ne_u32_sdwa s[36:37], v6, v21 src0_sel:BYTE_0 src1_sel:DWORD
	s_and_b64 vcc, exec, s[36:37]
	s_mov_b64 s[36:37], -1
	s_cbranch_vccz .LBB80_114
.LBB80_110:                             ;   in Loop: Header=BB80_111 Depth=2
	s_and_b64 s[34:35], exec, s[34:35]
	s_or_b64 s[14:15], s[34:35], s[14:15]
	s_andn2_b64 s[30:31], s[30:31], exec
	s_and_b64 s[34:35], s[36:37], exec
	s_or_b64 s[30:31], s[30:31], s[34:35]
	s_andn2_b64 exec, exec, s[14:15]
	s_cbranch_execz .LBB80_115
.LBB80_111:                             ;   Parent Loop BB80_11 Depth=1
                                        ; =>  This Inner Loop Header: Depth=2
	v_cmp_gt_u32_e32 vcc, s64, v5
	s_and_saveexec_b64 s[34:35], vcc
	s_cbranch_execz .LBB80_109
; %bb.112:                              ;   in Loop: Header=BB80_111 Depth=2
	global_load_ubyte v6, v3, s[70:71]
	s_waitcnt vmcnt(0)
	v_add_u32_sdwa v7, sext(v6), s84 dst_sel:DWORD dst_unused:UNUSED_PAD src0_sel:BYTE_0 src1_sel:DWORD
	v_and_b32_e32 v7, v7, v44
	v_cmp_eq_u32_e32 vcc, v7, v38
	s_and_b64 exec, exec, vcc
	s_cbranch_execz .LBB80_109
; %bb.113:                              ;   in Loop: Header=BB80_111 Depth=2
	v_lshlrev_b16_e32 v6, 8, v6
	v_or_b32_e32 v6, 1, v6
	ds_write_b16 v21, v6 offset:3072
	s_branch .LBB80_109
.LBB80_114:                             ;   in Loop: Header=BB80_111 Depth=2
	v_add_u32_e32 v5, s67, v5
	v_cmp_le_u32_e32 vcc, s82, v5
	v_add_u32_e32 v3, s75, v3
	s_mov_b64 s[36:37], 0
	s_orn2_b64 s[34:35], vcc, exec
	s_branch .LBB80_110
.LBB80_115:                             ;   in Loop: Header=BB80_11 Depth=1
	s_or_b64 exec, exec, s[14:15]
	s_andn2_b64 s[14:15], s[28:29], exec
	s_and_b64 s[28:29], s[30:31], exec
	v_lshrrev_b32_sdwa v45, v43, v6 dst_sel:DWORD dst_unused:UNUSED_PAD src0_sel:DWORD src1_sel:WORD_0
	s_or_b64 s[28:29], s[14:15], s[28:29]
.LBB80_116:                             ;   in Loop: Header=BB80_11 Depth=1
	s_or_b64 exec, exec, s[12:13]
	s_mov_b64 s[12:13], 0
	s_mov_b64 s[14:15], -1
.LBB80_117:                             ;   in Loop: Header=BB80_11 Depth=1
	s_orn2_b64 s[28:29], s[28:29], exec
.LBB80_118:                             ;   in Loop: Header=BB80_11 Depth=1
	s_or_b64 exec, exec, s[0:1]
	s_andn2_b64 s[0:1], s[10:11], exec
	s_and_b64 s[10:11], s[14:15], exec
	s_or_b64 s[10:11], s[0:1], s[10:11]
	s_andn2_b64 s[0:1], s[72:73], exec
	s_and_b64 s[12:13], s[12:13], exec
	v_readfirstlane_b32 s9, v0
	s_andn2_b64 s[68:69], s[68:69], exec
	s_or_b64 s[72:73], s[0:1], s[12:13]
                                        ; implicit-def: $vgpr5
	s_and_saveexec_b64 s[0:1], s[28:29]
	s_cbranch_execz .LBB80_10
; %bb.119:                              ;   in Loop: Header=BB80_11 Depth=1
	s_xor_b64 s[12:13], s[26:27], -1
	s_mov_b64 s[14:15], 0
	v_mov_b32_e32 v5, 1
	v_mov_b32_e32 v3, 1
	s_and_saveexec_b64 s[2:3], s[12:13]
	s_cbranch_execz .LBB80_128
; %bb.120:                              ;   in Loop: Header=BB80_11 Depth=1
	v_cmp_ge_u32_e32 vcc, s42, v46
	s_and_saveexec_b64 s[12:13], vcc
	s_xor_b64 s[12:13], exec, s[12:13]
	s_cbranch_execz .LBB80_125
; %bb.121:                              ;   in Loop: Header=BB80_11 Depth=1
	ds_read_b32 v3, v21 offset:4104
	v_and_b32_e32 v38, v38, v4
	v_or_b32_e32 v44, v44, v2
	s_waitcnt lgkmcnt(0)
	v_cmp_ne_u32_e32 vcc, 0, v3
	s_cbranch_vccnz .LBB80_125
; %bb.122:                              ;   in Loop: Header=BB80_11 Depth=1
	s_mov_b64 s[14:15], exec
	v_readlane_b32 s26, v81, 0
	v_readlane_b32 s27, v81, 1
	s_and_b64 s[26:27], s[14:15], s[26:27]
	s_mov_b64 exec, s[26:27]
; %bb.123:                              ;   in Loop: Header=BB80_11 Depth=1
	v_mov_b32_e32 v3, s42
	ds_write_b32 v21, v3 offset:4108
; %bb.124:                              ;   in Loop: Header=BB80_11 Depth=1
	s_or_b64 exec, exec, s[14:15]
	s_waitcnt lgkmcnt(0)
	s_barrier
.LBB80_125:                             ;   in Loop: Header=BB80_11 Depth=1
	s_or_saveexec_b64 s[12:13], s[12:13]
	s_mov_b64 s[14:15], 0
	v_mov_b32_e32 v3, 8
	s_xor_b64 exec, exec, s[12:13]
; %bb.126:                              ;   in Loop: Header=BB80_11 Depth=1
	s_mov_b64 s[14:15], exec
	v_subrev_u32_e32 v46, s42, v46
	v_mov_b32_e32 v3, 0
; %bb.127:                              ;   in Loop: Header=BB80_11 Depth=1
	s_or_b64 exec, exec, s[12:13]
	s_and_b64 s[14:15], s[14:15], exec
	v_mov_b32_e32 v5, v46
.LBB80_128:                             ;   in Loop: Header=BB80_11 Depth=1
	s_or_b64 exec, exec, s[2:3]
	s_mov_b64 s[2:3], -1
	s_mov_b64 s[12:13], -1
                                        ; implicit-def: $sgpr28_sgpr29
                                        ; implicit-def: $sgpr30_sgpr31
	s_and_saveexec_b64 s[26:27], s[14:15]
	s_xor_b64 s[26:27], exec, s[26:27]
	s_cbranch_execz .LBB80_245
; %bb.129:                              ;   in Loop: Header=BB80_11 Depth=1
	s_cmp_eq_u32 s46, 1
	s_cselect_b64 s[12:13], -1, 0
	v_cmp_eq_u32_e32 vcc, 1, v5
	s_and_b64 s[12:13], s[12:13], vcc
	s_mov_b64 s[36:37], -1
                                        ; implicit-def: $sgpr30_sgpr31
                                        ; implicit-def: $sgpr28_sgpr29
	s_and_saveexec_b64 s[14:15], s[12:13]
	s_cbranch_execz .LBB80_155
; %bb.130:                              ;   in Loop: Header=BB80_11 Depth=1
	ds_read_b32 v6, v21 offset:4104
	s_waitcnt lgkmcnt(0)
	s_barrier
	v_readfirstlane_b32 s9, v6
	s_and_saveexec_b64 s[28:29], s[6:7]
; %bb.131:                              ;   in Loop: Header=BB80_11 Depth=1
	ds_write_b8 v0, v21 offset:3072
; %bb.132:                              ;   in Loop: Header=BB80_11 Depth=1
	s_or_b64 exec, exec, s[28:29]
	v_and_b32_e32 v6, v38, v4
	v_lshl_or_b32 v38, 1, v41, v6
	v_or_b32_e32 v44, v44, v2
	s_mov_b64 s[28:29], -1
	s_mov_b64 s[30:31], 0
	s_cmp_eq_u32 s9, 0
	s_mov_b64 s[34:35], 0
	s_waitcnt lgkmcnt(0)
	s_barrier
                                        ; implicit-def: $vgpr45
	s_cbranch_scc1 .LBB80_143
; %bb.133:                              ;   in Loop: Header=BB80_11 Depth=1
	v_readlane_b32 s33, v81, 11
	s_add_i32 s33, s9, s33
	v_readlane_b32 s34, v81, 36
	s_mul_hi_u32 s34, s33, s34
	s_mul_i32 s34, s34, s67
	s_sub_i32 s34, s33, s34
	s_sub_i32 s35, s34, s67
	s_cmp_ge_u32 s34, s67
	s_cselect_b32 s34, s35, s34
	s_sub_i32 s35, s34, s67
	s_cmp_ge_u32 s34, s67
	s_cselect_b32 s34, s35, s34
	s_sub_i32 s33, s33, s34
	v_cmp_gt_u32_e32 vcc, s33, v0
	s_mov_b64 s[36:37], 0
	s_mov_b64 s[34:35], 0
                                        ; implicit-def: $vgpr45
	s_and_saveexec_b64 s[38:39], vcc
	s_cbranch_execz .LBB80_142
; %bb.134:                              ;   in Loop: Header=BB80_11 Depth=1
	v_mov_b32_e32 v6, v0
                                        ; implicit-def: $sgpr40_sgpr41
	s_branch .LBB80_137
.LBB80_135:                             ;   in Loop: Header=BB80_137 Depth=2
	s_or_b64 exec, exec, s[42:43]
	s_waitcnt lgkmcnt(0)
	s_barrier
	ds_read_u16 v7, v21 offset:3072
	s_mov_b64 s[42:43], -1
	s_waitcnt lgkmcnt(0)
	s_barrier
	v_cmp_ne_u32_sdwa s[44:45], v7, v21 src0_sel:BYTE_0 src1_sel:DWORD
	s_and_b64 vcc, exec, s[44:45]
	s_mov_b64 s[44:45], -1
	s_cbranch_vccz .LBB80_140
.LBB80_136:                             ;   in Loop: Header=BB80_137 Depth=2
	s_and_b64 s[42:43], exec, s[42:43]
	s_or_b64 s[34:35], s[42:43], s[34:35]
	s_andn2_b64 s[40:41], s[40:41], exec
	s_and_b64 s[42:43], s[44:45], exec
	s_or_b64 s[40:41], s[40:41], s[42:43]
	s_andn2_b64 exec, exec, s[34:35]
	s_cbranch_execz .LBB80_141
.LBB80_137:                             ;   Parent Loop BB80_11 Depth=1
                                        ; =>  This Inner Loop Header: Depth=2
	v_cmp_gt_u32_e32 vcc, s9, v6
	s_and_saveexec_b64 s[42:43], vcc
	s_cbranch_execz .LBB80_135
; %bb.138:                              ;   in Loop: Header=BB80_137 Depth=2
	ds_read_u8 v7, v6
	s_waitcnt lgkmcnt(0)
	v_add_u32_sdwa v8, sext(v7), s84 dst_sel:DWORD dst_unused:UNUSED_PAD src0_sel:BYTE_0 src1_sel:DWORD
	v_and_b32_e32 v8, v8, v44
	v_cmp_eq_u32_e32 vcc, v8, v38
	s_and_b64 exec, exec, vcc
	s_cbranch_execz .LBB80_135
; %bb.139:                              ;   in Loop: Header=BB80_137 Depth=2
	v_lshlrev_b16_e32 v7, 8, v7
	v_or_b32_e32 v7, 1, v7
	ds_write_b16 v21, v7 offset:3072
	s_branch .LBB80_135
.LBB80_140:                             ;   in Loop: Header=BB80_137 Depth=2
	v_add_u32_e32 v6, s67, v6
	v_cmp_le_u32_e32 vcc, s33, v6
	s_mov_b64 s[44:45], 0
	s_orn2_b64 s[42:43], vcc, exec
	s_branch .LBB80_136
.LBB80_141:                             ;   in Loop: Header=BB80_11 Depth=1
	s_or_b64 exec, exec, s[34:35]
	v_lshrrev_b32_sdwa v45, v43, v7 dst_sel:DWORD dst_unused:UNUSED_PAD src0_sel:DWORD src1_sel:WORD_0
	s_and_b64 s[34:35], s[40:41], exec
.LBB80_142:                             ;   in Loop: Header=BB80_11 Depth=1
	s_or_b64 exec, exec, s[38:39]
.LBB80_143:                             ;   in Loop: Header=BB80_11 Depth=1
	s_and_b64 vcc, exec, s[36:37]
	s_cbranch_vccz .LBB80_154
; %bb.144:                              ;   in Loop: Header=BB80_11 Depth=1
                                        ; implicit-def: $vgpr45
	s_mov_b64 s[28:29], exec
	v_readlane_b32 s30, v81, 37
	v_readlane_b32 s31, v81, 38
	s_and_b64 s[30:31], s[28:29], s[30:31]
	s_mov_b64 exec, s[30:31]
	s_cbranch_execz .LBB80_153
; %bb.145:                              ;   in Loop: Header=BB80_11 Depth=1
	s_mov_b64 s[30:31], 0
	v_mov_b32_e32 v6, v18
	v_mov_b32_e32 v7, v0
                                        ; implicit-def: $sgpr36_sgpr37
	s_branch .LBB80_148
.LBB80_146:                             ;   in Loop: Header=BB80_148 Depth=2
	s_or_b64 exec, exec, s[38:39]
	s_waitcnt lgkmcnt(0)
	s_barrier
	ds_read_u16 v8, v21 offset:3072
	s_mov_b64 s[38:39], -1
	s_waitcnt lgkmcnt(0)
	s_barrier
	v_cmp_eq_u32_sdwa s[40:41], v8, v21 src0_sel:BYTE_0 src1_sel:DWORD
	s_and_b64 vcc, exec, s[40:41]
	s_mov_b64 s[40:41], -1
	s_cbranch_vccnz .LBB80_151
.LBB80_147:                             ;   in Loop: Header=BB80_148 Depth=2
	s_and_b64 s[38:39], exec, s[38:39]
	s_or_b64 s[30:31], s[38:39], s[30:31]
	s_andn2_b64 s[36:37], s[36:37], exec
	s_and_b64 s[38:39], s[40:41], exec
	s_or_b64 s[36:37], s[36:37], s[38:39]
	s_andn2_b64 exec, exec, s[30:31]
	s_cbranch_execz .LBB80_152
.LBB80_148:                             ;   Parent Loop BB80_11 Depth=1
                                        ; =>  This Inner Loop Header: Depth=2
	v_cmp_gt_u32_e32 vcc, s64, v7
	s_and_saveexec_b64 s[38:39], vcc
	s_cbranch_execz .LBB80_146
; %bb.149:                              ;   in Loop: Header=BB80_148 Depth=2
	global_load_ubyte v8, v6, s[70:71]
	s_waitcnt vmcnt(0)
	v_add_u32_sdwa v9, sext(v8), s84 dst_sel:DWORD dst_unused:UNUSED_PAD src0_sel:BYTE_0 src1_sel:DWORD
	v_and_b32_e32 v9, v9, v44
	v_cmp_eq_u32_e32 vcc, v9, v38
	s_and_b64 exec, exec, vcc
	s_cbranch_execz .LBB80_146
; %bb.150:                              ;   in Loop: Header=BB80_148 Depth=2
	v_lshlrev_b16_e32 v8, 8, v8
	v_or_b32_e32 v8, 1, v8
	ds_write_b16 v21, v8 offset:3072
	s_branch .LBB80_146
.LBB80_151:                             ;   in Loop: Header=BB80_148 Depth=2
	v_add_u32_e32 v7, s67, v7
	v_cmp_le_u32_e32 vcc, s82, v7
	v_add_u32_e32 v6, s75, v6
	s_mov_b64 s[40:41], 0
	s_orn2_b64 s[38:39], vcc, exec
	s_branch .LBB80_147
.LBB80_152:                             ;   in Loop: Header=BB80_11 Depth=1
	s_or_b64 exec, exec, s[30:31]
	s_andn2_b64 s[30:31], s[34:35], exec
	s_and_b64 s[34:35], s[36:37], exec
	v_lshrrev_b32_sdwa v45, v43, v8 dst_sel:DWORD dst_unused:UNUSED_PAD src0_sel:DWORD src1_sel:WORD_0
	s_or_b64 s[34:35], s[30:31], s[34:35]
.LBB80_153:                             ;   in Loop: Header=BB80_11 Depth=1
	s_or_b64 exec, exec, s[28:29]
	s_mov_b64 s[28:29], 0
	s_mov_b64 s[30:31], -1
.LBB80_154:                             ;   in Loop: Header=BB80_11 Depth=1
	s_orn2_b64 s[36:37], s[34:35], exec
.LBB80_155:                             ;   in Loop: Header=BB80_11 Depth=1
	s_or_b64 exec, exec, s[14:15]
	s_mov_b64 s[14:15], 0
	s_and_saveexec_b64 s[34:35], s[36:37]
	s_cbranch_execz .LBB80_244
; %bb.156:                              ;   in Loop: Header=BB80_11 Depth=1
	s_xor_b64 s[36:37], s[12:13], -1
	v_mov_b32_e32 v6, 1
	v_mov_b32_e32 v3, 1
	s_and_saveexec_b64 s[12:13], s[36:37]
	s_cbranch_execz .LBB80_165
; %bb.157:                              ;   in Loop: Header=BB80_11 Depth=1
	v_cmp_ge_u32_e32 vcc, s46, v5
	s_and_saveexec_b64 s[14:15], vcc
	s_xor_b64 s[14:15], exec, s[14:15]
	s_cbranch_execz .LBB80_162
; %bb.158:                              ;   in Loop: Header=BB80_11 Depth=1
	ds_read_b32 v3, v21 offset:4104
	v_and_b32_e32 v6, v38, v4
	v_lshl_or_b32 v38, 1, v41, v6
	v_or_b32_e32 v44, v44, v2
	s_waitcnt lgkmcnt(0)
	v_cmp_ne_u32_e32 vcc, 0, v3
	s_cbranch_vccnz .LBB80_162
; %bb.159:                              ;   in Loop: Header=BB80_11 Depth=1
	s_mov_b64 s[36:37], exec
	v_readlane_b32 s38, v81, 0
	v_readlane_b32 s39, v81, 1
	s_and_b64 s[38:39], s[36:37], s[38:39]
	s_mov_b64 exec, s[38:39]
; %bb.160:                              ;   in Loop: Header=BB80_11 Depth=1
	v_mov_b32_e32 v3, s46
	ds_write_b32 v21, v3 offset:4108
; %bb.161:                              ;   in Loop: Header=BB80_11 Depth=1
	s_or_b64 exec, exec, s[36:37]
	s_waitcnt lgkmcnt(0)
	s_barrier
.LBB80_162:                             ;   in Loop: Header=BB80_11 Depth=1
	s_or_saveexec_b64 s[14:15], s[14:15]
	s_mov_b64 s[36:37], 0
	v_mov_b32_e32 v3, 8
	s_xor_b64 exec, exec, s[14:15]
; %bb.163:                              ;   in Loop: Header=BB80_11 Depth=1
	s_mov_b64 s[36:37], exec
	v_subrev_u32_e32 v5, s46, v5
	v_mov_b32_e32 v3, 0
; %bb.164:                              ;   in Loop: Header=BB80_11 Depth=1
	s_or_b64 exec, exec, s[14:15]
	s_and_b64 s[14:15], s[36:37], exec
	v_mov_b32_e32 v6, v5
.LBB80_165:                             ;   in Loop: Header=BB80_11 Depth=1
	s_or_b64 exec, exec, s[12:13]
	s_mov_b64 s[12:13], -1
                                        ; implicit-def: $sgpr38_sgpr39
                                        ; implicit-def: $sgpr40_sgpr41
	s_and_saveexec_b64 s[36:37], s[14:15]
	s_cbranch_execz .LBB80_243
; %bb.166:                              ;   in Loop: Header=BB80_11 Depth=1
	s_cmp_eq_u32 s54, 1
	s_cselect_b64 s[12:13], -1, 0
	v_cmp_eq_u32_e32 vcc, 1, v6
	s_and_b64 s[12:13], s[12:13], vcc
	s_mov_b64 s[44:45], -1
                                        ; implicit-def: $sgpr40_sgpr41
                                        ; implicit-def: $sgpr38_sgpr39
	s_and_saveexec_b64 s[14:15], s[12:13]
	s_cbranch_execz .LBB80_192
; %bb.167:                              ;   in Loop: Header=BB80_11 Depth=1
	ds_read_b32 v5, v21 offset:4104
	s_waitcnt lgkmcnt(0)
	s_barrier
	v_readfirstlane_b32 s9, v5
	s_and_saveexec_b64 s[38:39], s[6:7]
; %bb.168:                              ;   in Loop: Header=BB80_11 Depth=1
	ds_write_b8 v0, v21 offset:3072
; %bb.169:                              ;   in Loop: Header=BB80_11 Depth=1
	s_or_b64 exec, exec, s[38:39]
	v_and_b32_e32 v5, v38, v4
	v_lshl_or_b32 v38, 2, v41, v5
	v_or_b32_e32 v44, v44, v2
	s_mov_b64 s[38:39], -1
	s_mov_b64 s[40:41], 0
	s_cmp_eq_u32 s9, 0
	s_mov_b64 s[42:43], 0
	s_waitcnt lgkmcnt(0)
	s_barrier
                                        ; implicit-def: $vgpr45
	s_cbranch_scc1 .LBB80_180
; %bb.170:                              ;   in Loop: Header=BB80_11 Depth=1
	v_readlane_b32 s33, v81, 11
	s_add_i32 s33, s9, s33
	v_readlane_b32 s42, v81, 36
	s_mul_hi_u32 s42, s33, s42
	s_mul_i32 s42, s42, s67
	s_sub_i32 s42, s33, s42
	s_sub_i32 s43, s42, s67
	s_cmp_ge_u32 s42, s67
	s_cselect_b32 s42, s43, s42
	s_sub_i32 s43, s42, s67
	s_cmp_ge_u32 s42, s67
	s_cselect_b32 s42, s43, s42
	s_sub_i32 s33, s33, s42
	v_cmp_gt_u32_e32 vcc, s33, v0
	s_mov_b64 s[44:45], 0
	s_mov_b64 s[42:43], 0
                                        ; implicit-def: $vgpr45
	s_and_saveexec_b64 s[46:47], vcc
	s_cbranch_execz .LBB80_179
; %bb.171:                              ;   in Loop: Header=BB80_11 Depth=1
	v_mov_b32_e32 v5, v0
                                        ; implicit-def: $sgpr48_sgpr49
	s_branch .LBB80_174
.LBB80_172:                             ;   in Loop: Header=BB80_174 Depth=2
	s_or_b64 exec, exec, s[50:51]
	s_waitcnt lgkmcnt(0)
	s_barrier
	ds_read_u16 v7, v21 offset:3072
	s_mov_b64 s[50:51], -1
	s_waitcnt lgkmcnt(0)
	s_barrier
	v_cmp_ne_u32_sdwa s[52:53], v7, v21 src0_sel:BYTE_0 src1_sel:DWORD
	s_and_b64 vcc, exec, s[52:53]
	s_mov_b64 s[52:53], -1
	s_cbranch_vccz .LBB80_177
.LBB80_173:                             ;   in Loop: Header=BB80_174 Depth=2
	s_and_b64 s[50:51], exec, s[50:51]
	s_or_b64 s[42:43], s[50:51], s[42:43]
	s_andn2_b64 s[48:49], s[48:49], exec
	s_and_b64 s[50:51], s[52:53], exec
	s_or_b64 s[48:49], s[48:49], s[50:51]
	s_andn2_b64 exec, exec, s[42:43]
	s_cbranch_execz .LBB80_178
.LBB80_174:                             ;   Parent Loop BB80_11 Depth=1
                                        ; =>  This Inner Loop Header: Depth=2
	v_cmp_gt_u32_e32 vcc, s9, v5
	s_and_saveexec_b64 s[50:51], vcc
	s_cbranch_execz .LBB80_172
; %bb.175:                              ;   in Loop: Header=BB80_174 Depth=2
	ds_read_u8 v7, v5
	s_waitcnt lgkmcnt(0)
	v_add_u32_sdwa v8, sext(v7), s84 dst_sel:DWORD dst_unused:UNUSED_PAD src0_sel:BYTE_0 src1_sel:DWORD
	v_and_b32_e32 v8, v8, v44
	v_cmp_eq_u32_e32 vcc, v8, v38
	s_and_b64 exec, exec, vcc
	s_cbranch_execz .LBB80_172
; %bb.176:                              ;   in Loop: Header=BB80_174 Depth=2
	v_lshlrev_b16_e32 v7, 8, v7
	v_or_b32_e32 v7, 1, v7
	ds_write_b16 v21, v7 offset:3072
	s_branch .LBB80_172
.LBB80_177:                             ;   in Loop: Header=BB80_174 Depth=2
	v_add_u32_e32 v5, s67, v5
	v_cmp_le_u32_e32 vcc, s33, v5
	s_mov_b64 s[52:53], 0
	s_orn2_b64 s[50:51], vcc, exec
	s_branch .LBB80_173
.LBB80_178:                             ;   in Loop: Header=BB80_11 Depth=1
	s_or_b64 exec, exec, s[42:43]
	v_lshrrev_b32_sdwa v45, v43, v7 dst_sel:DWORD dst_unused:UNUSED_PAD src0_sel:DWORD src1_sel:WORD_0
	s_and_b64 s[42:43], s[48:49], exec
.LBB80_179:                             ;   in Loop: Header=BB80_11 Depth=1
	s_or_b64 exec, exec, s[46:47]
.LBB80_180:                             ;   in Loop: Header=BB80_11 Depth=1
	s_and_b64 vcc, exec, s[44:45]
	s_cbranch_vccz .LBB80_191
; %bb.181:                              ;   in Loop: Header=BB80_11 Depth=1
                                        ; implicit-def: $vgpr45
	s_mov_b64 s[38:39], exec
	v_readlane_b32 s40, v81, 37
	v_readlane_b32 s41, v81, 38
	s_and_b64 s[40:41], s[38:39], s[40:41]
	s_mov_b64 exec, s[40:41]
	s_cbranch_execz .LBB80_190
; %bb.182:                              ;   in Loop: Header=BB80_11 Depth=1
	s_mov_b64 s[40:41], 0
	v_mov_b32_e32 v5, v18
	v_mov_b32_e32 v7, v0
                                        ; implicit-def: $sgpr44_sgpr45
	s_branch .LBB80_185
.LBB80_183:                             ;   in Loop: Header=BB80_185 Depth=2
	s_or_b64 exec, exec, s[46:47]
	s_waitcnt lgkmcnt(0)
	s_barrier
	ds_read_u16 v8, v21 offset:3072
	s_mov_b64 s[46:47], -1
	s_waitcnt lgkmcnt(0)
	s_barrier
	v_cmp_eq_u32_sdwa s[48:49], v8, v21 src0_sel:BYTE_0 src1_sel:DWORD
	s_and_b64 vcc, exec, s[48:49]
	s_mov_b64 s[48:49], -1
	s_cbranch_vccnz .LBB80_188
.LBB80_184:                             ;   in Loop: Header=BB80_185 Depth=2
	s_and_b64 s[46:47], exec, s[46:47]
	s_or_b64 s[40:41], s[46:47], s[40:41]
	s_andn2_b64 s[44:45], s[44:45], exec
	s_and_b64 s[46:47], s[48:49], exec
	s_or_b64 s[44:45], s[44:45], s[46:47]
	s_andn2_b64 exec, exec, s[40:41]
	s_cbranch_execz .LBB80_189
.LBB80_185:                             ;   Parent Loop BB80_11 Depth=1
                                        ; =>  This Inner Loop Header: Depth=2
	v_cmp_gt_u32_e32 vcc, s64, v7
	s_and_saveexec_b64 s[46:47], vcc
	s_cbranch_execz .LBB80_183
; %bb.186:                              ;   in Loop: Header=BB80_185 Depth=2
	global_load_ubyte v8, v5, s[70:71]
	s_waitcnt vmcnt(0)
	v_add_u32_sdwa v9, sext(v8), s84 dst_sel:DWORD dst_unused:UNUSED_PAD src0_sel:BYTE_0 src1_sel:DWORD
	v_and_b32_e32 v9, v9, v44
	v_cmp_eq_u32_e32 vcc, v9, v38
	s_and_b64 exec, exec, vcc
	s_cbranch_execz .LBB80_183
; %bb.187:                              ;   in Loop: Header=BB80_185 Depth=2
	v_lshlrev_b16_e32 v8, 8, v8
	v_or_b32_e32 v8, 1, v8
	ds_write_b16 v21, v8 offset:3072
	s_branch .LBB80_183
.LBB80_188:                             ;   in Loop: Header=BB80_185 Depth=2
	v_add_u32_e32 v7, s67, v7
	v_cmp_le_u32_e32 vcc, s82, v7
	v_add_u32_e32 v5, s75, v5
	s_mov_b64 s[48:49], 0
	s_orn2_b64 s[46:47], vcc, exec
	s_branch .LBB80_184
.LBB80_189:                             ;   in Loop: Header=BB80_11 Depth=1
	s_or_b64 exec, exec, s[40:41]
	s_andn2_b64 s[40:41], s[42:43], exec
	s_and_b64 s[42:43], s[44:45], exec
	v_lshrrev_b32_sdwa v45, v43, v8 dst_sel:DWORD dst_unused:UNUSED_PAD src0_sel:DWORD src1_sel:WORD_0
	s_or_b64 s[42:43], s[40:41], s[42:43]
.LBB80_190:                             ;   in Loop: Header=BB80_11 Depth=1
	s_or_b64 exec, exec, s[38:39]
	s_mov_b64 s[38:39], 0
	s_mov_b64 s[40:41], -1
.LBB80_191:                             ;   in Loop: Header=BB80_11 Depth=1
	s_orn2_b64 s[44:45], s[42:43], exec
.LBB80_192:                             ;   in Loop: Header=BB80_11 Depth=1
	s_or_b64 exec, exec, s[14:15]
	s_mov_b64 s[14:15], 0
	s_and_saveexec_b64 s[42:43], s[44:45]
	s_cbranch_execz .LBB80_242
; %bb.193:                              ;   in Loop: Header=BB80_11 Depth=1
	s_xor_b64 s[14:15], s[12:13], -1
	s_mov_b64 s[48:49], 0
	v_mov_b32_e32 v5, 1
	v_mov_b32_e32 v3, 1
	s_and_saveexec_b64 s[12:13], s[14:15]
	s_cbranch_execz .LBB80_202
; %bb.194:                              ;   in Loop: Header=BB80_11 Depth=1
	v_cmp_ge_u32_e32 vcc, s54, v6
	s_and_saveexec_b64 s[14:15], vcc
	s_xor_b64 s[14:15], exec, s[14:15]
	s_cbranch_execz .LBB80_199
; %bb.195:                              ;   in Loop: Header=BB80_11 Depth=1
	ds_read_b32 v3, v21 offset:4104
	v_and_b32_e32 v4, v38, v4
	v_lshl_or_b32 v38, 2, v41, v4
	v_or_b32_e32 v44, v44, v2
	s_waitcnt lgkmcnt(0)
	v_cmp_ne_u32_e32 vcc, 0, v3
	s_cbranch_vccnz .LBB80_199
; %bb.196:                              ;   in Loop: Header=BB80_11 Depth=1
	s_mov_b64 s[44:45], exec
	v_readlane_b32 s46, v81, 0
	v_readlane_b32 s47, v81, 1
	s_and_b64 s[46:47], s[44:45], s[46:47]
	s_mov_b64 exec, s[46:47]
; %bb.197:                              ;   in Loop: Header=BB80_11 Depth=1
	v_mov_b32_e32 v3, s54
	ds_write_b32 v21, v3 offset:4108
; %bb.198:                              ;   in Loop: Header=BB80_11 Depth=1
	s_or_b64 exec, exec, s[44:45]
	s_waitcnt lgkmcnt(0)
	s_barrier
.LBB80_199:                             ;   in Loop: Header=BB80_11 Depth=1
	s_or_saveexec_b64 s[14:15], s[14:15]
	s_mov_b64 s[44:45], 0
	v_mov_b32_e32 v3, 8
	s_xor_b64 exec, exec, s[14:15]
; %bb.200:                              ;   in Loop: Header=BB80_11 Depth=1
	s_mov_b64 s[44:45], exec
	v_subrev_u32_e32 v6, s54, v6
	v_mov_b32_e32 v3, 0
; %bb.201:                              ;   in Loop: Header=BB80_11 Depth=1
	s_or_b64 exec, exec, s[14:15]
	s_and_b64 s[48:49], s[44:45], exec
	v_mov_b32_e32 v5, v6
.LBB80_202:                             ;   in Loop: Header=BB80_11 Depth=1
	s_or_b64 exec, exec, s[12:13]
	s_mov_b64 s[14:15], -1
                                        ; implicit-def: $sgpr12_sgpr13
                                        ; implicit-def: $sgpr46_sgpr47
	s_and_saveexec_b64 s[44:45], s[48:49]
	s_cbranch_execz .LBB80_241
; %bb.203:                              ;   in Loop: Header=BB80_11 Depth=1
	s_cmp_eq_u32 s21, 1
	s_cselect_b64 s[12:13], -1, 0
	v_cmp_eq_u32_e32 vcc, 1, v5
	s_and_b64 s[48:49], s[12:13], vcc
	s_mov_b64 s[50:51], -1
                                        ; implicit-def: $sgpr12_sgpr13
                                        ; implicit-def: $sgpr46_sgpr47
	s_and_saveexec_b64 s[14:15], s[48:49]
	s_cbranch_execz .LBB80_229
; %bb.204:                              ;   in Loop: Header=BB80_11 Depth=1
	ds_read_b32 v4, v21 offset:4104
	s_waitcnt lgkmcnt(0)
	s_barrier
	v_readfirstlane_b32 s9, v4
	s_and_saveexec_b64 s[12:13], s[6:7]
; %bb.205:                              ;   in Loop: Header=BB80_11 Depth=1
	ds_write_b8 v0, v21 offset:3072
; %bb.206:                              ;   in Loop: Header=BB80_11 Depth=1
	s_or_b64 exec, exec, s[12:13]
	v_or_b32_e32 v38, v38, v2
	v_or_b32_e32 v44, v44, v2
	s_mov_b64 s[46:47], -1
	s_mov_b64 s[12:13], 0
	s_cmp_eq_u32 s9, 0
	s_mov_b64 s[50:51], 0
	s_mov_b64 s[52:53], -1
	s_waitcnt lgkmcnt(0)
	s_barrier
                                        ; implicit-def: $vgpr45
	s_cbranch_scc1 .LBB80_217
; %bb.207:                              ;   in Loop: Header=BB80_11 Depth=1
	v_readlane_b32 s33, v81, 11
	s_add_i32 s33, s9, s33
	v_readlane_b32 s50, v81, 36
	s_mul_hi_u32 s50, s33, s50
	s_mul_i32 s50, s50, s67
	s_sub_i32 s50, s33, s50
	s_sub_i32 s51, s50, s67
	s_cmp_ge_u32 s50, s67
	s_cselect_b32 s50, s51, s50
	s_sub_i32 s51, s50, s67
	s_cmp_ge_u32 s50, s67
	s_cselect_b32 s50, s51, s50
	s_sub_i32 s33, s33, s50
	v_cmp_gt_u32_e32 vcc, s33, v0
	s_mov_b64 s[52:53], 0
	s_mov_b64 s[50:51], 0
                                        ; implicit-def: $vgpr45
	s_and_saveexec_b64 s[54:55], vcc
	s_cbranch_execz .LBB80_216
; %bb.208:                              ;   in Loop: Header=BB80_11 Depth=1
	v_mov_b32_e32 v4, v0
                                        ; implicit-def: $sgpr56_sgpr57
	s_branch .LBB80_211
.LBB80_209:                             ;   in Loop: Header=BB80_211 Depth=2
	s_or_b64 exec, exec, s[58:59]
	s_waitcnt lgkmcnt(0)
	s_barrier
	ds_read_u16 v6, v21 offset:3072
	s_mov_b64 s[58:59], -1
	s_waitcnt lgkmcnt(0)
	s_barrier
	v_cmp_ne_u32_sdwa s[60:61], v6, v21 src0_sel:BYTE_0 src1_sel:DWORD
	s_and_b64 vcc, exec, s[60:61]
	s_mov_b64 s[60:61], -1
	s_cbranch_vccz .LBB80_214
.LBB80_210:                             ;   in Loop: Header=BB80_211 Depth=2
	s_and_b64 s[58:59], exec, s[58:59]
	s_or_b64 s[50:51], s[58:59], s[50:51]
	s_andn2_b64 s[56:57], s[56:57], exec
	s_and_b64 s[58:59], s[60:61], exec
	s_or_b64 s[56:57], s[56:57], s[58:59]
	s_andn2_b64 exec, exec, s[50:51]
	s_cbranch_execz .LBB80_215
.LBB80_211:                             ;   Parent Loop BB80_11 Depth=1
                                        ; =>  This Inner Loop Header: Depth=2
	v_cmp_gt_u32_e32 vcc, s9, v4
	s_and_saveexec_b64 s[58:59], vcc
	s_cbranch_execz .LBB80_209
; %bb.212:                              ;   in Loop: Header=BB80_211 Depth=2
	ds_read_u8 v6, v4
	s_waitcnt lgkmcnt(0)
	v_add_u32_sdwa v7, sext(v6), s84 dst_sel:DWORD dst_unused:UNUSED_PAD src0_sel:BYTE_0 src1_sel:DWORD
	v_and_b32_e32 v7, v7, v44
	v_cmp_eq_u32_e32 vcc, v7, v38
	s_and_b64 exec, exec, vcc
	s_cbranch_execz .LBB80_209
; %bb.213:                              ;   in Loop: Header=BB80_211 Depth=2
	v_lshlrev_b16_e32 v6, 8, v6
	v_or_b32_e32 v6, 1, v6
	ds_write_b16 v21, v6 offset:3072
	s_branch .LBB80_209
.LBB80_214:                             ;   in Loop: Header=BB80_211 Depth=2
	v_add_u32_e32 v4, s67, v4
	v_cmp_le_u32_e32 vcc, s33, v4
	s_mov_b64 s[60:61], 0
	s_orn2_b64 s[58:59], vcc, exec
	s_branch .LBB80_210
.LBB80_215:                             ;   in Loop: Header=BB80_11 Depth=1
	s_or_b64 exec, exec, s[50:51]
	v_lshrrev_b32_sdwa v45, v43, v6 dst_sel:DWORD dst_unused:UNUSED_PAD src0_sel:DWORD src1_sel:WORD_0
	s_and_b64 s[50:51], s[56:57], exec
	s_mov_b32 s58, s91
	s_mov_b32 s23, s22
	;; [unrolled: 1-line block ×5, first 2 shown]
.LBB80_216:                             ;   in Loop: Header=BB80_11 Depth=1
	s_or_b64 exec, exec, s[54:55]
.LBB80_217:                             ;   in Loop: Header=BB80_11 Depth=1
	s_and_b64 vcc, exec, s[52:53]
	s_cbranch_vccz .LBB80_228
; %bb.218:                              ;   in Loop: Header=BB80_11 Depth=1
                                        ; implicit-def: $vgpr45
	s_mov_b64 s[12:13], exec
	v_readlane_b32 s46, v81, 37
	v_readlane_b32 s47, v81, 38
	s_and_b64 s[46:47], s[12:13], s[46:47]
	s_mov_b64 exec, s[46:47]
	s_cbranch_execz .LBB80_227
; %bb.219:                              ;   in Loop: Header=BB80_11 Depth=1
	s_mov_b64 s[46:47], 0
	v_mov_b32_e32 v4, v18
	v_mov_b32_e32 v6, v0
                                        ; implicit-def: $sgpr52_sgpr53
	s_branch .LBB80_222
.LBB80_220:                             ;   in Loop: Header=BB80_222 Depth=2
	s_or_b64 exec, exec, s[54:55]
	s_waitcnt lgkmcnt(0)
	s_barrier
	ds_read_u16 v7, v21 offset:3072
	s_mov_b64 s[54:55], -1
	s_waitcnt lgkmcnt(0)
	s_barrier
	v_cmp_eq_u32_sdwa s[56:57], v7, v21 src0_sel:BYTE_0 src1_sel:DWORD
	s_and_b64 vcc, exec, s[56:57]
	s_mov_b64 s[56:57], -1
	s_cbranch_vccnz .LBB80_225
.LBB80_221:                             ;   in Loop: Header=BB80_222 Depth=2
	s_and_b64 s[54:55], exec, s[54:55]
	s_or_b64 s[46:47], s[54:55], s[46:47]
	s_andn2_b64 s[52:53], s[52:53], exec
	s_and_b64 s[54:55], s[56:57], exec
	s_or_b64 s[52:53], s[52:53], s[54:55]
	s_andn2_b64 exec, exec, s[46:47]
	s_cbranch_execz .LBB80_226
.LBB80_222:                             ;   Parent Loop BB80_11 Depth=1
                                        ; =>  This Inner Loop Header: Depth=2
	v_cmp_gt_u32_e32 vcc, s64, v6
	s_and_saveexec_b64 s[54:55], vcc
	s_cbranch_execz .LBB80_220
; %bb.223:                              ;   in Loop: Header=BB80_222 Depth=2
	global_load_ubyte v7, v4, s[70:71]
	s_waitcnt vmcnt(0)
	v_add_u32_sdwa v8, sext(v7), s84 dst_sel:DWORD dst_unused:UNUSED_PAD src0_sel:BYTE_0 src1_sel:DWORD
	v_and_b32_e32 v8, v8, v44
	v_cmp_eq_u32_e32 vcc, v8, v38
	s_and_b64 exec, exec, vcc
	s_cbranch_execz .LBB80_220
; %bb.224:                              ;   in Loop: Header=BB80_222 Depth=2
	v_lshlrev_b16_e32 v7, 8, v7
	v_or_b32_e32 v7, 1, v7
	ds_write_b16 v21, v7 offset:3072
	s_branch .LBB80_220
.LBB80_225:                             ;   in Loop: Header=BB80_222 Depth=2
	v_add_u32_e32 v6, s67, v6
	v_cmp_le_u32_e32 vcc, s82, v6
	v_add_u32_e32 v4, s75, v4
	s_mov_b64 s[56:57], 0
	s_orn2_b64 s[54:55], vcc, exec
	s_branch .LBB80_221
.LBB80_226:                             ;   in Loop: Header=BB80_11 Depth=1
	s_or_b64 exec, exec, s[46:47]
	s_andn2_b64 s[46:47], s[50:51], exec
	s_and_b64 s[50:51], s[52:53], exec
	v_lshrrev_b32_sdwa v45, v43, v7 dst_sel:DWORD dst_unused:UNUSED_PAD src0_sel:DWORD src1_sel:WORD_0
	s_or_b64 s[50:51], s[46:47], s[50:51]
.LBB80_227:                             ;   in Loop: Header=BB80_11 Depth=1
	s_or_b64 exec, exec, s[12:13]
	s_mov_b64 s[46:47], 0
	s_mov_b64 s[12:13], -1
.LBB80_228:                             ;   in Loop: Header=BB80_11 Depth=1
	s_orn2_b64 s[50:51], s[50:51], exec
.LBB80_229:                             ;   in Loop: Header=BB80_11 Depth=1
	s_or_b64 exec, exec, s[14:15]
	s_mov_b64 s[52:53], 0
	s_and_saveexec_b64 s[14:15], s[50:51]
	s_cbranch_execz .LBB80_240
; %bb.230:                              ;   in Loop: Header=BB80_11 Depth=1
	s_xor_b64 s[50:51], s[48:49], -1
	v_mov_b32_e32 v3, 1
	v_mov_b32_e32 v4, 1
	s_and_saveexec_b64 s[48:49], s[50:51]
	s_cbranch_execz .LBB80_239
; %bb.231:                              ;   in Loop: Header=BB80_11 Depth=1
	v_cmp_ge_u32_e32 vcc, s21, v5
	s_and_saveexec_b64 s[50:51], vcc
	s_xor_b64 s[50:51], exec, s[50:51]
	s_cbranch_execz .LBB80_236
; %bb.232:                              ;   in Loop: Header=BB80_11 Depth=1
	ds_read_b32 v3, v21 offset:4104
	v_or_b32_e32 v38, v38, v2
	v_or_b32_e32 v44, v44, v2
	s_waitcnt lgkmcnt(0)
	v_cmp_ne_u32_e32 vcc, 0, v3
	s_cbranch_vccnz .LBB80_236
; %bb.233:                              ;   in Loop: Header=BB80_11 Depth=1
	s_mov_b64 s[52:53], exec
	v_readlane_b32 s54, v81, 0
	v_readlane_b32 s55, v81, 1
	s_and_b64 s[54:55], s[52:53], s[54:55]
	s_mov_b64 exec, s[54:55]
; %bb.234:                              ;   in Loop: Header=BB80_11 Depth=1
	v_mov_b32_e32 v2, s21
	ds_write_b32 v21, v2 offset:4108
; %bb.235:                              ;   in Loop: Header=BB80_11 Depth=1
	s_or_b64 exec, exec, s[52:53]
	s_waitcnt lgkmcnt(0)
	s_barrier
.LBB80_236:                             ;   in Loop: Header=BB80_11 Depth=1
	s_andn2_saveexec_b64 s[50:51], s[50:51]
; %bb.237:                              ;   in Loop: Header=BB80_11 Depth=1
	v_subrev_u32_e32 v5, s21, v5
; %bb.238:                              ;   in Loop: Header=BB80_11 Depth=1
	s_or_b64 exec, exec, s[50:51]
	v_mov_b32_e32 v3, 8
	v_mov_b32_e32 v4, v5
.LBB80_239:                             ;   in Loop: Header=BB80_11 Depth=1
	s_or_b64 exec, exec, s[48:49]
	s_mov_b64 s[52:53], exec
	v_mov_b32_e32 v5, v4
.LBB80_240:                             ;   in Loop: Header=BB80_11 Depth=1
	s_or_b64 exec, exec, s[14:15]
	s_orn2_b64 s[14:15], s[52:53], exec
.LBB80_241:                             ;   in Loop: Header=BB80_11 Depth=1
	s_or_b64 exec, exec, s[44:45]
	s_andn2_b64 s[40:41], s[40:41], exec
	s_and_b64 s[12:13], s[12:13], exec
	s_or_b64 s[40:41], s[40:41], s[12:13]
	s_andn2_b64 s[12:13], s[38:39], exec
	s_and_b64 s[38:39], s[46:47], exec
	s_or_b64 s[38:39], s[12:13], s[38:39]
	s_and_b64 s[14:15], s[14:15], exec
	v_mov_b32_e32 v6, v5
.LBB80_242:                             ;   in Loop: Header=BB80_11 Depth=1
	s_or_b64 exec, exec, s[42:43]
	s_orn2_b64 s[12:13], s[14:15], exec
.LBB80_243:                             ;   in Loop: Header=BB80_11 Depth=1
	s_or_b64 exec, exec, s[36:37]
	s_andn2_b64 s[14:15], s[30:31], exec
	s_and_b64 s[30:31], s[40:41], exec
	s_or_b64 s[30:31], s[14:15], s[30:31]
	s_andn2_b64 s[14:15], s[28:29], exec
	s_and_b64 s[28:29], s[38:39], exec
	s_or_b64 s[28:29], s[14:15], s[28:29]
	s_and_b64 s[14:15], s[12:13], exec
	v_mov_b32_e32 v5, v6
.LBB80_244:                             ;   in Loop: Header=BB80_11 Depth=1
	s_or_b64 exec, exec, s[34:35]
	s_orn2_b64 s[12:13], s[14:15], exec
.LBB80_245:                             ;   in Loop: Header=BB80_11 Depth=1
	s_or_b64 exec, exec, s[26:27]
	s_mov_b64 s[14:15], 0
                                        ; implicit-def: $sgpr9
	s_and_saveexec_b64 s[26:27], s[12:13]
	s_xor_b64 s[12:13], exec, s[26:27]
	s_cbranch_execz .LBB80_9
; %bb.246:                              ;   in Loop: Header=BB80_11 Depth=1
	v_and_b32_e32 v2, 7, v3
	v_cmp_eq_u32_e32 vcc, 0, v2
	s_mov_b64 s[2:3], -1
	s_mov_b64 s[14:15], -1
                                        ; implicit-def: $sgpr9
	s_and_saveexec_b64 s[26:27], vcc
	s_cbranch_execz .LBB80_8
; %bb.247:                              ;   in Loop: Header=BB80_11 Depth=1
	v_add_u32_e32 v2, -2, v41
	v_cmp_eq_u32_e32 vcc, 0, v41
	s_xor_b32 s9, s20, 1
	s_xor_b64 s[14:15], exec, -1
	s_orn2_b64 s[2:3], vcc, exec
	v_mov_b32_e32 v41, v2
	s_branch .LBB80_8
.LBB80_248:
	s_or_b64 exec, exec, s[92:93]
	s_xor_b64 s[6:7], s[98:99], -1
	s_xor_b64 s[0:1], s[94:95], -1
	;; [unrolled: 1-line block ×3, first 2 shown]
	s_mov_b64 s[2:3], 0
	s_and_saveexec_b64 s[8:9], s[0:1]
	s_xor_b64 s[0:1], exec, s[8:9]
	s_cbranch_execnz .LBB80_253
; %bb.249:
	s_andn2_saveexec_b64 s[0:1], s[0:1]
	s_cbranch_execnz .LBB80_266
.LBB80_250:
	s_or_b64 exec, exec, s[0:1]
	s_and_saveexec_b64 s[0:1], s[2:3]
.LBB80_251:
	; divergent unreachable
.LBB80_252:
	s_endpgm
.LBB80_253:
	s_and_saveexec_b64 s[2:3], s[6:7]
	s_xor_b64 s[2:3], exec, s[2:3]
	s_cbranch_execz .LBB80_264
; %bb.254:
	s_and_saveexec_b64 s[6:7], s[4:5]
	s_xor_b64 s[4:5], exec, s[6:7]
; %bb.255:
	v_xor_b32_e32 v45, 0xffffff80, v38
; %bb.256:
	s_or_b64 exec, exec, s[4:5]
	v_readlane_b32 s18, v81, 8
	v_readlane_b32 s4, v81, 7
	s_mul_i32 s4, s4, s18
	s_nop 0
	v_mov_b32_e32 v1, s4
	v_readlane_b32 s4, v81, 4
	v_readlane_b32 s5, v81, 5
	s_nop 4
	global_store_byte v1, v45, s[4:5]
	s_mov_b64 s[4:5], exec
	v_readlane_b32 s6, v81, 9
	v_readlane_b32 s7, v81, 10
	s_and_b64 s[6:7], s[4:5], s[6:7]
	s_mov_b64 exec, s[6:7]
	s_cbranch_execz .LBB80_263
; %bb.257:
	s_mov_b64 s[6:7], 0
                                        ; implicit-def: $sgpr8_sgpr9
                                        ; implicit-def: $sgpr12_sgpr13
                                        ; implicit-def: $sgpr10_sgpr11
	s_branch .LBB80_259
.LBB80_258:                             ;   in Loop: Header=BB80_259 Depth=1
	s_or_b64 exec, exec, s[14:15]
	s_and_b64 s[14:15], exec, s[12:13]
	s_or_b64 s[6:7], s[14:15], s[6:7]
	s_andn2_b64 s[8:9], s[8:9], exec
	s_and_b64 s[14:15], s[10:11], exec
	s_or_b64 s[8:9], s[8:9], s[14:15]
	s_andn2_b64 exec, exec, s[6:7]
	s_cbranch_execz .LBB80_261
.LBB80_259:                             ; =>This Inner Loop Header: Depth=1
	global_load_ubyte v1, v18, s[70:71]
	v_mov_b32_e32 v2, v0
	s_or_b64 s[10:11], s[10:11], exec
	s_or_b64 s[12:13], s[12:13], exec
                                        ; implicit-def: $vgpr0
	s_waitcnt vmcnt(0)
	v_cmp_ne_u16_sdwa s[16:17], v1, v45 src0_sel:DWORD src1_sel:BYTE_0
	s_and_saveexec_b64 s[14:15], s[16:17]
	s_cbranch_execz .LBB80_258
; %bb.260:                              ;   in Loop: Header=BB80_259 Depth=1
	v_add_u32_e32 v0, s67, v2
	v_cmp_le_u32_e32 vcc, s64, v0
	s_andn2_b64 s[12:13], s[12:13], exec
	s_and_b64 s[16:17], vcc, exec
	v_add_u32_e32 v18, s75, v18
	s_andn2_b64 s[10:11], s[10:11], exec
	s_or_b64 s[12:13], s[12:13], s[16:17]
	s_branch .LBB80_258
.LBB80_261:
	s_or_b64 exec, exec, s[6:7]
	s_and_saveexec_b64 s[6:7], s[8:9]
	s_xor_b64 s[6:7], exec, s[6:7]
	s_cbranch_execz .LBB80_263
; %bb.262:
	v_readlane_b32 s6, v81, 6
	s_mul_i32 s6, s6, s18
	s_mov_b32 s7, 0
	s_lshl_b64 s[6:7], s[6:7], 3
	v_readlane_b32 s8, v81, 2
	v_readlane_b32 s9, v81, 3
	s_add_u32 s6, s8, s6
	s_addc_u32 s7, s9, s7
	v_mov_b32_e32 v3, 0
	global_store_dwordx2 v3, v[2:3], s[6:7]
.LBB80_263:
	s_or_b64 exec, exec, s[4:5]
.LBB80_264:
	s_or_saveexec_b64 s[2:3], s[2:3]
	s_mov_b64 s[4:5], 0
	s_xor_b64 exec, exec, s[2:3]
	s_cbranch_execnz .LBB80_267
.LBB80_265:
	s_or_b64 exec, exec, s[2:3]
	s_and_b64 s[2:3], s[4:5], exec
	s_andn2_saveexec_b64 s[0:1], s[0:1]
	s_cbranch_execz .LBB80_250
.LBB80_266:
	s_or_b64 s[2:3], s[2:3], exec
	s_trap 2
	s_or_b64 exec, exec, s[0:1]
	s_and_saveexec_b64 s[0:1], s[2:3]
	s_cbranch_execnz .LBB80_251
	s_branch .LBB80_252
.LBB80_267:
	s_mov_b64 s[4:5], exec
	s_trap 2
	s_branch .LBB80_265
	.section	.rodata,"a",@progbits
	.p2align	6, 0x0
	.amdhsa_kernel _ZN2at6native12_GLOBAL__N_112gatherMedianIajLi1EEEvNS_4cuda6detail10TensorInfoIT_T0_EENS5_IlS7_EENS5_IKS6_S7_EES7_S7_S7_b
		.amdhsa_group_segment_fixed_size 4120
		.amdhsa_private_segment_fixed_size 0
		.amdhsa_kernarg_size 920
		.amdhsa_user_sgpr_count 2
		.amdhsa_user_sgpr_dispatch_ptr 0
		.amdhsa_user_sgpr_queue_ptr 0
		.amdhsa_user_sgpr_kernarg_segment_ptr 1
		.amdhsa_user_sgpr_dispatch_id 0
		.amdhsa_user_sgpr_kernarg_preload_length 0
		.amdhsa_user_sgpr_kernarg_preload_offset 0
		.amdhsa_user_sgpr_private_segment_size 0
		.amdhsa_uses_dynamic_stack 0
		.amdhsa_enable_private_segment 0
		.amdhsa_system_sgpr_workgroup_id_x 1
		.amdhsa_system_sgpr_workgroup_id_y 1
		.amdhsa_system_sgpr_workgroup_id_z 1
		.amdhsa_system_sgpr_workgroup_info 0
		.amdhsa_system_vgpr_workitem_id 0
		.amdhsa_next_free_vgpr 82
		.amdhsa_next_free_sgpr 100
		.amdhsa_accum_offset 84
		.amdhsa_reserve_vcc 1
		.amdhsa_float_round_mode_32 0
		.amdhsa_float_round_mode_16_64 0
		.amdhsa_float_denorm_mode_32 3
		.amdhsa_float_denorm_mode_16_64 3
		.amdhsa_dx10_clamp 1
		.amdhsa_ieee_mode 1
		.amdhsa_fp16_overflow 0
		.amdhsa_tg_split 0
		.amdhsa_exception_fp_ieee_invalid_op 0
		.amdhsa_exception_fp_denorm_src 0
		.amdhsa_exception_fp_ieee_div_zero 0
		.amdhsa_exception_fp_ieee_overflow 0
		.amdhsa_exception_fp_ieee_underflow 0
		.amdhsa_exception_fp_ieee_inexact 0
		.amdhsa_exception_int_div_zero 0
	.end_amdhsa_kernel
	.section	.text._ZN2at6native12_GLOBAL__N_112gatherMedianIajLi1EEEvNS_4cuda6detail10TensorInfoIT_T0_EENS5_IlS7_EENS5_IKS6_S7_EES7_S7_S7_b,"axG",@progbits,_ZN2at6native12_GLOBAL__N_112gatherMedianIajLi1EEEvNS_4cuda6detail10TensorInfoIT_T0_EENS5_IlS7_EENS5_IKS6_S7_EES7_S7_S7_b,comdat
.Lfunc_end80:
	.size	_ZN2at6native12_GLOBAL__N_112gatherMedianIajLi1EEEvNS_4cuda6detail10TensorInfoIT_T0_EENS5_IlS7_EENS5_IKS6_S7_EES7_S7_S7_b, .Lfunc_end80-_ZN2at6native12_GLOBAL__N_112gatherMedianIajLi1EEEvNS_4cuda6detail10TensorInfoIT_T0_EENS5_IlS7_EENS5_IKS6_S7_EES7_S7_S7_b
                                        ; -- End function
	.set _ZN2at6native12_GLOBAL__N_112gatherMedianIajLi1EEEvNS_4cuda6detail10TensorInfoIT_T0_EENS5_IlS7_EENS5_IKS6_S7_EES7_S7_S7_b.num_vgpr, 82
	.set _ZN2at6native12_GLOBAL__N_112gatherMedianIajLi1EEEvNS_4cuda6detail10TensorInfoIT_T0_EENS5_IlS7_EENS5_IKS6_S7_EES7_S7_S7_b.num_agpr, 0
	.set _ZN2at6native12_GLOBAL__N_112gatherMedianIajLi1EEEvNS_4cuda6detail10TensorInfoIT_T0_EENS5_IlS7_EENS5_IKS6_S7_EES7_S7_S7_b.numbered_sgpr, 100
	.set _ZN2at6native12_GLOBAL__N_112gatherMedianIajLi1EEEvNS_4cuda6detail10TensorInfoIT_T0_EENS5_IlS7_EENS5_IKS6_S7_EES7_S7_S7_b.num_named_barrier, 0
	.set _ZN2at6native12_GLOBAL__N_112gatherMedianIajLi1EEEvNS_4cuda6detail10TensorInfoIT_T0_EENS5_IlS7_EENS5_IKS6_S7_EES7_S7_S7_b.private_seg_size, 0
	.set _ZN2at6native12_GLOBAL__N_112gatherMedianIajLi1EEEvNS_4cuda6detail10TensorInfoIT_T0_EENS5_IlS7_EENS5_IKS6_S7_EES7_S7_S7_b.uses_vcc, 1
	.set _ZN2at6native12_GLOBAL__N_112gatherMedianIajLi1EEEvNS_4cuda6detail10TensorInfoIT_T0_EENS5_IlS7_EENS5_IKS6_S7_EES7_S7_S7_b.uses_flat_scratch, 0
	.set _ZN2at6native12_GLOBAL__N_112gatherMedianIajLi1EEEvNS_4cuda6detail10TensorInfoIT_T0_EENS5_IlS7_EENS5_IKS6_S7_EES7_S7_S7_b.has_dyn_sized_stack, 0
	.set _ZN2at6native12_GLOBAL__N_112gatherMedianIajLi1EEEvNS_4cuda6detail10TensorInfoIT_T0_EENS5_IlS7_EENS5_IKS6_S7_EES7_S7_S7_b.has_recursion, 0
	.set _ZN2at6native12_GLOBAL__N_112gatherMedianIajLi1EEEvNS_4cuda6detail10TensorInfoIT_T0_EENS5_IlS7_EENS5_IKS6_S7_EES7_S7_S7_b.has_indirect_call, 0
	.section	.AMDGPU.csdata,"",@progbits
; Kernel info:
; codeLenInByte = 10948
; TotalNumSgprs: 106
; NumVgprs: 82
; NumAgprs: 0
; TotalNumVgprs: 82
; ScratchSize: 0
; MemoryBound: 0
; FloatMode: 240
; IeeeMode: 1
; LDSByteSize: 4120 bytes/workgroup (compile time only)
; SGPRBlocks: 13
; VGPRBlocks: 10
; NumSGPRsForWavesPerEU: 106
; NumVGPRsForWavesPerEU: 82
; AccumOffset: 84
; Occupancy: 5
; WaveLimiterHint : 1
; COMPUTE_PGM_RSRC2:SCRATCH_EN: 0
; COMPUTE_PGM_RSRC2:USER_SGPR: 2
; COMPUTE_PGM_RSRC2:TRAP_HANDLER: 0
; COMPUTE_PGM_RSRC2:TGID_X_EN: 1
; COMPUTE_PGM_RSRC2:TGID_Y_EN: 1
; COMPUTE_PGM_RSRC2:TGID_Z_EN: 1
; COMPUTE_PGM_RSRC2:TIDIG_COMP_CNT: 0
; COMPUTE_PGM_RSRC3_GFX90A:ACCUM_OFFSET: 20
; COMPUTE_PGM_RSRC3_GFX90A:TG_SPLIT: 0
	.section	.text._ZN2at6native12_GLOBAL__N_112gatherMedianIajLi2EEEvNS_4cuda6detail10TensorInfoIT_T0_EENS5_IlS7_EENS5_IKS6_S7_EES7_S7_S7_b,"axG",@progbits,_ZN2at6native12_GLOBAL__N_112gatherMedianIajLi2EEEvNS_4cuda6detail10TensorInfoIT_T0_EENS5_IlS7_EENS5_IKS6_S7_EES7_S7_S7_b,comdat
	.globl	_ZN2at6native12_GLOBAL__N_112gatherMedianIajLi2EEEvNS_4cuda6detail10TensorInfoIT_T0_EENS5_IlS7_EENS5_IKS6_S7_EES7_S7_S7_b ; -- Begin function _ZN2at6native12_GLOBAL__N_112gatherMedianIajLi2EEEvNS_4cuda6detail10TensorInfoIT_T0_EENS5_IlS7_EENS5_IKS6_S7_EES7_S7_S7_b
	.p2align	8
	.type	_ZN2at6native12_GLOBAL__N_112gatherMedianIajLi2EEEvNS_4cuda6detail10TensorInfoIT_T0_EENS5_IlS7_EENS5_IKS6_S7_EES7_S7_S7_b,@function
_ZN2at6native12_GLOBAL__N_112gatherMedianIajLi2EEEvNS_4cuda6detail10TensorInfoIT_T0_EENS5_IlS7_EENS5_IKS6_S7_EES7_S7_S7_b: ; @_ZN2at6native12_GLOBAL__N_112gatherMedianIajLi2EEEvNS_4cuda6detail10TensorInfoIT_T0_EENS5_IlS7_EENS5_IKS6_S7_EES7_S7_S7_b
; %bb.0:
	s_load_dwordx2 s[10:11], s[0:1], 0x298
	s_load_dwordx4 s[64:67], s[0:1], 0x288
	s_add_u32 s8, s0, 0x298
	s_addc_u32 s9, s1, 0
	s_waitcnt lgkmcnt(0)
	s_mul_i32 s4, s11, s4
	s_add_i32 s3, s4, s3
	s_mul_i32 s3, s3, s10
	s_add_i32 s17, s3, s2
	s_cmp_ge_u32 s17, s65
	s_cbranch_scc1 .LBB81_252
; %bb.1:
	s_load_dword s3, s[0:1], 0xc
	s_load_dword s4, s[0:1], 0xe4
	;; [unrolled: 1-line block ×3, first 2 shown]
                                        ; implicit-def: $vgpr81 : SGPR spill to VGPR lane
	v_cmp_eq_u32_e64 s[12:13], 0, v0
	s_waitcnt lgkmcnt(0)
	v_cvt_f32_u32_e32 v1, s3
	v_cvt_f32_u32_e32 v2, s4
	;; [unrolled: 1-line block ×3, first 2 shown]
	v_writelane_b32 v81, s3, 0
	v_rcp_iflag_f32_e32 v1, v1
	v_rcp_iflag_f32_e32 v2, v2
	;; [unrolled: 1-line block ×3, first 2 shown]
	s_sub_i32 s3, 0, s3
	v_mul_f32_e32 v1, 0x4f7ffffe, v1
	v_mul_f32_e32 v2, 0x4f7ffffe, v2
	v_cvt_u32_f32_e32 v1, v1
	v_cvt_u32_f32_e32 v2, v2
	v_mul_f32_e32 v3, 0x4f7ffffe, v3
	v_cvt_u32_f32_e32 v3, v3
	v_writelane_b32 v81, s4, 1
	s_sub_i32 s4, 0, s4
	v_readfirstlane_b32 s15, v1
	v_readfirstlane_b32 s16, v2
	s_mul_i32 s3, s3, s15
	s_mul_i32 s4, s4, s16
	s_mul_hi_u32 s6, s15, s3
	s_mul_hi_u32 s7, s16, s4
	s_sub_i32 s3, 0, s11
	v_readfirstlane_b32 s4, v3
	s_mul_i32 s3, s3, s4
	s_mul_hi_u32 s3, s4, s3
	s_add_i32 s3, s4, s3
	s_mov_b64 s[4:5], exec
	v_writelane_b32 v81, s12, 2
	s_nop 1
	v_writelane_b32 v81, s13, 3
	s_and_b64 s[12:13], s[4:5], s[12:13]
	s_mov_b64 exec, s[12:13]
; %bb.2:
	v_mov_b32_e32 v2, 0
	v_mov_b32_e32 v3, v2
	ds_write_b64 v2, v[2:3] offset:4096
; %bb.3:
	s_or_b64 exec, exec, s[4:5]
	v_mov_b32_e32 v1, 0
	s_waitcnt lgkmcnt(0)
	s_barrier
	s_barrier
	ds_read_b64 v[2:3], v1 offset:4096
	s_add_i32 s15, s15, s6
	s_add_i32 s16, s16, s7
	s_load_dwordx2 s[6:7], s[0:1], 0x21c
	s_load_dwordx2 s[4:5], s[0:1], 0x1b0
	s_bitcmp1_b32 s67, 0
	s_waitcnt lgkmcnt(0)
	v_readfirstlane_b32 s12, v2
	v_readfirstlane_b32 s13, v3
	s_cselect_b64 s[18:19], -1, 0
	s_mul_hi_u32 s14, s17, s3
	v_cmp_lt_i64_e64 s[20:21], s[12:13], 1
	s_or_b64 s[18:19], s[18:19], s[20:21]
	s_andn2_b64 vcc, exec, s[18:19]
	s_mov_b32 s3, s64
	s_cbranch_vccnz .LBB81_5
; %bb.4:
	s_not_b64 s[12:13], s[12:13]
	s_add_u32 s3, s12, s64
	s_addc_u32 s13, s13, 0
	s_lshr_b32 s12, s13, 31
	s_add_u32 s12, s3, s12
	s_addc_u32 s13, s13, 0
	s_lshr_b64 s[12:13], s[12:13], 1
	s_add_i32 s3, s12, 1
.LBB81_5:
	s_load_dwordx2 s[12:13], s[0:1], 0x144
                                        ; kill: killed $sgpr0 killed $sgpr1
	s_waitcnt lgkmcnt(0)
	v_writelane_b32 v81, s12, 4
	s_nop 1
	v_writelane_b32 v81, s13, 5
	s_load_dwordx2 s[12:13], s[0:1], 0xd8
	s_waitcnt lgkmcnt(0)
	v_writelane_b32 v81, s12, 6
	s_nop 1
	v_writelane_b32 v81, s13, 7
	s_load_dwordx2 s[12:13], s[0:1], 0x6c
	;; [unrolled: 5-line block ×3, first 2 shown]
	s_mul_hi_u32 s0, s17, s15
	s_waitcnt lgkmcnt(0)
	v_writelane_b32 v81, s12, 10
	s_nop 1
	v_writelane_b32 v81, s13, 11
	v_writelane_b32 v81, s0, 12
	s_mul_hi_u32 s0, s17, s16
	v_writelane_b32 v81, s0, 13
	s_mov_b64 s[0:1], exec
	v_readlane_b32 s12, v81, 2
	v_readlane_b32 s13, v81, 3
	s_and_b64 s[12:13], s[0:1], s[12:13]
	s_mov_b64 exec, s[12:13]
	s_cbranch_execz .LBB81_7
; %bb.6:
	v_mov_b32_e32 v2, 0
	v_mov_b32_e32 v3, s64
	ds_write_b32 v2, v2 offset:4112
	ds_write_b64 v2, v[2:3] offset:4104
.LBB81_7:
	s_or_b64 exec, exec, s[0:1]
	s_mul_i32 s0, s14, s11
	s_sub_i32 s0, s17, s0
	s_add_i32 s1, s14, 1
	s_sub_i32 s12, s0, s11
	s_cmp_ge_u32 s0, s11
	s_cselect_b32 s1, s1, s14
	s_cselect_b32 s0, s12, s0
	s_add_i32 s12, s1, 1
	s_cmp_ge_u32 s0, s11
	s_cselect_b32 s0, s12, s1
	s_mul_i32 s1, s0, s11
	s_sub_i32 s1, s17, s1
	s_waitcnt lgkmcnt(0)
	s_barrier
	s_load_dword s11, s[8:9], 0xc
	s_mul_i32 s1, s1, s7
	s_mul_i32 s0, s0, s6
	s_add_i32 s0, s0, s1
	v_writelane_b32 v81, s17, 14
	s_add_u32 s72, s4, s0
	v_cmp_gt_u32_e64 s[0:1], s64, v0
	v_mbcnt_lo_u32_b32 v1, -1, 0
	v_mbcnt_hi_u32_b32 v28, -1, v1
	v_writelane_b32 v81, s0, 15
	s_addc_u32 s73, s5, 0
	s_waitcnt lgkmcnt(0)
	s_and_b32 s79, s11, 0xffff
	v_writelane_b32 v81, s1, 16
	v_cmp_gt_u32_e32 vcc, 64, v0
	v_cmp_gt_i32_e64 s[0:1], 4, v28
	s_and_b64 s[80:81], vcc, s[0:1]
	s_add_i32 s0, s79, -1
	s_lshl_b32 s67, s79, 2
	v_writelane_b32 v81, s0, 17
	s_add_i32 s0, s0, s64
	s_cmpk_gt_u32 s64, 0xc00
	s_cselect_b64 s[12:13], -1, 0
	s_cmp_gt_u32 s79, 63
	v_lshlrev_b64 v[2:3], v28, -1
	s_cselect_b64 s[84:85], -1, 0
	v_not_b32_e32 v24, v2
	v_lshrrev_b32_e32 v2, 2, v0
	s_cmp_lt_u32 s2, s10
	v_and_b32_e32 v2, 0xf0, v2
	s_cselect_b32 s1, 12, 18
	v_writelane_b32 v81, s12, 18
	v_or_b32_e32 v29, 0xc00, v2
	s_add_u32 s8, s8, s1
	v_add_u32_e32 v2, 2, v0
	v_writelane_b32 v81, s13, 19
	s_addc_u32 s9, s9, 0
	v_max_u32_e32 v2, s64, v2
	v_writelane_b32 v81, s8, 20
	v_xad_u32 v2, v0, -1, v2
	v_not_b32_e32 v1, v3
	v_writelane_b32 v81, s9, 21
	s_bfe_u32 s8, s11, 0xa0006
	v_cmp_lt_u32_e64 s[10:11], 31, v2
	v_add_u32_e32 v3, -8, v2
	v_lshrrev_b32_e32 v5, 3, v3
	v_writelane_b32 v81, s10, 22
	s_add_i32 s1, s8, -2
	s_lshr_b32 s2, s1, 1
	v_writelane_b32 v81, s11, 23
	v_cmp_lt_u32_e64 s[10:11], 7, v3
	v_and_b32_e32 v3, 8, v3
	v_and_b32_e32 v30, -8, v2
	v_writelane_b32 v81, s10, 24
	s_add_i32 s2, s2, 1
	s_cmpk_gt_u32 s79, 0x7f
	v_writelane_b32 v81, s11, 25
	v_cmp_eq_u32_e64 s[10:11], 0, v3
	v_lshlrev_b32_e32 v25, 2, v0
	v_mov_b32_e32 v21, 0
	v_writelane_b32 v81, s10, 26
	v_mul_lo_u32 v18, s66, v0
	v_mov_b32_e32 v19, v21
	v_writelane_b32 v81, s11, 27
	v_cmp_ne_u32_e64 s[10:11], v2, v30
	v_cvt_f32_u32_e32 v2, s67
	v_lshlrev_b32_e32 v4, 2, v28
	v_writelane_b32 v81, s10, 28
	v_add_u32_e32 v5, 1, v5
	v_rcp_iflag_f32_e32 v2, v2
	v_writelane_b32 v81, s11, 29
	s_cselect_b64 s[10:11], -1, 0
	v_writelane_b32 v81, s10, 30
	s_and_b32 s9, s8, 0x3fe
	v_mul_f32_e32 v2, 0x4f7ffffe, v2
	v_writelane_b32 v81, s11, 31
	s_and_b32 s10, s2, 7
	s_cmp_gt_u32 s1, 13
	s_cselect_b64 s[12:13], -1, 0
	v_writelane_b32 v81, s12, 32
	s_and_b32 s1, s2, -8
	s_cmp_lg_u32 s10, 0
	v_writelane_b32 v81, s13, 33
	v_writelane_b32 v81, s1, 34
	v_cvt_u32_f32_e32 v2, v2
	v_writelane_b32 v81, s10, 35
	s_cselect_b64 s[10:11], -1, 0
	v_writelane_b32 v81, s10, 36
	s_cmp_lg_u32 s9, s8
	v_readfirstlane_b32 s2, v2
	v_writelane_b32 v81, s11, 37
	v_writelane_b32 v81, s8, 38
	v_cvt_f32_u32_e32 v2, s79
	v_writelane_b32 v81, s9, 39
	s_cselect_b64 s[8:9], -1, 0
	s_sub_i32 s1, 0, s67
	s_mul_i32 s1, s1, s2
	s_mul_hi_u32 s1, s2, s1
	s_add_i32 s25, s2, s1
	v_rcp_iflag_f32_e32 v2, v2
	s_mul_hi_u32 s1, s64, s25
	s_mul_i32 s1, s1, s67
	s_sub_i32 s1, s64, s1
	s_sub_i32 s2, s1, s67
	v_mul_f32_e32 v2, 0x4f7ffffe, v2
	s_cmp_ge_u32 s1, s67
	v_cvt_u32_f32_e32 v2, v2
	s_cselect_b32 s1, s2, s1
	s_sub_i32 s2, s1, s67
	v_writelane_b32 v81, s8, 40
	s_cmp_ge_u32 s1, s67
	s_cselect_b32 s1, s2, s1
	v_writelane_b32 v81, s9, 41
	s_sub_i32 s2, 0, s79
	v_readfirstlane_b32 s9, v2
	s_mul_i32 s2, s2, s9
	s_mul_hi_u32 s2, s9, s2
	s_add_i32 s2, s9, s2
	v_writelane_b32 v81, s2, 42
	s_mul_hi_u32 s2, s0, s2
	s_mul_i32 s2, s2, s79
	s_sub_i32 s2, s0, s2
	s_sub_i32 s8, s64, s1
	;; [unrolled: 1-line block ×3, first 2 shown]
	s_cmp_ge_u32 s2, s79
	s_cselect_b32 s2, s9, s2
	s_sub_i32 s9, s2, s79
	s_cmp_ge_u32 s2, s79
	v_mul_lo_u32 v2, s66, v25
	s_cselect_b32 s2, s9, s2
	v_add_u32_e32 v34, s66, v2
	v_or_b32_e32 v2, 2, v25
	s_sub_i32 s86, s0, s2
	v_mul_lo_u32 v35, s66, v2
	v_or_b32_e32 v2, 3, v25
	s_add_i32 s0, s79, s64
	v_add_u32_e32 v33, s8, v0
	v_mul_lo_u32 v36, s66, v2
	v_add_u32_e32 v2, s0, v0
	v_mul_lo_u32 v20, v33, s66
	v_cmp_gt_u32_e64 s[10:11], s86, v0
	s_mul_i32 s78, s66, s79
	v_subrev_u32_e32 v2, s1, v2
	s_mov_b32 s20, 0
	v_cmp_eq_u32_e64 s[4:5], 0, v28
	v_cmp_gt_u32_e64 s[6:7], 2, v0
	v_lshl_add_u64 v[22:23], s[72:73], 0, v[18:19]
	v_and_b32_e32 v19, 0x100, v4
	v_add_u32_e32 v31, v0, v30
	s_mov_b32 s77, s66
	s_mov_b32 s83, s66
	;; [unrolled: 1-line block ×8, first 2 shown]
	v_and_b32_e32 v32, 0x3ffffffe, v5
	v_cmp_gt_u32_e64 s[16:17], s8, v25
	v_cmp_gt_u32_e64 s[18:19], s64, v33
	v_lshl_add_u64 v[26:27], s[72:73], 0, v[20:21]
	v_writelane_b32 v81, s10, 43
	s_lshl_b32 s87, s78, 2
	v_lshlrev_b32_e32 v37, 2, v18
	v_mul_lo_u32 v39, s66, v2
	v_or_b32_e32 v40, 0xc00, v4
	s_mov_b64 s[96:97], 0
	v_mov_b32_e32 v41, 6
	v_mov_b32_e32 v46, s3
	s_movk_i32 s88, 0x80
	s_mov_b32 s89, 0xc0c0004
	s_mov_b32 s63, 0xc0c0007
	v_mov_b32_e32 v50, s64
	v_mov_b32_e32 v42, 0xc00
	;; [unrolled: 1-line block ×6, first 2 shown]
	s_mov_b32 s92, s66
	s_mov_b32 s93, s66
	;; [unrolled: 1-line block ×9, first 2 shown]
	v_writelane_b32 v81, s11, 44
                                        ; implicit-def: $sgpr98_sgpr99
                                        ; implicit-def: $sgpr68_sgpr69
                                        ; implicit-def: $sgpr70_sgpr71
                                        ; implicit-def: $sgpr10_sgpr11
                                        ; implicit-def: $sgpr12_sgpr13
                                        ; implicit-def: $sgpr74_sgpr75
	s_branch .LBB81_11
.LBB81_8:                               ;   in Loop: Header=BB81_11 Depth=1
	s_or_b64 exec, exec, s[34:35]
	s_and_b64 s[26:27], s[26:27], exec
	s_andn2_b64 s[30:31], s[30:31], exec
	s_andn2_b64 s[28:29], s[28:29], exec
	s_orn2_b64 s[2:3], s[2:3], exec
.LBB81_9:                               ;   in Loop: Header=BB81_11 Depth=1
	s_or_b64 exec, exec, s[14:15]
	s_andn2_b64 s[14:15], s[74:75], exec
	s_and_b64 s[20:21], s[26:27], exec
	s_or_b64 s[74:75], s[14:15], s[20:21]
	s_andn2_b64 s[12:13], s[12:13], exec
	s_and_b64 s[14:15], s[30:31], exec
	s_or_b64 s[12:13], s[12:13], s[14:15]
	s_andn2_b64 s[10:11], s[10:11], exec
	s_and_b64 s[14:15], s[28:29], exec
	s_or_b64 s[10:11], s[10:11], s[14:15]
	s_orn2_b64 s[2:3], s[2:3], exec
.LBB81_10:                              ;   in Loop: Header=BB81_11 Depth=1
	s_or_b64 exec, exec, s[0:1]
	s_and_b64 s[0:1], exec, s[2:3]
	s_or_b64 s[96:97], s[0:1], s[96:97]
	s_andn2_b64 s[0:1], s[70:71], exec
	s_and_b64 s[2:3], s[74:75], exec
	s_or_b64 s[70:71], s[0:1], s[2:3]
	s_andn2_b64 s[0:1], s[68:69], exec
	s_and_b64 s[2:3], s[12:13], exec
	s_or_b64 s[68:69], s[0:1], s[2:3]
	s_andn2_b64 s[0:1], s[98:99], exec
	s_and_b64 s[2:3], s[10:11], exec
	s_or_b64 s[98:99], s[0:1], s[2:3]
	s_mov_b32 s20, s9
	v_mov_b32_e32 v46, v5
	s_andn2_b64 exec, exec, s[96:97]
	s_cbranch_execz .LBB81_248
.LBB81_11:                              ; =>This Loop Header: Depth=1
                                        ;     Child Loop BB81_16 Depth 2
                                        ;     Child Loop BB81_37 Depth 2
	;; [unrolled: 1-line block ×18, first 2 shown]
	ds_read_b64 v[2:3], v21 offset:4104
	s_waitcnt lgkmcnt(0)
	v_readfirstlane_b32 s21, v2
	s_cmp_lg_u32 s21, 0
	s_cbranch_scc1 .LBB81_54
; %bb.12:                               ;   in Loop: Header=BB81_11 Depth=1
	v_readlane_b32 s0, v81, 18
	v_readlane_b32 s1, v81, 19
	s_and_b64 vcc, exec, s[0:1]
	s_cbranch_vccz .LBB81_24
; %bb.13:                               ;   in Loop: Header=BB81_11 Depth=1
	s_movk_i32 s0, 0xc01
	v_cmp_gt_u32_e32 vcc, s0, v3
	s_mov_b64 s[14:15], 0
	s_mov_b64 s[0:1], 0
	s_cbranch_vccz .LBB81_25
; %bb.14:                               ;   in Loop: Header=BB81_11 Depth=1
	v_readlane_b32 s0, v81, 20
	v_readlane_b32 s1, v81, 21
	s_nop 4
	global_load_ushort v2, v21, s[0:1]
	global_load_ubyte v4, v[22:23], off
	s_mov_b64 s[26:27], 0
	v_mov_b32_e32 v6, v0
	s_waitcnt vmcnt(1)
	v_add_u32_e32 v5, v0, v2
	v_mul_lo_u32 v3, s66, v2
	v_mul_lo_u32 v5, s66, v5
	s_branch .LBB81_16
.LBB81_15:                              ;   in Loop: Header=BB81_16 Depth=2
	s_or_b64 exec, exec, s[2:3]
	v_add_u32_e32 v5, v5, v3
	v_mov_b32_e32 v4, v7
	s_andn2_b64 exec, exec, s[26:27]
	s_cbranch_execz .LBB81_31
.LBB81_16:                              ;   Parent Loop BB81_11 Depth=1
                                        ; =>  This Inner Loop Header: Depth=2
	v_add_u32_e32 v6, v6, v2
	v_cmp_gt_u32_e64 s[0:1], s64, v6
	v_cmp_le_u32_e32 vcc, s64, v6
	s_waitcnt lgkmcnt(0)
	v_mov_b32_e32 v8, 0
	v_mov_b32_e32 v7, 0
	s_and_saveexec_b64 s[2:3], s[0:1]
	s_cbranch_execz .LBB81_18
; %bb.17:                               ;   in Loop: Header=BB81_16 Depth=2
	global_load_ubyte v7, v5, s[72:73]
.LBB81_18:                              ;   in Loop: Header=BB81_16 Depth=2
	s_or_b64 exec, exec, s[2:3]
	s_waitcnt vmcnt(0)
	v_add_u32_sdwa v9, sext(v4), s88 dst_sel:DWORD dst_unused:UNUSED_PAD src0_sel:BYTE_0 src1_sel:DWORD
	v_and_b32_e32 v9, v9, v44
	v_cmp_eq_u32_e64 s[0:1], v9, v38
	s_cmp_lg_u64 s[0:1], 0
	s_cselect_b64 s[2:3], -1, 0
	s_and_b64 s[2:3], s[4:5], s[2:3]
	s_and_saveexec_b64 s[28:29], s[2:3]
	s_cbranch_execz .LBB81_22
; %bb.19:                               ;   in Loop: Header=BB81_16 Depth=2
	s_mov_b64 s[34:35], exec
	v_mbcnt_lo_u32_b32 v8, s34, 0
	v_mbcnt_hi_u32_b32 v8, s35, v8
	s_bcnt1_i32_b64 s9, s[0:1]
	v_cmp_eq_u32_e64 s[2:3], 0, v8
                                        ; implicit-def: $vgpr9
	s_and_saveexec_b64 s[30:31], s[2:3]
; %bb.20:                               ;   in Loop: Header=BB81_16 Depth=2
	s_bcnt1_i32_b64 s2, s[34:35]
	s_mul_i32 s2, s9, s2
	v_mov_b32_e32 v9, s2
	ds_add_rtn_u32 v9, v21, v9 offset:4112
; %bb.21:                               ;   in Loop: Header=BB81_16 Depth=2
	s_or_b64 exec, exec, s[30:31]
	s_waitcnt lgkmcnt(0)
	v_readfirstlane_b32 s2, v9
	s_nop 1
	v_mov_b32_e32 v9, s2
	v_mad_u32_u24 v8, s9, v8, v9
.LBB81_22:                              ;   in Loop: Header=BB81_16 Depth=2
	s_or_b64 exec, exec, s[28:29]
	ds_bpermute_b32 v8, v19, v8
	s_and_b64 s[2:3], exec, vcc
	s_or_b64 s[26:27], s[2:3], s[26:27]
	s_and_saveexec_b64 s[2:3], s[0:1]
	s_cbranch_execz .LBB81_15
; %bb.23:                               ;   in Loop: Header=BB81_16 Depth=2
	v_and_b32_e32 v10, s0, v24
	v_and_b32_e32 v9, s1, v1
	v_bcnt_u32_b32 v10, v10, 0
	v_bcnt_u32_b32 v9, v9, v10
	s_waitcnt lgkmcnt(0)
	v_add_u32_e32 v8, v8, v9
	ds_write_b8 v8, v4
	s_branch .LBB81_15
.LBB81_24:                              ;   in Loop: Header=BB81_11 Depth=1
	s_mov_b64 s[14:15], -1
	s_mov_b64 s[0:1], 0
.LBB81_25:                              ;   in Loop: Header=BB81_11 Depth=1
	s_and_b64 vcc, exec, s[14:15]
	s_cbranch_vccz .LBB81_52
.LBB81_26:                              ;   in Loop: Header=BB81_11 Depth=1
	s_mov_b64 s[2:3], exec
	v_readlane_b32 s0, v81, 15
	v_readlane_b32 s1, v81, 16
	s_and_b64 s[0:1], s[2:3], s[0:1]
	s_mov_b64 exec, s[0:1]
	s_cbranch_execz .LBB81_49
; %bb.27:                               ;   in Loop: Header=BB81_11 Depth=1
	v_readlane_b32 s0, v81, 20
	v_readlane_b32 s1, v81, 21
	s_nop 4
	global_load_ushort v2, v21, s[0:1]
	global_load_ubyte v20, v[22:23], off
	v_mov_b32_e32 v3, v0
	s_waitcnt vmcnt(1)
	v_readfirstlane_b32 s21, v2
	v_add_u32_e32 v2, v0, v2
	v_cmp_gt_u32_e32 vcc, s64, v2
	s_and_saveexec_b64 s[26:27], vcc
	s_cbranch_execz .LBB81_48
; %bb.28:                               ;   in Loop: Header=BB81_11 Depth=1
	v_readlane_b32 s28, v81, 22
	s_mov_b64 s[0:1], 0
	s_mul_i32 s34, s66, s21
	v_readlane_b32 s29, v81, 23
                                        ; implicit-def: $vgpr3
                                        ; implicit-def: $vgpr4
                                        ; implicit-def: $vgpr5
	s_and_saveexec_b64 s[14:15], s[28:29]
	s_xor_b64 s[28:29], exec, s[14:15]
	s_cbranch_execnz .LBB81_34
; %bb.29:                               ;   in Loop: Header=BB81_11 Depth=1
	s_andn2_saveexec_b64 s[14:15], s[28:29]
	s_cbranch_execnz .LBB81_43
.LBB81_30:                              ;   in Loop: Header=BB81_11 Depth=1
	s_or_b64 exec, exec, s[14:15]
	s_and_saveexec_b64 s[14:15], s[0:1]
	s_cbranch_execnz .LBB81_44
	s_branch .LBB81_47
.LBB81_31:                              ;   in Loop: Header=BB81_11 Depth=1
	s_or_b64 exec, exec, s[26:27]
	s_waitcnt lgkmcnt(0)
	s_barrier
	s_mov_b64 s[0:1], exec
	v_readlane_b32 s2, v81, 2
	v_readlane_b32 s3, v81, 3
	s_and_b64 s[2:3], s[0:1], s[2:3]
	s_mov_b64 exec, s[2:3]
	s_cbranch_execz .LBB81_33
; %bb.32:                               ;   in Loop: Header=BB81_11 Depth=1
	ds_read_b32 v2, v21 offset:4112
	s_waitcnt lgkmcnt(0)
	ds_write_b32 v21, v2 offset:4104
.LBB81_33:                              ;   in Loop: Header=BB81_11 Depth=1
	s_or_b64 exec, exec, s[0:1]
	s_waitcnt lgkmcnt(0)
	s_barrier
	s_mov_b64 s[0:1], -1
	s_and_b64 vcc, exec, s[14:15]
	s_cbranch_vccnz .LBB81_26
	s_branch .LBB81_52
.LBB81_34:                              ;   in Loop: Header=BB81_11 Depth=1
	v_cvt_f32_u32_e32 v3, s21
	v_add_u32_e32 v4, s21, v2
	v_max_u32_e32 v4, s64, v4
	s_lshl_b32 s0, s21, 1
	v_rcp_iflag_f32_e32 v3, v3
	v_sub_u32_e32 v4, v4, v0
	v_cmp_ne_u32_e32 vcc, s0, v4
	s_sub_i32 s1, 0, s21
	v_mul_f32_e32 v3, 0x4f7ffffe, v3
	v_cvt_u32_f32_e32 v3, v3
	v_cndmask_b32_e64 v5, 0, 1, vcc
	v_or_b32_e32 v5, s0, v5
	v_sub_u32_e32 v4, v4, v5
	v_mul_lo_u32 v5, s1, v3
	v_mul_hi_u32 v5, v3, v5
	v_add_u32_e32 v3, v3, v5
	v_mul_hi_u32 v3, v4, v3
	v_mul_lo_u32 v5, v3, s21
	v_sub_u32_e32 v4, v4, v5
	v_add_u32_e32 v5, 1, v3
	v_cmp_le_u32_e64 s[0:1], s21, v4
	s_nop 1
	v_cndmask_b32_e64 v3, v3, v5, s[0:1]
	v_subrev_u32_e32 v5, s21, v4
	v_cndmask_b32_e64 v4, v4, v5, s[0:1]
	v_add_u32_e32 v5, 1, v3
	v_cmp_le_u32_e64 s[0:1], s21, v4
	v_mul_lo_u32 v4, s66, v2
	s_nop 0
	v_cndmask_b32_e64 v3, v3, v5, s[0:1]
	v_addc_co_u32_e32 v3, vcc, 0, v3, vcc
	s_abs_i32 s0, s34
	v_mul_hi_u32 v5, s0, v3
	v_mul_lo_u32 v3, s0, v3
	s_not_b32 s0, s34
	s_ashr_i32 s0, s0, 31
	s_cmp_eq_u32 s21, 1
	v_cmp_eq_u32_e32 vcc, 0, v5
	v_xor_b32_e32 v4, s0, v4
	s_cselect_b64 s[14:15], -1, 0
	v_cmp_le_u32_e64 s[0:1], v3, v4
	s_and_b64 s[14:15], vcc, s[14:15]
	s_and_b64 s[30:31], s[14:15], s[0:1]
	s_mov_b64 s[14:15], -1
	v_mov_b32_e32 v4, v0
                                        ; implicit-def: $vgpr3
	s_and_saveexec_b64 s[0:1], s[30:31]
	s_cbranch_execz .LBB81_42
; %bb.35:                               ;   in Loop: Header=BB81_11 Depth=1
	v_add_u32_e32 v9, 7, v2
	v_add_u32_e32 v8, 6, v2
	;; [unrolled: 1-line block ×7, first 2 shown]
	v_mov_b64_e32 v[16:17], v[8:9]
	s_waitcnt vmcnt(0)
	v_lshlrev_b32_e32 v47, 24, v20
	v_mov_b32_e32 v49, 0
	v_mov_b64_e32 v[14:15], v[6:7]
	v_mov_b64_e32 v[12:13], v[4:5]
	;; [unrolled: 1-line block ×3, first 2 shown]
                                        ; implicit-def: $vgpr20
	s_mov_b64 s[14:15], exec
	v_readlane_b32 s30, v81, 24
	v_readlane_b32 s31, v81, 25
	s_and_b64 s[30:31], s[14:15], s[30:31]
	s_mov_b64 exec, s[30:31]
	s_cbranch_execz .LBB81_39
; %bb.36:                               ;   in Loop: Header=BB81_11 Depth=1
	v_mov_b64_e32 v[16:17], v[8:9]
	s_mov_b32 s9, 0
	s_mov_b64 s[30:31], 0
	v_mov_b32_e32 v48, v32
	v_mov_b64_e32 v[14:15], v[6:7]
	v_mov_b64_e32 v[12:13], v[4:5]
	;; [unrolled: 1-line block ×3, first 2 shown]
.LBB81_37:                              ;   Parent Loop BB81_11 Depth=1
                                        ; =>  This Inner Loop Header: Depth=2
	v_mul_lo_u32 v6, v16, s61
	v_mul_lo_u32 v8, v15, s23
	;; [unrolled: 1-line block ×6, first 2 shown]
	v_mov_b32_e32 v57, v21
	v_mov_b32_e32 v55, v21
	v_mov_b32_e32 v53, v21
	v_mov_b32_e32 v9, v21
	v_mov_b32_e32 v7, v21
	v_add_u32_e32 v49, 8, v11
	v_add_u32_e32 v51, 8, v12
	;; [unrolled: 1-line block ×7, first 2 shown]
	v_mul_lo_u32 v4, v17, s62
	v_mul_lo_u32 v58, v11, s83
	v_mov_b32_e32 v59, v21
	v_mov_b32_e32 v5, v21
	v_add_u32_e32 v3, 8, v10
	v_mov_b32_e32 v61, v21
	v_mov_b32_e32 v63, v21
	;; [unrolled: 1-line block ×5, first 2 shown]
	v_lshl_add_u64 v[74:75], s[72:73], 0, v[20:21]
	v_lshl_add_u64 v[56:57], s[72:73], 0, v[56:57]
	;; [unrolled: 1-line block ×6, first 2 shown]
	v_mul_lo_u32 v72, v68, s62
	v_mul_lo_u32 v70, v66, s61
	;; [unrolled: 1-line block ×7, first 2 shown]
	v_mov_b32_e32 v71, v21
	v_mov_b32_e32 v73, v21
	v_lshl_add_u64 v[58:59], s[72:73], 0, v[58:59]
	v_lshl_add_u64 v[4:5], s[72:73], 0, v[4:5]
	v_mul_lo_u32 v20, v3, s77
	global_load_ubyte v3, v[52:53], off
	global_load_ubyte v51, v[6:7], off
	;; [unrolled: 1-line block ×7, first 2 shown]
	s_nop 0
	global_load_ubyte v74, v[74:75], off
	v_lshl_add_u64 v[6:7], s[72:73], 0, v[60:61]
	v_lshl_add_u64 v[8:9], s[72:73], 0, v[62:63]
	;; [unrolled: 1-line block ×8, first 2 shown]
	global_load_ubyte v52, v[52:53], off
	s_nop 0
	global_load_ubyte v53, v[54:55], off
	s_nop 0
	global_load_ubyte v54, v[58:59], off
	global_load_ubyte v20, v[60:61], off
	;; [unrolled: 1-line block ×3, first 2 shown]
	s_nop 0
	global_load_ubyte v56, v[4:5], off
	s_nop 0
	global_load_ubyte v8, v[8:9], off
	;; [unrolled: 2-line block ×3, first 2 shown]
	v_add_u32_e32 v48, -2, v48
	v_add_u32_e32 v9, s9, v0
	s_add_i32 s9, s9, 16
	v_cmp_eq_u32_e32 vcc, 0, v48
	v_add_u32_e32 v17, 16, v17
	v_add_u32_e32 v16, 16, v16
	;; [unrolled: 1-line block ×8, first 2 shown]
	v_mov_b32_e32 v49, s9
	s_or_b64 s[30:31], vcc, s[30:31]
	s_waitcnt vmcnt(12)
	v_perm_b32 v4, v77, v51, s89
	s_waitcnt vmcnt(11)
	v_perm_b32 v3, v78, v3, s89
	v_lshl_or_b32 v5, v4, 16, v3
	s_waitcnt vmcnt(9)
	v_perm_b32 v7, v80, v79, s89
	s_waitcnt vmcnt(8)
	v_perm_b32 v47, v47, v74, s63
	v_lshl_or_b32 v4, v7, 16, v47
	s_waitcnt vmcnt(6)
	v_perm_b32 v3, v52, v53, s89
	s_waitcnt vmcnt(4)
	v_perm_b32 v51, v54, v20, s89
	;; [unrolled: 2-line block ×4, first 2 shown]
	v_lshl_or_b32 v7, v7, 16, v3
	s_waitcnt vmcnt(0)
	v_perm_b32 v6, v6, v8, s89
	v_perm_b32 v8, v53, v55, s89
	v_lshl_or_b32 v6, v6, 16, v47
	v_lshl_or_b32 v47, v51, 16, v8
	ds_write_b128 v9, v[4:7]
	s_andn2_b64 exec, exec, s[30:31]
	s_cbranch_execnz .LBB81_37
; %bb.38:                               ;   in Loop: Header=BB81_11 Depth=1
	s_or_b64 exec, exec, s[30:31]
.LBB81_39:                              ;   in Loop: Header=BB81_11 Depth=1
	s_or_b64 exec, exec, s[14:15]
	s_mov_b64 s[14:15], exec
	v_readlane_b32 s30, v81, 26
	v_readlane_b32 s31, v81, 27
	s_and_b64 s[30:31], s[14:15], s[30:31]
	s_mov_b64 exec, s[30:31]
	s_cbranch_execz .LBB81_41
; %bb.40:                               ;   in Loop: Header=BB81_11 Depth=1
	v_mul_lo_u32 v4, v16, s61
	v_mul_lo_u32 v6, v15, s23
	;; [unrolled: 1-line block ×3, first 2 shown]
	v_mov_b32_e32 v9, v21
	v_mov_b32_e32 v7, v21
	;; [unrolled: 1-line block ×3, first 2 shown]
	v_mul_lo_u32 v14, v13, s91
	v_mul_lo_u32 v12, v12, s90
	;; [unrolled: 1-line block ×4, first 2 shown]
	v_mov_b32_e32 v53, v21
	v_mov_b32_e32 v13, v21
	v_mov_b32_e32 v15, v21
	v_lshl_add_u64 v[8:9], s[72:73], 0, v[8:9]
	v_lshl_add_u64 v[6:7], s[72:73], 0, v[6:7]
	;; [unrolled: 1-line block ×3, first 2 shown]
	v_mul_lo_u32 v16, v17, s62
	v_mov_b32_e32 v17, v21
	v_lshl_add_u64 v[10:11], s[72:73], 0, v[20:21]
	v_lshl_add_u64 v[52:53], s[72:73], 0, v[52:53]
	v_lshl_add_u64 v[12:13], s[72:73], 0, v[12:13]
	v_lshl_add_u64 v[14:15], s[72:73], 0, v[14:15]
	v_lshl_add_u64 v[16:17], s[72:73], 0, v[16:17]
	global_load_ubyte v3, v[8:9], off
	s_nop 0
	global_load_ubyte v4, v[4:5], off
	s_nop 0
	global_load_ubyte v20, v[16:17], off
	global_load_ubyte v5, v[6:7], off
	s_nop 0
	global_load_ubyte v6, v[14:15], off
	global_load_ubyte v7, v[12:13], off
	;; [unrolled: 1-line block ×4, first 2 shown]
	s_waitcnt vmcnt(4)
	v_perm_b32 v4, v5, v4, s89
	s_waitcnt vmcnt(3)
	v_perm_b32 v3, v6, v3, s89
	v_lshl_or_b32 v5, v4, 16, v3
	s_waitcnt vmcnt(1)
	v_perm_b32 v6, v8, v7, s89
	s_waitcnt vmcnt(0)
	v_perm_b32 v7, v47, v9, s63
	v_lshl_or_b32 v4, v6, 16, v7
	v_add_u32_e32 v3, v0, v49
	ds_write_b64 v3, v[4:5]
.LBB81_41:                              ;   in Loop: Header=BB81_11 Depth=1
	s_or_b64 exec, exec, s[14:15]
	v_readlane_b32 s14, v81, 28
	v_add_u32_e32 v2, v2, v30
	v_readlane_b32 s15, v81, 29
	v_add_u32_e32 v3, -1, v2
	s_orn2_b64 s[14:15], s[14:15], exec
	v_mov_b32_e32 v4, v31
.LBB81_42:                              ;   in Loop: Header=BB81_11 Depth=1
	s_or_b64 exec, exec, s[0:1]
	v_mov_b32_e32 v5, s34
	s_and_b64 s[0:1], s[14:15], exec
	s_andn2_saveexec_b64 s[14:15], s[28:29]
	s_cbranch_execz .LBB81_30
.LBB81_43:                              ;   in Loop: Header=BB81_11 Depth=1
	v_mov_b32_e32 v5, s34
	s_or_b64 s[0:1], s[0:1], exec
	v_mov_b32_e32 v4, v0
	s_or_b64 exec, exec, s[14:15]
	s_and_saveexec_b64 s[14:15], s[0:1]
	s_cbranch_execz .LBB81_47
.LBB81_44:                              ;   in Loop: Header=BB81_11 Depth=1
	s_sub_i32 s9, 0, s21
	v_mul_lo_u32 v3, s66, v2
	s_mov_b64 s[0:1], 0
.LBB81_45:                              ;   Parent Loop BB81_11 Depth=1
                                        ; =>  This Inner Loop Header: Depth=2
	global_load_ubyte v6, v3, s[72:73]
	v_mov_b32_e32 v7, v2
	v_add_u32_e32 v2, s21, v7
	v_cmp_le_u32_e32 vcc, s64, v2
	s_waitcnt vmcnt(1)
	ds_write_b8 v4, v20
	v_add_u32_e32 v3, v3, v5
	v_mov_b32_e32 v4, v7
	s_or_b64 s[0:1], vcc, s[0:1]
	s_waitcnt vmcnt(0)
	v_mov_b32_e32 v20, v6
	s_andn2_b64 exec, exec, s[0:1]
	s_cbranch_execnz .LBB81_45
; %bb.46:                               ;   in Loop: Header=BB81_11 Depth=1
	s_or_b64 exec, exec, s[0:1]
	v_add_u32_e32 v3, s9, v2
	v_mov_b32_e32 v20, v6
.LBB81_47:                              ;   in Loop: Header=BB81_11 Depth=1
	s_or_b64 exec, exec, s[14:15]
.LBB81_48:                              ;   in Loop: Header=BB81_11 Depth=1
	s_or_b64 exec, exec, s[26:27]
	s_waitcnt vmcnt(0)
	ds_write_b8 v3, v20
.LBB81_49:                              ;   in Loop: Header=BB81_11 Depth=1
	s_or_b64 exec, exec, s[2:3]
	s_waitcnt lgkmcnt(0)
	s_barrier
	s_mov_b64 s[0:1], exec
	v_readlane_b32 s2, v81, 2
	v_readlane_b32 s3, v81, 3
	s_and_b64 s[2:3], s[0:1], s[2:3]
	s_mov_b64 exec, s[2:3]
; %bb.50:                               ;   in Loop: Header=BB81_11 Depth=1
	ds_write_b32 v21, v50 offset:4104
; %bb.51:                               ;   in Loop: Header=BB81_11 Depth=1
	s_or_b64 exec, exec, s[0:1]
	s_mov_b64 s[0:1], -1
	s_waitcnt lgkmcnt(0)
	s_barrier
.LBB81_52:                              ;   in Loop: Header=BB81_11 Depth=1
	s_mov_b32 s21, 0
	s_and_b64 vcc, exec, s[0:1]
	s_cbranch_vccz .LBB81_54
; %bb.53:                               ;   in Loop: Header=BB81_11 Depth=1
	ds_read_b32 v2, v21 offset:4104
	s_waitcnt lgkmcnt(0)
	v_readfirstlane_b32 s21, v2
.LBB81_54:                              ;   in Loop: Header=BB81_11 Depth=1
	s_cmp_lt_i32 s21, 1
	s_mov_b64 s[0:1], -1
                                        ; implicit-def: $vgpr5
	s_cbranch_scc1 .LBB81_64
; %bb.55:                               ;   in Loop: Header=BB81_11 Depth=1
	s_and_b64 vcc, exec, s[0:1]
	s_cbranch_vccnz .LBB81_75
.LBB81_56:                              ;   in Loop: Header=BB81_11 Depth=1
	s_lshl_b32 s9, s20, 6
	s_and_saveexec_b64 s[0:1], s[4:5]
.LBB81_57:                              ;   in Loop: Header=BB81_11 Depth=1
	v_lshl_add_u32 v6, s9, 2, v29
	ds_write_b128 v6, v[2:5]
.LBB81_58:                              ;   in Loop: Header=BB81_11 Depth=1
	s_or_b64 exec, exec, s[0:1]
	s_waitcnt lgkmcnt(0)
	s_barrier
	s_and_saveexec_b64 s[0:1], s[80:81]
	s_cbranch_execz .LBB81_92
; %bb.59:                               ;   in Loop: Header=BB81_11 Depth=1
	v_add_u32_e32 v4, s9, v28
	s_andn2_b64 vcc, exec, s[84:85]
	v_mov_b32_e32 v2, 0
	s_cbranch_vccnz .LBB81_91
; %bb.60:                               ;   in Loop: Header=BB81_11 Depth=1
	v_readlane_b32 s2, v81, 30
	v_readlane_b32 s3, v81, 31
	s_andn2_b64 vcc, exec, s[2:3]
	s_cbranch_vccnz .LBB81_84
; %bb.61:                               ;   in Loop: Header=BB81_11 Depth=1
	v_readlane_b32 s2, v81, 32
	v_readlane_b32 s3, v81, 33
	s_andn2_b64 vcc, exec, s[2:3]
	v_lshl_add_u32 v5, v4, 2, v42
	s_cbranch_vccnz .LBB81_85
; %bb.62:                               ;   in Loop: Header=BB81_11 Depth=1
	s_mov_b32 s3, 1
	s_mov_b32 s2, 0
	v_mov_b32_e32 v2, 0
	v_mov_b32_e32 v3, 0
	v_readlane_b32 s14, v81, 34
.LBB81_63:                              ;   Parent Loop BB81_11 Depth=1
                                        ; =>  This Inner Loop Header: Depth=2
	v_lshl_add_u32 v20, s2, 4, v5
	v_lshl_add_u32 v47, s3, 4, v5
	ds_read2_b32 v[6:7], v20 offset1:8
	ds_read2_b32 v[8:9], v47 offset1:8
	ds_read2_b32 v[10:11], v20 offset0:16 offset1:24
	ds_read2_b32 v[12:13], v47 offset0:16 offset1:24
	;; [unrolled: 1-line block ×6, first 2 shown]
	s_waitcnt lgkmcnt(7)
	v_add3_u32 v2, v6, v2, v7
	s_waitcnt lgkmcnt(6)
	v_add3_u32 v3, v8, v3, v9
	;; [unrolled: 2-line block ×3, first 2 shown]
	v_add3_u32 v2, v10, v2, v11
	s_add_i32 s3, s3, 16
	s_add_i32 s2, s2, 16
	s_add_i32 s14, s14, -8
	s_waitcnt lgkmcnt(3)
	v_add3_u32 v2, v14, v2, v15
	s_waitcnt lgkmcnt(2)
	v_add3_u32 v3, v16, v3, v17
	s_cmp_lg_u32 s14, 0
	s_waitcnt lgkmcnt(0)
	v_add3_u32 v3, v52, v3, v53
	v_add3_u32 v2, v48, v2, v49
	s_cbranch_scc1 .LBB81_63
	s_branch .LBB81_86
.LBB81_64:                              ;   in Loop: Header=BB81_11 Depth=1
	v_mov_b32_e32 v2, 0
	v_mov_b32_e32 v3, 0
	;; [unrolled: 1-line block ×4, first 2 shown]
	s_and_saveexec_b64 s[14:15], s[16:17]
	s_cbranch_execz .LBB81_68
; %bb.65:                               ;   in Loop: Header=BB81_11 Depth=1
	s_mov_b32 s82, 0
	s_mov_b64 s[76:77], 0
	s_mov_b32 s83, 0
	s_mov_b32 s9, 0
	s_mov_b32 s90, 0
	s_mov_b32 s91, 0
	v_mov_b32_e32 v6, v25
.LBB81_66:                              ;   Parent Loop BB81_11 Depth=1
                                        ; =>  This Inner Loop Header: Depth=2
	v_add_u32_e32 v2, s82, v37
	v_add_u32_e32 v3, s82, v34
	;; [unrolled: 1-line block ×4, first 2 shown]
	global_load_sbyte v2, v2, s[72:73]
	s_nop 0
	global_load_sbyte v3, v3, s[72:73]
	s_nop 0
	global_load_sbyte v4, v4, s[72:73]
	s_nop 0
	global_load_sbyte v5, v5, s[72:73]
	v_add_u32_e32 v6, s67, v6
	s_add_i32 s82, s82, s87
	v_cmp_le_u32_e32 vcc, s8, v6
	s_waitcnt vmcnt(3)
	v_add_u32_e32 v2, 0x80, v2
	s_waitcnt vmcnt(2)
	v_add_u32_e32 v3, 0x80, v3
	v_and_b32_e32 v7, v2, v44
	v_bfe_u32 v2, v2, v41, 2
	s_waitcnt vmcnt(1)
	v_add_u32_e32 v4, 0x80, v4
	v_and_b32_e32 v8, v3, v44
	v_bfe_u32 v3, v3, v41, 2
	v_cmp_eq_u32_e64 s[0:1], v7, v38
	v_cmp_eq_u32_e64 s[30:31], 0, v2
	s_waitcnt vmcnt(0)
	v_add_u32_e32 v5, 0x80, v5
	v_and_b32_e32 v9, v4, v44
	v_bfe_u32 v4, v4, v41, 2
	v_cmp_eq_u32_e64 s[2:3], v8, v38
	v_cmp_eq_u32_e64 s[34:35], 0, v3
	s_and_b64 s[30:31], s[0:1], s[30:31]
	v_and_b32_e32 v10, v5, v44
	v_bfe_u32 v5, v5, v41, 2
	v_cmp_eq_u32_e64 s[26:27], v9, v38
	v_cmp_eq_u32_e64 s[36:37], 0, v4
	;; [unrolled: 1-line block ×5, first 2 shown]
	v_cndmask_b32_e64 v2, 0, 1, s[30:31]
	s_and_b64 s[30:31], s[2:3], s[34:35]
	v_cmp_eq_u32_e64 s[28:29], v10, v38
	v_cmp_eq_u32_e64 s[38:39], 0, v5
	;; [unrolled: 1-line block ×5, first 2 shown]
	v_cndmask_b32_e64 v3, 0, 1, s[30:31]
	s_and_b64 s[30:31], s[26:27], s[36:37]
	v_cmp_eq_u32_e64 s[44:45], 1, v4
	v_cmp_eq_u32_e64 s[52:53], 2, v4
	v_cmp_eq_u32_e64 s[60:61], 3, v4
	v_cndmask_b32_e64 v4, 0, 1, s[30:31]
	s_and_b64 s[30:31], s[28:29], s[38:39]
	v_cmp_eq_u32_e64 s[46:47], 1, v5
	v_cmp_eq_u32_e64 s[54:55], 2, v5
	;; [unrolled: 1-line block ×3, first 2 shown]
	v_cndmask_b32_e64 v5, 0, 1, s[30:31]
	s_and_b64 s[30:31], s[0:1], s[40:41]
	v_cndmask_b32_e64 v7, 0, 1, s[30:31]
	s_and_b64 s[30:31], s[2:3], s[42:43]
	v_cndmask_b32_e64 v8, 0, 1, s[30:31]
	s_and_b64 s[30:31], s[26:27], s[44:45]
	v_cndmask_b32_e64 v9, 0, 1, s[30:31]
	s_and_b64 s[30:31], s[28:29], s[46:47]
	v_cndmask_b32_e64 v10, 0, 1, s[30:31]
	s_and_b64 s[30:31], s[0:1], s[48:49]
	s_and_b64 s[0:1], s[0:1], s[56:57]
	v_cndmask_b32_e64 v11, 0, 1, s[30:31]
	s_and_b64 s[30:31], s[2:3], s[50:51]
	v_cndmask_b32_e64 v15, 0, 1, s[0:1]
	;; [unrolled: 2-line block ×7, first 2 shown]
	v_cndmask_b32_e64 v20, 0, 1, s[0:1]
	v_cmp_ne_u32_e64 s[0:1], 0, v2
	v_cmp_ne_u32_e64 s[2:3], 0, v3
	;; [unrolled: 1-line block ×11, first 2 shown]
	s_bcnt1_i32_b64 s0, s[0:1]
	s_bcnt1_i32_b64 s1, s[2:3]
	;; [unrolled: 1-line block ×8, first 2 shown]
	v_cmp_ne_u32_e64 s[38:39], 0, v10
	v_cmp_ne_u32_e64 s[44:45], 0, v13
	;; [unrolled: 1-line block ×3, first 2 shown]
	s_bcnt1_i32_b64 s27, s[34:35]
	s_bcnt1_i32_b64 s31, s[42:43]
	;; [unrolled: 1-line block ×3, first 2 shown]
	s_add_i32 s0, s91, s0
	s_add_i32 s26, s90, s26
	;; [unrolled: 1-line block ×4, first 2 shown]
	v_cmp_ne_u32_e64 s[46:47], 0, v14
	v_cmp_ne_u32_e64 s[54:55], 0, v20
	s_bcnt1_i32_b64 s29, s[38:39]
	s_bcnt1_i32_b64 s34, s[44:45]
	;; [unrolled: 1-line block ×3, first 2 shown]
	s_add_i32 s0, s0, s1
	s_add_i32 s1, s26, s27
	s_add_i32 s9, s9, s31
	s_add_i32 s26, s30, s37
	s_bcnt1_i32_b64 s35, s[46:47]
	s_bcnt1_i32_b64 s39, s[54:55]
	s_add_i32 s0, s0, s2
	s_add_i32 s1, s1, s28
	s_add_i32 s2, s9, s34
	s_add_i32 s26, s26, s38
	s_add_i32 s91, s0, s3
	s_add_i32 s90, s1, s29
	s_add_i32 s9, s2, s35
	s_add_i32 s83, s26, s39
	s_or_b64 s[76:77], vcc, s[76:77]
	v_mov_b32_e32 v2, s91
	v_mov_b32_e32 v3, s90
	;; [unrolled: 1-line block ×4, first 2 shown]
	s_andn2_b64 exec, exec, s[76:77]
	s_cbranch_execnz .LBB81_66
; %bb.67:                               ;   in Loop: Header=BB81_11 Depth=1
	s_or_b64 exec, exec, s[76:77]
	s_mov_b32 s77, s92
	s_mov_b32 s83, s93
	s_mov_b32 s90, s94
	s_mov_b32 s91, s95
	s_mov_b32 s60, s24
	s_mov_b32 s23, s22
	s_mov_b32 s61, s65
	s_mov_b32 s62, s33
	s_mov_b32 s63, 0xc0c0007
.LBB81_68:                              ;   in Loop: Header=BB81_11 Depth=1
	s_or_b64 exec, exec, s[14:15]
	s_and_saveexec_b64 s[2:3], s[18:19]
	s_cbranch_execz .LBB81_74
; %bb.69:                               ;   in Loop: Header=BB81_11 Depth=1
	global_load_ubyte v9, v[26:27], off
	s_mov_b64 s[14:15], 0
	v_mov_b32_e32 v6, v39
	v_mov_b32_e32 v7, v33
	s_branch .LBB81_71
.LBB81_70:                              ;   in Loop: Header=BB81_71 Depth=2
	s_or_b64 exec, exec, s[26:27]
	s_waitcnt vmcnt(0)
	v_add_u32_sdwa v9, sext(v9), s88 dst_sel:DWORD dst_unused:UNUSED_PAD src0_sel:BYTE_0 src1_sel:DWORD
	s_and_b64 s[0:1], exec, vcc
	v_and_b32_e32 v10, v9, v44
	v_bfe_u32 v9, v9, v41, 2
	s_or_b64 s[14:15], s[0:1], s[14:15]
	v_cmp_eq_u32_e32 vcc, v10, v38
	v_cmp_eq_u32_e64 s[0:1], 0, v9
	s_and_b64 s[0:1], vcc, s[0:1]
	v_add_u32_e32 v6, s78, v6
	v_cndmask_b32_e64 v10, 0, 1, s[0:1]
	v_cmp_ne_u32_e64 s[0:1], 0, v10
	s_bcnt1_i32_b64 s0, s[0:1]
	s_nop 0
	v_add_u32_e32 v2, s0, v2
	v_cmp_eq_u32_e64 s[0:1], 1, v9
	s_and_b64 s[0:1], vcc, s[0:1]
	s_nop 0
	v_cndmask_b32_e64 v10, 0, 1, s[0:1]
	v_cmp_ne_u32_e64 s[0:1], 0, v10
	s_bcnt1_i32_b64 s0, s[0:1]
	s_nop 0
	v_add_u32_e32 v3, s0, v3
	v_cmp_eq_u32_e64 s[0:1], 2, v9
	s_and_b64 s[0:1], vcc, s[0:1]
	s_nop 0
	;; [unrolled: 8-line block ×3, first 2 shown]
	v_cndmask_b32_e64 v9, 0, 1, s[0:1]
	v_cmp_ne_u32_e32 vcc, 0, v9
	s_bcnt1_i32_b64 s0, vcc
	v_add_u32_e32 v5, s0, v5
	v_mov_b32_e32 v9, v8
	s_andn2_b64 exec, exec, s[14:15]
	s_cbranch_execz .LBB81_73
.LBB81_71:                              ;   Parent Loop BB81_11 Depth=1
                                        ; =>  This Inner Loop Header: Depth=2
	v_add_u32_e32 v7, s79, v7
	v_cmp_gt_u32_e64 s[0:1], s64, v7
	v_cmp_le_u32_e32 vcc, s64, v7
	v_mov_b32_e32 v8, 0
	s_and_saveexec_b64 s[26:27], s[0:1]
	s_cbranch_execz .LBB81_70
; %bb.72:                               ;   in Loop: Header=BB81_71 Depth=2
	global_load_ubyte v8, v6, s[72:73]
	s_branch .LBB81_70
.LBB81_73:                              ;   in Loop: Header=BB81_11 Depth=1
	s_or_b64 exec, exec, s[14:15]
.LBB81_74:                              ;   in Loop: Header=BB81_11 Depth=1
	s_or_b64 exec, exec, s[2:3]
	s_branch .LBB81_56
.LBB81_75:                              ;   in Loop: Header=BB81_11 Depth=1
	s_mul_hi_u32 s0, s21, s25
	s_mul_i32 s0, s0, s67
	s_sub_i32 s0, s21, s0
	s_sub_i32 s1, s0, s67
	s_cmp_ge_u32 s0, s67
	s_cselect_b32 s0, s1, s0
	s_sub_i32 s1, s0, s67
	s_cmp_ge_u32 s0, s67
	s_cselect_b32 s0, s1, s0
	s_sub_i32 s82, s21, s0
	v_cmp_gt_u32_e32 vcc, s82, v25
	v_mov_b32_e32 v2, 0
	v_mov_b32_e32 v3, 0
	;; [unrolled: 1-line block ×4, first 2 shown]
	s_and_saveexec_b64 s[14:15], vcc
	s_cbranch_execz .LBB81_79
; %bb.76:                               ;   in Loop: Header=BB81_11 Depth=1
	s_mov_b32 s9, 0
	s_mov_b64 s[76:77], 0
	s_mov_b32 s83, 0
	s_mov_b32 s90, 0
	;; [unrolled: 1-line block ×3, first 2 shown]
	v_mov_b32_e32 v6, v25
.LBB81_77:                              ;   Parent Loop BB81_11 Depth=1
                                        ; =>  This Inner Loop Header: Depth=2
	ds_read_b32 v2, v6
	v_add_u32_e32 v6, s67, v6
	v_cmp_le_u32_e32 vcc, s82, v6
	s_waitcnt lgkmcnt(0)
	v_add_u32_sdwa v3, sext(v2), s88 dst_sel:DWORD dst_unused:UNUSED_PAD src0_sel:BYTE_0 src1_sel:DWORD
	v_add_u32_sdwa v4, sext(v2), s88 dst_sel:DWORD dst_unused:UNUSED_PAD src0_sel:BYTE_1 src1_sel:DWORD
	v_and_b32_e32 v7, v3, v44
	v_bfe_u32 v3, v3, v41, 2
	v_add_u32_sdwa v5, sext(v2), s88 dst_sel:DWORD dst_unused:UNUSED_PAD src0_sel:BYTE_2 src1_sel:DWORD
	v_add_u32_sdwa v2, sext(v2), s88 dst_sel:DWORD dst_unused:UNUSED_PAD src0_sel:BYTE_3 src1_sel:DWORD
	v_and_b32_e32 v8, v4, v44
	v_bfe_u32 v4, v4, v41, 2
	v_cmp_eq_u32_e64 s[0:1], v7, v38
	v_cmp_eq_u32_e64 s[30:31], 0, v3
	v_and_b32_e32 v9, v5, v44
	v_and_b32_e32 v10, v2, v44
	v_bfe_u32 v5, v5, v41, 2
	v_bfe_u32 v2, v2, v41, 2
	v_cmp_eq_u32_e64 s[2:3], v8, v38
	v_cmp_eq_u32_e64 s[34:35], 0, v4
	s_and_b64 s[30:31], s[0:1], s[30:31]
	v_cmp_eq_u32_e64 s[26:27], v9, v38
	v_cmp_eq_u32_e64 s[36:37], 0, v5
	;; [unrolled: 1-line block ×6, first 2 shown]
	v_cndmask_b32_e64 v2, 0, 1, s[30:31]
	s_and_b64 s[30:31], s[2:3], s[34:35]
	v_cmp_eq_u32_e64 s[28:29], v10, v38
	v_cmp_eq_u32_e64 s[40:41], 1, v3
	v_cmp_eq_u32_e64 s[48:49], 2, v3
	v_cmp_eq_u32_e64 s[56:57], 3, v3
	v_cndmask_b32_e64 v3, 0, 1, s[30:31]
	s_and_b64 s[30:31], s[26:27], s[36:37]
	v_cmp_eq_u32_e64 s[42:43], 1, v4
	v_cmp_eq_u32_e64 s[50:51], 2, v4
	;; [unrolled: 1-line block ×3, first 2 shown]
	v_cndmask_b32_e64 v4, 0, 1, s[30:31]
	s_and_b64 s[30:31], s[28:29], s[38:39]
	v_cmp_eq_u32_e64 s[44:45], 1, v5
	v_cmp_eq_u32_e64 s[52:53], 2, v5
	;; [unrolled: 1-line block ×3, first 2 shown]
	v_cndmask_b32_e64 v5, 0, 1, s[30:31]
	s_and_b64 s[30:31], s[0:1], s[40:41]
	v_cndmask_b32_e64 v7, 0, 1, s[30:31]
	s_and_b64 s[30:31], s[2:3], s[42:43]
	;; [unrolled: 2-line block ×5, first 2 shown]
	s_and_b64 s[0:1], s[0:1], s[56:57]
	v_cndmask_b32_e64 v11, 0, 1, s[30:31]
	s_and_b64 s[30:31], s[2:3], s[50:51]
	v_cndmask_b32_e64 v15, 0, 1, s[0:1]
	;; [unrolled: 2-line block ×7, first 2 shown]
	v_cndmask_b32_e64 v20, 0, 1, s[0:1]
	v_cmp_ne_u32_e64 s[0:1], 0, v2
	v_cmp_ne_u32_e64 s[2:3], 0, v3
	;; [unrolled: 1-line block ×11, first 2 shown]
	s_bcnt1_i32_b64 s0, s[0:1]
	s_bcnt1_i32_b64 s1, s[2:3]
	;; [unrolled: 1-line block ×8, first 2 shown]
	v_cmp_ne_u32_e64 s[38:39], 0, v10
	v_cmp_ne_u32_e64 s[44:45], 0, v13
	;; [unrolled: 1-line block ×3, first 2 shown]
	s_bcnt1_i32_b64 s27, s[34:35]
	s_bcnt1_i32_b64 s31, s[42:43]
	;; [unrolled: 1-line block ×3, first 2 shown]
	s_add_i32 s0, s91, s0
	s_add_i32 s26, s90, s26
	;; [unrolled: 1-line block ×4, first 2 shown]
	v_cmp_ne_u32_e64 s[46:47], 0, v14
	v_cmp_ne_u32_e64 s[54:55], 0, v20
	s_bcnt1_i32_b64 s29, s[38:39]
	s_bcnt1_i32_b64 s34, s[44:45]
	;; [unrolled: 1-line block ×3, first 2 shown]
	s_add_i32 s0, s0, s1
	s_add_i32 s1, s26, s27
	;; [unrolled: 1-line block ×4, first 2 shown]
	s_bcnt1_i32_b64 s35, s[46:47]
	s_bcnt1_i32_b64 s39, s[54:55]
	s_add_i32 s0, s0, s2
	s_add_i32 s1, s1, s28
	s_add_i32 s2, s26, s34
	s_add_i32 s9, s9, s38
	s_add_i32 s91, s0, s3
	s_add_i32 s90, s1, s29
	s_add_i32 s83, s2, s35
	s_add_i32 s9, s9, s39
	s_or_b64 s[76:77], vcc, s[76:77]
	v_mov_b32_e32 v2, s91
	v_mov_b32_e32 v3, s90
	;; [unrolled: 1-line block ×4, first 2 shown]
	s_andn2_b64 exec, exec, s[76:77]
	s_cbranch_execnz .LBB81_77
; %bb.78:                               ;   in Loop: Header=BB81_11 Depth=1
	s_or_b64 exec, exec, s[76:77]
	s_mov_b32 s77, s92
	s_mov_b32 s83, s93
	;; [unrolled: 1-line block ×9, first 2 shown]
.LBB81_79:                              ;   in Loop: Header=BB81_11 Depth=1
	s_or_b64 exec, exec, s[14:15]
	v_add_u32_e32 v6, s82, v0
	v_cmp_gt_u32_e32 vcc, s21, v6
	s_and_saveexec_b64 s[14:15], vcc
	s_cbranch_execz .LBB81_83
; %bb.80:                               ;   in Loop: Header=BB81_11 Depth=1
	s_mov_b64 s[34:35], 0
.LBB81_81:                              ;   Parent Loop BB81_11 Depth=1
                                        ; =>  This Inner Loop Header: Depth=2
	ds_read_i8 v7, v6
	v_add_u32_e32 v6, s79, v6
	v_cmp_le_u32_e32 vcc, s21, v6
	s_waitcnt lgkmcnt(0)
	v_add_u32_e32 v7, 0x80, v7
	v_and_b32_e32 v8, v7, v44
	v_bfe_u32 v7, v7, v41, 2
	v_cmp_eq_u32_e64 s[0:1], v8, v38
	v_cmp_eq_u32_e64 s[2:3], 0, v7
	;; [unrolled: 1-line block ×3, first 2 shown]
	s_and_b64 s[2:3], s[0:1], s[2:3]
	v_cmp_eq_u32_e64 s[28:29], 2, v7
	v_cmp_eq_u32_e64 s[30:31], 3, v7
	v_cndmask_b32_e64 v7, 0, 1, s[2:3]
	s_and_b64 s[2:3], s[0:1], s[26:27]
	v_cndmask_b32_e64 v8, 0, 1, s[2:3]
	s_and_b64 s[2:3], s[0:1], s[28:29]
	s_and_b64 s[0:1], s[0:1], s[30:31]
	v_cndmask_b32_e64 v9, 0, 1, s[2:3]
	v_cndmask_b32_e64 v10, 0, 1, s[0:1]
	v_cmp_ne_u32_e64 s[0:1], 0, v7
	v_cmp_ne_u32_e64 s[2:3], 0, v8
	;; [unrolled: 1-line block ×4, first 2 shown]
	s_bcnt1_i32_b64 s0, s[0:1]
	s_bcnt1_i32_b64 s1, s[2:3]
	s_bcnt1_i32_b64 s2, s[26:27]
	s_bcnt1_i32_b64 s3, s[28:29]
	v_add_u32_e32 v2, s0, v2
	v_add_u32_e32 v3, s1, v3
	;; [unrolled: 1-line block ×3, first 2 shown]
	s_or_b64 s[34:35], vcc, s[34:35]
	v_add_u32_e32 v5, s3, v5
	s_andn2_b64 exec, exec, s[34:35]
	s_cbranch_execnz .LBB81_81
; %bb.82:                               ;   in Loop: Header=BB81_11 Depth=1
	s_or_b64 exec, exec, s[34:35]
.LBB81_83:                              ;   in Loop: Header=BB81_11 Depth=1
	s_or_b64 exec, exec, s[14:15]
	s_lshl_b32 s9, s20, 6
	s_and_saveexec_b64 s[0:1], s[4:5]
	s_cbranch_execnz .LBB81_57
	s_branch .LBB81_58
.LBB81_84:                              ;   in Loop: Header=BB81_11 Depth=1
	v_mov_b32_e32 v2, 0
	s_mov_b32 s14, 0
	s_cbranch_execnz .LBB81_89
	s_branch .LBB81_91
.LBB81_85:                              ;   in Loop: Header=BB81_11 Depth=1
	v_mov_b32_e32 v20, v21
	s_mov_b32 s2, 0
	v_mov_b64_e32 v[2:3], v[20:21]
	s_mov_b32 s3, 1
.LBB81_86:                              ;   in Loop: Header=BB81_11 Depth=1
	v_readlane_b32 s14, v81, 36
	v_readlane_b32 s15, v81, 37
	s_andn2_b64 vcc, exec, s[14:15]
	v_readlane_b32 s14, v81, 35
	s_cbranch_vccnz .LBB81_88
.LBB81_87:                              ;   Parent Loop BB81_11 Depth=1
                                        ; =>  This Inner Loop Header: Depth=2
	v_lshl_add_u32 v6, s2, 4, v5
	v_lshl_add_u32 v7, s3, 4, v5
	ds_read_b32 v7, v7
	ds_read_b32 v6, v6
	s_add_i32 s3, s3, 2
	s_add_i32 s2, s2, 2
	s_add_i32 s14, s14, -1
	s_cmp_lg_u32 s14, 0
	s_waitcnt lgkmcnt(1)
	v_add_u32_e32 v3, v7, v3
	s_waitcnt lgkmcnt(0)
	v_add_u32_e32 v2, v6, v2
	s_cbranch_scc1 .LBB81_87
.LBB81_88:                              ;   in Loop: Header=BB81_11 Depth=1
	v_readlane_b32 s2, v81, 40
	v_add_u32_e32 v2, v2, v3
	v_readlane_b32 s14, v81, 39
	v_readlane_b32 s3, v81, 41
	s_and_b64 vcc, exec, s[2:3]
	s_cbranch_vccz .LBB81_91
.LBB81_89:                              ;   in Loop: Header=BB81_11 Depth=1
	s_lshl_b32 s2, s20, 8
	s_lshl_b32 s3, s14, 4
	s_add_i32 s2, s2, s3
	v_add_u32_e32 v3, s2, v40
	v_readlane_b32 s2, v81, 38
	s_sub_i32 s2, s2, s14
.LBB81_90:                              ;   Parent Loop BB81_11 Depth=1
                                        ; =>  This Inner Loop Header: Depth=2
	ds_read_b32 v5, v3
	s_add_i32 s2, s2, -1
	v_add_u32_e32 v3, 16, v3
	s_cmp_eq_u32 s2, 0
	s_waitcnt lgkmcnt(0)
	v_add_u32_e32 v2, v5, v2
	s_cbranch_scc0 .LBB81_90
.LBB81_91:                              ;   in Loop: Header=BB81_11 Depth=1
	v_lshlrev_b32_e32 v3, 2, v4
	ds_write_b32 v3, v2 offset:3072
.LBB81_92:                              ;   in Loop: Header=BB81_11 Depth=1
	s_or_b64 exec, exec, s[0:1]
	s_lshl_b32 s0, s9, 2
	v_mov_b32_e32 v2, s0
	s_waitcnt lgkmcnt(0)
	s_barrier
	ds_read_b128 v[2:5], v2 offset:3072
	v_cmp_eq_u32_e32 vcc, 1, v46
	s_mov_b64 s[2:3], -1
	s_mov_b64 s[30:31], -1
                                        ; implicit-def: $sgpr28_sgpr29
                                        ; implicit-def: $sgpr14_sgpr15
	s_waitcnt lgkmcnt(0)
	v_readfirstlane_b32 s44, v2
	s_cmp_eq_u32 s44, 1
	v_lshlrev_b32_e64 v2, v41, 3
	s_cselect_b64 s[0:1], -1, 0
	v_readfirstlane_b32 s48, v3
	v_readfirstlane_b32 s56, v4
	;; [unrolled: 1-line block ×3, first 2 shown]
	v_not_b32_e32 v4, v2
	s_and_b64 s[26:27], s[0:1], vcc
	s_and_saveexec_b64 s[0:1], s[26:27]
	s_cbranch_execz .LBB81_118
; %bb.93:                               ;   in Loop: Header=BB81_11 Depth=1
	ds_read_b32 v3, v21 offset:4104
	s_waitcnt lgkmcnt(0)
	s_barrier
	v_readfirstlane_b32 s9, v3
	s_and_saveexec_b64 s[14:15], s[6:7]
; %bb.94:                               ;   in Loop: Header=BB81_11 Depth=1
	ds_write_b8 v0, v21 offset:3072
; %bb.95:                               ;   in Loop: Header=BB81_11 Depth=1
	s_or_b64 exec, exec, s[14:15]
	v_and_b32_e32 v38, v38, v4
	v_or_b32_e32 v44, v44, v2
	s_mov_b64 s[14:15], -1
	s_mov_b64 s[28:29], 0
	s_cmp_eq_u32 s9, 0
	s_mov_b64 s[30:31], 0
	s_mov_b64 s[34:35], -1
	s_waitcnt lgkmcnt(0)
	s_barrier
                                        ; implicit-def: $vgpr45
	s_cbranch_scc1 .LBB81_106
; %bb.96:                               ;   in Loop: Header=BB81_11 Depth=1
	v_readlane_b32 s30, v81, 17
	s_add_i32 s30, s9, s30
	v_readlane_b32 s31, v81, 42
	s_mul_hi_u32 s31, s30, s31
	s_mul_i32 s31, s31, s79
	s_sub_i32 s31, s30, s31
	s_sub_i32 s34, s31, s79
	s_cmp_ge_u32 s31, s79
	s_cselect_b32 s31, s34, s31
	s_sub_i32 s34, s31, s79
	s_cmp_ge_u32 s31, s79
	s_cselect_b32 s31, s34, s31
	s_sub_i32 s45, s30, s31
	v_cmp_gt_u32_e32 vcc, s45, v0
	s_mov_b64 s[34:35], 0
	s_mov_b64 s[30:31], 0
                                        ; implicit-def: $vgpr45
	s_and_saveexec_b64 s[36:37], vcc
	s_cbranch_execz .LBB81_105
; %bb.97:                               ;   in Loop: Header=BB81_11 Depth=1
	v_mov_b32_e32 v3, v0
                                        ; implicit-def: $sgpr38_sgpr39
	s_branch .LBB81_100
.LBB81_98:                              ;   in Loop: Header=BB81_100 Depth=2
	s_or_b64 exec, exec, s[40:41]
	s_waitcnt lgkmcnt(0)
	s_barrier
	ds_read_u16 v5, v21 offset:3072
	s_mov_b64 s[40:41], -1
	s_waitcnt lgkmcnt(0)
	s_barrier
	v_cmp_ne_u32_sdwa s[42:43], v5, v21 src0_sel:BYTE_0 src1_sel:DWORD
	s_and_b64 vcc, exec, s[42:43]
	s_mov_b64 s[42:43], -1
	s_cbranch_vccz .LBB81_103
.LBB81_99:                              ;   in Loop: Header=BB81_100 Depth=2
	s_and_b64 s[40:41], exec, s[40:41]
	s_or_b64 s[30:31], s[40:41], s[30:31]
	s_andn2_b64 s[38:39], s[38:39], exec
	s_and_b64 s[40:41], s[42:43], exec
	s_or_b64 s[38:39], s[38:39], s[40:41]
	s_andn2_b64 exec, exec, s[30:31]
	s_cbranch_execz .LBB81_104
.LBB81_100:                             ;   Parent Loop BB81_11 Depth=1
                                        ; =>  This Inner Loop Header: Depth=2
	v_cmp_gt_u32_e32 vcc, s9, v3
	s_and_saveexec_b64 s[40:41], vcc
	s_cbranch_execz .LBB81_98
; %bb.101:                              ;   in Loop: Header=BB81_100 Depth=2
	ds_read_u8 v5, v3
	s_waitcnt lgkmcnt(0)
	v_add_u32_sdwa v6, sext(v5), s88 dst_sel:DWORD dst_unused:UNUSED_PAD src0_sel:BYTE_0 src1_sel:DWORD
	v_and_b32_e32 v6, v6, v44
	v_cmp_eq_u32_e32 vcc, v6, v38
	s_and_b64 exec, exec, vcc
	s_cbranch_execz .LBB81_98
; %bb.102:                              ;   in Loop: Header=BB81_100 Depth=2
	v_lshlrev_b16_e32 v5, 8, v5
	v_or_b32_e32 v5, 1, v5
	ds_write_b16 v21, v5 offset:3072
	s_branch .LBB81_98
.LBB81_103:                             ;   in Loop: Header=BB81_100 Depth=2
	v_add_u32_e32 v3, s79, v3
	v_cmp_le_u32_e32 vcc, s45, v3
	s_mov_b64 s[42:43], 0
	s_orn2_b64 s[40:41], vcc, exec
	s_branch .LBB81_99
.LBB81_104:                             ;   in Loop: Header=BB81_11 Depth=1
	s_or_b64 exec, exec, s[30:31]
	v_lshrrev_b32_sdwa v45, v43, v5 dst_sel:DWORD dst_unused:UNUSED_PAD src0_sel:DWORD src1_sel:WORD_0
	s_and_b64 s[30:31], s[38:39], exec
.LBB81_105:                             ;   in Loop: Header=BB81_11 Depth=1
	s_or_b64 exec, exec, s[36:37]
.LBB81_106:                             ;   in Loop: Header=BB81_11 Depth=1
	s_and_b64 vcc, exec, s[34:35]
	s_cbranch_vccz .LBB81_117
; %bb.107:                              ;   in Loop: Header=BB81_11 Depth=1
                                        ; implicit-def: $vgpr45
	s_mov_b64 s[14:15], exec
	v_readlane_b32 s28, v81, 43
	v_readlane_b32 s29, v81, 44
	s_and_b64 s[28:29], s[14:15], s[28:29]
	s_mov_b64 exec, s[28:29]
	s_cbranch_execz .LBB81_116
; %bb.108:                              ;   in Loop: Header=BB81_11 Depth=1
	s_mov_b64 s[28:29], 0
	v_mov_b32_e32 v3, v18
	v_mov_b32_e32 v5, v0
                                        ; implicit-def: $sgpr34_sgpr35
	s_branch .LBB81_111
.LBB81_109:                             ;   in Loop: Header=BB81_111 Depth=2
	s_or_b64 exec, exec, s[36:37]
	s_waitcnt lgkmcnt(0)
	s_barrier
	ds_read_u16 v6, v21 offset:3072
	s_mov_b64 s[36:37], -1
	s_waitcnt lgkmcnt(0)
	s_barrier
	v_cmp_ne_u32_sdwa s[38:39], v6, v21 src0_sel:BYTE_0 src1_sel:DWORD
	s_and_b64 vcc, exec, s[38:39]
	s_mov_b64 s[38:39], -1
	s_cbranch_vccz .LBB81_114
.LBB81_110:                             ;   in Loop: Header=BB81_111 Depth=2
	s_and_b64 s[36:37], exec, s[36:37]
	s_or_b64 s[28:29], s[36:37], s[28:29]
	s_andn2_b64 s[34:35], s[34:35], exec
	s_and_b64 s[36:37], s[38:39], exec
	s_or_b64 s[34:35], s[34:35], s[36:37]
	s_andn2_b64 exec, exec, s[28:29]
	s_cbranch_execz .LBB81_115
.LBB81_111:                             ;   Parent Loop BB81_11 Depth=1
                                        ; =>  This Inner Loop Header: Depth=2
	v_cmp_gt_u32_e32 vcc, s64, v5
	s_and_saveexec_b64 s[36:37], vcc
	s_cbranch_execz .LBB81_109
; %bb.112:                              ;   in Loop: Header=BB81_111 Depth=2
	global_load_ubyte v6, v3, s[72:73]
	s_waitcnt vmcnt(0)
	v_add_u32_sdwa v7, sext(v6), s88 dst_sel:DWORD dst_unused:UNUSED_PAD src0_sel:BYTE_0 src1_sel:DWORD
	v_and_b32_e32 v7, v7, v44
	v_cmp_eq_u32_e32 vcc, v7, v38
	s_and_b64 exec, exec, vcc
	s_cbranch_execz .LBB81_109
; %bb.113:                              ;   in Loop: Header=BB81_111 Depth=2
	v_lshlrev_b16_e32 v6, 8, v6
	v_or_b32_e32 v6, 1, v6
	ds_write_b16 v21, v6 offset:3072
	s_branch .LBB81_109
.LBB81_114:                             ;   in Loop: Header=BB81_111 Depth=2
	v_add_u32_e32 v5, s79, v5
	v_cmp_le_u32_e32 vcc, s86, v5
	v_add_u32_e32 v3, s78, v3
	s_mov_b64 s[38:39], 0
	s_orn2_b64 s[36:37], vcc, exec
	s_branch .LBB81_110
.LBB81_115:                             ;   in Loop: Header=BB81_11 Depth=1
	s_or_b64 exec, exec, s[28:29]
	s_andn2_b64 s[28:29], s[30:31], exec
	s_and_b64 s[30:31], s[34:35], exec
	v_lshrrev_b32_sdwa v45, v43, v6 dst_sel:DWORD dst_unused:UNUSED_PAD src0_sel:DWORD src1_sel:WORD_0
	s_or_b64 s[30:31], s[28:29], s[30:31]
.LBB81_116:                             ;   in Loop: Header=BB81_11 Depth=1
	s_or_b64 exec, exec, s[14:15]
	s_mov_b64 s[14:15], 0
	s_mov_b64 s[28:29], -1
.LBB81_117:                             ;   in Loop: Header=BB81_11 Depth=1
	s_orn2_b64 s[30:31], s[30:31], exec
.LBB81_118:                             ;   in Loop: Header=BB81_11 Depth=1
	s_or_b64 exec, exec, s[0:1]
	s_andn2_b64 s[0:1], s[12:13], exec
	s_and_b64 s[12:13], s[28:29], exec
	s_or_b64 s[12:13], s[0:1], s[12:13]
	s_andn2_b64 s[0:1], s[10:11], exec
	s_and_b64 s[10:11], s[14:15], exec
	v_readfirstlane_b32 s9, v0
	s_andn2_b64 s[74:75], s[74:75], exec
	s_or_b64 s[10:11], s[0:1], s[10:11]
                                        ; implicit-def: $vgpr5
	s_and_saveexec_b64 s[0:1], s[30:31]
	s_cbranch_execz .LBB81_10
; %bb.119:                              ;   in Loop: Header=BB81_11 Depth=1
	s_xor_b64 s[14:15], s[26:27], -1
	s_mov_b64 s[26:27], 0
	v_mov_b32_e32 v5, 1
	v_mov_b32_e32 v3, 1
	s_and_saveexec_b64 s[2:3], s[14:15]
	s_cbranch_execz .LBB81_128
; %bb.120:                              ;   in Loop: Header=BB81_11 Depth=1
	v_cmp_ge_u32_e32 vcc, s44, v46
	s_and_saveexec_b64 s[14:15], vcc
	s_xor_b64 s[14:15], exec, s[14:15]
	s_cbranch_execz .LBB81_125
; %bb.121:                              ;   in Loop: Header=BB81_11 Depth=1
	ds_read_b32 v3, v21 offset:4104
	v_and_b32_e32 v38, v38, v4
	v_or_b32_e32 v44, v44, v2
	s_waitcnt lgkmcnt(0)
	v_cmp_ne_u32_e32 vcc, 0, v3
	s_cbranch_vccnz .LBB81_125
; %bb.122:                              ;   in Loop: Header=BB81_11 Depth=1
	s_mov_b64 s[26:27], exec
	v_readlane_b32 s28, v81, 2
	v_readlane_b32 s29, v81, 3
	s_and_b64 s[28:29], s[26:27], s[28:29]
	s_mov_b64 exec, s[28:29]
; %bb.123:                              ;   in Loop: Header=BB81_11 Depth=1
	v_mov_b32_e32 v3, s44
	ds_write_b32 v21, v3 offset:4108
; %bb.124:                              ;   in Loop: Header=BB81_11 Depth=1
	s_or_b64 exec, exec, s[26:27]
	s_waitcnt lgkmcnt(0)
	s_barrier
.LBB81_125:                             ;   in Loop: Header=BB81_11 Depth=1
	s_or_saveexec_b64 s[14:15], s[14:15]
	s_mov_b64 s[26:27], 0
	v_mov_b32_e32 v3, 8
	s_xor_b64 exec, exec, s[14:15]
; %bb.126:                              ;   in Loop: Header=BB81_11 Depth=1
	s_mov_b64 s[26:27], exec
	v_subrev_u32_e32 v46, s44, v46
	v_mov_b32_e32 v3, 0
; %bb.127:                              ;   in Loop: Header=BB81_11 Depth=1
	s_or_b64 exec, exec, s[14:15]
	s_and_b64 s[26:27], s[26:27], exec
	v_mov_b32_e32 v5, v46
.LBB81_128:                             ;   in Loop: Header=BB81_11 Depth=1
	s_or_b64 exec, exec, s[2:3]
	s_mov_b64 s[2:3], -1
	s_mov_b64 s[14:15], -1
                                        ; implicit-def: $sgpr28_sgpr29
                                        ; implicit-def: $sgpr30_sgpr31
	s_and_saveexec_b64 s[34:35], s[26:27]
	s_xor_b64 s[26:27], exec, s[34:35]
	s_cbranch_execz .LBB81_245
; %bb.129:                              ;   in Loop: Header=BB81_11 Depth=1
	s_cmp_eq_u32 s48, 1
	s_cselect_b64 s[14:15], -1, 0
	v_cmp_eq_u32_e32 vcc, 1, v5
	s_and_b64 s[14:15], s[14:15], vcc
	s_mov_b64 s[36:37], -1
                                        ; implicit-def: $sgpr30_sgpr31
                                        ; implicit-def: $sgpr28_sgpr29
	s_and_saveexec_b64 s[34:35], s[14:15]
	s_cbranch_execz .LBB81_155
; %bb.130:                              ;   in Loop: Header=BB81_11 Depth=1
	ds_read_b32 v6, v21 offset:4104
	s_waitcnt lgkmcnt(0)
	s_barrier
	v_readfirstlane_b32 s9, v6
	s_and_saveexec_b64 s[28:29], s[6:7]
; %bb.131:                              ;   in Loop: Header=BB81_11 Depth=1
	ds_write_b8 v0, v21 offset:3072
; %bb.132:                              ;   in Loop: Header=BB81_11 Depth=1
	s_or_b64 exec, exec, s[28:29]
	v_and_b32_e32 v6, v38, v4
	v_lshl_or_b32 v38, 1, v41, v6
	v_or_b32_e32 v44, v44, v2
	s_mov_b64 s[28:29], -1
	s_mov_b64 s[30:31], 0
	s_cmp_eq_u32 s9, 0
	s_mov_b64 s[36:37], 0
	s_mov_b64 s[38:39], -1
	s_waitcnt lgkmcnt(0)
	s_barrier
                                        ; implicit-def: $vgpr45
	s_cbranch_scc1 .LBB81_143
; %bb.133:                              ;   in Loop: Header=BB81_11 Depth=1
	v_readlane_b32 s36, v81, 17
	s_add_i32 s36, s9, s36
	v_readlane_b32 s37, v81, 42
	s_mul_hi_u32 s37, s36, s37
	s_mul_i32 s37, s37, s79
	s_sub_i32 s37, s36, s37
	s_sub_i32 s38, s37, s79
	s_cmp_ge_u32 s37, s79
	s_cselect_b32 s37, s38, s37
	s_sub_i32 s38, s37, s79
	s_cmp_ge_u32 s37, s79
	s_cselect_b32 s37, s38, s37
	s_sub_i32 s49, s36, s37
	v_cmp_gt_u32_e32 vcc, s49, v0
	s_mov_b64 s[38:39], 0
	s_mov_b64 s[36:37], 0
                                        ; implicit-def: $vgpr45
	s_and_saveexec_b64 s[40:41], vcc
	s_cbranch_execz .LBB81_142
; %bb.134:                              ;   in Loop: Header=BB81_11 Depth=1
	v_mov_b32_e32 v6, v0
                                        ; implicit-def: $sgpr42_sgpr43
	s_branch .LBB81_137
.LBB81_135:                             ;   in Loop: Header=BB81_137 Depth=2
	s_or_b64 exec, exec, s[44:45]
	s_waitcnt lgkmcnt(0)
	s_barrier
	ds_read_u16 v7, v21 offset:3072
	s_mov_b64 s[44:45], -1
	s_waitcnt lgkmcnt(0)
	s_barrier
	v_cmp_ne_u32_sdwa s[46:47], v7, v21 src0_sel:BYTE_0 src1_sel:DWORD
	s_and_b64 vcc, exec, s[46:47]
	s_mov_b64 s[46:47], -1
	s_cbranch_vccz .LBB81_140
.LBB81_136:                             ;   in Loop: Header=BB81_137 Depth=2
	s_and_b64 s[44:45], exec, s[44:45]
	s_or_b64 s[36:37], s[44:45], s[36:37]
	s_andn2_b64 s[42:43], s[42:43], exec
	s_and_b64 s[44:45], s[46:47], exec
	s_or_b64 s[42:43], s[42:43], s[44:45]
	s_andn2_b64 exec, exec, s[36:37]
	s_cbranch_execz .LBB81_141
.LBB81_137:                             ;   Parent Loop BB81_11 Depth=1
                                        ; =>  This Inner Loop Header: Depth=2
	v_cmp_gt_u32_e32 vcc, s9, v6
	s_and_saveexec_b64 s[44:45], vcc
	s_cbranch_execz .LBB81_135
; %bb.138:                              ;   in Loop: Header=BB81_137 Depth=2
	ds_read_u8 v7, v6
	s_waitcnt lgkmcnt(0)
	v_add_u32_sdwa v8, sext(v7), s88 dst_sel:DWORD dst_unused:UNUSED_PAD src0_sel:BYTE_0 src1_sel:DWORD
	v_and_b32_e32 v8, v8, v44
	v_cmp_eq_u32_e32 vcc, v8, v38
	s_and_b64 exec, exec, vcc
	s_cbranch_execz .LBB81_135
; %bb.139:                              ;   in Loop: Header=BB81_137 Depth=2
	v_lshlrev_b16_e32 v7, 8, v7
	v_or_b32_e32 v7, 1, v7
	ds_write_b16 v21, v7 offset:3072
	s_branch .LBB81_135
.LBB81_140:                             ;   in Loop: Header=BB81_137 Depth=2
	v_add_u32_e32 v6, s79, v6
	v_cmp_le_u32_e32 vcc, s49, v6
	s_mov_b64 s[46:47], 0
	s_orn2_b64 s[44:45], vcc, exec
	s_branch .LBB81_136
.LBB81_141:                             ;   in Loop: Header=BB81_11 Depth=1
	s_or_b64 exec, exec, s[36:37]
	v_lshrrev_b32_sdwa v45, v43, v7 dst_sel:DWORD dst_unused:UNUSED_PAD src0_sel:DWORD src1_sel:WORD_0
	s_and_b64 s[36:37], s[42:43], exec
.LBB81_142:                             ;   in Loop: Header=BB81_11 Depth=1
	s_or_b64 exec, exec, s[40:41]
.LBB81_143:                             ;   in Loop: Header=BB81_11 Depth=1
	s_and_b64 vcc, exec, s[38:39]
	s_cbranch_vccz .LBB81_154
; %bb.144:                              ;   in Loop: Header=BB81_11 Depth=1
                                        ; implicit-def: $vgpr45
	s_mov_b64 s[28:29], exec
	v_readlane_b32 s30, v81, 43
	v_readlane_b32 s31, v81, 44
	s_and_b64 s[30:31], s[28:29], s[30:31]
	s_mov_b64 exec, s[30:31]
	s_cbranch_execz .LBB81_153
; %bb.145:                              ;   in Loop: Header=BB81_11 Depth=1
	s_mov_b64 s[30:31], 0
	v_mov_b32_e32 v6, v18
	v_mov_b32_e32 v7, v0
                                        ; implicit-def: $sgpr38_sgpr39
	s_branch .LBB81_148
.LBB81_146:                             ;   in Loop: Header=BB81_148 Depth=2
	s_or_b64 exec, exec, s[40:41]
	s_waitcnt lgkmcnt(0)
	s_barrier
	ds_read_u16 v8, v21 offset:3072
	s_mov_b64 s[40:41], -1
	s_waitcnt lgkmcnt(0)
	s_barrier
	v_cmp_eq_u32_sdwa s[42:43], v8, v21 src0_sel:BYTE_0 src1_sel:DWORD
	s_and_b64 vcc, exec, s[42:43]
	s_mov_b64 s[42:43], -1
	s_cbranch_vccnz .LBB81_151
.LBB81_147:                             ;   in Loop: Header=BB81_148 Depth=2
	s_and_b64 s[40:41], exec, s[40:41]
	s_or_b64 s[30:31], s[40:41], s[30:31]
	s_andn2_b64 s[38:39], s[38:39], exec
	s_and_b64 s[40:41], s[42:43], exec
	s_or_b64 s[38:39], s[38:39], s[40:41]
	s_andn2_b64 exec, exec, s[30:31]
	s_cbranch_execz .LBB81_152
.LBB81_148:                             ;   Parent Loop BB81_11 Depth=1
                                        ; =>  This Inner Loop Header: Depth=2
	v_cmp_gt_u32_e32 vcc, s64, v7
	s_and_saveexec_b64 s[40:41], vcc
	s_cbranch_execz .LBB81_146
; %bb.149:                              ;   in Loop: Header=BB81_148 Depth=2
	global_load_ubyte v8, v6, s[72:73]
	s_waitcnt vmcnt(0)
	v_add_u32_sdwa v9, sext(v8), s88 dst_sel:DWORD dst_unused:UNUSED_PAD src0_sel:BYTE_0 src1_sel:DWORD
	v_and_b32_e32 v9, v9, v44
	v_cmp_eq_u32_e32 vcc, v9, v38
	s_and_b64 exec, exec, vcc
	s_cbranch_execz .LBB81_146
; %bb.150:                              ;   in Loop: Header=BB81_148 Depth=2
	v_lshlrev_b16_e32 v8, 8, v8
	v_or_b32_e32 v8, 1, v8
	ds_write_b16 v21, v8 offset:3072
	s_branch .LBB81_146
.LBB81_151:                             ;   in Loop: Header=BB81_148 Depth=2
	v_add_u32_e32 v7, s79, v7
	v_cmp_le_u32_e32 vcc, s86, v7
	v_add_u32_e32 v6, s78, v6
	s_mov_b64 s[42:43], 0
	s_orn2_b64 s[40:41], vcc, exec
	s_branch .LBB81_147
.LBB81_152:                             ;   in Loop: Header=BB81_11 Depth=1
	s_or_b64 exec, exec, s[30:31]
	s_andn2_b64 s[30:31], s[36:37], exec
	s_and_b64 s[36:37], s[38:39], exec
	v_lshrrev_b32_sdwa v45, v43, v8 dst_sel:DWORD dst_unused:UNUSED_PAD src0_sel:DWORD src1_sel:WORD_0
	s_or_b64 s[36:37], s[30:31], s[36:37]
.LBB81_153:                             ;   in Loop: Header=BB81_11 Depth=1
	s_or_b64 exec, exec, s[28:29]
	s_mov_b64 s[28:29], 0
	s_mov_b64 s[30:31], -1
.LBB81_154:                             ;   in Loop: Header=BB81_11 Depth=1
	s_orn2_b64 s[36:37], s[36:37], exec
.LBB81_155:                             ;   in Loop: Header=BB81_11 Depth=1
	s_or_b64 exec, exec, s[34:35]
	s_mov_b64 s[38:39], 0
	s_and_saveexec_b64 s[34:35], s[36:37]
	s_cbranch_execz .LBB81_244
; %bb.156:                              ;   in Loop: Header=BB81_11 Depth=1
	s_xor_b64 s[36:37], s[14:15], -1
	s_mov_b64 s[42:43], 0
	v_mov_b32_e32 v6, 1
	v_mov_b32_e32 v3, 1
	s_and_saveexec_b64 s[14:15], s[36:37]
	s_cbranch_execz .LBB81_165
; %bb.157:                              ;   in Loop: Header=BB81_11 Depth=1
	v_cmp_ge_u32_e32 vcc, s48, v5
	s_and_saveexec_b64 s[36:37], vcc
	s_xor_b64 s[36:37], exec, s[36:37]
	s_cbranch_execz .LBB81_162
; %bb.158:                              ;   in Loop: Header=BB81_11 Depth=1
	ds_read_b32 v3, v21 offset:4104
	v_and_b32_e32 v6, v38, v4
	v_lshl_or_b32 v38, 1, v41, v6
	v_or_b32_e32 v44, v44, v2
	s_waitcnt lgkmcnt(0)
	v_cmp_ne_u32_e32 vcc, 0, v3
	s_cbranch_vccnz .LBB81_162
; %bb.159:                              ;   in Loop: Header=BB81_11 Depth=1
	s_mov_b64 s[38:39], exec
	v_readlane_b32 s40, v81, 2
	v_readlane_b32 s41, v81, 3
	s_and_b64 s[40:41], s[38:39], s[40:41]
	s_mov_b64 exec, s[40:41]
; %bb.160:                              ;   in Loop: Header=BB81_11 Depth=1
	v_mov_b32_e32 v3, s48
	ds_write_b32 v21, v3 offset:4108
; %bb.161:                              ;   in Loop: Header=BB81_11 Depth=1
	s_or_b64 exec, exec, s[38:39]
	s_waitcnt lgkmcnt(0)
	s_barrier
.LBB81_162:                             ;   in Loop: Header=BB81_11 Depth=1
	s_or_saveexec_b64 s[36:37], s[36:37]
	s_mov_b64 s[38:39], 0
	v_mov_b32_e32 v3, 8
	s_xor_b64 exec, exec, s[36:37]
; %bb.163:                              ;   in Loop: Header=BB81_11 Depth=1
	s_mov_b64 s[38:39], exec
	v_subrev_u32_e32 v5, s48, v5
	v_mov_b32_e32 v3, 0
; %bb.164:                              ;   in Loop: Header=BB81_11 Depth=1
	s_or_b64 exec, exec, s[36:37]
	s_and_b64 s[42:43], s[38:39], exec
	v_mov_b32_e32 v6, v5
.LBB81_165:                             ;   in Loop: Header=BB81_11 Depth=1
	s_or_b64 exec, exec, s[14:15]
	s_mov_b64 s[14:15], -1
                                        ; implicit-def: $sgpr38_sgpr39
                                        ; implicit-def: $sgpr40_sgpr41
	s_and_saveexec_b64 s[36:37], s[42:43]
	s_cbranch_execz .LBB81_243
; %bb.166:                              ;   in Loop: Header=BB81_11 Depth=1
	s_cmp_eq_u32 s56, 1
	s_cselect_b64 s[14:15], -1, 0
	v_cmp_eq_u32_e32 vcc, 1, v6
	s_and_b64 s[14:15], s[14:15], vcc
	s_mov_b64 s[44:45], -1
                                        ; implicit-def: $sgpr40_sgpr41
                                        ; implicit-def: $sgpr38_sgpr39
	s_and_saveexec_b64 s[42:43], s[14:15]
	s_cbranch_execz .LBB81_192
; %bb.167:                              ;   in Loop: Header=BB81_11 Depth=1
	ds_read_b32 v5, v21 offset:4104
	s_waitcnt lgkmcnt(0)
	s_barrier
	v_readfirstlane_b32 s9, v5
	s_and_saveexec_b64 s[38:39], s[6:7]
; %bb.168:                              ;   in Loop: Header=BB81_11 Depth=1
	ds_write_b8 v0, v21 offset:3072
; %bb.169:                              ;   in Loop: Header=BB81_11 Depth=1
	s_or_b64 exec, exec, s[38:39]
	v_and_b32_e32 v5, v38, v4
	v_lshl_or_b32 v38, 2, v41, v5
	v_or_b32_e32 v44, v44, v2
	s_mov_b64 s[38:39], -1
	s_mov_b64 s[40:41], 0
	s_cmp_eq_u32 s9, 0
	s_mov_b64 s[44:45], 0
	s_mov_b64 s[46:47], -1
	s_waitcnt lgkmcnt(0)
	s_barrier
                                        ; implicit-def: $vgpr45
	s_cbranch_scc1 .LBB81_180
; %bb.170:                              ;   in Loop: Header=BB81_11 Depth=1
	v_readlane_b32 s44, v81, 17
	s_add_i32 s44, s9, s44
	v_readlane_b32 s45, v81, 42
	s_mul_hi_u32 s45, s44, s45
	s_mul_i32 s45, s45, s79
	s_sub_i32 s45, s44, s45
	s_sub_i32 s46, s45, s79
	s_cmp_ge_u32 s45, s79
	s_cselect_b32 s45, s46, s45
	s_sub_i32 s46, s45, s79
	s_cmp_ge_u32 s45, s79
	s_cselect_b32 s45, s46, s45
	s_sub_i32 s57, s44, s45
	v_cmp_gt_u32_e32 vcc, s57, v0
	s_mov_b64 s[46:47], 0
	s_mov_b64 s[44:45], 0
                                        ; implicit-def: $vgpr45
	s_and_saveexec_b64 s[48:49], vcc
	s_cbranch_execz .LBB81_179
; %bb.171:                              ;   in Loop: Header=BB81_11 Depth=1
	v_mov_b32_e32 v5, v0
                                        ; implicit-def: $sgpr50_sgpr51
	s_branch .LBB81_174
.LBB81_172:                             ;   in Loop: Header=BB81_174 Depth=2
	s_or_b64 exec, exec, s[52:53]
	s_waitcnt lgkmcnt(0)
	s_barrier
	ds_read_u16 v7, v21 offset:3072
	s_mov_b64 s[52:53], -1
	s_waitcnt lgkmcnt(0)
	s_barrier
	v_cmp_ne_u32_sdwa s[54:55], v7, v21 src0_sel:BYTE_0 src1_sel:DWORD
	s_and_b64 vcc, exec, s[54:55]
	s_mov_b64 s[54:55], -1
	s_cbranch_vccz .LBB81_177
.LBB81_173:                             ;   in Loop: Header=BB81_174 Depth=2
	s_and_b64 s[52:53], exec, s[52:53]
	s_or_b64 s[44:45], s[52:53], s[44:45]
	s_andn2_b64 s[50:51], s[50:51], exec
	s_and_b64 s[52:53], s[54:55], exec
	s_or_b64 s[50:51], s[50:51], s[52:53]
	s_andn2_b64 exec, exec, s[44:45]
	s_cbranch_execz .LBB81_178
.LBB81_174:                             ;   Parent Loop BB81_11 Depth=1
                                        ; =>  This Inner Loop Header: Depth=2
	v_cmp_gt_u32_e32 vcc, s9, v5
	s_and_saveexec_b64 s[52:53], vcc
	s_cbranch_execz .LBB81_172
; %bb.175:                              ;   in Loop: Header=BB81_174 Depth=2
	ds_read_u8 v7, v5
	s_waitcnt lgkmcnt(0)
	v_add_u32_sdwa v8, sext(v7), s88 dst_sel:DWORD dst_unused:UNUSED_PAD src0_sel:BYTE_0 src1_sel:DWORD
	v_and_b32_e32 v8, v8, v44
	v_cmp_eq_u32_e32 vcc, v8, v38
	s_and_b64 exec, exec, vcc
	s_cbranch_execz .LBB81_172
; %bb.176:                              ;   in Loop: Header=BB81_174 Depth=2
	v_lshlrev_b16_e32 v7, 8, v7
	v_or_b32_e32 v7, 1, v7
	ds_write_b16 v21, v7 offset:3072
	s_branch .LBB81_172
.LBB81_177:                             ;   in Loop: Header=BB81_174 Depth=2
	v_add_u32_e32 v5, s79, v5
	v_cmp_le_u32_e32 vcc, s57, v5
	s_mov_b64 s[54:55], 0
	s_orn2_b64 s[52:53], vcc, exec
	s_branch .LBB81_173
.LBB81_178:                             ;   in Loop: Header=BB81_11 Depth=1
	s_or_b64 exec, exec, s[44:45]
	v_lshrrev_b32_sdwa v45, v43, v7 dst_sel:DWORD dst_unused:UNUSED_PAD src0_sel:DWORD src1_sel:WORD_0
	s_and_b64 s[44:45], s[50:51], exec
.LBB81_179:                             ;   in Loop: Header=BB81_11 Depth=1
	s_or_b64 exec, exec, s[48:49]
.LBB81_180:                             ;   in Loop: Header=BB81_11 Depth=1
	s_and_b64 vcc, exec, s[46:47]
	s_cbranch_vccz .LBB81_191
; %bb.181:                              ;   in Loop: Header=BB81_11 Depth=1
                                        ; implicit-def: $vgpr45
	s_mov_b64 s[38:39], exec
	v_readlane_b32 s40, v81, 43
	v_readlane_b32 s41, v81, 44
	s_and_b64 s[40:41], s[38:39], s[40:41]
	s_mov_b64 exec, s[40:41]
	s_cbranch_execz .LBB81_190
; %bb.182:                              ;   in Loop: Header=BB81_11 Depth=1
	s_mov_b64 s[40:41], 0
	v_mov_b32_e32 v5, v18
	v_mov_b32_e32 v7, v0
                                        ; implicit-def: $sgpr46_sgpr47
	s_branch .LBB81_185
.LBB81_183:                             ;   in Loop: Header=BB81_185 Depth=2
	s_or_b64 exec, exec, s[48:49]
	s_waitcnt lgkmcnt(0)
	s_barrier
	ds_read_u16 v8, v21 offset:3072
	s_mov_b64 s[48:49], -1
	s_waitcnt lgkmcnt(0)
	s_barrier
	v_cmp_eq_u32_sdwa s[50:51], v8, v21 src0_sel:BYTE_0 src1_sel:DWORD
	s_and_b64 vcc, exec, s[50:51]
	s_mov_b64 s[50:51], -1
	s_cbranch_vccnz .LBB81_188
.LBB81_184:                             ;   in Loop: Header=BB81_185 Depth=2
	s_and_b64 s[48:49], exec, s[48:49]
	s_or_b64 s[40:41], s[48:49], s[40:41]
	s_andn2_b64 s[46:47], s[46:47], exec
	s_and_b64 s[48:49], s[50:51], exec
	s_or_b64 s[46:47], s[46:47], s[48:49]
	s_andn2_b64 exec, exec, s[40:41]
	s_cbranch_execz .LBB81_189
.LBB81_185:                             ;   Parent Loop BB81_11 Depth=1
                                        ; =>  This Inner Loop Header: Depth=2
	v_cmp_gt_u32_e32 vcc, s64, v7
	s_and_saveexec_b64 s[48:49], vcc
	s_cbranch_execz .LBB81_183
; %bb.186:                              ;   in Loop: Header=BB81_185 Depth=2
	global_load_ubyte v8, v5, s[72:73]
	s_waitcnt vmcnt(0)
	v_add_u32_sdwa v9, sext(v8), s88 dst_sel:DWORD dst_unused:UNUSED_PAD src0_sel:BYTE_0 src1_sel:DWORD
	v_and_b32_e32 v9, v9, v44
	v_cmp_eq_u32_e32 vcc, v9, v38
	s_and_b64 exec, exec, vcc
	s_cbranch_execz .LBB81_183
; %bb.187:                              ;   in Loop: Header=BB81_185 Depth=2
	v_lshlrev_b16_e32 v8, 8, v8
	v_or_b32_e32 v8, 1, v8
	ds_write_b16 v21, v8 offset:3072
	s_branch .LBB81_183
.LBB81_188:                             ;   in Loop: Header=BB81_185 Depth=2
	v_add_u32_e32 v7, s79, v7
	v_cmp_le_u32_e32 vcc, s86, v7
	v_add_u32_e32 v5, s78, v5
	s_mov_b64 s[50:51], 0
	s_orn2_b64 s[48:49], vcc, exec
	s_branch .LBB81_184
.LBB81_189:                             ;   in Loop: Header=BB81_11 Depth=1
	s_or_b64 exec, exec, s[40:41]
	s_andn2_b64 s[40:41], s[44:45], exec
	s_and_b64 s[44:45], s[46:47], exec
	v_lshrrev_b32_sdwa v45, v43, v8 dst_sel:DWORD dst_unused:UNUSED_PAD src0_sel:DWORD src1_sel:WORD_0
	s_or_b64 s[44:45], s[40:41], s[44:45]
.LBB81_190:                             ;   in Loop: Header=BB81_11 Depth=1
	s_or_b64 exec, exec, s[38:39]
	s_mov_b64 s[38:39], 0
	s_mov_b64 s[40:41], -1
.LBB81_191:                             ;   in Loop: Header=BB81_11 Depth=1
	s_orn2_b64 s[44:45], s[44:45], exec
.LBB81_192:                             ;   in Loop: Header=BB81_11 Depth=1
	s_or_b64 exec, exec, s[42:43]
	s_mov_b64 s[46:47], 0
	s_and_saveexec_b64 s[42:43], s[44:45]
	s_cbranch_execz .LBB81_242
; %bb.193:                              ;   in Loop: Header=BB81_11 Depth=1
	s_xor_b64 s[44:45], s[14:15], -1
	s_mov_b64 s[50:51], 0
	v_mov_b32_e32 v5, 1
	v_mov_b32_e32 v3, 1
	s_and_saveexec_b64 s[14:15], s[44:45]
	s_cbranch_execz .LBB81_202
; %bb.194:                              ;   in Loop: Header=BB81_11 Depth=1
	v_cmp_ge_u32_e32 vcc, s56, v6
	s_and_saveexec_b64 s[44:45], vcc
	s_xor_b64 s[44:45], exec, s[44:45]
	s_cbranch_execz .LBB81_199
; %bb.195:                              ;   in Loop: Header=BB81_11 Depth=1
	ds_read_b32 v3, v21 offset:4104
	v_and_b32_e32 v4, v38, v4
	v_lshl_or_b32 v38, 2, v41, v4
	v_or_b32_e32 v44, v44, v2
	s_waitcnt lgkmcnt(0)
	v_cmp_ne_u32_e32 vcc, 0, v3
	s_cbranch_vccnz .LBB81_199
; %bb.196:                              ;   in Loop: Header=BB81_11 Depth=1
	s_mov_b64 s[46:47], exec
	v_readlane_b32 s48, v81, 2
	v_readlane_b32 s49, v81, 3
	s_and_b64 s[48:49], s[46:47], s[48:49]
	s_mov_b64 exec, s[48:49]
; %bb.197:                              ;   in Loop: Header=BB81_11 Depth=1
	v_mov_b32_e32 v3, s56
	ds_write_b32 v21, v3 offset:4108
; %bb.198:                              ;   in Loop: Header=BB81_11 Depth=1
	s_or_b64 exec, exec, s[46:47]
	s_waitcnt lgkmcnt(0)
	s_barrier
.LBB81_199:                             ;   in Loop: Header=BB81_11 Depth=1
	s_or_saveexec_b64 s[44:45], s[44:45]
	s_mov_b64 s[46:47], 0
	v_mov_b32_e32 v3, 8
	s_xor_b64 exec, exec, s[44:45]
; %bb.200:                              ;   in Loop: Header=BB81_11 Depth=1
	s_mov_b64 s[46:47], exec
	v_subrev_u32_e32 v6, s56, v6
	v_mov_b32_e32 v3, 0
; %bb.201:                              ;   in Loop: Header=BB81_11 Depth=1
	s_or_b64 exec, exec, s[44:45]
	s_and_b64 s[50:51], s[46:47], exec
	v_mov_b32_e32 v5, v6
.LBB81_202:                             ;   in Loop: Header=BB81_11 Depth=1
	s_or_b64 exec, exec, s[14:15]
	s_mov_b64 s[48:49], -1
                                        ; implicit-def: $sgpr14_sgpr15
                                        ; implicit-def: $sgpr46_sgpr47
	s_and_saveexec_b64 s[44:45], s[50:51]
	s_cbranch_execz .LBB81_241
; %bb.203:                              ;   in Loop: Header=BB81_11 Depth=1
	s_cmp_eq_u32 s21, 1
	s_cselect_b64 s[14:15], -1, 0
	v_cmp_eq_u32_e32 vcc, 1, v5
	s_and_b64 s[48:49], s[14:15], vcc
	s_mov_b64 s[52:53], -1
                                        ; implicit-def: $sgpr14_sgpr15
                                        ; implicit-def: $sgpr46_sgpr47
	s_and_saveexec_b64 s[50:51], s[48:49]
	s_cbranch_execz .LBB81_229
; %bb.204:                              ;   in Loop: Header=BB81_11 Depth=1
	ds_read_b32 v4, v21 offset:4104
	s_waitcnt lgkmcnt(0)
	s_barrier
	v_readfirstlane_b32 s9, v4
	s_and_saveexec_b64 s[14:15], s[6:7]
; %bb.205:                              ;   in Loop: Header=BB81_11 Depth=1
	ds_write_b8 v0, v21 offset:3072
; %bb.206:                              ;   in Loop: Header=BB81_11 Depth=1
	s_or_b64 exec, exec, s[14:15]
	v_or_b32_e32 v38, v38, v2
	v_or_b32_e32 v44, v44, v2
	s_mov_b64 s[46:47], -1
	s_mov_b64 s[14:15], 0
	s_cmp_eq_u32 s9, 0
	s_mov_b64 s[52:53], 0
	s_mov_b64 s[54:55], -1
	s_waitcnt lgkmcnt(0)
	s_barrier
                                        ; implicit-def: $vgpr45
	s_cbranch_scc1 .LBB81_217
; %bb.207:                              ;   in Loop: Header=BB81_11 Depth=1
	v_readlane_b32 s52, v81, 17
	s_add_i32 s52, s9, s52
	v_readlane_b32 s53, v81, 42
	s_mul_hi_u32 s53, s52, s53
	s_mul_i32 s53, s53, s79
	s_sub_i32 s53, s52, s53
	s_sub_i32 s54, s53, s79
	s_cmp_ge_u32 s53, s79
	s_cselect_b32 s53, s54, s53
	s_sub_i32 s54, s53, s79
	s_cmp_ge_u32 s53, s79
	s_cselect_b32 s53, s54, s53
	s_sub_i32 s76, s52, s53
	v_cmp_gt_u32_e32 vcc, s76, v0
	s_mov_b64 s[54:55], 0
	s_mov_b64 s[52:53], 0
                                        ; implicit-def: $vgpr45
	s_and_saveexec_b64 s[56:57], vcc
	s_cbranch_execz .LBB81_216
; %bb.208:                              ;   in Loop: Header=BB81_11 Depth=1
	v_mov_b32_e32 v4, v0
                                        ; implicit-def: $sgpr58_sgpr59
	s_branch .LBB81_211
.LBB81_209:                             ;   in Loop: Header=BB81_211 Depth=2
	s_or_b64 exec, exec, s[60:61]
	s_waitcnt lgkmcnt(0)
	s_barrier
	ds_read_u16 v6, v21 offset:3072
	s_mov_b64 s[60:61], -1
	s_waitcnt lgkmcnt(0)
	s_barrier
	v_cmp_ne_u32_sdwa s[62:63], v6, v21 src0_sel:BYTE_0 src1_sel:DWORD
	s_and_b64 vcc, exec, s[62:63]
	s_mov_b64 s[62:63], -1
	s_cbranch_vccz .LBB81_214
.LBB81_210:                             ;   in Loop: Header=BB81_211 Depth=2
	s_and_b64 s[60:61], exec, s[60:61]
	s_or_b64 s[52:53], s[60:61], s[52:53]
	s_andn2_b64 s[58:59], s[58:59], exec
	s_and_b64 s[60:61], s[62:63], exec
	s_or_b64 s[58:59], s[58:59], s[60:61]
	s_andn2_b64 exec, exec, s[52:53]
	s_cbranch_execz .LBB81_215
.LBB81_211:                             ;   Parent Loop BB81_11 Depth=1
                                        ; =>  This Inner Loop Header: Depth=2
	v_cmp_gt_u32_e32 vcc, s9, v4
	s_and_saveexec_b64 s[60:61], vcc
	s_cbranch_execz .LBB81_209
; %bb.212:                              ;   in Loop: Header=BB81_211 Depth=2
	ds_read_u8 v6, v4
	s_waitcnt lgkmcnt(0)
	v_add_u32_sdwa v7, sext(v6), s88 dst_sel:DWORD dst_unused:UNUSED_PAD src0_sel:BYTE_0 src1_sel:DWORD
	v_and_b32_e32 v7, v7, v44
	v_cmp_eq_u32_e32 vcc, v7, v38
	s_and_b64 exec, exec, vcc
	s_cbranch_execz .LBB81_209
; %bb.213:                              ;   in Loop: Header=BB81_211 Depth=2
	v_lshlrev_b16_e32 v6, 8, v6
	v_or_b32_e32 v6, 1, v6
	ds_write_b16 v21, v6 offset:3072
	s_branch .LBB81_209
.LBB81_214:                             ;   in Loop: Header=BB81_211 Depth=2
	v_add_u32_e32 v4, s79, v4
	v_cmp_le_u32_e32 vcc, s76, v4
	s_mov_b64 s[62:63], 0
	s_orn2_b64 s[60:61], vcc, exec
	s_branch .LBB81_210
.LBB81_215:                             ;   in Loop: Header=BB81_11 Depth=1
	s_or_b64 exec, exec, s[52:53]
	v_lshrrev_b32_sdwa v45, v43, v6 dst_sel:DWORD dst_unused:UNUSED_PAD src0_sel:DWORD src1_sel:WORD_0
	s_and_b64 s[52:53], s[58:59], exec
	s_mov_b32 s60, s24
	s_mov_b32 s23, s22
	;; [unrolled: 1-line block ×5, first 2 shown]
.LBB81_216:                             ;   in Loop: Header=BB81_11 Depth=1
	s_or_b64 exec, exec, s[56:57]
.LBB81_217:                             ;   in Loop: Header=BB81_11 Depth=1
	s_and_b64 vcc, exec, s[54:55]
	s_cbranch_vccz .LBB81_228
; %bb.218:                              ;   in Loop: Header=BB81_11 Depth=1
                                        ; implicit-def: $vgpr45
	s_mov_b64 s[14:15], exec
	v_readlane_b32 s46, v81, 43
	v_readlane_b32 s47, v81, 44
	s_and_b64 s[46:47], s[14:15], s[46:47]
	s_mov_b64 exec, s[46:47]
	s_cbranch_execz .LBB81_227
; %bb.219:                              ;   in Loop: Header=BB81_11 Depth=1
	s_mov_b64 s[46:47], 0
	v_mov_b32_e32 v4, v18
	v_mov_b32_e32 v6, v0
                                        ; implicit-def: $sgpr54_sgpr55
	s_branch .LBB81_222
.LBB81_220:                             ;   in Loop: Header=BB81_222 Depth=2
	s_or_b64 exec, exec, s[56:57]
	s_waitcnt lgkmcnt(0)
	s_barrier
	ds_read_u16 v7, v21 offset:3072
	s_mov_b64 s[56:57], -1
	s_waitcnt lgkmcnt(0)
	s_barrier
	v_cmp_eq_u32_sdwa s[58:59], v7, v21 src0_sel:BYTE_0 src1_sel:DWORD
	s_and_b64 vcc, exec, s[58:59]
	s_mov_b64 s[58:59], -1
	s_cbranch_vccnz .LBB81_225
.LBB81_221:                             ;   in Loop: Header=BB81_222 Depth=2
	s_and_b64 s[56:57], exec, s[56:57]
	s_or_b64 s[46:47], s[56:57], s[46:47]
	s_andn2_b64 s[54:55], s[54:55], exec
	s_and_b64 s[56:57], s[58:59], exec
	s_or_b64 s[54:55], s[54:55], s[56:57]
	s_andn2_b64 exec, exec, s[46:47]
	s_cbranch_execz .LBB81_226
.LBB81_222:                             ;   Parent Loop BB81_11 Depth=1
                                        ; =>  This Inner Loop Header: Depth=2
	v_cmp_gt_u32_e32 vcc, s64, v6
	s_and_saveexec_b64 s[56:57], vcc
	s_cbranch_execz .LBB81_220
; %bb.223:                              ;   in Loop: Header=BB81_222 Depth=2
	global_load_ubyte v7, v4, s[72:73]
	s_waitcnt vmcnt(0)
	v_add_u32_sdwa v8, sext(v7), s88 dst_sel:DWORD dst_unused:UNUSED_PAD src0_sel:BYTE_0 src1_sel:DWORD
	v_and_b32_e32 v8, v8, v44
	v_cmp_eq_u32_e32 vcc, v8, v38
	s_and_b64 exec, exec, vcc
	s_cbranch_execz .LBB81_220
; %bb.224:                              ;   in Loop: Header=BB81_222 Depth=2
	v_lshlrev_b16_e32 v7, 8, v7
	v_or_b32_e32 v7, 1, v7
	ds_write_b16 v21, v7 offset:3072
	s_branch .LBB81_220
.LBB81_225:                             ;   in Loop: Header=BB81_222 Depth=2
	v_add_u32_e32 v6, s79, v6
	v_cmp_le_u32_e32 vcc, s86, v6
	v_add_u32_e32 v4, s78, v4
	s_mov_b64 s[58:59], 0
	s_orn2_b64 s[56:57], vcc, exec
	s_branch .LBB81_221
.LBB81_226:                             ;   in Loop: Header=BB81_11 Depth=1
	s_or_b64 exec, exec, s[46:47]
	s_andn2_b64 s[46:47], s[52:53], exec
	s_and_b64 s[52:53], s[54:55], exec
	v_lshrrev_b32_sdwa v45, v43, v7 dst_sel:DWORD dst_unused:UNUSED_PAD src0_sel:DWORD src1_sel:WORD_0
	s_or_b64 s[52:53], s[46:47], s[52:53]
.LBB81_227:                             ;   in Loop: Header=BB81_11 Depth=1
	s_or_b64 exec, exec, s[14:15]
	s_mov_b64 s[46:47], 0
	s_mov_b64 s[14:15], -1
.LBB81_228:                             ;   in Loop: Header=BB81_11 Depth=1
	s_orn2_b64 s[52:53], s[52:53], exec
.LBB81_229:                             ;   in Loop: Header=BB81_11 Depth=1
	s_or_b64 exec, exec, s[50:51]
	s_mov_b64 s[54:55], 0
	s_and_saveexec_b64 s[50:51], s[52:53]
	s_cbranch_execz .LBB81_240
; %bb.230:                              ;   in Loop: Header=BB81_11 Depth=1
	s_xor_b64 s[52:53], s[48:49], -1
	v_mov_b32_e32 v3, 1
	v_mov_b32_e32 v4, 1
	s_and_saveexec_b64 s[48:49], s[52:53]
	s_cbranch_execz .LBB81_239
; %bb.231:                              ;   in Loop: Header=BB81_11 Depth=1
	v_cmp_ge_u32_e32 vcc, s21, v5
	s_and_saveexec_b64 s[52:53], vcc
	s_xor_b64 s[52:53], exec, s[52:53]
	s_cbranch_execz .LBB81_236
; %bb.232:                              ;   in Loop: Header=BB81_11 Depth=1
	ds_read_b32 v3, v21 offset:4104
	v_or_b32_e32 v38, v38, v2
	v_or_b32_e32 v44, v44, v2
	s_waitcnt lgkmcnt(0)
	v_cmp_ne_u32_e32 vcc, 0, v3
	s_cbranch_vccnz .LBB81_236
; %bb.233:                              ;   in Loop: Header=BB81_11 Depth=1
	s_mov_b64 s[54:55], exec
	v_readlane_b32 s56, v81, 2
	v_readlane_b32 s57, v81, 3
	s_and_b64 s[56:57], s[54:55], s[56:57]
	s_mov_b64 exec, s[56:57]
; %bb.234:                              ;   in Loop: Header=BB81_11 Depth=1
	v_mov_b32_e32 v2, s21
	ds_write_b32 v21, v2 offset:4108
; %bb.235:                              ;   in Loop: Header=BB81_11 Depth=1
	s_or_b64 exec, exec, s[54:55]
	s_waitcnt lgkmcnt(0)
	s_barrier
.LBB81_236:                             ;   in Loop: Header=BB81_11 Depth=1
	s_andn2_saveexec_b64 s[52:53], s[52:53]
; %bb.237:                              ;   in Loop: Header=BB81_11 Depth=1
	v_subrev_u32_e32 v5, s21, v5
; %bb.238:                              ;   in Loop: Header=BB81_11 Depth=1
	s_or_b64 exec, exec, s[52:53]
	v_mov_b32_e32 v3, 8
	v_mov_b32_e32 v4, v5
.LBB81_239:                             ;   in Loop: Header=BB81_11 Depth=1
	s_or_b64 exec, exec, s[48:49]
	s_mov_b64 s[54:55], exec
	v_mov_b32_e32 v5, v4
.LBB81_240:                             ;   in Loop: Header=BB81_11 Depth=1
	s_or_b64 exec, exec, s[50:51]
	s_orn2_b64 s[48:49], s[54:55], exec
.LBB81_241:                             ;   in Loop: Header=BB81_11 Depth=1
	s_or_b64 exec, exec, s[44:45]
	s_andn2_b64 s[40:41], s[40:41], exec
	s_and_b64 s[14:15], s[14:15], exec
	s_or_b64 s[40:41], s[40:41], s[14:15]
	s_andn2_b64 s[14:15], s[38:39], exec
	s_and_b64 s[38:39], s[46:47], exec
	s_or_b64 s[38:39], s[14:15], s[38:39]
	s_and_b64 s[46:47], s[48:49], exec
	v_mov_b32_e32 v6, v5
.LBB81_242:                             ;   in Loop: Header=BB81_11 Depth=1
	s_or_b64 exec, exec, s[42:43]
	s_orn2_b64 s[14:15], s[46:47], exec
.LBB81_243:                             ;   in Loop: Header=BB81_11 Depth=1
	s_or_b64 exec, exec, s[36:37]
	s_andn2_b64 s[30:31], s[30:31], exec
	s_and_b64 s[36:37], s[40:41], exec
	s_or_b64 s[30:31], s[30:31], s[36:37]
	s_andn2_b64 s[28:29], s[28:29], exec
	s_and_b64 s[36:37], s[38:39], exec
	s_or_b64 s[28:29], s[28:29], s[36:37]
	s_and_b64 s[38:39], s[14:15], exec
	v_mov_b32_e32 v5, v6
.LBB81_244:                             ;   in Loop: Header=BB81_11 Depth=1
	s_or_b64 exec, exec, s[34:35]
	s_orn2_b64 s[14:15], s[38:39], exec
.LBB81_245:                             ;   in Loop: Header=BB81_11 Depth=1
	s_or_b64 exec, exec, s[26:27]
	s_mov_b64 s[26:27], 0
                                        ; implicit-def: $sgpr9
	s_and_saveexec_b64 s[34:35], s[14:15]
	s_xor_b64 s[14:15], exec, s[34:35]
	s_cbranch_execz .LBB81_9
; %bb.246:                              ;   in Loop: Header=BB81_11 Depth=1
	v_and_b32_e32 v2, 7, v3
	v_cmp_eq_u32_e32 vcc, 0, v2
	s_mov_b64 s[2:3], -1
	s_mov_b64 s[26:27], -1
                                        ; implicit-def: $sgpr9
	s_and_saveexec_b64 s[34:35], vcc
	s_cbranch_execz .LBB81_8
; %bb.247:                              ;   in Loop: Header=BB81_11 Depth=1
	v_add_u32_e32 v2, -2, v41
	v_cmp_eq_u32_e32 vcc, 0, v41
	s_xor_b32 s9, s20, 1
	s_xor_b64 s[26:27], exec, -1
	s_orn2_b64 s[2:3], vcc, exec
	v_mov_b32_e32 v41, v2
	s_branch .LBB81_8
.LBB81_248:
	s_or_b64 exec, exec, s[96:97]
	s_xor_b64 s[6:7], s[68:69], -1
	s_xor_b64 s[0:1], s[98:99], -1
	;; [unrolled: 1-line block ×3, first 2 shown]
	s_mov_b64 s[2:3], 0
	s_and_saveexec_b64 s[8:9], s[0:1]
	s_xor_b64 s[0:1], exec, s[8:9]
	s_cbranch_execnz .LBB81_253
; %bb.249:
	s_andn2_saveexec_b64 s[0:1], s[0:1]
	s_cbranch_execnz .LBB81_266
.LBB81_250:
	s_or_b64 exec, exec, s[0:1]
	s_and_saveexec_b64 s[0:1], s[2:3]
.LBB81_251:
	; divergent unreachable
.LBB81_252:
	s_endpgm
.LBB81_253:
	s_and_saveexec_b64 s[2:3], s[6:7]
	s_xor_b64 s[2:3], exec, s[2:3]
	s_cbranch_execz .LBB81_264
; %bb.254:
	s_and_saveexec_b64 s[6:7], s[4:5]
	s_xor_b64 s[4:5], exec, s[6:7]
; %bb.255:
	v_xor_b32_e32 v45, 0xffffff80, v38
; %bb.256:
	s_or_b64 exec, exec, s[4:5]
	v_readlane_b32 s7, v81, 0
	v_readlane_b32 s8, v81, 12
	s_mul_i32 s4, s8, s7
	v_readlane_b32 s18, v81, 14
	s_sub_i32 s4, s18, s4
	s_add_i32 s5, s8, 1
	s_sub_i32 s6, s4, s7
	s_cmp_ge_u32 s4, s7
	s_cselect_b32 s5, s5, s8
	s_cselect_b32 s4, s6, s4
	s_add_i32 s6, s5, 1
	s_cmp_ge_u32 s4, s7
	s_cselect_b32 s4, s6, s5
	s_mul_i32 s5, s4, s7
	v_readlane_b32 s6, v81, 8
	s_sub_i32 s5, s18, s5
	v_readlane_b32 s7, v81, 9
	s_mul_i32 s5, s5, s7
	s_mul_i32 s4, s4, s6
	s_add_i32 s4, s4, s5
	v_mov_b32_e32 v1, s4
	v_readlane_b32 s4, v81, 10
	v_readlane_b32 s5, v81, 11
	s_nop 4
	global_store_byte v1, v45, s[4:5]
	s_mov_b64 s[4:5], exec
	v_readlane_b32 s6, v81, 15
	v_readlane_b32 s7, v81, 16
	s_and_b64 s[6:7], s[4:5], s[6:7]
	s_mov_b64 exec, s[6:7]
	s_cbranch_execz .LBB81_263
; %bb.257:
	s_mov_b64 s[6:7], 0
                                        ; implicit-def: $sgpr8_sgpr9
                                        ; implicit-def: $sgpr12_sgpr13
                                        ; implicit-def: $sgpr10_sgpr11
	s_branch .LBB81_259
.LBB81_258:                             ;   in Loop: Header=BB81_259 Depth=1
	s_or_b64 exec, exec, s[14:15]
	s_and_b64 s[14:15], exec, s[12:13]
	s_or_b64 s[6:7], s[14:15], s[6:7]
	s_andn2_b64 s[8:9], s[8:9], exec
	s_and_b64 s[14:15], s[10:11], exec
	s_or_b64 s[8:9], s[8:9], s[14:15]
	s_andn2_b64 exec, exec, s[6:7]
	s_cbranch_execz .LBB81_261
.LBB81_259:                             ; =>This Inner Loop Header: Depth=1
	global_load_ubyte v1, v18, s[72:73]
	v_mov_b32_e32 v2, v0
	s_or_b64 s[10:11], s[10:11], exec
	s_or_b64 s[12:13], s[12:13], exec
                                        ; implicit-def: $vgpr0
	s_waitcnt vmcnt(0)
	v_cmp_ne_u16_sdwa s[16:17], v1, v45 src0_sel:DWORD src1_sel:BYTE_0
	s_and_saveexec_b64 s[14:15], s[16:17]
	s_cbranch_execz .LBB81_258
; %bb.260:                              ;   in Loop: Header=BB81_259 Depth=1
	v_add_u32_e32 v0, s79, v2
	v_cmp_le_u32_e32 vcc, s64, v0
	s_andn2_b64 s[12:13], s[12:13], exec
	s_and_b64 s[16:17], vcc, exec
	v_add_u32_e32 v18, s78, v18
	s_andn2_b64 s[10:11], s[10:11], exec
	s_or_b64 s[12:13], s[12:13], s[16:17]
	s_branch .LBB81_258
.LBB81_261:
	s_or_b64 exec, exec, s[6:7]
	s_and_saveexec_b64 s[6:7], s[8:9]
	s_xor_b64 s[6:7], exec, s[6:7]
	s_cbranch_execz .LBB81_263
; %bb.262:
	v_readlane_b32 s9, v81, 1
	v_readlane_b32 s10, v81, 13
	s_mul_i32 s6, s10, s9
	s_sub_i32 s6, s18, s6
	s_add_i32 s7, s10, 1
	s_sub_i32 s8, s6, s9
	s_cmp_ge_u32 s6, s9
	s_cselect_b32 s7, s7, s10
	s_cselect_b32 s6, s8, s6
	s_add_i32 s8, s7, 1
	s_cmp_ge_u32 s6, s9
	s_cselect_b32 s6, s8, s7
	s_mul_i32 s7, s6, s9
	v_readlane_b32 s8, v81, 4
	s_sub_i32 s7, s18, s7
	v_readlane_b32 s9, v81, 5
	s_mul_i32 s7, s7, s9
	s_mul_i32 s6, s6, s8
	s_add_i32 s6, s6, s7
	s_mov_b32 s7, 0
	s_lshl_b64 s[6:7], s[6:7], 3
	v_readlane_b32 s8, v81, 6
	v_readlane_b32 s9, v81, 7
	s_add_u32 s6, s8, s6
	s_addc_u32 s7, s9, s7
	v_mov_b32_e32 v3, 0
	global_store_dwordx2 v3, v[2:3], s[6:7]
.LBB81_263:
	s_or_b64 exec, exec, s[4:5]
.LBB81_264:
	s_or_saveexec_b64 s[2:3], s[2:3]
	s_mov_b64 s[4:5], 0
	s_xor_b64 exec, exec, s[2:3]
	s_cbranch_execnz .LBB81_267
.LBB81_265:
	s_or_b64 exec, exec, s[2:3]
	s_and_b64 s[2:3], s[4:5], exec
	s_andn2_saveexec_b64 s[0:1], s[0:1]
	s_cbranch_execz .LBB81_250
.LBB81_266:
	s_or_b64 s[2:3], s[2:3], exec
	s_trap 2
	s_or_b64 exec, exec, s[0:1]
	s_and_saveexec_b64 s[0:1], s[2:3]
	s_cbranch_execnz .LBB81_251
	s_branch .LBB81_252
.LBB81_267:
	s_mov_b64 s[4:5], exec
	s_trap 2
	s_branch .LBB81_265
	.section	.rodata,"a",@progbits
	.p2align	6, 0x0
	.amdhsa_kernel _ZN2at6native12_GLOBAL__N_112gatherMedianIajLi2EEEvNS_4cuda6detail10TensorInfoIT_T0_EENS5_IlS7_EENS5_IKS6_S7_EES7_S7_S7_b
		.amdhsa_group_segment_fixed_size 4120
		.amdhsa_private_segment_fixed_size 0
		.amdhsa_kernarg_size 920
		.amdhsa_user_sgpr_count 2
		.amdhsa_user_sgpr_dispatch_ptr 0
		.amdhsa_user_sgpr_queue_ptr 0
		.amdhsa_user_sgpr_kernarg_segment_ptr 1
		.amdhsa_user_sgpr_dispatch_id 0
		.amdhsa_user_sgpr_kernarg_preload_length 0
		.amdhsa_user_sgpr_kernarg_preload_offset 0
		.amdhsa_user_sgpr_private_segment_size 0
		.amdhsa_uses_dynamic_stack 0
		.amdhsa_enable_private_segment 0
		.amdhsa_system_sgpr_workgroup_id_x 1
		.amdhsa_system_sgpr_workgroup_id_y 1
		.amdhsa_system_sgpr_workgroup_id_z 1
		.amdhsa_system_sgpr_workgroup_info 0
		.amdhsa_system_vgpr_workitem_id 0
		.amdhsa_next_free_vgpr 82
		.amdhsa_next_free_sgpr 100
		.amdhsa_accum_offset 84
		.amdhsa_reserve_vcc 1
		.amdhsa_float_round_mode_32 0
		.amdhsa_float_round_mode_16_64 0
		.amdhsa_float_denorm_mode_32 3
		.amdhsa_float_denorm_mode_16_64 3
		.amdhsa_dx10_clamp 1
		.amdhsa_ieee_mode 1
		.amdhsa_fp16_overflow 0
		.amdhsa_tg_split 0
		.amdhsa_exception_fp_ieee_invalid_op 0
		.amdhsa_exception_fp_denorm_src 0
		.amdhsa_exception_fp_ieee_div_zero 0
		.amdhsa_exception_fp_ieee_overflow 0
		.amdhsa_exception_fp_ieee_underflow 0
		.amdhsa_exception_fp_ieee_inexact 0
		.amdhsa_exception_int_div_zero 0
	.end_amdhsa_kernel
	.section	.text._ZN2at6native12_GLOBAL__N_112gatherMedianIajLi2EEEvNS_4cuda6detail10TensorInfoIT_T0_EENS5_IlS7_EENS5_IKS6_S7_EES7_S7_S7_b,"axG",@progbits,_ZN2at6native12_GLOBAL__N_112gatherMedianIajLi2EEEvNS_4cuda6detail10TensorInfoIT_T0_EENS5_IlS7_EENS5_IKS6_S7_EES7_S7_S7_b,comdat
.Lfunc_end81:
	.size	_ZN2at6native12_GLOBAL__N_112gatherMedianIajLi2EEEvNS_4cuda6detail10TensorInfoIT_T0_EENS5_IlS7_EENS5_IKS6_S7_EES7_S7_S7_b, .Lfunc_end81-_ZN2at6native12_GLOBAL__N_112gatherMedianIajLi2EEEvNS_4cuda6detail10TensorInfoIT_T0_EENS5_IlS7_EENS5_IKS6_S7_EES7_S7_S7_b
                                        ; -- End function
	.set _ZN2at6native12_GLOBAL__N_112gatherMedianIajLi2EEEvNS_4cuda6detail10TensorInfoIT_T0_EENS5_IlS7_EENS5_IKS6_S7_EES7_S7_S7_b.num_vgpr, 82
	.set _ZN2at6native12_GLOBAL__N_112gatherMedianIajLi2EEEvNS_4cuda6detail10TensorInfoIT_T0_EENS5_IlS7_EENS5_IKS6_S7_EES7_S7_S7_b.num_agpr, 0
	.set _ZN2at6native12_GLOBAL__N_112gatherMedianIajLi2EEEvNS_4cuda6detail10TensorInfoIT_T0_EENS5_IlS7_EENS5_IKS6_S7_EES7_S7_S7_b.numbered_sgpr, 100
	.set _ZN2at6native12_GLOBAL__N_112gatherMedianIajLi2EEEvNS_4cuda6detail10TensorInfoIT_T0_EENS5_IlS7_EENS5_IKS6_S7_EES7_S7_S7_b.num_named_barrier, 0
	.set _ZN2at6native12_GLOBAL__N_112gatherMedianIajLi2EEEvNS_4cuda6detail10TensorInfoIT_T0_EENS5_IlS7_EENS5_IKS6_S7_EES7_S7_S7_b.private_seg_size, 0
	.set _ZN2at6native12_GLOBAL__N_112gatherMedianIajLi2EEEvNS_4cuda6detail10TensorInfoIT_T0_EENS5_IlS7_EENS5_IKS6_S7_EES7_S7_S7_b.uses_vcc, 1
	.set _ZN2at6native12_GLOBAL__N_112gatherMedianIajLi2EEEvNS_4cuda6detail10TensorInfoIT_T0_EENS5_IlS7_EENS5_IKS6_S7_EES7_S7_S7_b.uses_flat_scratch, 0
	.set _ZN2at6native12_GLOBAL__N_112gatherMedianIajLi2EEEvNS_4cuda6detail10TensorInfoIT_T0_EENS5_IlS7_EENS5_IKS6_S7_EES7_S7_S7_b.has_dyn_sized_stack, 0
	.set _ZN2at6native12_GLOBAL__N_112gatherMedianIajLi2EEEvNS_4cuda6detail10TensorInfoIT_T0_EENS5_IlS7_EENS5_IKS6_S7_EES7_S7_S7_b.has_recursion, 0
	.set _ZN2at6native12_GLOBAL__N_112gatherMedianIajLi2EEEvNS_4cuda6detail10TensorInfoIT_T0_EENS5_IlS7_EENS5_IKS6_S7_EES7_S7_S7_b.has_indirect_call, 0
	.section	.AMDGPU.csdata,"",@progbits
; Kernel info:
; codeLenInByte = 11376
; TotalNumSgprs: 106
; NumVgprs: 82
; NumAgprs: 0
; TotalNumVgprs: 82
; ScratchSize: 0
; MemoryBound: 0
; FloatMode: 240
; IeeeMode: 1
; LDSByteSize: 4120 bytes/workgroup (compile time only)
; SGPRBlocks: 13
; VGPRBlocks: 10
; NumSGPRsForWavesPerEU: 106
; NumVGPRsForWavesPerEU: 82
; AccumOffset: 84
; Occupancy: 5
; WaveLimiterHint : 1
; COMPUTE_PGM_RSRC2:SCRATCH_EN: 0
; COMPUTE_PGM_RSRC2:USER_SGPR: 2
; COMPUTE_PGM_RSRC2:TRAP_HANDLER: 0
; COMPUTE_PGM_RSRC2:TGID_X_EN: 1
; COMPUTE_PGM_RSRC2:TGID_Y_EN: 1
; COMPUTE_PGM_RSRC2:TGID_Z_EN: 1
; COMPUTE_PGM_RSRC2:TIDIG_COMP_CNT: 0
; COMPUTE_PGM_RSRC3_GFX90A:ACCUM_OFFSET: 20
; COMPUTE_PGM_RSRC3_GFX90A:TG_SPLIT: 0
	.section	.text._ZN2at6native12_GLOBAL__N_112gatherMedianIajLi3EEEvNS_4cuda6detail10TensorInfoIT_T0_EENS5_IlS7_EENS5_IKS6_S7_EES7_S7_S7_b,"axG",@progbits,_ZN2at6native12_GLOBAL__N_112gatherMedianIajLi3EEEvNS_4cuda6detail10TensorInfoIT_T0_EENS5_IlS7_EENS5_IKS6_S7_EES7_S7_S7_b,comdat
	.globl	_ZN2at6native12_GLOBAL__N_112gatherMedianIajLi3EEEvNS_4cuda6detail10TensorInfoIT_T0_EENS5_IlS7_EENS5_IKS6_S7_EES7_S7_S7_b ; -- Begin function _ZN2at6native12_GLOBAL__N_112gatherMedianIajLi3EEEvNS_4cuda6detail10TensorInfoIT_T0_EENS5_IlS7_EENS5_IKS6_S7_EES7_S7_S7_b
	.p2align	8
	.type	_ZN2at6native12_GLOBAL__N_112gatherMedianIajLi3EEEvNS_4cuda6detail10TensorInfoIT_T0_EENS5_IlS7_EENS5_IKS6_S7_EES7_S7_S7_b,@function
_ZN2at6native12_GLOBAL__N_112gatherMedianIajLi3EEEvNS_4cuda6detail10TensorInfoIT_T0_EENS5_IlS7_EENS5_IKS6_S7_EES7_S7_S7_b: ; @_ZN2at6native12_GLOBAL__N_112gatherMedianIajLi3EEEvNS_4cuda6detail10TensorInfoIT_T0_EENS5_IlS7_EENS5_IKS6_S7_EES7_S7_S7_b
; %bb.0:
	s_load_dwordx2 s[10:11], s[0:1], 0x298
	s_load_dwordx4 s[64:67], s[0:1], 0x288
	s_add_u32 s8, s0, 0x298
	s_addc_u32 s9, s1, 0
	s_waitcnt lgkmcnt(0)
	s_mul_i32 s4, s11, s4
	s_add_i32 s3, s4, s3
	s_mul_i32 s3, s3, s10
	s_add_i32 s26, s3, s2
	s_cmp_ge_u32 s26, s65
	s_cbranch_scc1 .LBB82_252
; %bb.1:
	s_load_dwordx2 s[16:17], s[0:1], 0xc
	s_load_dwordx2 s[12:13], s[0:1], 0x1bc
	;; [unrolled: 1-line block ×3, first 2 shown]
	s_load_dwordx4 s[4:7], s[0:1], 0x21c
                                        ; implicit-def: $vgpr81 : SGPR spill to VGPR lane
	s_waitcnt lgkmcnt(0)
	v_cvt_f32_u32_e32 v3, s19
	v_cvt_f32_u32_e32 v1, s17
	s_sub_i32 s3, 0, s17
	v_cvt_f32_u32_e32 v2, s16
	v_rcp_iflag_f32_e32 v3, v3
	v_rcp_iflag_f32_e32 v1, v1
	;; [unrolled: 1-line block ×3, first 2 shown]
	v_mul_f32_e32 v1, 0x4f7ffffe, v1
	v_cvt_u32_f32_e32 v1, v1
	v_mul_f32_e32 v2, 0x4f7ffffe, v2
	v_cvt_u32_f32_e32 v2, v2
	v_readfirstlane_b32 s7, v1
	s_mul_i32 s3, s3, s7
	s_mul_hi_u32 s3, s7, s3
	s_add_i32 s7, s7, s3
	s_mul_hi_u32 s3, s26, s7
	s_mul_i32 s7, s3, s17
	s_sub_i32 s7, s26, s7
	s_add_i32 s11, s3, 1
	s_sub_i32 s14, s7, s17
	s_cmp_ge_u32 s7, s17
	v_mul_f32_e32 v1, 0x4f7ffffe, v3
	s_cselect_b32 s3, s11, s3
	v_cvt_u32_f32_e32 v1, v1
	s_cselect_b32 s7, s14, s7
	s_add_i32 s11, s3, 1
	s_cmp_ge_u32 s7, s17
	s_cselect_b32 s3, s11, s3
	v_writelane_b32 v81, s3, 0
	v_readfirstlane_b32 s14, v1
	v_cvt_f32_u32_e32 v1, s18
	v_writelane_b32 v81, s16, 1
	s_sub_i32 s7, 0, s16
	v_readfirstlane_b32 s3, v2
	s_mul_i32 s7, s7, s3
	s_mul_hi_u32 s11, s3, s7
	s_sub_i32 s7, 0, s19
	s_mul_i32 s7, s7, s14
	v_rcp_iflag_f32_e32 v1, v1
	s_mul_hi_u32 s7, s14, s7
	v_cvt_f32_u32_e32 v2, s13
	s_add_i32 s14, s14, s7
	s_mul_hi_u32 s7, s26, s14
	s_mul_i32 s14, s7, s19
	v_mul_f32_e32 v1, 0x4f7ffffe, v1
	s_sub_i32 s14, s26, s14
	v_cvt_u32_f32_e32 v1, v1
	v_rcp_iflag_f32_e32 v2, v2
	v_writelane_b32 v81, s17, 2
	s_add_i32 s15, s7, 1
	s_sub_i32 s16, s14, s19
	s_cmp_ge_u32 s14, s19
	s_cselect_b32 s7, s15, s7
	s_cselect_b32 s14, s16, s14
	s_add_i32 s15, s7, 1
	v_readfirstlane_b32 s16, v1
	v_mul_f32_e32 v1, 0x4f7ffffe, v2
	s_cmp_ge_u32 s14, s19
	v_cvt_u32_f32_e32 v1, v1
	s_cselect_b32 s7, s15, s7
	v_writelane_b32 v81, s7, 3
	v_writelane_b32 v81, s18, 4
	s_sub_i32 s7, 0, s18
	s_mul_i32 s7, s7, s16
	v_readfirstlane_b32 s14, v1
	v_cvt_f32_u32_e32 v1, s12
	s_mul_hi_u32 s17, s16, s7
	s_sub_i32 s7, 0, s13
	s_mul_i32 s7, s7, s14
	s_mul_hi_u32 s7, s14, s7
	s_add_i32 s14, s14, s7
	v_rcp_iflag_f32_e32 v1, v1
	s_mul_hi_u32 s7, s26, s14
	s_mul_i32 s14, s7, s13
	s_sub_i32 s14, s26, s14
	v_writelane_b32 v81, s19, 5
	s_add_i32 s15, s7, 1
	s_sub_i32 s18, s14, s13
	v_mul_f32_e32 v1, 0x4f7ffffe, v1
	s_cmp_ge_u32 s14, s13
	v_cvt_u32_f32_e32 v1, v1
	s_cselect_b32 s7, s15, s7
	s_cselect_b32 s14, s18, s14
	s_add_i32 s15, s7, 1
	s_cmp_ge_u32 s14, s13
	s_cselect_b32 s7, s15, s7
	s_sub_i32 s14, 0, s12
	v_readfirstlane_b32 s20, v1
	s_mul_i32 s14, s14, s20
	s_mul_hi_u32 s14, s20, s14
	s_add_i32 s20, s20, s14
	v_cmp_eq_u32_e64 s[18:19], 0, v0
	s_mov_b64 s[14:15], exec
	s_nop 0
	v_writelane_b32 v81, s18, 6
	s_nop 1
	v_writelane_b32 v81, s19, 7
	s_and_b64 s[18:19], s[14:15], s[18:19]
	s_mov_b64 exec, s[18:19]
; %bb.2:
	v_mov_b32_e32 v2, 0
	v_mov_b32_e32 v3, v2
	ds_write_b64 v2, v[2:3] offset:4096
; %bb.3:
	s_or_b64 exec, exec, s[14:15]
	s_load_dwordx4 s[28:31], s[0:1], 0x144
	v_mov_b32_e32 v1, 0
	s_waitcnt lgkmcnt(0)
	s_barrier
	v_writelane_b32 v81, s28, 8
	s_barrier
	s_nop 0
	v_writelane_b32 v81, s29, 9
	v_writelane_b32 v81, s30, 10
	ds_read_b64 v[2:3], v1 offset:4096
	v_writelane_b32 v81, s31, 11
	s_load_dwordx4 s[28:31], s[0:1], 0x6c
	s_load_dwordx2 s[14:15], s[0:1], 0x1b0
	s_add_i32 s18, s3, s11
	s_add_i32 s19, s16, s17
	s_bitcmp1_b32 s67, 0
	s_waitcnt lgkmcnt(0)
	v_readfirstlane_b32 s16, v2
	v_readfirstlane_b32 s17, v3
	v_writelane_b32 v81, s28, 12
	s_mul_hi_u32 s11, s7, s20
	s_cselect_b64 s[20:21], -1, 0
	v_cmp_lt_i64_e64 s[24:25], s[16:17], 1
	v_writelane_b32 v81, s29, 13
	s_or_b64 s[20:21], s[20:21], s[24:25]
	v_writelane_b32 v81, s30, 14
	s_andn2_b64 vcc, exec, s[20:21]
	s_mov_b32 s3, s64
	v_writelane_b32 v81, s31, 15
	s_cbranch_vccnz .LBB82_5
; %bb.4:
	s_not_b64 s[16:17], s[16:17]
	s_add_u32 s3, s16, s64
	s_addc_u32 s17, s17, 0
	s_lshr_b32 s16, s17, 31
	s_add_u32 s16, s3, s16
	s_addc_u32 s17, s17, 0
	s_lshr_b64 s[16:17], s[16:17], 1
	s_add_i32 s3, s16, 1
.LBB82_5:
	s_load_dwordx2 s[16:17], s[0:1], 0xd8
                                        ; kill: killed $sgpr0 killed $sgpr1
	s_waitcnt lgkmcnt(0)
	v_writelane_b32 v81, s16, 16
	s_nop 1
	v_writelane_b32 v81, s17, 17
	s_load_dwordx2 s[16:17], s[0:1], 0x0
	s_waitcnt lgkmcnt(0)
	v_writelane_b32 v81, s16, 18
	s_nop 1
	v_writelane_b32 v81, s17, 19
	s_nop 0
	v_readlane_b32 s0, v81, 0
	s_mul_hi_u32 s0, s0, s18
	s_nop 0
	v_writelane_b32 v81, s0, 20
	s_nop 0
	v_readlane_b32 s0, v81, 3
	s_mul_hi_u32 s0, s0, s19
	s_nop 0
	v_writelane_b32 v81, s0, 21
	s_mov_b64 s[0:1], exec
	v_readlane_b32 s16, v81, 6
	v_readlane_b32 s17, v81, 7
	s_and_b64 s[16:17], s[0:1], s[16:17]
	s_mov_b64 exec, s[16:17]
	s_cbranch_execz .LBB82_7
; %bb.6:
	v_mov_b32_e32 v2, 0
	v_mov_b32_e32 v3, s64
	ds_write_b32 v2, v2 offset:4112
	ds_write_b64 v2, v[2:3] offset:4104
.LBB82_7:
	s_or_b64 exec, exec, s[0:1]
	s_mul_i32 s0, s7, s13
	s_mul_i32 s1, s11, s12
	s_sub_i32 s0, s26, s0
	s_sub_i32 s1, s7, s1
	s_mul_i32 s0, s0, s6
	s_add_i32 s6, s11, 1
	s_sub_i32 s13, s1, s12
	s_cmp_ge_u32 s1, s12
	s_cselect_b32 s6, s6, s11
	s_cselect_b32 s1, s13, s1
	s_add_i32 s11, s6, 1
	s_cmp_ge_u32 s1, s12
	s_cselect_b32 s1, s11, s6
	s_mul_i32 s6, s1, s12
	s_sub_i32 s6, s7, s6
	s_mul_i32 s5, s6, s5
	s_waitcnt lgkmcnt(0)
	s_barrier
	s_load_dword s11, s[8:9], 0xc
	s_add_i32 s0, s5, s0
	s_mul_i32 s1, s1, s4
	s_add_i32 s0, s0, s1
	v_writelane_b32 v81, s26, 22
	s_add_u32 s82, s14, s0
	v_cmp_gt_u32_e64 s[0:1], s64, v0
	v_mbcnt_lo_u32_b32 v1, -1, 0
	v_mbcnt_hi_u32_b32 v28, -1, v1
	v_writelane_b32 v81, s0, 23
	s_addc_u32 s83, s15, 0
	s_waitcnt lgkmcnt(0)
	s_and_b32 s67, s11, 0xffff
	v_writelane_b32 v81, s1, 24
	v_cmp_gt_u32_e32 vcc, 64, v0
	v_cmp_gt_i32_e64 s[0:1], 4, v28
	s_and_b64 s[88:89], vcc, s[0:1]
	s_add_i32 s0, s67, -1
	s_lshl_b32 s65, s67, 2
	v_writelane_b32 v81, s0, 25
	s_add_i32 s0, s0, s64
	s_cmpk_gt_u32 s64, 0xc00
	s_cselect_b64 s[12:13], -1, 0
	s_cmp_gt_u32 s67, 63
	v_lshlrev_b64 v[2:3], v28, -1
	s_cselect_b64 s[92:93], -1, 0
	v_not_b32_e32 v24, v2
	v_lshrrev_b32_e32 v2, 2, v0
	s_cmp_lt_u32 s2, s10
	v_and_b32_e32 v2, 0xf0, v2
	s_cselect_b32 s1, 12, 18
	v_writelane_b32 v81, s12, 26
	v_or_b32_e32 v29, 0xc00, v2
	s_add_u32 s8, s8, s1
	v_add_u32_e32 v2, 2, v0
	v_writelane_b32 v81, s13, 27
	s_addc_u32 s9, s9, 0
	v_max_u32_e32 v2, s64, v2
	v_writelane_b32 v81, s8, 28
	v_xad_u32 v2, v0, -1, v2
	v_not_b32_e32 v1, v3
	v_writelane_b32 v81, s9, 29
	s_bfe_u32 s8, s11, 0xa0006
	v_cmp_lt_u32_e64 s[10:11], 31, v2
	v_add_u32_e32 v3, -8, v2
	v_lshrrev_b32_e32 v5, 3, v3
	v_writelane_b32 v81, s10, 30
	s_add_i32 s1, s8, -2
	s_lshr_b32 s2, s1, 1
	v_writelane_b32 v81, s11, 31
	v_cmp_lt_u32_e64 s[10:11], 7, v3
	v_and_b32_e32 v3, 8, v3
	v_and_b32_e32 v30, -8, v2
	v_writelane_b32 v81, s10, 32
	s_add_i32 s2, s2, 1
	s_cmpk_gt_u32 s67, 0x7f
	v_writelane_b32 v81, s11, 33
	v_cmp_eq_u32_e64 s[10:11], 0, v3
	v_lshlrev_b32_e32 v25, 2, v0
	v_mov_b32_e32 v21, 0
	v_writelane_b32 v81, s10, 34
	v_mul_lo_u32 v18, s66, v0
	v_mov_b32_e32 v19, v21
	v_writelane_b32 v81, s11, 35
	v_cmp_ne_u32_e64 s[10:11], v2, v30
	v_cvt_f32_u32_e32 v2, s65
	v_lshlrev_b32_e32 v4, 2, v28
	v_writelane_b32 v81, s10, 36
	v_add_u32_e32 v5, 1, v5
	v_rcp_iflag_f32_e32 v2, v2
	v_writelane_b32 v81, s11, 37
	s_cselect_b64 s[10:11], -1, 0
	v_writelane_b32 v81, s10, 38
	s_and_b32 s9, s8, 0x3fe
	v_mul_f32_e32 v2, 0x4f7ffffe, v2
	v_writelane_b32 v81, s11, 39
	s_and_b32 s10, s2, 7
	s_cmp_gt_u32 s1, 13
	s_cselect_b64 s[12:13], -1, 0
	v_writelane_b32 v81, s12, 40
	s_and_b32 s1, s2, -8
	s_cmp_lg_u32 s10, 0
	v_writelane_b32 v81, s13, 41
	v_writelane_b32 v81, s1, 42
	v_cvt_u32_f32_e32 v2, v2
	v_writelane_b32 v81, s10, 43
	s_cselect_b64 s[10:11], -1, 0
	v_writelane_b32 v81, s10, 44
	s_cmp_lg_u32 s9, s8
	v_readfirstlane_b32 s2, v2
	v_writelane_b32 v81, s11, 45
	v_writelane_b32 v81, s8, 46
	v_cvt_f32_u32_e32 v2, s67
	v_writelane_b32 v81, s9, 47
	s_cselect_b64 s[8:9], -1, 0
	s_sub_i32 s1, 0, s65
	s_mul_i32 s1, s1, s2
	s_mul_hi_u32 s1, s2, s1
	s_add_i32 s94, s2, s1
	v_rcp_iflag_f32_e32 v2, v2
	s_mul_hi_u32 s1, s64, s94
	s_mul_i32 s1, s1, s65
	s_sub_i32 s1, s64, s1
	s_sub_i32 s2, s1, s65
	v_mul_f32_e32 v2, 0x4f7ffffe, v2
	s_cmp_ge_u32 s1, s65
	v_cvt_u32_f32_e32 v2, v2
	s_cselect_b32 s1, s2, s1
	s_sub_i32 s2, s1, s65
	v_writelane_b32 v81, s8, 48
	s_cmp_ge_u32 s1, s65
	s_cselect_b32 s1, s2, s1
	v_writelane_b32 v81, s9, 49
	s_sub_i32 s2, 0, s67
	v_readfirstlane_b32 s8, v2
	s_mul_i32 s2, s2, s8
	s_mul_hi_u32 s2, s8, s2
	s_add_i32 s2, s8, s2
	v_writelane_b32 v81, s2, 50
	s_mul_hi_u32 s2, s0, s2
	s_mul_i32 s2, s2, s67
	s_sub_i32 s2, s0, s2
	s_sub_i32 s95, s64, s1
	s_sub_i32 s8, s2, s67
	s_cmp_ge_u32 s2, s67
	s_cselect_b32 s2, s8, s2
	s_sub_i32 s8, s2, s67
	s_cmp_ge_u32 s2, s67
	v_mul_lo_u32 v2, s66, v25
	s_cselect_b32 s2, s8, s2
	v_add_u32_e32 v34, s66, v2
	v_or_b32_e32 v2, 2, v25
	s_sub_i32 s97, s0, s2
	v_mul_lo_u32 v35, s66, v2
	v_or_b32_e32 v2, 3, v25
	s_add_i32 s0, s67, s64
	v_add_u32_e32 v33, s95, v0
	v_mul_lo_u32 v36, s66, v2
	v_add_u32_e32 v2, s0, v0
	v_mul_lo_u32 v20, v33, s66
	v_cmp_gt_u32_e64 s[8:9], s97, v0
	s_mul_i32 s99, s66, s67
	v_subrev_u32_e32 v2, s1, v2
	s_mov_b32 s20, 0
	v_cmp_eq_u32_e64 s[4:5], 0, v28
	v_cmp_gt_u32_e64 s[6:7], 2, v0
	v_lshl_add_u64 v[22:23], s[82:83], 0, v[18:19]
	v_and_b32_e32 v19, 0x100, v4
	v_add_u32_e32 v31, v0, v30
	s_mov_b32 s81, s66
	s_mov_b32 s91, s66
	;; [unrolled: 1-line block ×8, first 2 shown]
	v_and_b32_e32 v32, 0x3ffffffe, v5
	v_cmp_gt_u32_e64 s[16:17], s95, v25
	v_cmp_gt_u32_e64 s[18:19], s64, v33
	v_lshl_add_u64 v[26:27], s[82:83], 0, v[20:21]
	v_writelane_b32 v81, s8, 51
	s_lshl_b32 s78, s99, 2
	v_lshlrev_b32_e32 v37, 2, v18
	v_mul_lo_u32 v39, s66, v2
	v_or_b32_e32 v40, 0xc00, v4
	s_mov_b64 s[70:71], 0
	v_mov_b32_e32 v41, 6
	v_mov_b32_e32 v46, s3
	s_movk_i32 s79, 0x80
	s_mov_b32 s33, 0xc0c0004
	v_mov_b32_e32 v50, s64
	v_mov_b32_e32 v42, 0xc00
	;; [unrolled: 1-line block ×6, first 2 shown]
	s_mov_b32 s24, s66
	s_mov_b32 s25, s66
	;; [unrolled: 1-line block ×9, first 2 shown]
	v_writelane_b32 v81, s9, 52
                                        ; implicit-def: $sgpr84_sgpr85
                                        ; implicit-def: $sgpr10_sgpr11
                                        ; implicit-def: $sgpr12_sgpr13
                                        ; implicit-def: $sgpr72_sgpr73
                                        ; implicit-def: $sgpr74_sgpr75
                                        ; implicit-def: $sgpr14_sgpr15
	s_branch .LBB82_11
.LBB82_8:                               ;   in Loop: Header=BB82_11 Depth=1
	s_or_b64 exec, exec, s[34:35]
	s_and_b64 s[26:27], s[26:27], exec
	s_andn2_b64 s[30:31], s[30:31], exec
	s_andn2_b64 s[28:29], s[28:29], exec
	s_orn2_b64 s[2:3], s[2:3], exec
.LBB82_9:                               ;   in Loop: Header=BB82_11 Depth=1
	s_or_b64 exec, exec, s[8:9]
	s_andn2_b64 s[8:9], s[14:15], exec
	s_and_b64 s[14:15], s[26:27], exec
	s_or_b64 s[14:15], s[8:9], s[14:15]
	s_andn2_b64 s[8:9], s[74:75], exec
	s_and_b64 s[20:21], s[30:31], exec
	s_or_b64 s[74:75], s[8:9], s[20:21]
	;; [unrolled: 3-line block ×3, first 2 shown]
	s_orn2_b64 s[2:3], s[2:3], exec
.LBB82_10:                              ;   in Loop: Header=BB82_11 Depth=1
	s_or_b64 exec, exec, s[0:1]
	s_and_b64 s[0:1], exec, s[2:3]
	s_or_b64 s[70:71], s[0:1], s[70:71]
	s_andn2_b64 s[0:1], s[12:13], exec
	s_and_b64 s[2:3], s[14:15], exec
	s_or_b64 s[12:13], s[0:1], s[2:3]
	s_andn2_b64 s[0:1], s[10:11], exec
	s_and_b64 s[2:3], s[74:75], exec
	;; [unrolled: 3-line block ×3, first 2 shown]
	s_or_b64 s[84:85], s[0:1], s[2:3]
	s_mov_b32 s20, s36
	v_mov_b32_e32 v46, v5
	s_andn2_b64 exec, exec, s[70:71]
	s_cbranch_execz .LBB82_248
.LBB82_11:                              ; =>This Loop Header: Depth=1
                                        ;     Child Loop BB82_16 Depth 2
                                        ;     Child Loop BB82_37 Depth 2
	;; [unrolled: 1-line block ×18, first 2 shown]
	ds_read_b64 v[2:3], v21 offset:4104
	s_waitcnt lgkmcnt(0)
	v_readfirstlane_b32 s21, v2
	s_cmp_lg_u32 s21, 0
	s_cbranch_scc1 .LBB82_54
; %bb.12:                               ;   in Loop: Header=BB82_11 Depth=1
	v_readlane_b32 s0, v81, 26
	v_readlane_b32 s1, v81, 27
	s_and_b64 vcc, exec, s[0:1]
	s_cbranch_vccz .LBB82_24
; %bb.13:                               ;   in Loop: Header=BB82_11 Depth=1
	s_movk_i32 s0, 0xc01
	v_cmp_gt_u32_e32 vcc, s0, v3
	s_mov_b64 s[8:9], 0
	s_mov_b64 s[0:1], 0
	s_cbranch_vccz .LBB82_25
; %bb.14:                               ;   in Loop: Header=BB82_11 Depth=1
	v_readlane_b32 s0, v81, 28
	v_readlane_b32 s1, v81, 29
	s_nop 4
	global_load_ushort v2, v21, s[0:1]
	global_load_ubyte v4, v[22:23], off
	s_mov_b64 s[26:27], 0
	v_mov_b32_e32 v6, v0
	s_waitcnt vmcnt(1)
	v_add_u32_e32 v5, v0, v2
	v_mul_lo_u32 v3, s66, v2
	v_mul_lo_u32 v5, s66, v5
	s_branch .LBB82_16
.LBB82_15:                              ;   in Loop: Header=BB82_16 Depth=2
	s_or_b64 exec, exec, s[2:3]
	v_add_u32_e32 v5, v5, v3
	v_mov_b32_e32 v4, v7
	s_andn2_b64 exec, exec, s[26:27]
	s_cbranch_execz .LBB82_31
.LBB82_16:                              ;   Parent Loop BB82_11 Depth=1
                                        ; =>  This Inner Loop Header: Depth=2
	v_add_u32_e32 v6, v6, v2
	v_cmp_gt_u32_e64 s[0:1], s64, v6
	v_cmp_le_u32_e32 vcc, s64, v6
	s_waitcnt lgkmcnt(0)
	v_mov_b32_e32 v8, 0
	v_mov_b32_e32 v7, 0
	s_and_saveexec_b64 s[2:3], s[0:1]
	s_cbranch_execz .LBB82_18
; %bb.17:                               ;   in Loop: Header=BB82_16 Depth=2
	global_load_ubyte v7, v5, s[82:83]
.LBB82_18:                              ;   in Loop: Header=BB82_16 Depth=2
	s_or_b64 exec, exec, s[2:3]
	s_waitcnt vmcnt(0)
	v_add_u32_sdwa v9, sext(v4), s79 dst_sel:DWORD dst_unused:UNUSED_PAD src0_sel:BYTE_0 src1_sel:DWORD
	v_and_b32_e32 v9, v9, v44
	v_cmp_eq_u32_e64 s[0:1], v9, v38
	s_cmp_lg_u64 s[0:1], 0
	s_cselect_b64 s[2:3], -1, 0
	s_and_b64 s[2:3], s[4:5], s[2:3]
	s_and_saveexec_b64 s[28:29], s[2:3]
	s_cbranch_execz .LBB82_22
; %bb.19:                               ;   in Loop: Header=BB82_16 Depth=2
	s_mov_b64 s[34:35], exec
	v_mbcnt_lo_u32_b32 v8, s34, 0
	v_mbcnt_hi_u32_b32 v8, s35, v8
	s_bcnt1_i32_b64 s21, s[0:1]
	v_cmp_eq_u32_e64 s[2:3], 0, v8
                                        ; implicit-def: $vgpr9
	s_and_saveexec_b64 s[30:31], s[2:3]
; %bb.20:                               ;   in Loop: Header=BB82_16 Depth=2
	s_bcnt1_i32_b64 s2, s[34:35]
	s_mul_i32 s2, s21, s2
	v_mov_b32_e32 v9, s2
	ds_add_rtn_u32 v9, v21, v9 offset:4112
; %bb.21:                               ;   in Loop: Header=BB82_16 Depth=2
	s_or_b64 exec, exec, s[30:31]
	s_waitcnt lgkmcnt(0)
	v_readfirstlane_b32 s2, v9
	s_nop 1
	v_mov_b32_e32 v9, s2
	v_mad_u32_u24 v8, s21, v8, v9
.LBB82_22:                              ;   in Loop: Header=BB82_16 Depth=2
	s_or_b64 exec, exec, s[28:29]
	ds_bpermute_b32 v8, v19, v8
	s_and_b64 s[2:3], exec, vcc
	s_or_b64 s[26:27], s[2:3], s[26:27]
	s_and_saveexec_b64 s[2:3], s[0:1]
	s_cbranch_execz .LBB82_15
; %bb.23:                               ;   in Loop: Header=BB82_16 Depth=2
	v_and_b32_e32 v10, s0, v24
	v_and_b32_e32 v9, s1, v1
	v_bcnt_u32_b32 v10, v10, 0
	v_bcnt_u32_b32 v9, v9, v10
	s_waitcnt lgkmcnt(0)
	v_add_u32_e32 v8, v8, v9
	ds_write_b8 v8, v4
	s_branch .LBB82_15
.LBB82_24:                              ;   in Loop: Header=BB82_11 Depth=1
	s_mov_b64 s[8:9], -1
	s_mov_b64 s[0:1], 0
.LBB82_25:                              ;   in Loop: Header=BB82_11 Depth=1
	s_and_b64 vcc, exec, s[8:9]
	s_cbranch_vccz .LBB82_52
.LBB82_26:                              ;   in Loop: Header=BB82_11 Depth=1
	s_mov_b64 s[2:3], exec
	v_readlane_b32 s0, v81, 23
	v_readlane_b32 s1, v81, 24
	s_and_b64 s[0:1], s[2:3], s[0:1]
	s_mov_b64 exec, s[0:1]
	s_cbranch_execz .LBB82_49
; %bb.27:                               ;   in Loop: Header=BB82_11 Depth=1
	v_readlane_b32 s0, v81, 28
	v_readlane_b32 s1, v81, 29
	s_nop 4
	global_load_ushort v2, v21, s[0:1]
	global_load_ubyte v20, v[22:23], off
	v_mov_b32_e32 v3, v0
	s_waitcnt vmcnt(1)
	v_readfirstlane_b32 s21, v2
	v_add_u32_e32 v2, v0, v2
	v_cmp_gt_u32_e32 vcc, s64, v2
	s_and_saveexec_b64 s[26:27], vcc
	s_cbranch_execz .LBB82_48
; %bb.28:                               ;   in Loop: Header=BB82_11 Depth=1
	v_readlane_b32 s28, v81, 30
	s_mov_b64 s[0:1], 0
	s_mul_i32 s34, s66, s21
	v_readlane_b32 s29, v81, 31
                                        ; implicit-def: $vgpr3
                                        ; implicit-def: $vgpr4
                                        ; implicit-def: $vgpr5
	s_and_saveexec_b64 s[8:9], s[28:29]
	s_xor_b64 s[28:29], exec, s[8:9]
	s_cbranch_execnz .LBB82_34
; %bb.29:                               ;   in Loop: Header=BB82_11 Depth=1
	s_andn2_saveexec_b64 s[8:9], s[28:29]
	s_cbranch_execnz .LBB82_43
.LBB82_30:                              ;   in Loop: Header=BB82_11 Depth=1
	s_or_b64 exec, exec, s[8:9]
	s_and_saveexec_b64 s[8:9], s[0:1]
	s_cbranch_execnz .LBB82_44
	s_branch .LBB82_47
.LBB82_31:                              ;   in Loop: Header=BB82_11 Depth=1
	s_or_b64 exec, exec, s[26:27]
	s_waitcnt lgkmcnt(0)
	s_barrier
	s_mov_b64 s[0:1], exec
	v_readlane_b32 s2, v81, 6
	v_readlane_b32 s3, v81, 7
	s_and_b64 s[2:3], s[0:1], s[2:3]
	s_mov_b64 exec, s[2:3]
	s_cbranch_execz .LBB82_33
; %bb.32:                               ;   in Loop: Header=BB82_11 Depth=1
	ds_read_b32 v2, v21 offset:4112
	s_waitcnt lgkmcnt(0)
	ds_write_b32 v21, v2 offset:4104
.LBB82_33:                              ;   in Loop: Header=BB82_11 Depth=1
	s_or_b64 exec, exec, s[0:1]
	s_waitcnt lgkmcnt(0)
	s_barrier
	s_mov_b64 s[0:1], -1
	s_and_b64 vcc, exec, s[8:9]
	s_cbranch_vccnz .LBB82_26
	s_branch .LBB82_52
.LBB82_34:                              ;   in Loop: Header=BB82_11 Depth=1
	v_cvt_f32_u32_e32 v3, s21
	v_add_u32_e32 v4, s21, v2
	v_max_u32_e32 v4, s64, v4
	s_lshl_b32 s0, s21, 1
	v_rcp_iflag_f32_e32 v3, v3
	v_sub_u32_e32 v4, v4, v0
	v_cmp_ne_u32_e32 vcc, s0, v4
	s_sub_i32 s1, 0, s21
	v_mul_f32_e32 v3, 0x4f7ffffe, v3
	v_cvt_u32_f32_e32 v3, v3
	v_cndmask_b32_e64 v5, 0, 1, vcc
	v_or_b32_e32 v5, s0, v5
	v_sub_u32_e32 v4, v4, v5
	v_mul_lo_u32 v5, s1, v3
	v_mul_hi_u32 v5, v3, v5
	v_add_u32_e32 v3, v3, v5
	v_mul_hi_u32 v3, v4, v3
	v_mul_lo_u32 v5, v3, s21
	v_sub_u32_e32 v4, v4, v5
	v_add_u32_e32 v5, 1, v3
	v_cmp_le_u32_e64 s[0:1], s21, v4
	s_nop 1
	v_cndmask_b32_e64 v3, v3, v5, s[0:1]
	v_subrev_u32_e32 v5, s21, v4
	v_cndmask_b32_e64 v4, v4, v5, s[0:1]
	v_add_u32_e32 v5, 1, v3
	v_cmp_le_u32_e64 s[0:1], s21, v4
	v_mul_lo_u32 v4, s66, v2
	s_nop 0
	v_cndmask_b32_e64 v3, v3, v5, s[0:1]
	v_addc_co_u32_e32 v3, vcc, 0, v3, vcc
	s_abs_i32 s0, s34
	v_mul_hi_u32 v5, s0, v3
	v_mul_lo_u32 v3, s0, v3
	s_not_b32 s0, s34
	s_ashr_i32 s0, s0, 31
	s_cmp_eq_u32 s21, 1
	v_cmp_eq_u32_e32 vcc, 0, v5
	v_xor_b32_e32 v4, s0, v4
	s_cselect_b64 s[8:9], -1, 0
	v_cmp_le_u32_e64 s[0:1], v3, v4
	s_and_b64 s[8:9], vcc, s[8:9]
	s_and_b64 s[30:31], s[8:9], s[0:1]
	s_mov_b64 s[8:9], -1
	v_mov_b32_e32 v4, v0
                                        ; implicit-def: $vgpr3
	s_and_saveexec_b64 s[0:1], s[30:31]
	s_cbranch_execz .LBB82_42
; %bb.35:                               ;   in Loop: Header=BB82_11 Depth=1
	v_add_u32_e32 v9, 7, v2
	v_add_u32_e32 v8, 6, v2
	;; [unrolled: 1-line block ×7, first 2 shown]
	v_mov_b64_e32 v[16:17], v[8:9]
	s_waitcnt vmcnt(0)
	v_lshlrev_b32_e32 v47, 24, v20
	v_mov_b32_e32 v49, 0
	v_mov_b64_e32 v[14:15], v[6:7]
	v_mov_b64_e32 v[12:13], v[4:5]
	;; [unrolled: 1-line block ×3, first 2 shown]
                                        ; implicit-def: $vgpr20
	s_mov_b64 s[8:9], exec
	v_readlane_b32 s30, v81, 32
	v_readlane_b32 s31, v81, 33
	s_and_b64 s[30:31], s[8:9], s[30:31]
	s_mov_b64 exec, s[30:31]
	s_cbranch_execz .LBB82_39
; %bb.36:                               ;   in Loop: Header=BB82_11 Depth=1
	v_mov_b64_e32 v[16:17], v[8:9]
	s_mov_b32 s35, 0
	s_mov_b64 s[30:31], 0
	v_mov_b32_e32 v48, v32
	v_mov_b64_e32 v[14:15], v[6:7]
	v_mov_b64_e32 v[12:13], v[4:5]
	;; [unrolled: 1-line block ×3, first 2 shown]
	s_mov_b32 s36, 0xc0c0007
.LBB82_37:                              ;   Parent Loop BB82_11 Depth=1
                                        ; =>  This Inner Loop Header: Depth=2
	v_mul_lo_u32 v6, v16, s63
	v_mul_lo_u32 v8, v15, s23
	;; [unrolled: 1-line block ×6, first 2 shown]
	v_mov_b32_e32 v57, v21
	v_mov_b32_e32 v55, v21
	;; [unrolled: 1-line block ×5, first 2 shown]
	v_add_u32_e32 v49, 8, v11
	v_add_u32_e32 v51, 8, v12
	;; [unrolled: 1-line block ×7, first 2 shown]
	v_mul_lo_u32 v4, v17, s90
	v_mul_lo_u32 v58, v11, s91
	v_mov_b32_e32 v59, v21
	v_mov_b32_e32 v5, v21
	v_add_u32_e32 v3, 8, v10
	v_mov_b32_e32 v61, v21
	v_mov_b32_e32 v63, v21
	;; [unrolled: 1-line block ×5, first 2 shown]
	v_lshl_add_u64 v[74:75], s[82:83], 0, v[20:21]
	v_lshl_add_u64 v[56:57], s[82:83], 0, v[56:57]
	v_lshl_add_u64 v[54:55], s[82:83], 0, v[54:55]
	v_lshl_add_u64 v[52:53], s[82:83], 0, v[52:53]
	v_lshl_add_u64 v[8:9], s[82:83], 0, v[8:9]
	v_lshl_add_u64 v[6:7], s[82:83], 0, v[6:7]
	v_mul_lo_u32 v72, v68, s90
	v_mul_lo_u32 v70, v66, s63
	;; [unrolled: 1-line block ×7, first 2 shown]
	v_mov_b32_e32 v71, v21
	v_mov_b32_e32 v73, v21
	v_lshl_add_u64 v[58:59], s[82:83], 0, v[58:59]
	v_lshl_add_u64 v[4:5], s[82:83], 0, v[4:5]
	v_mul_lo_u32 v20, v3, s81
	global_load_ubyte v3, v[52:53], off
	global_load_ubyte v51, v[6:7], off
	;; [unrolled: 1-line block ×7, first 2 shown]
	s_nop 0
	global_load_ubyte v74, v[74:75], off
	v_lshl_add_u64 v[6:7], s[82:83], 0, v[60:61]
	v_lshl_add_u64 v[8:9], s[82:83], 0, v[62:63]
	;; [unrolled: 1-line block ×8, first 2 shown]
	global_load_ubyte v52, v[52:53], off
	s_nop 0
	global_load_ubyte v53, v[54:55], off
	s_nop 0
	global_load_ubyte v54, v[58:59], off
	global_load_ubyte v20, v[60:61], off
	;; [unrolled: 1-line block ×3, first 2 shown]
	s_nop 0
	global_load_ubyte v56, v[4:5], off
	s_nop 0
	global_load_ubyte v8, v[8:9], off
	;; [unrolled: 2-line block ×3, first 2 shown]
	v_add_u32_e32 v48, -2, v48
	v_add_u32_e32 v9, s35, v0
	s_add_i32 s35, s35, 16
	v_cmp_eq_u32_e32 vcc, 0, v48
	v_add_u32_e32 v17, 16, v17
	v_add_u32_e32 v16, 16, v16
	;; [unrolled: 1-line block ×8, first 2 shown]
	v_mov_b32_e32 v49, s35
	s_or_b64 s[30:31], vcc, s[30:31]
	s_waitcnt vmcnt(12)
	v_perm_b32 v4, v77, v51, s33
	s_waitcnt vmcnt(11)
	v_perm_b32 v3, v78, v3, s33
	v_lshl_or_b32 v5, v4, 16, v3
	s_waitcnt vmcnt(9)
	v_perm_b32 v7, v80, v79, s33
	s_waitcnt vmcnt(8)
	v_perm_b32 v47, v47, v74, s36
	v_lshl_or_b32 v4, v7, 16, v47
	s_waitcnt vmcnt(6)
	v_perm_b32 v3, v52, v53, s33
	s_waitcnt vmcnt(4)
	v_perm_b32 v51, v54, v20, s33
	s_waitcnt vmcnt(3)
	v_perm_b32 v7, v55, v54, s33
	s_waitcnt vmcnt(2)
	v_perm_b32 v47, v76, v56, s33
	v_lshl_or_b32 v7, v7, 16, v3
	s_waitcnt vmcnt(0)
	v_perm_b32 v6, v6, v8, s33
	v_perm_b32 v8, v53, v55, s33
	v_lshl_or_b32 v6, v6, 16, v47
	v_lshl_or_b32 v47, v51, 16, v8
	ds_write_b128 v9, v[4:7]
	s_andn2_b64 exec, exec, s[30:31]
	s_cbranch_execnz .LBB82_37
; %bb.38:                               ;   in Loop: Header=BB82_11 Depth=1
	s_or_b64 exec, exec, s[30:31]
.LBB82_39:                              ;   in Loop: Header=BB82_11 Depth=1
	s_or_b64 exec, exec, s[8:9]
	s_mov_b64 s[8:9], exec
	v_readlane_b32 s30, v81, 34
	v_readlane_b32 s31, v81, 35
	s_and_b64 s[30:31], s[8:9], s[30:31]
	s_mov_b64 exec, s[30:31]
	s_cbranch_execz .LBB82_41
; %bb.40:                               ;   in Loop: Header=BB82_11 Depth=1
	v_mul_lo_u32 v4, v16, s63
	v_mul_lo_u32 v6, v15, s23
	;; [unrolled: 1-line block ×3, first 2 shown]
	v_mov_b32_e32 v9, v21
	v_mov_b32_e32 v7, v21
	;; [unrolled: 1-line block ×3, first 2 shown]
	v_mul_lo_u32 v14, v13, s61
	v_mul_lo_u32 v12, v12, s60
	;; [unrolled: 1-line block ×4, first 2 shown]
	v_mov_b32_e32 v53, v21
	v_mov_b32_e32 v13, v21
	;; [unrolled: 1-line block ×3, first 2 shown]
	v_lshl_add_u64 v[8:9], s[82:83], 0, v[8:9]
	v_lshl_add_u64 v[6:7], s[82:83], 0, v[6:7]
	;; [unrolled: 1-line block ×3, first 2 shown]
	v_mul_lo_u32 v16, v17, s90
	v_mov_b32_e32 v17, v21
	v_lshl_add_u64 v[10:11], s[82:83], 0, v[20:21]
	v_lshl_add_u64 v[52:53], s[82:83], 0, v[52:53]
	;; [unrolled: 1-line block ×5, first 2 shown]
	global_load_ubyte v3, v[8:9], off
	s_nop 0
	global_load_ubyte v4, v[4:5], off
	s_nop 0
	global_load_ubyte v20, v[16:17], off
	global_load_ubyte v5, v[6:7], off
	s_nop 0
	global_load_ubyte v6, v[14:15], off
	global_load_ubyte v7, v[12:13], off
	;; [unrolled: 1-line block ×4, first 2 shown]
	s_mov_b32 s30, 0xc0c0007
	s_waitcnt vmcnt(4)
	v_perm_b32 v4, v5, v4, s33
	s_waitcnt vmcnt(3)
	v_perm_b32 v3, v6, v3, s33
	v_lshl_or_b32 v5, v4, 16, v3
	s_waitcnt vmcnt(1)
	v_perm_b32 v6, v8, v7, s33
	s_waitcnt vmcnt(0)
	v_perm_b32 v7, v47, v9, s30
	v_lshl_or_b32 v4, v6, 16, v7
	v_add_u32_e32 v3, v0, v49
	ds_write_b64 v3, v[4:5]
.LBB82_41:                              ;   in Loop: Header=BB82_11 Depth=1
	s_or_b64 exec, exec, s[8:9]
	v_readlane_b32 s8, v81, 36
	v_add_u32_e32 v2, v2, v30
	v_readlane_b32 s9, v81, 37
	v_add_u32_e32 v3, -1, v2
	s_orn2_b64 s[8:9], s[8:9], exec
	v_mov_b32_e32 v4, v31
.LBB82_42:                              ;   in Loop: Header=BB82_11 Depth=1
	s_or_b64 exec, exec, s[0:1]
	v_mov_b32_e32 v5, s34
	s_and_b64 s[0:1], s[8:9], exec
	s_andn2_saveexec_b64 s[8:9], s[28:29]
	s_cbranch_execz .LBB82_30
.LBB82_43:                              ;   in Loop: Header=BB82_11 Depth=1
	v_mov_b32_e32 v5, s34
	s_or_b64 s[0:1], s[0:1], exec
	v_mov_b32_e32 v4, v0
	s_or_b64 exec, exec, s[8:9]
	s_and_saveexec_b64 s[8:9], s[0:1]
	s_cbranch_execz .LBB82_47
.LBB82_44:                              ;   in Loop: Header=BB82_11 Depth=1
	s_sub_i32 s28, 0, s21
	v_mul_lo_u32 v3, s66, v2
	s_mov_b64 s[0:1], 0
.LBB82_45:                              ;   Parent Loop BB82_11 Depth=1
                                        ; =>  This Inner Loop Header: Depth=2
	global_load_ubyte v6, v3, s[82:83]
	v_mov_b32_e32 v7, v2
	v_add_u32_e32 v2, s21, v7
	v_cmp_le_u32_e32 vcc, s64, v2
	s_waitcnt vmcnt(1)
	ds_write_b8 v4, v20
	v_add_u32_e32 v3, v3, v5
	v_mov_b32_e32 v4, v7
	s_or_b64 s[0:1], vcc, s[0:1]
	s_waitcnt vmcnt(0)
	v_mov_b32_e32 v20, v6
	s_andn2_b64 exec, exec, s[0:1]
	s_cbranch_execnz .LBB82_45
; %bb.46:                               ;   in Loop: Header=BB82_11 Depth=1
	s_or_b64 exec, exec, s[0:1]
	v_add_u32_e32 v3, s28, v2
	v_mov_b32_e32 v20, v6
.LBB82_47:                              ;   in Loop: Header=BB82_11 Depth=1
	s_or_b64 exec, exec, s[8:9]
.LBB82_48:                              ;   in Loop: Header=BB82_11 Depth=1
	s_or_b64 exec, exec, s[26:27]
	s_waitcnt vmcnt(0)
	ds_write_b8 v3, v20
.LBB82_49:                              ;   in Loop: Header=BB82_11 Depth=1
	s_or_b64 exec, exec, s[2:3]
	s_waitcnt lgkmcnt(0)
	s_barrier
	s_mov_b64 s[0:1], exec
	v_readlane_b32 s2, v81, 6
	v_readlane_b32 s3, v81, 7
	s_and_b64 s[2:3], s[0:1], s[2:3]
	s_mov_b64 exec, s[2:3]
; %bb.50:                               ;   in Loop: Header=BB82_11 Depth=1
	ds_write_b32 v21, v50 offset:4104
; %bb.51:                               ;   in Loop: Header=BB82_11 Depth=1
	s_or_b64 exec, exec, s[0:1]
	s_mov_b64 s[0:1], -1
	s_waitcnt lgkmcnt(0)
	s_barrier
.LBB82_52:                              ;   in Loop: Header=BB82_11 Depth=1
	s_mov_b32 s21, 0
	s_and_b64 vcc, exec, s[0:1]
	s_cbranch_vccz .LBB82_54
; %bb.53:                               ;   in Loop: Header=BB82_11 Depth=1
	ds_read_b32 v2, v21 offset:4104
	s_waitcnt lgkmcnt(0)
	v_readfirstlane_b32 s21, v2
.LBB82_54:                              ;   in Loop: Header=BB82_11 Depth=1
	s_cmp_lt_i32 s21, 1
	s_mov_b64 s[0:1], -1
                                        ; implicit-def: $vgpr5
	s_cbranch_scc1 .LBB82_64
; %bb.55:                               ;   in Loop: Header=BB82_11 Depth=1
	s_and_b64 vcc, exec, s[0:1]
	s_cbranch_vccnz .LBB82_75
.LBB82_56:                              ;   in Loop: Header=BB82_11 Depth=1
	s_lshl_b32 s8, s20, 6
	s_and_saveexec_b64 s[0:1], s[4:5]
.LBB82_57:                              ;   in Loop: Header=BB82_11 Depth=1
	v_lshl_add_u32 v6, s8, 2, v29
	ds_write_b128 v6, v[2:5]
.LBB82_58:                              ;   in Loop: Header=BB82_11 Depth=1
	s_or_b64 exec, exec, s[0:1]
	s_waitcnt lgkmcnt(0)
	s_barrier
	s_and_saveexec_b64 s[0:1], s[88:89]
	s_cbranch_execz .LBB82_92
; %bb.59:                               ;   in Loop: Header=BB82_11 Depth=1
	v_add_u32_e32 v4, s8, v28
	s_andn2_b64 vcc, exec, s[92:93]
	v_mov_b32_e32 v2, 0
	s_cbranch_vccnz .LBB82_91
; %bb.60:                               ;   in Loop: Header=BB82_11 Depth=1
	v_readlane_b32 s2, v81, 38
	v_readlane_b32 s3, v81, 39
	s_andn2_b64 vcc, exec, s[2:3]
	s_cbranch_vccnz .LBB82_84
; %bb.61:                               ;   in Loop: Header=BB82_11 Depth=1
	v_readlane_b32 s2, v81, 40
	v_readlane_b32 s3, v81, 41
	s_andn2_b64 vcc, exec, s[2:3]
	v_lshl_add_u32 v5, v4, 2, v42
	s_cbranch_vccnz .LBB82_85
; %bb.62:                               ;   in Loop: Header=BB82_11 Depth=1
	s_mov_b32 s3, 1
	s_mov_b32 s2, 0
	v_mov_b32_e32 v2, 0
	v_mov_b32_e32 v3, 0
	v_readlane_b32 s9, v81, 42
.LBB82_63:                              ;   Parent Loop BB82_11 Depth=1
                                        ; =>  This Inner Loop Header: Depth=2
	v_lshl_add_u32 v20, s2, 4, v5
	v_lshl_add_u32 v47, s3, 4, v5
	ds_read2_b32 v[6:7], v20 offset1:8
	ds_read2_b32 v[8:9], v47 offset1:8
	ds_read2_b32 v[10:11], v20 offset0:16 offset1:24
	ds_read2_b32 v[12:13], v47 offset0:16 offset1:24
	;; [unrolled: 1-line block ×6, first 2 shown]
	s_waitcnt lgkmcnt(7)
	v_add3_u32 v2, v6, v2, v7
	s_waitcnt lgkmcnt(6)
	v_add3_u32 v3, v8, v3, v9
	;; [unrolled: 2-line block ×3, first 2 shown]
	v_add3_u32 v2, v10, v2, v11
	s_add_i32 s3, s3, 16
	s_add_i32 s2, s2, 16
	s_add_i32 s9, s9, -8
	s_waitcnt lgkmcnt(3)
	v_add3_u32 v2, v14, v2, v15
	s_waitcnt lgkmcnt(2)
	v_add3_u32 v3, v16, v3, v17
	s_cmp_lg_u32 s9, 0
	s_waitcnt lgkmcnt(0)
	v_add3_u32 v3, v52, v3, v53
	v_add3_u32 v2, v48, v2, v49
	s_cbranch_scc1 .LBB82_63
	s_branch .LBB82_86
.LBB82_64:                              ;   in Loop: Header=BB82_11 Depth=1
	v_mov_b32_e32 v2, 0
	v_mov_b32_e32 v3, 0
	;; [unrolled: 1-line block ×4, first 2 shown]
	s_and_saveexec_b64 s[86:87], s[16:17]
	s_cbranch_execz .LBB82_68
; %bb.65:                               ;   in Loop: Header=BB82_11 Depth=1
	s_mov_b32 s90, 0
	s_mov_b64 s[8:9], 0
	s_mov_b32 s91, 0
	s_mov_b32 s81, 0
	s_mov_b32 s68, 0
	s_mov_b32 s69, 0
	v_mov_b32_e32 v6, v25
.LBB82_66:                              ;   Parent Loop BB82_11 Depth=1
                                        ; =>  This Inner Loop Header: Depth=2
	v_add_u32_e32 v2, s90, v37
	v_add_u32_e32 v3, s90, v34
	;; [unrolled: 1-line block ×4, first 2 shown]
	global_load_sbyte v2, v2, s[82:83]
	s_nop 0
	global_load_sbyte v3, v3, s[82:83]
	s_nop 0
	;; [unrolled: 2-line block ×3, first 2 shown]
	global_load_sbyte v5, v5, s[82:83]
	v_add_u32_e32 v6, s65, v6
	s_add_i32 s90, s90, s78
	v_cmp_le_u32_e32 vcc, s95, v6
	s_waitcnt vmcnt(3)
	v_add_u32_e32 v2, 0x80, v2
	s_waitcnt vmcnt(2)
	v_add_u32_e32 v3, 0x80, v3
	v_and_b32_e32 v7, v2, v44
	v_bfe_u32 v2, v2, v41, 2
	s_waitcnt vmcnt(1)
	v_add_u32_e32 v4, 0x80, v4
	v_and_b32_e32 v8, v3, v44
	v_bfe_u32 v3, v3, v41, 2
	v_cmp_eq_u32_e64 s[0:1], v7, v38
	v_cmp_eq_u32_e64 s[30:31], 0, v2
	s_waitcnt vmcnt(0)
	v_add_u32_e32 v5, 0x80, v5
	v_and_b32_e32 v9, v4, v44
	v_bfe_u32 v4, v4, v41, 2
	v_cmp_eq_u32_e64 s[2:3], v8, v38
	v_cmp_eq_u32_e64 s[34:35], 0, v3
	s_and_b64 s[30:31], s[0:1], s[30:31]
	v_and_b32_e32 v10, v5, v44
	v_bfe_u32 v5, v5, v41, 2
	v_cmp_eq_u32_e64 s[26:27], v9, v38
	v_cmp_eq_u32_e64 s[36:37], 0, v4
	;; [unrolled: 1-line block ×5, first 2 shown]
	v_cndmask_b32_e64 v2, 0, 1, s[30:31]
	s_and_b64 s[30:31], s[2:3], s[34:35]
	v_cmp_eq_u32_e64 s[28:29], v10, v38
	v_cmp_eq_u32_e64 s[38:39], 0, v5
	;; [unrolled: 1-line block ×5, first 2 shown]
	v_cndmask_b32_e64 v3, 0, 1, s[30:31]
	s_and_b64 s[30:31], s[26:27], s[36:37]
	v_cmp_eq_u32_e64 s[44:45], 1, v4
	v_cmp_eq_u32_e64 s[52:53], 2, v4
	;; [unrolled: 1-line block ×3, first 2 shown]
	v_cndmask_b32_e64 v4, 0, 1, s[30:31]
	s_and_b64 s[30:31], s[28:29], s[38:39]
	v_cmp_eq_u32_e64 s[46:47], 1, v5
	v_cmp_eq_u32_e64 s[54:55], 2, v5
	;; [unrolled: 1-line block ×3, first 2 shown]
	v_cndmask_b32_e64 v5, 0, 1, s[30:31]
	s_and_b64 s[30:31], s[0:1], s[40:41]
	v_cndmask_b32_e64 v7, 0, 1, s[30:31]
	s_and_b64 s[30:31], s[2:3], s[42:43]
	;; [unrolled: 2-line block ×5, first 2 shown]
	s_and_b64 s[0:1], s[0:1], s[56:57]
	v_cndmask_b32_e64 v11, 0, 1, s[30:31]
	s_and_b64 s[30:31], s[2:3], s[50:51]
	v_cndmask_b32_e64 v15, 0, 1, s[0:1]
	;; [unrolled: 2-line block ×7, first 2 shown]
	v_cndmask_b32_e64 v20, 0, 1, s[0:1]
	v_cmp_ne_u32_e64 s[0:1], 0, v2
	v_cmp_ne_u32_e64 s[2:3], 0, v3
	;; [unrolled: 1-line block ×11, first 2 shown]
	s_bcnt1_i32_b64 s0, s[0:1]
	s_bcnt1_i32_b64 s1, s[2:3]
	;; [unrolled: 1-line block ×8, first 2 shown]
	v_cmp_ne_u32_e64 s[38:39], 0, v10
	v_cmp_ne_u32_e64 s[44:45], 0, v13
	;; [unrolled: 1-line block ×3, first 2 shown]
	s_bcnt1_i32_b64 s27, s[34:35]
	s_bcnt1_i32_b64 s31, s[42:43]
	;; [unrolled: 1-line block ×3, first 2 shown]
	s_add_i32 s0, s69, s0
	s_add_i32 s26, s68, s26
	s_add_i32 s30, s81, s30
	s_add_i32 s36, s91, s36
	v_cmp_ne_u32_e64 s[46:47], 0, v14
	v_cmp_ne_u32_e64 s[54:55], 0, v20
	s_bcnt1_i32_b64 s29, s[38:39]
	s_bcnt1_i32_b64 s34, s[44:45]
	;; [unrolled: 1-line block ×3, first 2 shown]
	s_add_i32 s0, s0, s1
	s_add_i32 s1, s26, s27
	;; [unrolled: 1-line block ×4, first 2 shown]
	s_bcnt1_i32_b64 s35, s[46:47]
	s_bcnt1_i32_b64 s39, s[54:55]
	s_add_i32 s0, s0, s2
	s_add_i32 s1, s1, s28
	s_add_i32 s2, s26, s34
	s_add_i32 s26, s27, s38
	s_add_i32 s69, s0, s3
	s_add_i32 s68, s1, s29
	s_add_i32 s81, s2, s35
	s_add_i32 s91, s26, s39
	s_or_b64 s[8:9], vcc, s[8:9]
	v_mov_b32_e32 v2, s69
	v_mov_b32_e32 v3, s68
	;; [unrolled: 1-line block ×4, first 2 shown]
	s_andn2_b64 exec, exec, s[8:9]
	s_cbranch_execnz .LBB82_66
; %bb.67:                               ;   in Loop: Header=BB82_11 Depth=1
	s_or_b64 exec, exec, s[8:9]
	s_mov_b32 s81, s24
	s_mov_b32 s91, s25
	;; [unrolled: 1-line block ×8, first 2 shown]
.LBB82_68:                              ;   in Loop: Header=BB82_11 Depth=1
	s_or_b64 exec, exec, s[86:87]
	s_and_saveexec_b64 s[2:3], s[18:19]
	s_cbranch_execz .LBB82_74
; %bb.69:                               ;   in Loop: Header=BB82_11 Depth=1
	global_load_ubyte v9, v[26:27], off
	s_mov_b64 s[8:9], 0
	v_mov_b32_e32 v6, v39
	v_mov_b32_e32 v7, v33
	s_branch .LBB82_71
.LBB82_70:                              ;   in Loop: Header=BB82_71 Depth=2
	s_or_b64 exec, exec, s[26:27]
	s_waitcnt vmcnt(0)
	v_add_u32_sdwa v9, sext(v9), s79 dst_sel:DWORD dst_unused:UNUSED_PAD src0_sel:BYTE_0 src1_sel:DWORD
	s_and_b64 s[0:1], exec, vcc
	v_and_b32_e32 v10, v9, v44
	v_bfe_u32 v9, v9, v41, 2
	s_or_b64 s[8:9], s[0:1], s[8:9]
	v_cmp_eq_u32_e32 vcc, v10, v38
	v_cmp_eq_u32_e64 s[0:1], 0, v9
	s_and_b64 s[0:1], vcc, s[0:1]
	v_add_u32_e32 v6, s99, v6
	v_cndmask_b32_e64 v10, 0, 1, s[0:1]
	v_cmp_ne_u32_e64 s[0:1], 0, v10
	s_bcnt1_i32_b64 s0, s[0:1]
	s_nop 0
	v_add_u32_e32 v2, s0, v2
	v_cmp_eq_u32_e64 s[0:1], 1, v9
	s_and_b64 s[0:1], vcc, s[0:1]
	s_nop 0
	v_cndmask_b32_e64 v10, 0, 1, s[0:1]
	v_cmp_ne_u32_e64 s[0:1], 0, v10
	s_bcnt1_i32_b64 s0, s[0:1]
	s_nop 0
	v_add_u32_e32 v3, s0, v3
	v_cmp_eq_u32_e64 s[0:1], 2, v9
	s_and_b64 s[0:1], vcc, s[0:1]
	s_nop 0
	v_cndmask_b32_e64 v10, 0, 1, s[0:1]
	v_cmp_ne_u32_e64 s[0:1], 0, v10
	s_bcnt1_i32_b64 s0, s[0:1]
	s_nop 0
	v_add_u32_e32 v4, s0, v4
	v_cmp_eq_u32_e64 s[0:1], 3, v9
	s_and_b64 s[0:1], vcc, s[0:1]
	s_nop 0
	v_cndmask_b32_e64 v9, 0, 1, s[0:1]
	v_cmp_ne_u32_e32 vcc, 0, v9
	s_bcnt1_i32_b64 s0, vcc
	v_add_u32_e32 v5, s0, v5
	v_mov_b32_e32 v9, v8
	s_andn2_b64 exec, exec, s[8:9]
	s_cbranch_execz .LBB82_73
.LBB82_71:                              ;   Parent Loop BB82_11 Depth=1
                                        ; =>  This Inner Loop Header: Depth=2
	v_add_u32_e32 v7, s67, v7
	v_cmp_gt_u32_e64 s[0:1], s64, v7
	v_cmp_le_u32_e32 vcc, s64, v7
	v_mov_b32_e32 v8, 0
	s_and_saveexec_b64 s[26:27], s[0:1]
	s_cbranch_execz .LBB82_70
; %bb.72:                               ;   in Loop: Header=BB82_71 Depth=2
	global_load_ubyte v8, v6, s[82:83]
	s_branch .LBB82_70
.LBB82_73:                              ;   in Loop: Header=BB82_11 Depth=1
	s_or_b64 exec, exec, s[8:9]
.LBB82_74:                              ;   in Loop: Header=BB82_11 Depth=1
	s_or_b64 exec, exec, s[2:3]
	s_branch .LBB82_56
.LBB82_75:                              ;   in Loop: Header=BB82_11 Depth=1
	s_mul_hi_u32 s0, s21, s94
	s_mul_i32 s0, s0, s65
	s_sub_i32 s0, s21, s0
	s_sub_i32 s1, s0, s65
	s_cmp_ge_u32 s0, s65
	s_cselect_b32 s0, s1, s0
	s_sub_i32 s1, s0, s65
	s_cmp_ge_u32 s0, s65
	s_cselect_b32 s0, s1, s0
	s_sub_i32 s90, s21, s0
	v_cmp_gt_u32_e32 vcc, s90, v25
	v_mov_b32_e32 v2, 0
	v_mov_b32_e32 v3, 0
	;; [unrolled: 1-line block ×4, first 2 shown]
	s_and_saveexec_b64 s[8:9], vcc
	s_cbranch_execz .LBB82_79
; %bb.76:                               ;   in Loop: Header=BB82_11 Depth=1
	s_mov_b32 s68, 0
	s_mov_b64 s[86:87], 0
	s_mov_b32 s69, 0
	s_mov_b32 s81, 0
	s_mov_b32 s91, 0
	v_mov_b32_e32 v6, v25
.LBB82_77:                              ;   Parent Loop BB82_11 Depth=1
                                        ; =>  This Inner Loop Header: Depth=2
	ds_read_b32 v2, v6
	v_add_u32_e32 v6, s65, v6
	v_cmp_le_u32_e32 vcc, s90, v6
	s_waitcnt lgkmcnt(0)
	v_add_u32_sdwa v3, sext(v2), s79 dst_sel:DWORD dst_unused:UNUSED_PAD src0_sel:BYTE_0 src1_sel:DWORD
	v_add_u32_sdwa v4, sext(v2), s79 dst_sel:DWORD dst_unused:UNUSED_PAD src0_sel:BYTE_1 src1_sel:DWORD
	v_and_b32_e32 v7, v3, v44
	v_bfe_u32 v3, v3, v41, 2
	v_add_u32_sdwa v5, sext(v2), s79 dst_sel:DWORD dst_unused:UNUSED_PAD src0_sel:BYTE_2 src1_sel:DWORD
	v_add_u32_sdwa v2, sext(v2), s79 dst_sel:DWORD dst_unused:UNUSED_PAD src0_sel:BYTE_3 src1_sel:DWORD
	v_and_b32_e32 v8, v4, v44
	v_bfe_u32 v4, v4, v41, 2
	v_cmp_eq_u32_e64 s[0:1], v7, v38
	v_cmp_eq_u32_e64 s[30:31], 0, v3
	v_and_b32_e32 v9, v5, v44
	v_and_b32_e32 v10, v2, v44
	v_bfe_u32 v5, v5, v41, 2
	v_bfe_u32 v2, v2, v41, 2
	v_cmp_eq_u32_e64 s[2:3], v8, v38
	v_cmp_eq_u32_e64 s[34:35], 0, v4
	s_and_b64 s[30:31], s[0:1], s[30:31]
	v_cmp_eq_u32_e64 s[26:27], v9, v38
	v_cmp_eq_u32_e64 s[36:37], 0, v5
	;; [unrolled: 1-line block ×6, first 2 shown]
	v_cndmask_b32_e64 v2, 0, 1, s[30:31]
	s_and_b64 s[30:31], s[2:3], s[34:35]
	v_cmp_eq_u32_e64 s[28:29], v10, v38
	v_cmp_eq_u32_e64 s[40:41], 1, v3
	;; [unrolled: 1-line block ×4, first 2 shown]
	v_cndmask_b32_e64 v3, 0, 1, s[30:31]
	s_and_b64 s[30:31], s[26:27], s[36:37]
	v_cmp_eq_u32_e64 s[42:43], 1, v4
	v_cmp_eq_u32_e64 s[50:51], 2, v4
	v_cmp_eq_u32_e64 s[58:59], 3, v4
	v_cndmask_b32_e64 v4, 0, 1, s[30:31]
	s_and_b64 s[30:31], s[28:29], s[38:39]
	v_cmp_eq_u32_e64 s[44:45], 1, v5
	v_cmp_eq_u32_e64 s[52:53], 2, v5
	;; [unrolled: 1-line block ×3, first 2 shown]
	v_cndmask_b32_e64 v5, 0, 1, s[30:31]
	s_and_b64 s[30:31], s[0:1], s[40:41]
	v_cndmask_b32_e64 v7, 0, 1, s[30:31]
	s_and_b64 s[30:31], s[2:3], s[42:43]
	;; [unrolled: 2-line block ×5, first 2 shown]
	s_and_b64 s[0:1], s[0:1], s[56:57]
	v_cndmask_b32_e64 v11, 0, 1, s[30:31]
	s_and_b64 s[30:31], s[2:3], s[50:51]
	v_cndmask_b32_e64 v15, 0, 1, s[0:1]
	;; [unrolled: 2-line block ×7, first 2 shown]
	v_cndmask_b32_e64 v20, 0, 1, s[0:1]
	v_cmp_ne_u32_e64 s[0:1], 0, v2
	v_cmp_ne_u32_e64 s[2:3], 0, v3
	;; [unrolled: 1-line block ×11, first 2 shown]
	s_bcnt1_i32_b64 s0, s[0:1]
	s_bcnt1_i32_b64 s1, s[2:3]
	;; [unrolled: 1-line block ×8, first 2 shown]
	v_cmp_ne_u32_e64 s[38:39], 0, v10
	v_cmp_ne_u32_e64 s[44:45], 0, v13
	;; [unrolled: 1-line block ×3, first 2 shown]
	s_bcnt1_i32_b64 s27, s[34:35]
	s_bcnt1_i32_b64 s31, s[42:43]
	;; [unrolled: 1-line block ×3, first 2 shown]
	s_add_i32 s0, s91, s0
	s_add_i32 s26, s81, s26
	;; [unrolled: 1-line block ×4, first 2 shown]
	v_cmp_ne_u32_e64 s[46:47], 0, v14
	v_cmp_ne_u32_e64 s[54:55], 0, v20
	s_bcnt1_i32_b64 s29, s[38:39]
	s_bcnt1_i32_b64 s34, s[44:45]
	s_bcnt1_i32_b64 s38, s[52:53]
	s_add_i32 s0, s0, s1
	s_add_i32 s1, s26, s27
	s_add_i32 s26, s30, s31
	s_add_i32 s27, s36, s37
	s_bcnt1_i32_b64 s35, s[46:47]
	s_bcnt1_i32_b64 s39, s[54:55]
	s_add_i32 s0, s0, s2
	s_add_i32 s1, s1, s28
	s_add_i32 s2, s26, s34
	s_add_i32 s26, s27, s38
	s_add_i32 s91, s0, s3
	s_add_i32 s81, s1, s29
	s_add_i32 s69, s2, s35
	s_add_i32 s68, s26, s39
	s_or_b64 s[86:87], vcc, s[86:87]
	v_mov_b32_e32 v2, s91
	v_mov_b32_e32 v3, s81
	;; [unrolled: 1-line block ×4, first 2 shown]
	s_andn2_b64 exec, exec, s[86:87]
	s_cbranch_execnz .LBB82_77
; %bb.78:                               ;   in Loop: Header=BB82_11 Depth=1
	s_or_b64 exec, exec, s[86:87]
	s_mov_b32 s81, s24
	s_mov_b32 s91, s25
	s_mov_b32 s60, s80
	s_mov_b32 s61, s76
	s_mov_b32 s62, s77
	s_mov_b32 s23, s22
	s_mov_b32 s63, s98
.LBB82_79:                              ;   in Loop: Header=BB82_11 Depth=1
	s_or_b64 exec, exec, s[8:9]
	v_add_u32_e32 v6, s90, v0
	v_cmp_gt_u32_e32 vcc, s21, v6
	s_and_saveexec_b64 s[8:9], vcc
	s_mov_b32 s90, s96
	s_cbranch_execz .LBB82_83
; %bb.80:                               ;   in Loop: Header=BB82_11 Depth=1
	s_mov_b64 s[34:35], 0
.LBB82_81:                              ;   Parent Loop BB82_11 Depth=1
                                        ; =>  This Inner Loop Header: Depth=2
	ds_read_i8 v7, v6
	v_add_u32_e32 v6, s67, v6
	v_cmp_le_u32_e32 vcc, s21, v6
	s_waitcnt lgkmcnt(0)
	v_add_u32_e32 v7, 0x80, v7
	v_and_b32_e32 v8, v7, v44
	v_bfe_u32 v7, v7, v41, 2
	v_cmp_eq_u32_e64 s[0:1], v8, v38
	v_cmp_eq_u32_e64 s[2:3], 0, v7
	;; [unrolled: 1-line block ×3, first 2 shown]
	s_and_b64 s[2:3], s[0:1], s[2:3]
	v_cmp_eq_u32_e64 s[28:29], 2, v7
	v_cmp_eq_u32_e64 s[30:31], 3, v7
	v_cndmask_b32_e64 v7, 0, 1, s[2:3]
	s_and_b64 s[2:3], s[0:1], s[26:27]
	v_cndmask_b32_e64 v8, 0, 1, s[2:3]
	s_and_b64 s[2:3], s[0:1], s[28:29]
	s_and_b64 s[0:1], s[0:1], s[30:31]
	v_cndmask_b32_e64 v9, 0, 1, s[2:3]
	v_cndmask_b32_e64 v10, 0, 1, s[0:1]
	v_cmp_ne_u32_e64 s[0:1], 0, v7
	v_cmp_ne_u32_e64 s[2:3], 0, v8
	v_cmp_ne_u32_e64 s[26:27], 0, v9
	v_cmp_ne_u32_e64 s[28:29], 0, v10
	s_bcnt1_i32_b64 s0, s[0:1]
	s_bcnt1_i32_b64 s1, s[2:3]
	;; [unrolled: 1-line block ×4, first 2 shown]
	v_add_u32_e32 v2, s0, v2
	v_add_u32_e32 v3, s1, v3
	;; [unrolled: 1-line block ×3, first 2 shown]
	s_or_b64 s[34:35], vcc, s[34:35]
	v_add_u32_e32 v5, s3, v5
	s_andn2_b64 exec, exec, s[34:35]
	s_cbranch_execnz .LBB82_81
; %bb.82:                               ;   in Loop: Header=BB82_11 Depth=1
	s_or_b64 exec, exec, s[34:35]
.LBB82_83:                              ;   in Loop: Header=BB82_11 Depth=1
	s_or_b64 exec, exec, s[8:9]
	s_lshl_b32 s8, s20, 6
	s_and_saveexec_b64 s[0:1], s[4:5]
	s_cbranch_execnz .LBB82_57
	s_branch .LBB82_58
.LBB82_84:                              ;   in Loop: Header=BB82_11 Depth=1
	v_mov_b32_e32 v2, 0
	s_mov_b32 s9, 0
	s_cbranch_execnz .LBB82_89
	s_branch .LBB82_91
.LBB82_85:                              ;   in Loop: Header=BB82_11 Depth=1
	v_mov_b32_e32 v20, v21
	s_mov_b32 s2, 0
	v_mov_b64_e32 v[2:3], v[20:21]
	s_mov_b32 s3, 1
.LBB82_86:                              ;   in Loop: Header=BB82_11 Depth=1
	v_readlane_b32 s26, v81, 44
	v_readlane_b32 s27, v81, 45
	s_andn2_b64 vcc, exec, s[26:27]
	v_readlane_b32 s9, v81, 43
	s_cbranch_vccnz .LBB82_88
.LBB82_87:                              ;   Parent Loop BB82_11 Depth=1
                                        ; =>  This Inner Loop Header: Depth=2
	v_lshl_add_u32 v6, s2, 4, v5
	v_lshl_add_u32 v7, s3, 4, v5
	ds_read_b32 v7, v7
	ds_read_b32 v6, v6
	s_add_i32 s3, s3, 2
	s_add_i32 s2, s2, 2
	s_add_i32 s9, s9, -1
	s_cmp_lg_u32 s9, 0
	s_waitcnt lgkmcnt(1)
	v_add_u32_e32 v3, v7, v3
	s_waitcnt lgkmcnt(0)
	v_add_u32_e32 v2, v6, v2
	s_cbranch_scc1 .LBB82_87
.LBB82_88:                              ;   in Loop: Header=BB82_11 Depth=1
	v_readlane_b32 s2, v81, 48
	v_add_u32_e32 v2, v2, v3
	v_readlane_b32 s9, v81, 47
	v_readlane_b32 s3, v81, 49
	s_and_b64 vcc, exec, s[2:3]
	s_cbranch_vccz .LBB82_91
.LBB82_89:                              ;   in Loop: Header=BB82_11 Depth=1
	s_lshl_b32 s2, s20, 8
	s_lshl_b32 s3, s9, 4
	s_add_i32 s2, s2, s3
	v_add_u32_e32 v3, s2, v40
	v_readlane_b32 s2, v81, 46
	s_sub_i32 s2, s2, s9
.LBB82_90:                              ;   Parent Loop BB82_11 Depth=1
                                        ; =>  This Inner Loop Header: Depth=2
	ds_read_b32 v5, v3
	s_add_i32 s2, s2, -1
	v_add_u32_e32 v3, 16, v3
	s_cmp_eq_u32 s2, 0
	s_waitcnt lgkmcnt(0)
	v_add_u32_e32 v2, v5, v2
	s_cbranch_scc0 .LBB82_90
.LBB82_91:                              ;   in Loop: Header=BB82_11 Depth=1
	v_lshlrev_b32_e32 v3, 2, v4
	ds_write_b32 v3, v2 offset:3072
.LBB82_92:                              ;   in Loop: Header=BB82_11 Depth=1
	s_or_b64 exec, exec, s[0:1]
	s_lshl_b32 s0, s8, 2
	v_mov_b32_e32 v2, s0
	s_waitcnt lgkmcnt(0)
	s_barrier
	ds_read_b128 v[2:5], v2 offset:3072
	v_cmp_eq_u32_e32 vcc, 1, v46
	s_mov_b64 s[2:3], -1
	s_mov_b64 s[30:31], -1
                                        ; implicit-def: $sgpr28_sgpr29
                                        ; implicit-def: $sgpr8_sgpr9
	s_waitcnt lgkmcnt(0)
	v_readfirstlane_b32 s44, v2
	s_cmp_eq_u32 s44, 1
	v_lshlrev_b32_e64 v2, v41, 3
	s_cselect_b64 s[0:1], -1, 0
	v_readfirstlane_b32 s48, v3
	v_readfirstlane_b32 s56, v4
	;; [unrolled: 1-line block ×3, first 2 shown]
	v_not_b32_e32 v4, v2
	s_and_b64 s[26:27], s[0:1], vcc
	s_and_saveexec_b64 s[0:1], s[26:27]
	s_cbranch_execz .LBB82_118
; %bb.93:                               ;   in Loop: Header=BB82_11 Depth=1
	ds_read_b32 v3, v21 offset:4104
	s_waitcnt lgkmcnt(0)
	s_barrier
	v_readfirstlane_b32 s45, v3
	s_and_saveexec_b64 s[8:9], s[6:7]
; %bb.94:                               ;   in Loop: Header=BB82_11 Depth=1
	ds_write_b8 v0, v21 offset:3072
; %bb.95:                               ;   in Loop: Header=BB82_11 Depth=1
	s_or_b64 exec, exec, s[8:9]
	v_and_b32_e32 v38, v38, v4
	v_or_b32_e32 v44, v44, v2
	s_mov_b64 s[8:9], -1
	s_mov_b64 s[28:29], 0
	s_cmp_eq_u32 s45, 0
	s_mov_b64 s[30:31], 0
	s_mov_b64 s[34:35], -1
	s_waitcnt lgkmcnt(0)
	s_barrier
                                        ; implicit-def: $vgpr45
	s_cbranch_scc1 .LBB82_106
; %bb.96:                               ;   in Loop: Header=BB82_11 Depth=1
	v_readlane_b32 s30, v81, 25
	s_add_i32 s30, s45, s30
	v_readlane_b32 s31, v81, 50
	s_mul_hi_u32 s31, s30, s31
	s_mul_i32 s31, s31, s67
	s_sub_i32 s31, s30, s31
	s_sub_i32 s34, s31, s67
	s_cmp_ge_u32 s31, s67
	s_cselect_b32 s31, s34, s31
	s_sub_i32 s34, s31, s67
	s_cmp_ge_u32 s31, s67
	s_cselect_b32 s31, s34, s31
	s_sub_i32 s46, s30, s31
	v_cmp_gt_u32_e32 vcc, s46, v0
	s_mov_b64 s[34:35], 0
	s_mov_b64 s[30:31], 0
                                        ; implicit-def: $vgpr45
	s_and_saveexec_b64 s[36:37], vcc
	s_cbranch_execz .LBB82_105
; %bb.97:                               ;   in Loop: Header=BB82_11 Depth=1
	v_mov_b32_e32 v3, v0
                                        ; implicit-def: $sgpr38_sgpr39
	s_branch .LBB82_100
.LBB82_98:                              ;   in Loop: Header=BB82_100 Depth=2
	s_or_b64 exec, exec, s[40:41]
	s_waitcnt lgkmcnt(0)
	s_barrier
	ds_read_u16 v5, v21 offset:3072
	s_mov_b64 s[40:41], -1
	s_waitcnt lgkmcnt(0)
	s_barrier
	v_cmp_ne_u32_sdwa s[42:43], v5, v21 src0_sel:BYTE_0 src1_sel:DWORD
	s_and_b64 vcc, exec, s[42:43]
	s_mov_b64 s[42:43], -1
	s_cbranch_vccz .LBB82_103
.LBB82_99:                              ;   in Loop: Header=BB82_100 Depth=2
	s_and_b64 s[40:41], exec, s[40:41]
	s_or_b64 s[30:31], s[40:41], s[30:31]
	s_andn2_b64 s[38:39], s[38:39], exec
	s_and_b64 s[40:41], s[42:43], exec
	s_or_b64 s[38:39], s[38:39], s[40:41]
	s_andn2_b64 exec, exec, s[30:31]
	s_cbranch_execz .LBB82_104
.LBB82_100:                             ;   Parent Loop BB82_11 Depth=1
                                        ; =>  This Inner Loop Header: Depth=2
	v_cmp_gt_u32_e32 vcc, s45, v3
	s_and_saveexec_b64 s[40:41], vcc
	s_cbranch_execz .LBB82_98
; %bb.101:                              ;   in Loop: Header=BB82_100 Depth=2
	ds_read_u8 v5, v3
	s_waitcnt lgkmcnt(0)
	v_add_u32_sdwa v6, sext(v5), s79 dst_sel:DWORD dst_unused:UNUSED_PAD src0_sel:BYTE_0 src1_sel:DWORD
	v_and_b32_e32 v6, v6, v44
	v_cmp_eq_u32_e32 vcc, v6, v38
	s_and_b64 exec, exec, vcc
	s_cbranch_execz .LBB82_98
; %bb.102:                              ;   in Loop: Header=BB82_100 Depth=2
	v_lshlrev_b16_e32 v5, 8, v5
	v_or_b32_e32 v5, 1, v5
	ds_write_b16 v21, v5 offset:3072
	s_branch .LBB82_98
.LBB82_103:                             ;   in Loop: Header=BB82_100 Depth=2
	v_add_u32_e32 v3, s67, v3
	v_cmp_le_u32_e32 vcc, s46, v3
	s_mov_b64 s[42:43], 0
	s_orn2_b64 s[40:41], vcc, exec
	s_branch .LBB82_99
.LBB82_104:                             ;   in Loop: Header=BB82_11 Depth=1
	s_or_b64 exec, exec, s[30:31]
	v_lshrrev_b32_sdwa v45, v43, v5 dst_sel:DWORD dst_unused:UNUSED_PAD src0_sel:DWORD src1_sel:WORD_0
	s_and_b64 s[30:31], s[38:39], exec
.LBB82_105:                             ;   in Loop: Header=BB82_11 Depth=1
	s_or_b64 exec, exec, s[36:37]
.LBB82_106:                             ;   in Loop: Header=BB82_11 Depth=1
	s_and_b64 vcc, exec, s[34:35]
	s_cbranch_vccz .LBB82_117
; %bb.107:                              ;   in Loop: Header=BB82_11 Depth=1
                                        ; implicit-def: $vgpr45
	s_mov_b64 s[8:9], exec
	v_readlane_b32 s28, v81, 51
	v_readlane_b32 s29, v81, 52
	s_and_b64 s[28:29], s[8:9], s[28:29]
	s_mov_b64 exec, s[28:29]
	s_cbranch_execz .LBB82_116
; %bb.108:                              ;   in Loop: Header=BB82_11 Depth=1
	s_mov_b64 s[28:29], 0
	v_mov_b32_e32 v3, v18
	v_mov_b32_e32 v5, v0
                                        ; implicit-def: $sgpr34_sgpr35
	s_branch .LBB82_111
.LBB82_109:                             ;   in Loop: Header=BB82_111 Depth=2
	s_or_b64 exec, exec, s[36:37]
	s_waitcnt lgkmcnt(0)
	s_barrier
	ds_read_u16 v6, v21 offset:3072
	s_mov_b64 s[36:37], -1
	s_waitcnt lgkmcnt(0)
	s_barrier
	v_cmp_ne_u32_sdwa s[38:39], v6, v21 src0_sel:BYTE_0 src1_sel:DWORD
	s_and_b64 vcc, exec, s[38:39]
	s_mov_b64 s[38:39], -1
	s_cbranch_vccz .LBB82_114
.LBB82_110:                             ;   in Loop: Header=BB82_111 Depth=2
	s_and_b64 s[36:37], exec, s[36:37]
	s_or_b64 s[28:29], s[36:37], s[28:29]
	s_andn2_b64 s[34:35], s[34:35], exec
	s_and_b64 s[36:37], s[38:39], exec
	s_or_b64 s[34:35], s[34:35], s[36:37]
	s_andn2_b64 exec, exec, s[28:29]
	s_cbranch_execz .LBB82_115
.LBB82_111:                             ;   Parent Loop BB82_11 Depth=1
                                        ; =>  This Inner Loop Header: Depth=2
	v_cmp_gt_u32_e32 vcc, s64, v5
	s_and_saveexec_b64 s[36:37], vcc
	s_cbranch_execz .LBB82_109
; %bb.112:                              ;   in Loop: Header=BB82_111 Depth=2
	global_load_ubyte v6, v3, s[82:83]
	s_waitcnt vmcnt(0)
	v_add_u32_sdwa v7, sext(v6), s79 dst_sel:DWORD dst_unused:UNUSED_PAD src0_sel:BYTE_0 src1_sel:DWORD
	v_and_b32_e32 v7, v7, v44
	v_cmp_eq_u32_e32 vcc, v7, v38
	s_and_b64 exec, exec, vcc
	s_cbranch_execz .LBB82_109
; %bb.113:                              ;   in Loop: Header=BB82_111 Depth=2
	v_lshlrev_b16_e32 v6, 8, v6
	v_or_b32_e32 v6, 1, v6
	ds_write_b16 v21, v6 offset:3072
	s_branch .LBB82_109
.LBB82_114:                             ;   in Loop: Header=BB82_111 Depth=2
	v_add_u32_e32 v5, s67, v5
	v_cmp_le_u32_e32 vcc, s97, v5
	v_add_u32_e32 v3, s99, v3
	s_mov_b64 s[38:39], 0
	s_orn2_b64 s[36:37], vcc, exec
	s_branch .LBB82_110
.LBB82_115:                             ;   in Loop: Header=BB82_11 Depth=1
	s_or_b64 exec, exec, s[28:29]
	s_andn2_b64 s[28:29], s[30:31], exec
	s_and_b64 s[30:31], s[34:35], exec
	v_lshrrev_b32_sdwa v45, v43, v6 dst_sel:DWORD dst_unused:UNUSED_PAD src0_sel:DWORD src1_sel:WORD_0
	s_or_b64 s[30:31], s[28:29], s[30:31]
.LBB82_116:                             ;   in Loop: Header=BB82_11 Depth=1
	s_or_b64 exec, exec, s[8:9]
	s_mov_b64 s[8:9], 0
	s_mov_b64 s[28:29], -1
.LBB82_117:                             ;   in Loop: Header=BB82_11 Depth=1
	s_orn2_b64 s[30:31], s[30:31], exec
.LBB82_118:                             ;   in Loop: Header=BB82_11 Depth=1
	s_or_b64 exec, exec, s[0:1]
	s_andn2_b64 s[0:1], s[74:75], exec
	s_and_b64 s[28:29], s[28:29], exec
	s_or_b64 s[74:75], s[0:1], s[28:29]
	s_andn2_b64 s[0:1], s[72:73], exec
	s_and_b64 s[8:9], s[8:9], exec
	v_readfirstlane_b32 s36, v0
	s_andn2_b64 s[14:15], s[14:15], exec
	s_or_b64 s[72:73], s[0:1], s[8:9]
                                        ; implicit-def: $vgpr5
	s_and_saveexec_b64 s[0:1], s[30:31]
	s_cbranch_execz .LBB82_10
; %bb.119:                              ;   in Loop: Header=BB82_11 Depth=1
	s_xor_b64 s[8:9], s[26:27], -1
	s_mov_b64 s[26:27], 0
	v_mov_b32_e32 v5, 1
	v_mov_b32_e32 v3, 1
	s_and_saveexec_b64 s[2:3], s[8:9]
	s_cbranch_execz .LBB82_128
; %bb.120:                              ;   in Loop: Header=BB82_11 Depth=1
	v_cmp_ge_u32_e32 vcc, s44, v46
	s_and_saveexec_b64 s[8:9], vcc
	s_xor_b64 s[8:9], exec, s[8:9]
	s_cbranch_execz .LBB82_125
; %bb.121:                              ;   in Loop: Header=BB82_11 Depth=1
	ds_read_b32 v3, v21 offset:4104
	v_and_b32_e32 v38, v38, v4
	v_or_b32_e32 v44, v44, v2
	s_waitcnt lgkmcnt(0)
	v_cmp_ne_u32_e32 vcc, 0, v3
	s_cbranch_vccnz .LBB82_125
; %bb.122:                              ;   in Loop: Header=BB82_11 Depth=1
	s_mov_b64 s[26:27], exec
	v_readlane_b32 s28, v81, 6
	v_readlane_b32 s29, v81, 7
	s_and_b64 s[28:29], s[26:27], s[28:29]
	s_mov_b64 exec, s[28:29]
; %bb.123:                              ;   in Loop: Header=BB82_11 Depth=1
	v_mov_b32_e32 v3, s44
	ds_write_b32 v21, v3 offset:4108
; %bb.124:                              ;   in Loop: Header=BB82_11 Depth=1
	s_or_b64 exec, exec, s[26:27]
	s_waitcnt lgkmcnt(0)
	s_barrier
.LBB82_125:                             ;   in Loop: Header=BB82_11 Depth=1
	s_or_saveexec_b64 s[8:9], s[8:9]
	s_mov_b64 s[26:27], 0
	v_mov_b32_e32 v3, 8
	s_xor_b64 exec, exec, s[8:9]
; %bb.126:                              ;   in Loop: Header=BB82_11 Depth=1
	s_mov_b64 s[26:27], exec
	v_subrev_u32_e32 v46, s44, v46
	v_mov_b32_e32 v3, 0
; %bb.127:                              ;   in Loop: Header=BB82_11 Depth=1
	s_or_b64 exec, exec, s[8:9]
	s_and_b64 s[26:27], s[26:27], exec
	v_mov_b32_e32 v5, v46
.LBB82_128:                             ;   in Loop: Header=BB82_11 Depth=1
	s_or_b64 exec, exec, s[2:3]
	s_mov_b64 s[2:3], -1
	s_mov_b64 s[8:9], -1
                                        ; implicit-def: $sgpr28_sgpr29
                                        ; implicit-def: $sgpr30_sgpr31
	s_and_saveexec_b64 s[34:35], s[26:27]
	s_xor_b64 s[26:27], exec, s[34:35]
	s_cbranch_execz .LBB82_245
; %bb.129:                              ;   in Loop: Header=BB82_11 Depth=1
	s_cmp_eq_u32 s48, 1
	s_cselect_b64 s[8:9], -1, 0
	v_cmp_eq_u32_e32 vcc, 1, v5
	s_and_b64 s[36:37], s[8:9], vcc
	s_mov_b64 s[38:39], -1
                                        ; implicit-def: $sgpr30_sgpr31
                                        ; implicit-def: $sgpr28_sgpr29
	s_and_saveexec_b64 s[8:9], s[36:37]
	s_cbranch_execz .LBB82_155
; %bb.130:                              ;   in Loop: Header=BB82_11 Depth=1
	ds_read_b32 v6, v21 offset:4104
	s_waitcnt lgkmcnt(0)
	s_barrier
	v_readfirstlane_b32 s49, v6
	s_and_saveexec_b64 s[28:29], s[6:7]
; %bb.131:                              ;   in Loop: Header=BB82_11 Depth=1
	ds_write_b8 v0, v21 offset:3072
; %bb.132:                              ;   in Loop: Header=BB82_11 Depth=1
	s_or_b64 exec, exec, s[28:29]
	v_and_b32_e32 v6, v38, v4
	v_lshl_or_b32 v38, 1, v41, v6
	v_or_b32_e32 v44, v44, v2
	s_mov_b64 s[28:29], -1
	s_mov_b64 s[30:31], 0
	s_cmp_eq_u32 s49, 0
	s_mov_b64 s[34:35], 0
	s_waitcnt lgkmcnt(0)
	s_barrier
                                        ; implicit-def: $vgpr45
	s_cbranch_scc1 .LBB82_143
; %bb.133:                              ;   in Loop: Header=BB82_11 Depth=1
	v_readlane_b32 s34, v81, 25
	s_add_i32 s34, s49, s34
	v_readlane_b32 s35, v81, 50
	s_mul_hi_u32 s35, s34, s35
	s_mul_i32 s35, s35, s67
	s_sub_i32 s35, s34, s35
	s_sub_i32 s38, s35, s67
	s_cmp_ge_u32 s35, s67
	s_cselect_b32 s35, s38, s35
	s_sub_i32 s38, s35, s67
	s_cmp_ge_u32 s35, s67
	s_cselect_b32 s35, s38, s35
	s_sub_i32 s50, s34, s35
	v_cmp_gt_u32_e32 vcc, s50, v0
	s_mov_b64 s[38:39], 0
	s_mov_b64 s[34:35], 0
                                        ; implicit-def: $vgpr45
	s_and_saveexec_b64 s[40:41], vcc
	s_cbranch_execz .LBB82_142
; %bb.134:                              ;   in Loop: Header=BB82_11 Depth=1
	v_mov_b32_e32 v6, v0
                                        ; implicit-def: $sgpr42_sgpr43
	s_branch .LBB82_137
.LBB82_135:                             ;   in Loop: Header=BB82_137 Depth=2
	s_or_b64 exec, exec, s[44:45]
	s_waitcnt lgkmcnt(0)
	s_barrier
	ds_read_u16 v7, v21 offset:3072
	s_mov_b64 s[44:45], -1
	s_waitcnt lgkmcnt(0)
	s_barrier
	v_cmp_ne_u32_sdwa s[46:47], v7, v21 src0_sel:BYTE_0 src1_sel:DWORD
	s_and_b64 vcc, exec, s[46:47]
	s_mov_b64 s[46:47], -1
	s_cbranch_vccz .LBB82_140
.LBB82_136:                             ;   in Loop: Header=BB82_137 Depth=2
	s_and_b64 s[44:45], exec, s[44:45]
	s_or_b64 s[34:35], s[44:45], s[34:35]
	s_andn2_b64 s[42:43], s[42:43], exec
	s_and_b64 s[44:45], s[46:47], exec
	s_or_b64 s[42:43], s[42:43], s[44:45]
	s_andn2_b64 exec, exec, s[34:35]
	s_cbranch_execz .LBB82_141
.LBB82_137:                             ;   Parent Loop BB82_11 Depth=1
                                        ; =>  This Inner Loop Header: Depth=2
	v_cmp_gt_u32_e32 vcc, s49, v6
	s_and_saveexec_b64 s[44:45], vcc
	s_cbranch_execz .LBB82_135
; %bb.138:                              ;   in Loop: Header=BB82_137 Depth=2
	ds_read_u8 v7, v6
	s_waitcnt lgkmcnt(0)
	v_add_u32_sdwa v8, sext(v7), s79 dst_sel:DWORD dst_unused:UNUSED_PAD src0_sel:BYTE_0 src1_sel:DWORD
	v_and_b32_e32 v8, v8, v44
	v_cmp_eq_u32_e32 vcc, v8, v38
	s_and_b64 exec, exec, vcc
	s_cbranch_execz .LBB82_135
; %bb.139:                              ;   in Loop: Header=BB82_137 Depth=2
	v_lshlrev_b16_e32 v7, 8, v7
	v_or_b32_e32 v7, 1, v7
	ds_write_b16 v21, v7 offset:3072
	s_branch .LBB82_135
.LBB82_140:                             ;   in Loop: Header=BB82_137 Depth=2
	v_add_u32_e32 v6, s67, v6
	v_cmp_le_u32_e32 vcc, s50, v6
	s_mov_b64 s[46:47], 0
	s_orn2_b64 s[44:45], vcc, exec
	s_branch .LBB82_136
.LBB82_141:                             ;   in Loop: Header=BB82_11 Depth=1
	s_or_b64 exec, exec, s[34:35]
	v_lshrrev_b32_sdwa v45, v43, v7 dst_sel:DWORD dst_unused:UNUSED_PAD src0_sel:DWORD src1_sel:WORD_0
	s_and_b64 s[34:35], s[42:43], exec
.LBB82_142:                             ;   in Loop: Header=BB82_11 Depth=1
	s_or_b64 exec, exec, s[40:41]
.LBB82_143:                             ;   in Loop: Header=BB82_11 Depth=1
	s_and_b64 vcc, exec, s[38:39]
	s_cbranch_vccz .LBB82_154
; %bb.144:                              ;   in Loop: Header=BB82_11 Depth=1
                                        ; implicit-def: $vgpr45
	s_mov_b64 s[28:29], exec
	v_readlane_b32 s30, v81, 51
	v_readlane_b32 s31, v81, 52
	s_and_b64 s[30:31], s[28:29], s[30:31]
	s_mov_b64 exec, s[30:31]
	s_cbranch_execz .LBB82_153
; %bb.145:                              ;   in Loop: Header=BB82_11 Depth=1
	s_mov_b64 s[30:31], 0
	v_mov_b32_e32 v6, v18
	v_mov_b32_e32 v7, v0
                                        ; implicit-def: $sgpr38_sgpr39
	s_branch .LBB82_148
.LBB82_146:                             ;   in Loop: Header=BB82_148 Depth=2
	s_or_b64 exec, exec, s[40:41]
	s_waitcnt lgkmcnt(0)
	s_barrier
	ds_read_u16 v8, v21 offset:3072
	s_mov_b64 s[40:41], -1
	s_waitcnt lgkmcnt(0)
	s_barrier
	v_cmp_eq_u32_sdwa s[42:43], v8, v21 src0_sel:BYTE_0 src1_sel:DWORD
	s_and_b64 vcc, exec, s[42:43]
	s_mov_b64 s[42:43], -1
	s_cbranch_vccnz .LBB82_151
.LBB82_147:                             ;   in Loop: Header=BB82_148 Depth=2
	s_and_b64 s[40:41], exec, s[40:41]
	s_or_b64 s[30:31], s[40:41], s[30:31]
	s_andn2_b64 s[38:39], s[38:39], exec
	s_and_b64 s[40:41], s[42:43], exec
	s_or_b64 s[38:39], s[38:39], s[40:41]
	s_andn2_b64 exec, exec, s[30:31]
	s_cbranch_execz .LBB82_152
.LBB82_148:                             ;   Parent Loop BB82_11 Depth=1
                                        ; =>  This Inner Loop Header: Depth=2
	v_cmp_gt_u32_e32 vcc, s64, v7
	s_and_saveexec_b64 s[40:41], vcc
	s_cbranch_execz .LBB82_146
; %bb.149:                              ;   in Loop: Header=BB82_148 Depth=2
	global_load_ubyte v8, v6, s[82:83]
	s_waitcnt vmcnt(0)
	v_add_u32_sdwa v9, sext(v8), s79 dst_sel:DWORD dst_unused:UNUSED_PAD src0_sel:BYTE_0 src1_sel:DWORD
	v_and_b32_e32 v9, v9, v44
	v_cmp_eq_u32_e32 vcc, v9, v38
	s_and_b64 exec, exec, vcc
	s_cbranch_execz .LBB82_146
; %bb.150:                              ;   in Loop: Header=BB82_148 Depth=2
	v_lshlrev_b16_e32 v8, 8, v8
	v_or_b32_e32 v8, 1, v8
	ds_write_b16 v21, v8 offset:3072
	s_branch .LBB82_146
.LBB82_151:                             ;   in Loop: Header=BB82_148 Depth=2
	v_add_u32_e32 v7, s67, v7
	v_cmp_le_u32_e32 vcc, s97, v7
	v_add_u32_e32 v6, s99, v6
	s_mov_b64 s[42:43], 0
	s_orn2_b64 s[40:41], vcc, exec
	s_branch .LBB82_147
.LBB82_152:                             ;   in Loop: Header=BB82_11 Depth=1
	s_or_b64 exec, exec, s[30:31]
	s_andn2_b64 s[30:31], s[34:35], exec
	s_and_b64 s[34:35], s[38:39], exec
	v_lshrrev_b32_sdwa v45, v43, v8 dst_sel:DWORD dst_unused:UNUSED_PAD src0_sel:DWORD src1_sel:WORD_0
	s_or_b64 s[34:35], s[30:31], s[34:35]
.LBB82_153:                             ;   in Loop: Header=BB82_11 Depth=1
	s_or_b64 exec, exec, s[28:29]
	s_mov_b64 s[28:29], 0
	s_mov_b64 s[30:31], -1
.LBB82_154:                             ;   in Loop: Header=BB82_11 Depth=1
	s_orn2_b64 s[38:39], s[34:35], exec
.LBB82_155:                             ;   in Loop: Header=BB82_11 Depth=1
	s_or_b64 exec, exec, s[8:9]
	s_mov_b64 s[8:9], 0
	s_and_saveexec_b64 s[34:35], s[38:39]
	s_cbranch_execz .LBB82_244
; %bb.156:                              ;   in Loop: Header=BB82_11 Depth=1
	s_xor_b64 s[36:37], s[36:37], -1
	s_mov_b64 s[42:43], 0
	v_mov_b32_e32 v6, 1
	v_mov_b32_e32 v3, 1
	s_and_saveexec_b64 s[8:9], s[36:37]
	s_cbranch_execz .LBB82_165
; %bb.157:                              ;   in Loop: Header=BB82_11 Depth=1
	v_cmp_ge_u32_e32 vcc, s48, v5
	s_and_saveexec_b64 s[36:37], vcc
	s_xor_b64 s[36:37], exec, s[36:37]
	s_cbranch_execz .LBB82_162
; %bb.158:                              ;   in Loop: Header=BB82_11 Depth=1
	ds_read_b32 v3, v21 offset:4104
	v_and_b32_e32 v6, v38, v4
	v_lshl_or_b32 v38, 1, v41, v6
	v_or_b32_e32 v44, v44, v2
	s_waitcnt lgkmcnt(0)
	v_cmp_ne_u32_e32 vcc, 0, v3
	s_cbranch_vccnz .LBB82_162
; %bb.159:                              ;   in Loop: Header=BB82_11 Depth=1
	s_mov_b64 s[38:39], exec
	v_readlane_b32 s40, v81, 6
	v_readlane_b32 s41, v81, 7
	s_and_b64 s[40:41], s[38:39], s[40:41]
	s_mov_b64 exec, s[40:41]
; %bb.160:                              ;   in Loop: Header=BB82_11 Depth=1
	v_mov_b32_e32 v3, s48
	ds_write_b32 v21, v3 offset:4108
; %bb.161:                              ;   in Loop: Header=BB82_11 Depth=1
	s_or_b64 exec, exec, s[38:39]
	s_waitcnt lgkmcnt(0)
	s_barrier
.LBB82_162:                             ;   in Loop: Header=BB82_11 Depth=1
	s_or_saveexec_b64 s[36:37], s[36:37]
	s_mov_b64 s[38:39], 0
	v_mov_b32_e32 v3, 8
	s_xor_b64 exec, exec, s[36:37]
; %bb.163:                              ;   in Loop: Header=BB82_11 Depth=1
	s_mov_b64 s[38:39], exec
	v_subrev_u32_e32 v5, s48, v5
	v_mov_b32_e32 v3, 0
; %bb.164:                              ;   in Loop: Header=BB82_11 Depth=1
	s_or_b64 exec, exec, s[36:37]
	s_and_b64 s[42:43], s[38:39], exec
	v_mov_b32_e32 v6, v5
.LBB82_165:                             ;   in Loop: Header=BB82_11 Depth=1
	s_or_b64 exec, exec, s[8:9]
	s_mov_b64 s[8:9], -1
                                        ; implicit-def: $sgpr38_sgpr39
                                        ; implicit-def: $sgpr40_sgpr41
	s_and_saveexec_b64 s[36:37], s[42:43]
	s_cbranch_execz .LBB82_243
; %bb.166:                              ;   in Loop: Header=BB82_11 Depth=1
	s_cmp_eq_u32 s56, 1
	s_cselect_b64 s[8:9], -1, 0
	v_cmp_eq_u32_e32 vcc, 1, v6
	s_and_b64 s[44:45], s[8:9], vcc
	s_mov_b64 s[46:47], -1
                                        ; implicit-def: $sgpr40_sgpr41
                                        ; implicit-def: $sgpr38_sgpr39
	s_and_saveexec_b64 s[8:9], s[44:45]
	s_cbranch_execz .LBB82_192
; %bb.167:                              ;   in Loop: Header=BB82_11 Depth=1
	ds_read_b32 v5, v21 offset:4104
	s_waitcnt lgkmcnt(0)
	s_barrier
	v_readfirstlane_b32 s57, v5
	s_and_saveexec_b64 s[38:39], s[6:7]
; %bb.168:                              ;   in Loop: Header=BB82_11 Depth=1
	ds_write_b8 v0, v21 offset:3072
; %bb.169:                              ;   in Loop: Header=BB82_11 Depth=1
	s_or_b64 exec, exec, s[38:39]
	v_and_b32_e32 v5, v38, v4
	v_lshl_or_b32 v38, 2, v41, v5
	v_or_b32_e32 v44, v44, v2
	s_mov_b64 s[38:39], -1
	s_mov_b64 s[40:41], 0
	s_cmp_eq_u32 s57, 0
	s_mov_b64 s[42:43], 0
	s_waitcnt lgkmcnt(0)
	s_barrier
                                        ; implicit-def: $vgpr45
	s_cbranch_scc1 .LBB82_180
; %bb.170:                              ;   in Loop: Header=BB82_11 Depth=1
	v_readlane_b32 s42, v81, 25
	s_add_i32 s42, s57, s42
	v_readlane_b32 s43, v81, 50
	s_mul_hi_u32 s43, s42, s43
	s_mul_i32 s43, s43, s67
	s_sub_i32 s43, s42, s43
	s_sub_i32 s46, s43, s67
	s_cmp_ge_u32 s43, s67
	s_cselect_b32 s43, s46, s43
	s_sub_i32 s46, s43, s67
	s_cmp_ge_u32 s43, s67
	s_cselect_b32 s43, s46, s43
	s_sub_i32 s58, s42, s43
	v_cmp_gt_u32_e32 vcc, s58, v0
	s_mov_b64 s[46:47], 0
	s_mov_b64 s[42:43], 0
                                        ; implicit-def: $vgpr45
	s_and_saveexec_b64 s[48:49], vcc
	s_cbranch_execz .LBB82_179
; %bb.171:                              ;   in Loop: Header=BB82_11 Depth=1
	v_mov_b32_e32 v5, v0
                                        ; implicit-def: $sgpr50_sgpr51
	s_branch .LBB82_174
.LBB82_172:                             ;   in Loop: Header=BB82_174 Depth=2
	s_or_b64 exec, exec, s[52:53]
	s_waitcnt lgkmcnt(0)
	s_barrier
	ds_read_u16 v7, v21 offset:3072
	s_mov_b64 s[52:53], -1
	s_waitcnt lgkmcnt(0)
	s_barrier
	v_cmp_ne_u32_sdwa s[54:55], v7, v21 src0_sel:BYTE_0 src1_sel:DWORD
	s_and_b64 vcc, exec, s[54:55]
	s_mov_b64 s[54:55], -1
	s_cbranch_vccz .LBB82_177
.LBB82_173:                             ;   in Loop: Header=BB82_174 Depth=2
	s_and_b64 s[52:53], exec, s[52:53]
	s_or_b64 s[42:43], s[52:53], s[42:43]
	s_andn2_b64 s[50:51], s[50:51], exec
	s_and_b64 s[52:53], s[54:55], exec
	s_or_b64 s[50:51], s[50:51], s[52:53]
	s_andn2_b64 exec, exec, s[42:43]
	s_cbranch_execz .LBB82_178
.LBB82_174:                             ;   Parent Loop BB82_11 Depth=1
                                        ; =>  This Inner Loop Header: Depth=2
	v_cmp_gt_u32_e32 vcc, s57, v5
	s_and_saveexec_b64 s[52:53], vcc
	s_cbranch_execz .LBB82_172
; %bb.175:                              ;   in Loop: Header=BB82_174 Depth=2
	ds_read_u8 v7, v5
	s_waitcnt lgkmcnt(0)
	v_add_u32_sdwa v8, sext(v7), s79 dst_sel:DWORD dst_unused:UNUSED_PAD src0_sel:BYTE_0 src1_sel:DWORD
	v_and_b32_e32 v8, v8, v44
	v_cmp_eq_u32_e32 vcc, v8, v38
	s_and_b64 exec, exec, vcc
	s_cbranch_execz .LBB82_172
; %bb.176:                              ;   in Loop: Header=BB82_174 Depth=2
	v_lshlrev_b16_e32 v7, 8, v7
	v_or_b32_e32 v7, 1, v7
	ds_write_b16 v21, v7 offset:3072
	s_branch .LBB82_172
.LBB82_177:                             ;   in Loop: Header=BB82_174 Depth=2
	v_add_u32_e32 v5, s67, v5
	v_cmp_le_u32_e32 vcc, s58, v5
	s_mov_b64 s[54:55], 0
	s_orn2_b64 s[52:53], vcc, exec
	s_branch .LBB82_173
.LBB82_178:                             ;   in Loop: Header=BB82_11 Depth=1
	s_or_b64 exec, exec, s[42:43]
	v_lshrrev_b32_sdwa v45, v43, v7 dst_sel:DWORD dst_unused:UNUSED_PAD src0_sel:DWORD src1_sel:WORD_0
	s_and_b64 s[42:43], s[50:51], exec
.LBB82_179:                             ;   in Loop: Header=BB82_11 Depth=1
	s_or_b64 exec, exec, s[48:49]
.LBB82_180:                             ;   in Loop: Header=BB82_11 Depth=1
	s_and_b64 vcc, exec, s[46:47]
	s_cbranch_vccz .LBB82_191
; %bb.181:                              ;   in Loop: Header=BB82_11 Depth=1
                                        ; implicit-def: $vgpr45
	s_mov_b64 s[38:39], exec
	v_readlane_b32 s40, v81, 51
	v_readlane_b32 s41, v81, 52
	s_and_b64 s[40:41], s[38:39], s[40:41]
	s_mov_b64 exec, s[40:41]
	s_cbranch_execz .LBB82_190
; %bb.182:                              ;   in Loop: Header=BB82_11 Depth=1
	s_mov_b64 s[40:41], 0
	v_mov_b32_e32 v5, v18
	v_mov_b32_e32 v7, v0
                                        ; implicit-def: $sgpr46_sgpr47
	s_branch .LBB82_185
.LBB82_183:                             ;   in Loop: Header=BB82_185 Depth=2
	s_or_b64 exec, exec, s[48:49]
	s_waitcnt lgkmcnt(0)
	s_barrier
	ds_read_u16 v8, v21 offset:3072
	s_mov_b64 s[48:49], -1
	s_waitcnt lgkmcnt(0)
	s_barrier
	v_cmp_eq_u32_sdwa s[50:51], v8, v21 src0_sel:BYTE_0 src1_sel:DWORD
	s_and_b64 vcc, exec, s[50:51]
	s_mov_b64 s[50:51], -1
	s_cbranch_vccnz .LBB82_188
.LBB82_184:                             ;   in Loop: Header=BB82_185 Depth=2
	s_and_b64 s[48:49], exec, s[48:49]
	s_or_b64 s[40:41], s[48:49], s[40:41]
	s_andn2_b64 s[46:47], s[46:47], exec
	s_and_b64 s[48:49], s[50:51], exec
	s_or_b64 s[46:47], s[46:47], s[48:49]
	s_andn2_b64 exec, exec, s[40:41]
	s_cbranch_execz .LBB82_189
.LBB82_185:                             ;   Parent Loop BB82_11 Depth=1
                                        ; =>  This Inner Loop Header: Depth=2
	v_cmp_gt_u32_e32 vcc, s64, v7
	s_and_saveexec_b64 s[48:49], vcc
	s_cbranch_execz .LBB82_183
; %bb.186:                              ;   in Loop: Header=BB82_185 Depth=2
	global_load_ubyte v8, v5, s[82:83]
	s_waitcnt vmcnt(0)
	v_add_u32_sdwa v9, sext(v8), s79 dst_sel:DWORD dst_unused:UNUSED_PAD src0_sel:BYTE_0 src1_sel:DWORD
	v_and_b32_e32 v9, v9, v44
	v_cmp_eq_u32_e32 vcc, v9, v38
	s_and_b64 exec, exec, vcc
	s_cbranch_execz .LBB82_183
; %bb.187:                              ;   in Loop: Header=BB82_185 Depth=2
	v_lshlrev_b16_e32 v8, 8, v8
	v_or_b32_e32 v8, 1, v8
	ds_write_b16 v21, v8 offset:3072
	s_branch .LBB82_183
.LBB82_188:                             ;   in Loop: Header=BB82_185 Depth=2
	v_add_u32_e32 v7, s67, v7
	v_cmp_le_u32_e32 vcc, s97, v7
	v_add_u32_e32 v5, s99, v5
	s_mov_b64 s[50:51], 0
	s_orn2_b64 s[48:49], vcc, exec
	s_branch .LBB82_184
.LBB82_189:                             ;   in Loop: Header=BB82_11 Depth=1
	s_or_b64 exec, exec, s[40:41]
	s_andn2_b64 s[40:41], s[42:43], exec
	s_and_b64 s[42:43], s[46:47], exec
	v_lshrrev_b32_sdwa v45, v43, v8 dst_sel:DWORD dst_unused:UNUSED_PAD src0_sel:DWORD src1_sel:WORD_0
	s_or_b64 s[42:43], s[40:41], s[42:43]
.LBB82_190:                             ;   in Loop: Header=BB82_11 Depth=1
	s_or_b64 exec, exec, s[38:39]
	s_mov_b64 s[38:39], 0
	s_mov_b64 s[40:41], -1
.LBB82_191:                             ;   in Loop: Header=BB82_11 Depth=1
	s_orn2_b64 s[46:47], s[42:43], exec
.LBB82_192:                             ;   in Loop: Header=BB82_11 Depth=1
	s_or_b64 exec, exec, s[8:9]
	s_mov_b64 s[8:9], 0
	s_and_saveexec_b64 s[42:43], s[46:47]
	s_cbranch_execz .LBB82_242
; %bb.193:                              ;   in Loop: Header=BB82_11 Depth=1
	s_xor_b64 s[44:45], s[44:45], -1
	s_mov_b64 s[50:51], 0
	v_mov_b32_e32 v5, 1
	v_mov_b32_e32 v3, 1
	s_and_saveexec_b64 s[8:9], s[44:45]
	s_cbranch_execz .LBB82_202
; %bb.194:                              ;   in Loop: Header=BB82_11 Depth=1
	v_cmp_ge_u32_e32 vcc, s56, v6
	s_and_saveexec_b64 s[44:45], vcc
	s_xor_b64 s[44:45], exec, s[44:45]
	s_cbranch_execz .LBB82_199
; %bb.195:                              ;   in Loop: Header=BB82_11 Depth=1
	ds_read_b32 v3, v21 offset:4104
	v_and_b32_e32 v4, v38, v4
	v_lshl_or_b32 v38, 2, v41, v4
	v_or_b32_e32 v44, v44, v2
	s_waitcnt lgkmcnt(0)
	v_cmp_ne_u32_e32 vcc, 0, v3
	s_cbranch_vccnz .LBB82_199
; %bb.196:                              ;   in Loop: Header=BB82_11 Depth=1
	s_mov_b64 s[46:47], exec
	v_readlane_b32 s48, v81, 6
	v_readlane_b32 s49, v81, 7
	s_and_b64 s[48:49], s[46:47], s[48:49]
	s_mov_b64 exec, s[48:49]
; %bb.197:                              ;   in Loop: Header=BB82_11 Depth=1
	v_mov_b32_e32 v3, s56
	ds_write_b32 v21, v3 offset:4108
; %bb.198:                              ;   in Loop: Header=BB82_11 Depth=1
	s_or_b64 exec, exec, s[46:47]
	s_waitcnt lgkmcnt(0)
	s_barrier
.LBB82_199:                             ;   in Loop: Header=BB82_11 Depth=1
	s_or_saveexec_b64 s[44:45], s[44:45]
	s_mov_b64 s[46:47], 0
	v_mov_b32_e32 v3, 8
	s_xor_b64 exec, exec, s[44:45]
; %bb.200:                              ;   in Loop: Header=BB82_11 Depth=1
	s_mov_b64 s[46:47], exec
	v_subrev_u32_e32 v6, s56, v6
	v_mov_b32_e32 v3, 0
; %bb.201:                              ;   in Loop: Header=BB82_11 Depth=1
	s_or_b64 exec, exec, s[44:45]
	s_and_b64 s[50:51], s[46:47], exec
	v_mov_b32_e32 v5, v6
.LBB82_202:                             ;   in Loop: Header=BB82_11 Depth=1
	s_or_b64 exec, exec, s[8:9]
	s_mov_b64 s[8:9], -1
                                        ; implicit-def: $sgpr48_sgpr49
                                        ; implicit-def: $sgpr46_sgpr47
	s_and_saveexec_b64 s[44:45], s[50:51]
	s_cbranch_execz .LBB82_241
; %bb.203:                              ;   in Loop: Header=BB82_11 Depth=1
	s_cmp_eq_u32 s21, 1
	s_cselect_b64 s[8:9], -1, 0
	v_cmp_eq_u32_e32 vcc, 1, v5
	s_and_b64 s[50:51], s[8:9], vcc
	s_mov_b64 s[52:53], -1
                                        ; implicit-def: $sgpr48_sgpr49
                                        ; implicit-def: $sgpr46_sgpr47
	s_and_saveexec_b64 s[8:9], s[50:51]
	s_cbranch_execz .LBB82_229
; %bb.204:                              ;   in Loop: Header=BB82_11 Depth=1
	ds_read_b32 v4, v21 offset:4104
	s_waitcnt lgkmcnt(0)
	s_barrier
	v_readfirstlane_b32 s68, v4
	s_and_saveexec_b64 s[46:47], s[6:7]
; %bb.205:                              ;   in Loop: Header=BB82_11 Depth=1
	ds_write_b8 v0, v21 offset:3072
; %bb.206:                              ;   in Loop: Header=BB82_11 Depth=1
	s_or_b64 exec, exec, s[46:47]
	v_or_b32_e32 v38, v38, v2
	v_or_b32_e32 v44, v44, v2
	s_mov_b64 s[46:47], -1
	s_mov_b64 s[48:49], 0
	s_cmp_eq_u32 s68, 0
	s_mov_b64 s[52:53], 0
	s_mov_b64 s[54:55], -1
	s_waitcnt lgkmcnt(0)
	s_barrier
                                        ; implicit-def: $vgpr45
	s_cbranch_scc1 .LBB82_217
; %bb.207:                              ;   in Loop: Header=BB82_11 Depth=1
	v_readlane_b32 s52, v81, 25
	s_add_i32 s52, s68, s52
	v_readlane_b32 s53, v81, 50
	s_mul_hi_u32 s53, s52, s53
	s_mul_i32 s53, s53, s67
	s_sub_i32 s53, s52, s53
	s_sub_i32 s54, s53, s67
	s_cmp_ge_u32 s53, s67
	s_cselect_b32 s53, s54, s53
	s_sub_i32 s54, s53, s67
	s_cmp_ge_u32 s53, s67
	s_cselect_b32 s53, s54, s53
	s_sub_i32 s69, s52, s53
	v_cmp_gt_u32_e32 vcc, s69, v0
	s_mov_b64 s[54:55], 0
	s_mov_b64 s[52:53], 0
                                        ; implicit-def: $vgpr45
	s_and_saveexec_b64 s[56:57], vcc
	s_cbranch_execz .LBB82_216
; %bb.208:                              ;   in Loop: Header=BB82_11 Depth=1
	v_mov_b32_e32 v4, v0
                                        ; implicit-def: $sgpr58_sgpr59
	s_branch .LBB82_211
.LBB82_209:                             ;   in Loop: Header=BB82_211 Depth=2
	s_or_b64 exec, exec, s[60:61]
	s_waitcnt lgkmcnt(0)
	s_barrier
	ds_read_u16 v6, v21 offset:3072
	s_mov_b64 s[60:61], -1
	s_waitcnt lgkmcnt(0)
	s_barrier
	v_cmp_ne_u32_sdwa s[62:63], v6, v21 src0_sel:BYTE_0 src1_sel:DWORD
	s_and_b64 vcc, exec, s[62:63]
	s_mov_b64 s[62:63], -1
	s_cbranch_vccz .LBB82_214
.LBB82_210:                             ;   in Loop: Header=BB82_211 Depth=2
	s_and_b64 s[60:61], exec, s[60:61]
	s_or_b64 s[52:53], s[60:61], s[52:53]
	s_andn2_b64 s[58:59], s[58:59], exec
	s_and_b64 s[60:61], s[62:63], exec
	s_or_b64 s[58:59], s[58:59], s[60:61]
	s_andn2_b64 exec, exec, s[52:53]
	s_cbranch_execz .LBB82_215
.LBB82_211:                             ;   Parent Loop BB82_11 Depth=1
                                        ; =>  This Inner Loop Header: Depth=2
	v_cmp_gt_u32_e32 vcc, s68, v4
	s_and_saveexec_b64 s[60:61], vcc
	s_cbranch_execz .LBB82_209
; %bb.212:                              ;   in Loop: Header=BB82_211 Depth=2
	ds_read_u8 v6, v4
	s_waitcnt lgkmcnt(0)
	v_add_u32_sdwa v7, sext(v6), s79 dst_sel:DWORD dst_unused:UNUSED_PAD src0_sel:BYTE_0 src1_sel:DWORD
	v_and_b32_e32 v7, v7, v44
	v_cmp_eq_u32_e32 vcc, v7, v38
	s_and_b64 exec, exec, vcc
	s_cbranch_execz .LBB82_209
; %bb.213:                              ;   in Loop: Header=BB82_211 Depth=2
	v_lshlrev_b16_e32 v6, 8, v6
	v_or_b32_e32 v6, 1, v6
	ds_write_b16 v21, v6 offset:3072
	s_branch .LBB82_209
.LBB82_214:                             ;   in Loop: Header=BB82_211 Depth=2
	v_add_u32_e32 v4, s67, v4
	v_cmp_le_u32_e32 vcc, s69, v4
	s_mov_b64 s[62:63], 0
	s_orn2_b64 s[60:61], vcc, exec
	s_branch .LBB82_210
.LBB82_215:                             ;   in Loop: Header=BB82_11 Depth=1
	s_or_b64 exec, exec, s[52:53]
	v_lshrrev_b32_sdwa v45, v43, v6 dst_sel:DWORD dst_unused:UNUSED_PAD src0_sel:DWORD src1_sel:WORD_0
	s_and_b64 s[52:53], s[58:59], exec
	s_mov_b32 s60, s80
	s_mov_b32 s61, s76
	;; [unrolled: 1-line block ×5, first 2 shown]
.LBB82_216:                             ;   in Loop: Header=BB82_11 Depth=1
	s_or_b64 exec, exec, s[56:57]
.LBB82_217:                             ;   in Loop: Header=BB82_11 Depth=1
	s_and_b64 vcc, exec, s[54:55]
	s_cbranch_vccz .LBB82_228
; %bb.218:                              ;   in Loop: Header=BB82_11 Depth=1
                                        ; implicit-def: $vgpr45
	s_mov_b64 s[46:47], exec
	v_readlane_b32 s48, v81, 51
	v_readlane_b32 s49, v81, 52
	s_and_b64 s[48:49], s[46:47], s[48:49]
	s_mov_b64 exec, s[48:49]
	s_cbranch_execz .LBB82_227
; %bb.219:                              ;   in Loop: Header=BB82_11 Depth=1
	s_mov_b64 s[48:49], 0
	v_mov_b32_e32 v4, v18
	v_mov_b32_e32 v6, v0
                                        ; implicit-def: $sgpr54_sgpr55
	s_branch .LBB82_222
.LBB82_220:                             ;   in Loop: Header=BB82_222 Depth=2
	s_or_b64 exec, exec, s[56:57]
	s_waitcnt lgkmcnt(0)
	s_barrier
	ds_read_u16 v7, v21 offset:3072
	s_mov_b64 s[56:57], -1
	s_waitcnt lgkmcnt(0)
	s_barrier
	v_cmp_eq_u32_sdwa s[58:59], v7, v21 src0_sel:BYTE_0 src1_sel:DWORD
	s_and_b64 vcc, exec, s[58:59]
	s_mov_b64 s[58:59], -1
	s_cbranch_vccnz .LBB82_225
.LBB82_221:                             ;   in Loop: Header=BB82_222 Depth=2
	s_and_b64 s[56:57], exec, s[56:57]
	s_or_b64 s[48:49], s[56:57], s[48:49]
	s_andn2_b64 s[54:55], s[54:55], exec
	s_and_b64 s[56:57], s[58:59], exec
	s_or_b64 s[54:55], s[54:55], s[56:57]
	s_andn2_b64 exec, exec, s[48:49]
	s_cbranch_execz .LBB82_226
.LBB82_222:                             ;   Parent Loop BB82_11 Depth=1
                                        ; =>  This Inner Loop Header: Depth=2
	v_cmp_gt_u32_e32 vcc, s64, v6
	s_and_saveexec_b64 s[56:57], vcc
	s_cbranch_execz .LBB82_220
; %bb.223:                              ;   in Loop: Header=BB82_222 Depth=2
	global_load_ubyte v7, v4, s[82:83]
	s_waitcnt vmcnt(0)
	v_add_u32_sdwa v8, sext(v7), s79 dst_sel:DWORD dst_unused:UNUSED_PAD src0_sel:BYTE_0 src1_sel:DWORD
	v_and_b32_e32 v8, v8, v44
	v_cmp_eq_u32_e32 vcc, v8, v38
	s_and_b64 exec, exec, vcc
	s_cbranch_execz .LBB82_220
; %bb.224:                              ;   in Loop: Header=BB82_222 Depth=2
	v_lshlrev_b16_e32 v7, 8, v7
	v_or_b32_e32 v7, 1, v7
	ds_write_b16 v21, v7 offset:3072
	s_branch .LBB82_220
.LBB82_225:                             ;   in Loop: Header=BB82_222 Depth=2
	v_add_u32_e32 v6, s67, v6
	v_cmp_le_u32_e32 vcc, s97, v6
	v_add_u32_e32 v4, s99, v4
	s_mov_b64 s[58:59], 0
	s_orn2_b64 s[56:57], vcc, exec
	s_branch .LBB82_221
.LBB82_226:                             ;   in Loop: Header=BB82_11 Depth=1
	s_or_b64 exec, exec, s[48:49]
	s_andn2_b64 s[48:49], s[52:53], exec
	s_and_b64 s[52:53], s[54:55], exec
	v_lshrrev_b32_sdwa v45, v43, v7 dst_sel:DWORD dst_unused:UNUSED_PAD src0_sel:DWORD src1_sel:WORD_0
	s_or_b64 s[52:53], s[48:49], s[52:53]
.LBB82_227:                             ;   in Loop: Header=BB82_11 Depth=1
	s_or_b64 exec, exec, s[46:47]
	s_mov_b64 s[46:47], 0
	s_mov_b64 s[48:49], -1
.LBB82_228:                             ;   in Loop: Header=BB82_11 Depth=1
	s_orn2_b64 s[52:53], s[52:53], exec
.LBB82_229:                             ;   in Loop: Header=BB82_11 Depth=1
	s_or_b64 exec, exec, s[8:9]
	s_mov_b64 s[54:55], 0
	s_and_saveexec_b64 s[8:9], s[52:53]
	s_cbranch_execz .LBB82_240
; %bb.230:                              ;   in Loop: Header=BB82_11 Depth=1
	s_xor_b64 s[52:53], s[50:51], -1
	v_mov_b32_e32 v3, 1
	v_mov_b32_e32 v4, 1
	s_and_saveexec_b64 s[50:51], s[52:53]
	s_cbranch_execz .LBB82_239
; %bb.231:                              ;   in Loop: Header=BB82_11 Depth=1
	v_cmp_ge_u32_e32 vcc, s21, v5
	s_and_saveexec_b64 s[52:53], vcc
	s_xor_b64 s[52:53], exec, s[52:53]
	s_cbranch_execz .LBB82_236
; %bb.232:                              ;   in Loop: Header=BB82_11 Depth=1
	ds_read_b32 v3, v21 offset:4104
	v_or_b32_e32 v38, v38, v2
	v_or_b32_e32 v44, v44, v2
	s_waitcnt lgkmcnt(0)
	v_cmp_ne_u32_e32 vcc, 0, v3
	s_cbranch_vccnz .LBB82_236
; %bb.233:                              ;   in Loop: Header=BB82_11 Depth=1
	s_mov_b64 s[54:55], exec
	v_readlane_b32 s56, v81, 6
	v_readlane_b32 s57, v81, 7
	s_and_b64 s[56:57], s[54:55], s[56:57]
	s_mov_b64 exec, s[56:57]
; %bb.234:                              ;   in Loop: Header=BB82_11 Depth=1
	v_mov_b32_e32 v2, s21
	ds_write_b32 v21, v2 offset:4108
; %bb.235:                              ;   in Loop: Header=BB82_11 Depth=1
	s_or_b64 exec, exec, s[54:55]
	s_waitcnt lgkmcnt(0)
	s_barrier
.LBB82_236:                             ;   in Loop: Header=BB82_11 Depth=1
	s_andn2_saveexec_b64 s[52:53], s[52:53]
; %bb.237:                              ;   in Loop: Header=BB82_11 Depth=1
	v_subrev_u32_e32 v5, s21, v5
; %bb.238:                              ;   in Loop: Header=BB82_11 Depth=1
	s_or_b64 exec, exec, s[52:53]
	v_mov_b32_e32 v3, 8
	v_mov_b32_e32 v4, v5
.LBB82_239:                             ;   in Loop: Header=BB82_11 Depth=1
	s_or_b64 exec, exec, s[50:51]
	s_mov_b64 s[54:55], exec
	v_mov_b32_e32 v5, v4
.LBB82_240:                             ;   in Loop: Header=BB82_11 Depth=1
	s_or_b64 exec, exec, s[8:9]
	s_orn2_b64 s[8:9], s[54:55], exec
.LBB82_241:                             ;   in Loop: Header=BB82_11 Depth=1
	s_or_b64 exec, exec, s[44:45]
	s_andn2_b64 s[40:41], s[40:41], exec
	s_and_b64 s[44:45], s[48:49], exec
	s_or_b64 s[40:41], s[40:41], s[44:45]
	s_andn2_b64 s[38:39], s[38:39], exec
	s_and_b64 s[44:45], s[46:47], exec
	s_or_b64 s[38:39], s[38:39], s[44:45]
	s_and_b64 s[8:9], s[8:9], exec
	v_mov_b32_e32 v6, v5
.LBB82_242:                             ;   in Loop: Header=BB82_11 Depth=1
	s_or_b64 exec, exec, s[42:43]
	s_orn2_b64 s[8:9], s[8:9], exec
.LBB82_243:                             ;   in Loop: Header=BB82_11 Depth=1
	s_or_b64 exec, exec, s[36:37]
	s_andn2_b64 s[30:31], s[30:31], exec
	s_and_b64 s[36:37], s[40:41], exec
	s_or_b64 s[30:31], s[30:31], s[36:37]
	s_andn2_b64 s[28:29], s[28:29], exec
	s_and_b64 s[36:37], s[38:39], exec
	s_or_b64 s[28:29], s[28:29], s[36:37]
	s_and_b64 s[8:9], s[8:9], exec
	v_mov_b32_e32 v5, v6
.LBB82_244:                             ;   in Loop: Header=BB82_11 Depth=1
	s_or_b64 exec, exec, s[34:35]
	s_orn2_b64 s[8:9], s[8:9], exec
.LBB82_245:                             ;   in Loop: Header=BB82_11 Depth=1
	s_or_b64 exec, exec, s[26:27]
	s_mov_b64 s[26:27], 0
                                        ; implicit-def: $sgpr36
	s_and_saveexec_b64 s[34:35], s[8:9]
	s_xor_b64 s[8:9], exec, s[34:35]
	s_cbranch_execz .LBB82_9
; %bb.246:                              ;   in Loop: Header=BB82_11 Depth=1
	v_and_b32_e32 v2, 7, v3
	v_cmp_eq_u32_e32 vcc, 0, v2
	s_mov_b64 s[2:3], -1
	s_mov_b64 s[26:27], -1
                                        ; implicit-def: $sgpr36
	s_and_saveexec_b64 s[34:35], vcc
	s_cbranch_execz .LBB82_8
; %bb.247:                              ;   in Loop: Header=BB82_11 Depth=1
	v_add_u32_e32 v2, -2, v41
	v_cmp_eq_u32_e32 vcc, 0, v41
	s_xor_b32 s36, s20, 1
	s_xor_b64 s[26:27], exec, -1
	s_orn2_b64 s[2:3], vcc, exec
	v_mov_b32_e32 v41, v2
	s_branch .LBB82_8
.LBB82_248:
	s_or_b64 exec, exec, s[70:71]
	s_xor_b64 s[6:7], s[10:11], -1
	s_xor_b64 s[0:1], s[84:85], -1
	;; [unrolled: 1-line block ×3, first 2 shown]
	s_mov_b64 s[2:3], 0
	s_and_saveexec_b64 s[8:9], s[0:1]
	s_xor_b64 s[0:1], exec, s[8:9]
	s_cbranch_execnz .LBB82_253
; %bb.249:
	s_andn2_saveexec_b64 s[0:1], s[0:1]
	s_cbranch_execnz .LBB82_266
.LBB82_250:
	s_or_b64 exec, exec, s[0:1]
	s_and_saveexec_b64 s[0:1], s[2:3]
.LBB82_251:
	; divergent unreachable
.LBB82_252:
	s_endpgm
.LBB82_253:
	s_and_saveexec_b64 s[2:3], s[6:7]
	s_xor_b64 s[2:3], exec, s[2:3]
	s_cbranch_execz .LBB82_264
; %bb.254:
	s_and_saveexec_b64 s[6:7], s[4:5]
	s_xor_b64 s[4:5], exec, s[6:7]
; %bb.255:
	v_xor_b32_e32 v45, 0xffffff80, v38
; %bb.256:
	s_or_b64 exec, exec, s[4:5]
	v_readlane_b32 s8, v81, 1
	v_readlane_b32 s9, v81, 2
	;; [unrolled: 1-line block ×3, first 2 shown]
	s_mul_i32 s4, s10, s9
	v_readlane_b32 s9, v81, 20
	s_mul_i32 s5, s9, s8
	v_readlane_b32 s18, v81, 22
	s_sub_i32 s5, s10, s5
	s_sub_i32 s4, s18, s4
	s_add_i32 s6, s9, 1
	s_sub_i32 s7, s5, s8
	s_cmp_ge_u32 s5, s8
	s_cselect_b32 s6, s6, s9
	s_cselect_b32 s5, s7, s5
	s_add_i32 s7, s6, 1
	s_cmp_ge_u32 s5, s8
	s_cselect_b32 s5, s7, s6
	v_readlane_b32 s12, v81, 12
	s_mul_i32 s6, s5, s8
	v_readlane_b32 s13, v81, 13
	v_readlane_b32 s14, v81, 14
	s_sub_i32 s6, s10, s6
	s_mul_i32 s4, s4, s14
	s_mul_i32 s6, s6, s13
	s_add_i32 s4, s6, s4
	s_mul_i32 s5, s5, s12
	s_add_i32 s4, s4, s5
	v_mov_b32_e32 v1, s4
	v_readlane_b32 s4, v81, 18
	v_readlane_b32 s5, v81, 19
	;; [unrolled: 1-line block ×3, first 2 shown]
	s_nop 3
	global_store_byte v1, v45, s[4:5]
	s_mov_b64 s[4:5], exec
	v_readlane_b32 s6, v81, 23
	v_readlane_b32 s7, v81, 24
	s_and_b64 s[6:7], s[4:5], s[6:7]
	s_mov_b64 exec, s[6:7]
	s_cbranch_execz .LBB82_263
; %bb.257:
	s_mov_b64 s[6:7], 0
                                        ; implicit-def: $sgpr8_sgpr9
                                        ; implicit-def: $sgpr12_sgpr13
                                        ; implicit-def: $sgpr10_sgpr11
	s_branch .LBB82_259
.LBB82_258:                             ;   in Loop: Header=BB82_259 Depth=1
	s_or_b64 exec, exec, s[14:15]
	s_and_b64 s[14:15], exec, s[12:13]
	s_or_b64 s[6:7], s[14:15], s[6:7]
	s_andn2_b64 s[8:9], s[8:9], exec
	s_and_b64 s[14:15], s[10:11], exec
	s_or_b64 s[8:9], s[8:9], s[14:15]
	s_andn2_b64 exec, exec, s[6:7]
	s_cbranch_execz .LBB82_261
.LBB82_259:                             ; =>This Inner Loop Header: Depth=1
	global_load_ubyte v1, v18, s[82:83]
	v_mov_b32_e32 v2, v0
	s_or_b64 s[10:11], s[10:11], exec
	s_or_b64 s[12:13], s[12:13], exec
                                        ; implicit-def: $vgpr0
	s_waitcnt vmcnt(0)
	v_cmp_ne_u16_sdwa s[16:17], v1, v45 src0_sel:DWORD src1_sel:BYTE_0
	s_and_saveexec_b64 s[14:15], s[16:17]
	s_cbranch_execz .LBB82_258
; %bb.260:                              ;   in Loop: Header=BB82_259 Depth=1
	v_add_u32_e32 v0, s67, v2
	v_cmp_le_u32_e32 vcc, s64, v0
	s_andn2_b64 s[12:13], s[12:13], exec
	s_and_b64 s[16:17], vcc, exec
	v_add_u32_e32 v18, s99, v18
	s_andn2_b64 s[10:11], s[10:11], exec
	s_or_b64 s[12:13], s[12:13], s[16:17]
	s_branch .LBB82_258
.LBB82_261:
	s_or_b64 exec, exec, s[6:7]
	s_and_saveexec_b64 s[6:7], s[8:9]
	s_xor_b64 s[6:7], exec, s[6:7]
	s_cbranch_execz .LBB82_263
; %bb.262:
	v_readlane_b32 s10, v81, 4
	v_readlane_b32 s11, v81, 5
	;; [unrolled: 1-line block ×3, first 2 shown]
	s_mul_i32 s6, s12, s11
	v_readlane_b32 s11, v81, 21
	s_mul_i32 s7, s11, s10
	s_sub_i32 s7, s12, s7
	s_sub_i32 s6, s18, s6
	s_add_i32 s8, s11, 1
	s_sub_i32 s9, s7, s10
	s_cmp_ge_u32 s7, s10
	s_cselect_b32 s8, s8, s11
	s_cselect_b32 s7, s9, s7
	s_add_i32 s9, s8, 1
	s_cmp_ge_u32 s7, s10
	s_cselect_b32 s7, s9, s8
	v_readlane_b32 s16, v81, 8
	s_mul_i32 s8, s7, s10
	v_readlane_b32 s17, v81, 9
	v_readlane_b32 s18, v81, 10
	s_sub_i32 s8, s12, s8
	s_mul_i32 s6, s6, s18
	s_mul_i32 s8, s8, s17
	s_add_i32 s6, s8, s6
	s_mul_i32 s7, s7, s16
	s_add_i32 s6, s6, s7
	s_mov_b32 s7, 0
	s_lshl_b64 s[6:7], s[6:7], 3
	v_readlane_b32 s8, v81, 16
	v_readlane_b32 s9, v81, 17
	s_add_u32 s6, s8, s6
	s_addc_u32 s7, s9, s7
	v_mov_b32_e32 v3, 0
	v_readlane_b32 s19, v81, 11
	global_store_dwordx2 v3, v[2:3], s[6:7]
.LBB82_263:
	s_or_b64 exec, exec, s[4:5]
.LBB82_264:
	s_or_saveexec_b64 s[2:3], s[2:3]
	s_mov_b64 s[4:5], 0
	s_xor_b64 exec, exec, s[2:3]
	s_cbranch_execnz .LBB82_267
.LBB82_265:
	s_or_b64 exec, exec, s[2:3]
	s_and_b64 s[2:3], s[4:5], exec
	s_andn2_saveexec_b64 s[0:1], s[0:1]
	s_cbranch_execz .LBB82_250
.LBB82_266:
	s_or_b64 s[2:3], s[2:3], exec
	s_trap 2
	s_or_b64 exec, exec, s[0:1]
	s_and_saveexec_b64 s[0:1], s[2:3]
	s_cbranch_execnz .LBB82_251
	s_branch .LBB82_252
.LBB82_267:
	s_mov_b64 s[4:5], exec
	s_trap 2
	s_branch .LBB82_265
	.section	.rodata,"a",@progbits
	.p2align	6, 0x0
	.amdhsa_kernel _ZN2at6native12_GLOBAL__N_112gatherMedianIajLi3EEEvNS_4cuda6detail10TensorInfoIT_T0_EENS5_IlS7_EENS5_IKS6_S7_EES7_S7_S7_b
		.amdhsa_group_segment_fixed_size 4120
		.amdhsa_private_segment_fixed_size 0
		.amdhsa_kernarg_size 920
		.amdhsa_user_sgpr_count 2
		.amdhsa_user_sgpr_dispatch_ptr 0
		.amdhsa_user_sgpr_queue_ptr 0
		.amdhsa_user_sgpr_kernarg_segment_ptr 1
		.amdhsa_user_sgpr_dispatch_id 0
		.amdhsa_user_sgpr_kernarg_preload_length 0
		.amdhsa_user_sgpr_kernarg_preload_offset 0
		.amdhsa_user_sgpr_private_segment_size 0
		.amdhsa_uses_dynamic_stack 0
		.amdhsa_enable_private_segment 0
		.amdhsa_system_sgpr_workgroup_id_x 1
		.amdhsa_system_sgpr_workgroup_id_y 1
		.amdhsa_system_sgpr_workgroup_id_z 1
		.amdhsa_system_sgpr_workgroup_info 0
		.amdhsa_system_vgpr_workitem_id 0
		.amdhsa_next_free_vgpr 82
		.amdhsa_next_free_sgpr 100
		.amdhsa_accum_offset 84
		.amdhsa_reserve_vcc 1
		.amdhsa_float_round_mode_32 0
		.amdhsa_float_round_mode_16_64 0
		.amdhsa_float_denorm_mode_32 3
		.amdhsa_float_denorm_mode_16_64 3
		.amdhsa_dx10_clamp 1
		.amdhsa_ieee_mode 1
		.amdhsa_fp16_overflow 0
		.amdhsa_tg_split 0
		.amdhsa_exception_fp_ieee_invalid_op 0
		.amdhsa_exception_fp_denorm_src 0
		.amdhsa_exception_fp_ieee_div_zero 0
		.amdhsa_exception_fp_ieee_overflow 0
		.amdhsa_exception_fp_ieee_underflow 0
		.amdhsa_exception_fp_ieee_inexact 0
		.amdhsa_exception_int_div_zero 0
	.end_amdhsa_kernel
	.section	.text._ZN2at6native12_GLOBAL__N_112gatherMedianIajLi3EEEvNS_4cuda6detail10TensorInfoIT_T0_EENS5_IlS7_EENS5_IKS6_S7_EES7_S7_S7_b,"axG",@progbits,_ZN2at6native12_GLOBAL__N_112gatherMedianIajLi3EEEvNS_4cuda6detail10TensorInfoIT_T0_EENS5_IlS7_EENS5_IKS6_S7_EES7_S7_S7_b,comdat
.Lfunc_end82:
	.size	_ZN2at6native12_GLOBAL__N_112gatherMedianIajLi3EEEvNS_4cuda6detail10TensorInfoIT_T0_EENS5_IlS7_EENS5_IKS6_S7_EES7_S7_S7_b, .Lfunc_end82-_ZN2at6native12_GLOBAL__N_112gatherMedianIajLi3EEEvNS_4cuda6detail10TensorInfoIT_T0_EENS5_IlS7_EENS5_IKS6_S7_EES7_S7_S7_b
                                        ; -- End function
	.set _ZN2at6native12_GLOBAL__N_112gatherMedianIajLi3EEEvNS_4cuda6detail10TensorInfoIT_T0_EENS5_IlS7_EENS5_IKS6_S7_EES7_S7_S7_b.num_vgpr, 82
	.set _ZN2at6native12_GLOBAL__N_112gatherMedianIajLi3EEEvNS_4cuda6detail10TensorInfoIT_T0_EENS5_IlS7_EENS5_IKS6_S7_EES7_S7_S7_b.num_agpr, 0
	.set _ZN2at6native12_GLOBAL__N_112gatherMedianIajLi3EEEvNS_4cuda6detail10TensorInfoIT_T0_EENS5_IlS7_EENS5_IKS6_S7_EES7_S7_S7_b.numbered_sgpr, 100
	.set _ZN2at6native12_GLOBAL__N_112gatherMedianIajLi3EEEvNS_4cuda6detail10TensorInfoIT_T0_EENS5_IlS7_EENS5_IKS6_S7_EES7_S7_S7_b.num_named_barrier, 0
	.set _ZN2at6native12_GLOBAL__N_112gatherMedianIajLi3EEEvNS_4cuda6detail10TensorInfoIT_T0_EENS5_IlS7_EENS5_IKS6_S7_EES7_S7_S7_b.private_seg_size, 0
	.set _ZN2at6native12_GLOBAL__N_112gatherMedianIajLi3EEEvNS_4cuda6detail10TensorInfoIT_T0_EENS5_IlS7_EENS5_IKS6_S7_EES7_S7_S7_b.uses_vcc, 1
	.set _ZN2at6native12_GLOBAL__N_112gatherMedianIajLi3EEEvNS_4cuda6detail10TensorInfoIT_T0_EENS5_IlS7_EENS5_IKS6_S7_EES7_S7_S7_b.uses_flat_scratch, 0
	.set _ZN2at6native12_GLOBAL__N_112gatherMedianIajLi3EEEvNS_4cuda6detail10TensorInfoIT_T0_EENS5_IlS7_EENS5_IKS6_S7_EES7_S7_S7_b.has_dyn_sized_stack, 0
	.set _ZN2at6native12_GLOBAL__N_112gatherMedianIajLi3EEEvNS_4cuda6detail10TensorInfoIT_T0_EENS5_IlS7_EENS5_IKS6_S7_EES7_S7_S7_b.has_recursion, 0
	.set _ZN2at6native12_GLOBAL__N_112gatherMedianIajLi3EEEvNS_4cuda6detail10TensorInfoIT_T0_EENS5_IlS7_EENS5_IKS6_S7_EES7_S7_S7_b.has_indirect_call, 0
	.section	.AMDGPU.csdata,"",@progbits
; Kernel info:
; codeLenInByte = 11808
; TotalNumSgprs: 106
; NumVgprs: 82
; NumAgprs: 0
; TotalNumVgprs: 82
; ScratchSize: 0
; MemoryBound: 0
; FloatMode: 240
; IeeeMode: 1
; LDSByteSize: 4120 bytes/workgroup (compile time only)
; SGPRBlocks: 13
; VGPRBlocks: 10
; NumSGPRsForWavesPerEU: 106
; NumVGPRsForWavesPerEU: 82
; AccumOffset: 84
; Occupancy: 5
; WaveLimiterHint : 1
; COMPUTE_PGM_RSRC2:SCRATCH_EN: 0
; COMPUTE_PGM_RSRC2:USER_SGPR: 2
; COMPUTE_PGM_RSRC2:TRAP_HANDLER: 0
; COMPUTE_PGM_RSRC2:TGID_X_EN: 1
; COMPUTE_PGM_RSRC2:TGID_Y_EN: 1
; COMPUTE_PGM_RSRC2:TGID_Z_EN: 1
; COMPUTE_PGM_RSRC2:TIDIG_COMP_CNT: 0
; COMPUTE_PGM_RSRC3_GFX90A:ACCUM_OFFSET: 20
; COMPUTE_PGM_RSRC3_GFX90A:TG_SPLIT: 0
	.section	.text._ZN2at6native12_GLOBAL__N_112gatherMedianIajLin1EEEvNS_4cuda6detail10TensorInfoIT_T0_EENS5_IlS7_EENS5_IKS6_S7_EES7_S7_S7_b,"axG",@progbits,_ZN2at6native12_GLOBAL__N_112gatherMedianIajLin1EEEvNS_4cuda6detail10TensorInfoIT_T0_EENS5_IlS7_EENS5_IKS6_S7_EES7_S7_S7_b,comdat
	.globl	_ZN2at6native12_GLOBAL__N_112gatherMedianIajLin1EEEvNS_4cuda6detail10TensorInfoIT_T0_EENS5_IlS7_EENS5_IKS6_S7_EES7_S7_S7_b ; -- Begin function _ZN2at6native12_GLOBAL__N_112gatherMedianIajLin1EEEvNS_4cuda6detail10TensorInfoIT_T0_EENS5_IlS7_EENS5_IKS6_S7_EES7_S7_S7_b
	.p2align	8
	.type	_ZN2at6native12_GLOBAL__N_112gatherMedianIajLin1EEEvNS_4cuda6detail10TensorInfoIT_T0_EENS5_IlS7_EENS5_IKS6_S7_EES7_S7_S7_b,@function
_ZN2at6native12_GLOBAL__N_112gatherMedianIajLin1EEEvNS_4cuda6detail10TensorInfoIT_T0_EENS5_IlS7_EENS5_IKS6_S7_EES7_S7_S7_b: ; @_ZN2at6native12_GLOBAL__N_112gatherMedianIajLin1EEEvNS_4cuda6detail10TensorInfoIT_T0_EENS5_IlS7_EENS5_IKS6_S7_EES7_S7_S7_b
; %bb.0:
	s_load_dwordx2 s[10:11], s[0:1], 0x298
	s_load_dwordx4 s[64:67], s[0:1], 0x288
	s_add_u32 s8, s0, 0x298
	s_addc_u32 s9, s1, 0
	s_waitcnt lgkmcnt(0)
	s_mul_i32 s4, s11, s4
	s_add_i32 s3, s4, s3
	s_mul_i32 s3, s3, s10
	s_add_i32 s3, s3, s2
	s_cmp_ge_u32 s3, s65
	s_cbranch_scc1 .LBB83_261
; %bb.1:
	s_load_dword s4, s[0:1], 0xd0
	s_mov_b32 s69, 0
	s_mov_b32 s33, s3
	s_waitcnt lgkmcnt(0)
	s_cmp_lt_i32 s4, 2
	s_cbranch_scc1 .LBB83_4
; %bb.2:
	s_add_i32 s68, s4, -1
	s_add_i32 s6, s4, 1
	s_lshl_b64 s[4:5], s[68:69], 2
	s_add_u32 s4, s0, s4
	s_addc_u32 s5, s1, s5
	s_add_u32 s4, s4, 8
	s_addc_u32 s5, s5, 0
	s_mov_b32 s33, s3
.LBB83_3:                               ; =>This Inner Loop Header: Depth=1
	s_load_dword s7, s[4:5], 0x0
	s_load_dword s12, s[4:5], 0x64
	s_mov_b32 s11, s33
	s_waitcnt lgkmcnt(0)
	v_cvt_f32_u32_e32 v1, s7
	s_sub_i32 s13, 0, s7
	v_rcp_iflag_f32_e32 v1, v1
	s_nop 0
	v_mul_f32_e32 v1, 0x4f7ffffe, v1
	v_cvt_u32_f32_e32 v1, v1
	s_nop 0
	v_readfirstlane_b32 s14, v1
	s_mul_i32 s13, s13, s14
	s_mul_hi_u32 s13, s14, s13
	s_add_i32 s14, s14, s13
	s_mul_hi_u32 s13, s33, s14
	s_mul_i32 s14, s13, s7
	s_sub_i32 s14, s33, s14
	s_add_i32 s15, s13, 1
	s_sub_i32 s16, s14, s7
	s_cmp_ge_u32 s14, s7
	s_cselect_b32 s13, s15, s13
	s_cselect_b32 s14, s16, s14
	s_add_i32 s15, s13, 1
	s_cmp_ge_u32 s14, s7
	s_cselect_b32 s33, s15, s13
	s_mul_i32 s7, s33, s7
	s_sub_i32 s7, s11, s7
	s_mul_i32 s7, s12, s7
	s_add_i32 s6, s6, -1
	s_add_i32 s69, s7, s69
	s_add_u32 s4, s4, -4
	s_addc_u32 s5, s5, -1
	s_cmp_gt_u32 s6, 2
	s_cbranch_scc1 .LBB83_3
.LBB83_4:
	s_load_dword s6, s[0:1], 0x1a8
	s_add_u32 s4, s0, 0xd8
	s_addc_u32 s5, s1, 0
	s_mov_b32 s71, 0
	s_mov_b32 s65, s3
	s_waitcnt lgkmcnt(0)
	s_cmp_lt_i32 s6, 2
	s_cbranch_scc1 .LBB83_7
; %bb.5:
	s_add_i32 s70, s6, -1
	s_add_i32 s11, s6, 1
	s_lshl_b64 s[6:7], s[70:71], 2
	s_add_u32 s6, s4, s6
	s_addc_u32 s7, s5, s7
	s_add_u32 s6, s6, 8
	s_addc_u32 s7, s7, 0
	s_mov_b32 s65, s3
.LBB83_6:                               ; =>This Inner Loop Header: Depth=1
	s_load_dword s12, s[6:7], 0x0
	s_load_dword s14, s[6:7], 0x64
	s_mov_b32 s13, s65
	s_waitcnt lgkmcnt(0)
	v_cvt_f32_u32_e32 v1, s12
	s_sub_i32 s15, 0, s12
	v_rcp_iflag_f32_e32 v1, v1
	s_nop 0
	v_mul_f32_e32 v1, 0x4f7ffffe, v1
	v_cvt_u32_f32_e32 v1, v1
	s_nop 0
	v_readfirstlane_b32 s16, v1
	s_mul_i32 s15, s15, s16
	s_mul_hi_u32 s15, s16, s15
	s_add_i32 s16, s16, s15
	s_mul_hi_u32 s15, s65, s16
	s_mul_i32 s16, s15, s12
	s_sub_i32 s16, s65, s16
	s_add_i32 s17, s15, 1
	s_sub_i32 s18, s16, s12
	s_cmp_ge_u32 s16, s12
	s_cselect_b32 s15, s17, s15
	s_cselect_b32 s16, s18, s16
	s_add_i32 s17, s15, 1
	s_cmp_ge_u32 s16, s12
	s_cselect_b32 s65, s17, s15
	s_mul_i32 s12, s65, s12
	s_sub_i32 s12, s13, s12
	s_mul_i32 s12, s14, s12
	s_add_i32 s11, s11, -1
	s_add_i32 s71, s12, s71
	s_add_u32 s6, s6, -4
	s_addc_u32 s7, s7, -1
	s_cmp_gt_u32 s11, 2
	s_cbranch_scc1 .LBB83_6
.LBB83_7:
	s_load_dword s6, s[0:1], 0x6c
                                        ; implicit-def: $vgpr81 : SGPR spill to VGPR lane
	s_add_u32 s12, s0, 0x1b0
	s_addc_u32 s13, s1, 0
	s_mov_b32 s7, 0
	s_waitcnt lgkmcnt(0)
	v_writelane_b32 v81, s6, 0
	s_load_dword s6, s[0:1], 0x280
	s_waitcnt lgkmcnt(0)
	s_cmp_lt_i32 s6, 2
	s_cbranch_scc1 .LBB83_10
; %bb.8:
	s_add_i32 s11, s6, 1
	s_add_i32 s6, s6, -1
	s_lshl_b64 s[14:15], s[6:7], 2
	s_add_u32 s6, s12, s14
	s_addc_u32 s13, s13, s15
	s_add_u32 s12, s6, 8
	s_addc_u32 s13, s13, 0
.LBB83_9:                               ; =>This Inner Loop Header: Depth=1
	s_load_dword s6, s[12:13], 0x0
	s_load_dword s15, s[12:13], 0x64
	s_mov_b32 s14, s3
	s_waitcnt lgkmcnt(0)
	v_cvt_f32_u32_e32 v1, s6
	s_sub_i32 s3, 0, s6
	v_rcp_iflag_f32_e32 v1, v1
	s_nop 0
	v_mul_f32_e32 v1, 0x4f7ffffe, v1
	v_cvt_u32_f32_e32 v1, v1
	s_nop 0
	v_readfirstlane_b32 s16, v1
	s_mul_i32 s3, s3, s16
	s_mul_hi_u32 s3, s16, s3
	s_add_i32 s16, s16, s3
	s_mul_hi_u32 s3, s14, s16
	s_mul_i32 s16, s3, s6
	s_sub_i32 s16, s14, s16
	s_add_i32 s17, s3, 1
	s_sub_i32 s18, s16, s6
	s_cmp_ge_u32 s16, s6
	s_cselect_b32 s3, s17, s3
	s_cselect_b32 s16, s18, s16
	s_add_i32 s17, s3, 1
	s_cmp_ge_u32 s16, s6
	s_cselect_b32 s3, s17, s3
	s_mul_i32 s6, s3, s6
	s_sub_i32 s6, s14, s6
	s_mul_i32 s6, s15, s6
	s_add_i32 s11, s11, -1
	s_add_i32 s7, s6, s7
	s_add_u32 s12, s12, -4
	s_addc_u32 s13, s13, -1
	s_cmp_gt_u32 s11, 2
	s_cbranch_scc1 .LBB83_9
.LBB83_10:
	s_load_dword s4, s[4:5], 0x6c
	v_cmp_eq_u32_e64 s[12:13], 0, v0
	s_waitcnt lgkmcnt(0)
	v_writelane_b32 v81, s4, 1
	s_mov_b64 s[4:5], exec
	v_writelane_b32 v81, s12, 2
	s_nop 1
	v_writelane_b32 v81, s13, 3
	s_and_b64 s[12:13], s[4:5], s[12:13]
	s_mov_b64 exec, s[12:13]
; %bb.11:
	v_mov_b32_e32 v2, 0
	v_mov_b32_e32 v3, v2
	ds_write_b64 v2, v[2:3] offset:4096
; %bb.12:
	s_or_b64 exec, exec, s[4:5]
	v_mov_b32_e32 v1, 0
	s_waitcnt lgkmcnt(0)
	s_barrier
	s_barrier
	ds_read_b64 v[2:3], v1 offset:4096
	s_load_dwordx2 s[4:5], s[0:1], 0x1b0
	s_bitcmp1_b32 s67, 0
	s_cselect_b64 s[14:15], -1, 0
	s_mov_b32 s11, s64
	s_waitcnt lgkmcnt(0)
	v_readfirstlane_b32 s12, v2
	v_readfirstlane_b32 s13, v3
	s_nop 1
	v_cmp_lt_i64_e64 s[16:17], s[12:13], 1
	s_or_b64 s[14:15], s[14:15], s[16:17]
	s_andn2_b64 vcc, exec, s[14:15]
	s_cbranch_vccnz .LBB83_14
; %bb.13:
	s_not_b64 s[12:13], s[12:13]
	s_add_u32 s6, s12, s64
	s_addc_u32 s11, s13, 0
	s_lshr_b32 s12, s11, 31
	s_add_u32 s12, s6, s12
	s_addc_u32 s13, s11, 0
	s_lshr_b64 s[12:13], s[12:13], 1
	s_add_i32 s11, s12, 1
.LBB83_14:
	s_load_dwordx2 s[12:13], s[0:1], 0x0
	s_load_dword s6, s[0:1], 0x21c
                                        ; kill: killed $sgpr0 killed $sgpr1
	s_waitcnt lgkmcnt(0)
	v_writelane_b32 v81, s12, 4
	s_nop 1
	v_writelane_b32 v81, s13, 5
	s_load_dwordx2 s[12:13], s[0:1], 0xd8
	s_waitcnt lgkmcnt(0)
	v_writelane_b32 v81, s12, 6
	s_nop 1
	v_writelane_b32 v81, s13, 7
	s_mov_b64 s[0:1], exec
	v_readlane_b32 s12, v81, 2
	v_readlane_b32 s13, v81, 3
	s_and_b64 s[12:13], s[0:1], s[12:13]
	s_mov_b64 exec, s[12:13]
	s_cbranch_execz .LBB83_16
; %bb.15:
	v_mov_b32_e32 v2, 0
	v_mov_b32_e32 v3, s64
	ds_write_b32 v2, v2 offset:4112
	ds_write_b64 v2, v[2:3] offset:4104
.LBB83_16:
	s_or_b64 exec, exec, s[0:1]
	s_mul_i32 s0, s6, s3
	s_waitcnt lgkmcnt(0)
	s_barrier
	s_load_dword s3, s[8:9], 0xc
	s_add_i32 s0, s0, s7
	s_add_u32 s74, s4, s0
	v_cmp_gt_u32_e64 s[0:1], s64, v0
	v_mbcnt_lo_u32_b32 v1, -1, 0
	v_mbcnt_hi_u32_b32 v28, -1, v1
	v_writelane_b32 v81, s0, 8
	s_addc_u32 s75, s5, 0
	s_waitcnt lgkmcnt(0)
	s_and_b32 s67, s3, 0xffff
	v_writelane_b32 v81, s1, 9
	v_cmp_gt_u32_e32 vcc, 64, v0
	v_cmp_gt_i32_e64 s[0:1], 4, v28
	s_and_b64 s[80:81], vcc, s[0:1]
	s_add_i32 s0, s67, -1
	s_lshl_b32 s70, s67, 2
	v_writelane_b32 v81, s0, 10
	s_add_i32 s0, s0, s64
	s_cmpk_gt_u32 s64, 0xc00
	s_cselect_b64 s[14:15], -1, 0
	v_writelane_b32 v81, s14, 11
	s_cmp_gt_u32 s67, 63
	v_lshlrev_b64 v[2:3], v28, -1
	v_writelane_b32 v81, s15, 12
	s_cselect_b64 s[14:15], -1, 0
	v_not_b32_e32 v24, v2
	v_lshrrev_b32_e32 v2, 2, v0
	s_cmp_lt_u32 s2, s10
	v_and_b32_e32 v2, 0xf0, v2
	s_cselect_b32 s1, 12, 18
	v_writelane_b32 v81, s14, 13
	v_or_b32_e32 v29, 0xc00, v2
	s_add_u32 s8, s8, s1
	v_add_u32_e32 v2, 2, v0
	v_writelane_b32 v81, s15, 14
	s_addc_u32 s9, s9, 0
	v_max_u32_e32 v2, s64, v2
	v_writelane_b32 v81, s8, 15
	v_xad_u32 v2, v0, -1, v2
	v_not_b32_e32 v1, v3
	v_writelane_b32 v81, s9, 16
	v_cmp_lt_u32_e64 s[8:9], 31, v2
	v_add_u32_e32 v3, -8, v2
	v_lshrrev_b32_e32 v5, 3, v3
	v_writelane_b32 v81, s8, 17
	s_bfe_u32 s3, s3, 0xa0006
	s_add_i32 s1, s3, -2
	v_writelane_b32 v81, s9, 18
	v_cmp_lt_u32_e64 s[8:9], 7, v3
	v_and_b32_e32 v3, 8, v3
	s_lshr_b32 s2, s1, 1
	v_writelane_b32 v81, s8, 19
	v_and_b32_e32 v30, -8, v2
	s_add_i32 s2, s2, 1
	v_writelane_b32 v81, s9, 20
	v_cmp_eq_u32_e64 s[8:9], 0, v3
	s_cmpk_gt_u32 s67, 0x7f
	v_lshlrev_b32_e32 v25, 2, v0
	v_writelane_b32 v81, s8, 21
	v_mov_b32_e32 v21, 0
	s_mov_b32 s12, 0
	v_writelane_b32 v81, s9, 22
	v_cmp_ne_u32_e64 s[8:9], v2, v30
	v_cvt_f32_u32_e32 v2, s70
	v_mul_lo_u32 v18, s66, v0
	v_writelane_b32 v81, s8, 23
	v_mov_b32_e32 v19, v21
	v_rcp_iflag_f32_e32 v2, v2
	v_writelane_b32 v81, s9, 24
	s_cselect_b64 s[8:9], -1, 0
	v_writelane_b32 v81, s8, 25
	v_mul_f32_e32 v2, 0x4f7ffffe, v2
	v_cvt_u32_f32_e32 v2, v2
	v_writelane_b32 v81, s9, 26
	s_and_b32 s8, s3, 0x3fe
	s_and_b32 s9, s2, 7
	s_cmp_gt_u32 s1, 13
	s_cselect_b64 s[14:15], -1, 0
	v_writelane_b32 v81, s14, 27
	s_and_b32 s1, s2, -8
	s_cmp_lg_u32 s9, 0
	v_writelane_b32 v81, s15, 28
	v_writelane_b32 v81, s1, 29
	;; [unrolled: 1-line block ×3, first 2 shown]
	s_cselect_b64 s[14:15], -1, 0
	v_writelane_b32 v81, s14, 31
	s_cmp_lg_u32 s8, s3
	v_lshlrev_b32_e32 v4, 2, v28
	v_writelane_b32 v81, s15, 32
	v_writelane_b32 v81, s3, 33
	;; [unrolled: 1-line block ×3, first 2 shown]
	s_cselect_b64 s[2:3], -1, 0
	v_writelane_b32 v81, s2, 35
	s_sub_i32 s1, 0, s70
	v_add_u32_e32 v5, 1, v5
	v_writelane_b32 v81, s3, 36
	v_readfirstlane_b32 s2, v2
	s_mul_i32 s1, s1, s2
	s_mul_hi_u32 s1, s2, s1
	s_add_i32 s87, s2, s1
	s_mul_hi_u32 s1, s64, s87
	s_mul_i32 s1, s1, s70
	v_cvt_f32_u32_e32 v2, s67
	s_sub_i32 s1, s64, s1
	s_sub_i32 s2, s1, s70
	s_cmp_ge_u32 s1, s70
	s_cselect_b32 s1, s2, s1
	v_rcp_iflag_f32_e32 v2, v2
	s_sub_i32 s2, s1, s70
	s_cmp_ge_u32 s1, s70
	s_cselect_b32 s1, s2, s1
	s_sub_i32 s88, s64, s1
	v_mul_f32_e32 v2, 0x4f7ffffe, v2
	v_cmp_gt_u32_e64 s[2:3], s88, v25
	v_cvt_u32_f32_e32 v2, v2
	v_add_u32_e32 v33, s88, v0
	v_writelane_b32 v81, s2, 37
	v_mul_lo_u32 v20, v33, s66
	s_mul_i32 s90, s66, s67
	v_writelane_b32 v81, s3, 38
	v_cmp_gt_u32_e64 s[2:3], s64, v33
	s_mov_b32 s13, 1
	v_cmp_eq_u32_e64 s[4:5], 0, v28
	v_writelane_b32 v81, s2, 39
	v_cmp_gt_u32_e64 s[6:7], 2, v0
	v_lshl_add_u64 v[22:23], s[74:75], 0, v[18:19]
	v_writelane_b32 v81, s3, 40
	s_sub_i32 s2, 0, s67
	v_readfirstlane_b32 s3, v2
	s_mul_i32 s2, s2, s3
	s_mul_hi_u32 s2, s3, s2
	s_add_i32 s2, s3, s2
	v_writelane_b32 v81, s2, 41
	s_mul_hi_u32 s2, s0, s2
	s_mul_i32 s2, s2, s67
	s_sub_i32 s2, s0, s2
	s_sub_i32 s3, s2, s67
	s_cmp_ge_u32 s2, s67
	s_cselect_b32 s2, s3, s2
	s_sub_i32 s3, s2, s67
	s_cmp_ge_u32 s2, s67
	v_mul_lo_u32 v2, s66, v25
	s_cselect_b32 s2, s3, s2
	v_add_u32_e32 v34, s66, v2
	v_or_b32_e32 v2, 2, v25
	s_sub_i32 s20, s0, s2
	v_mul_lo_u32 v35, s66, v2
	v_or_b32_e32 v2, 3, v25
	s_add_i32 s0, s67, s64
	v_mul_lo_u32 v36, s66, v2
	v_add_u32_e32 v2, s0, v0
	v_cmp_gt_u32_e64 s[2:3], s20, v0
	v_subrev_u32_e32 v2, s1, v2
	v_and_b32_e32 v19, 0x100, v4
	v_add_u32_e32 v31, v0, v30
	s_mov_b32 s91, s66
	s_mov_b32 s23, s66
	;; [unrolled: 1-line block ×8, first 2 shown]
	v_and_b32_e32 v32, 0x3ffffffe, v5
	v_lshl_add_u64 v[26:27], s[74:75], 0, v[20:21]
	v_writelane_b32 v81, s2, 42
	s_lshl_b32 s21, s90, 2
	v_lshlrev_b32_e32 v37, 2, v18
	v_mul_lo_u32 v39, s66, v2
	v_or_b32_e32 v40, 0xc00, v4
	s_mov_b64 s[96:97], 0
	v_mov_b32_e32 v41, 6
	v_mov_b32_e32 v46, s11
	s_movk_i32 s82, 0x80
	s_mov_b32 s83, 0xc0c0004
	s_mov_b32 s63, 0xc0c0007
	v_mov_b32_e32 v50, s64
	v_mov_b32_e32 v42, 0xc00
	;; [unrolled: 1-line block ×4, first 2 shown]
	s_mov_b32 s92, s12
	v_mov_b32_e32 v38, 0
	v_mov_b32_e32 v44, 0
	s_mov_b32 s86, s66
	s_mov_b32 s22, s66
	;; [unrolled: 1-line block ×8, first 2 shown]
	v_writelane_b32 v81, s3, 43
                                        ; implicit-def: $sgpr98_sgpr99
                                        ; implicit-def: $sgpr72_sgpr73
                                        ; implicit-def: $sgpr76_sgpr77
                                        ; implicit-def: $sgpr12_sgpr13
                                        ; implicit-def: $sgpr14_sgpr15
                                        ; implicit-def: $sgpr10_sgpr11
	s_branch .LBB83_20
.LBB83_17:                              ;   in Loop: Header=BB83_20 Depth=1
	s_or_b64 exec, exec, s[34:35]
	s_and_b64 s[26:27], s[26:27], exec
	s_andn2_b64 s[30:31], s[30:31], exec
	s_andn2_b64 s[28:29], s[28:29], exec
	s_orn2_b64 s[2:3], s[2:3], exec
.LBB83_18:                              ;   in Loop: Header=BB83_20 Depth=1
	s_or_b64 exec, exec, s[8:9]
	s_andn2_b64 s[8:9], s[10:11], exec
	s_and_b64 s[10:11], s[26:27], exec
	s_or_b64 s[10:11], s[8:9], s[10:11]
	s_andn2_b64 s[8:9], s[14:15], exec
	s_and_b64 s[14:15], s[30:31], exec
	s_or_b64 s[14:15], s[8:9], s[14:15]
	;; [unrolled: 3-line block ×3, first 2 shown]
	s_orn2_b64 s[2:3], s[2:3], exec
.LBB83_19:                              ;   in Loop: Header=BB83_20 Depth=1
	s_or_b64 exec, exec, s[0:1]
	s_and_b64 s[0:1], exec, s[2:3]
	s_or_b64 s[96:97], s[0:1], s[96:97]
	s_andn2_b64 s[0:1], s[76:77], exec
	s_and_b64 s[2:3], s[10:11], exec
	s_or_b64 s[76:77], s[0:1], s[2:3]
	s_andn2_b64 s[0:1], s[72:73], exec
	s_and_b64 s[2:3], s[14:15], exec
	;; [unrolled: 3-line block ×3, first 2 shown]
	s_or_b64 s[98:99], s[0:1], s[2:3]
	s_mov_b32 s92, s24
	v_mov_b32_e32 v46, v5
	s_andn2_b64 exec, exec, s[96:97]
	s_cbranch_execz .LBB83_257
.LBB83_20:                              ; =>This Loop Header: Depth=1
                                        ;     Child Loop BB83_25 Depth 2
                                        ;     Child Loop BB83_46 Depth 2
	;; [unrolled: 1-line block ×18, first 2 shown]
	ds_read_b64 v[2:3], v21 offset:4104
	s_waitcnt lgkmcnt(0)
	v_readfirstlane_b32 s93, v2
	s_cmp_lg_u32 s93, 0
	s_cbranch_scc1 .LBB83_63
; %bb.21:                               ;   in Loop: Header=BB83_20 Depth=1
	v_readlane_b32 s0, v81, 11
	v_readlane_b32 s1, v81, 12
	s_and_b64 vcc, exec, s[0:1]
	s_cbranch_vccz .LBB83_33
; %bb.22:                               ;   in Loop: Header=BB83_20 Depth=1
	s_movk_i32 s0, 0xc01
	v_cmp_gt_u32_e32 vcc, s0, v3
	s_mov_b64 s[8:9], 0
	s_mov_b64 s[0:1], 0
	s_cbranch_vccz .LBB83_34
; %bb.23:                               ;   in Loop: Header=BB83_20 Depth=1
	v_readlane_b32 s0, v81, 15
	v_readlane_b32 s1, v81, 16
	s_nop 4
	global_load_ushort v2, v21, s[0:1]
	global_load_ubyte v4, v[22:23], off
	s_mov_b64 s[26:27], 0
	v_mov_b32_e32 v6, v0
	s_waitcnt vmcnt(1)
	v_add_u32_e32 v5, v0, v2
	v_mul_lo_u32 v3, s66, v2
	v_mul_lo_u32 v5, s66, v5
	s_branch .LBB83_25
.LBB83_24:                              ;   in Loop: Header=BB83_25 Depth=2
	s_or_b64 exec, exec, s[2:3]
	v_add_u32_e32 v5, v5, v3
	v_mov_b32_e32 v4, v7
	s_andn2_b64 exec, exec, s[26:27]
	s_cbranch_execz .LBB83_40
.LBB83_25:                              ;   Parent Loop BB83_20 Depth=1
                                        ; =>  This Inner Loop Header: Depth=2
	v_add_u32_e32 v6, v6, v2
	v_cmp_gt_u32_e64 s[0:1], s64, v6
	v_cmp_le_u32_e32 vcc, s64, v6
	s_waitcnt lgkmcnt(0)
	v_mov_b32_e32 v8, 0
	v_mov_b32_e32 v7, 0
	s_and_saveexec_b64 s[2:3], s[0:1]
	s_cbranch_execz .LBB83_27
; %bb.26:                               ;   in Loop: Header=BB83_25 Depth=2
	global_load_ubyte v7, v5, s[74:75]
.LBB83_27:                              ;   in Loop: Header=BB83_25 Depth=2
	s_or_b64 exec, exec, s[2:3]
	s_waitcnt vmcnt(0)
	v_add_u32_sdwa v9, sext(v4), s82 dst_sel:DWORD dst_unused:UNUSED_PAD src0_sel:BYTE_0 src1_sel:DWORD
	v_and_b32_e32 v9, v9, v44
	v_cmp_eq_u32_e64 s[0:1], v9, v38
	s_cmp_lg_u64 s[0:1], 0
	s_cselect_b64 s[2:3], -1, 0
	s_and_b64 s[2:3], s[4:5], s[2:3]
	s_and_saveexec_b64 s[28:29], s[2:3]
	s_cbranch_execz .LBB83_31
; %bb.28:                               ;   in Loop: Header=BB83_25 Depth=2
	s_mov_b64 s[34:35], exec
	v_mbcnt_lo_u32_b32 v8, s34, 0
	v_mbcnt_hi_u32_b32 v8, s35, v8
	s_bcnt1_i32_b64 s24, s[0:1]
	v_cmp_eq_u32_e64 s[2:3], 0, v8
                                        ; implicit-def: $vgpr9
	s_and_saveexec_b64 s[30:31], s[2:3]
; %bb.29:                               ;   in Loop: Header=BB83_25 Depth=2
	s_bcnt1_i32_b64 s2, s[34:35]
	s_mul_i32 s2, s24, s2
	v_mov_b32_e32 v9, s2
	ds_add_rtn_u32 v9, v21, v9 offset:4112
; %bb.30:                               ;   in Loop: Header=BB83_25 Depth=2
	s_or_b64 exec, exec, s[30:31]
	s_waitcnt lgkmcnt(0)
	v_readfirstlane_b32 s2, v9
	s_nop 1
	v_mov_b32_e32 v9, s2
	v_mad_u32_u24 v8, s24, v8, v9
.LBB83_31:                              ;   in Loop: Header=BB83_25 Depth=2
	s_or_b64 exec, exec, s[28:29]
	ds_bpermute_b32 v8, v19, v8
	s_and_b64 s[2:3], exec, vcc
	s_or_b64 s[26:27], s[2:3], s[26:27]
	s_and_saveexec_b64 s[2:3], s[0:1]
	s_cbranch_execz .LBB83_24
; %bb.32:                               ;   in Loop: Header=BB83_25 Depth=2
	v_and_b32_e32 v10, s0, v24
	v_and_b32_e32 v9, s1, v1
	v_bcnt_u32_b32 v10, v10, 0
	v_bcnt_u32_b32 v9, v9, v10
	s_waitcnt lgkmcnt(0)
	v_add_u32_e32 v8, v8, v9
	ds_write_b8 v8, v4
	s_branch .LBB83_24
.LBB83_33:                              ;   in Loop: Header=BB83_20 Depth=1
	s_mov_b64 s[8:9], -1
	s_mov_b64 s[0:1], 0
.LBB83_34:                              ;   in Loop: Header=BB83_20 Depth=1
	s_and_b64 vcc, exec, s[8:9]
	s_cbranch_vccz .LBB83_61
.LBB83_35:                              ;   in Loop: Header=BB83_20 Depth=1
	s_mov_b64 s[2:3], exec
	v_readlane_b32 s0, v81, 8
	v_readlane_b32 s1, v81, 9
	s_and_b64 s[0:1], s[2:3], s[0:1]
	s_mov_b64 exec, s[0:1]
	s_cbranch_execz .LBB83_58
; %bb.36:                               ;   in Loop: Header=BB83_20 Depth=1
	v_readlane_b32 s0, v81, 15
	v_readlane_b32 s1, v81, 16
	s_nop 4
	global_load_ushort v2, v21, s[0:1]
	global_load_ubyte v20, v[22:23], off
	v_mov_b32_e32 v3, v0
	s_waitcnt vmcnt(1)
	v_readfirstlane_b32 s34, v2
	v_add_u32_e32 v2, v0, v2
	v_cmp_gt_u32_e32 vcc, s64, v2
	s_and_saveexec_b64 s[26:27], vcc
	s_cbranch_execz .LBB83_57
; %bb.37:                               ;   in Loop: Header=BB83_20 Depth=1
	s_mov_b64 s[0:1], 0
	s_mul_i32 s35, s66, s34
                                        ; implicit-def: $vgpr3
                                        ; implicit-def: $vgpr4
                                        ; implicit-def: $vgpr5
	s_mov_b64 s[8:9], exec
	v_readlane_b32 s24, v81, 17
	v_readlane_b32 s25, v81, 18
	s_and_b64 s[24:25], s[8:9], s[24:25]
	s_xor_b64 s[28:29], s[24:25], s[8:9]
	s_mov_b64 exec, s[24:25]
	s_cbranch_execnz .LBB83_43
; %bb.38:                               ;   in Loop: Header=BB83_20 Depth=1
	s_andn2_saveexec_b64 s[8:9], s[28:29]
	s_cbranch_execnz .LBB83_52
.LBB83_39:                              ;   in Loop: Header=BB83_20 Depth=1
	s_or_b64 exec, exec, s[8:9]
	s_and_saveexec_b64 s[8:9], s[0:1]
	s_cbranch_execnz .LBB83_53
	s_branch .LBB83_56
.LBB83_40:                              ;   in Loop: Header=BB83_20 Depth=1
	s_or_b64 exec, exec, s[26:27]
	s_waitcnt lgkmcnt(0)
	s_barrier
	s_mov_b64 s[0:1], exec
	v_readlane_b32 s2, v81, 2
	v_readlane_b32 s3, v81, 3
	s_and_b64 s[2:3], s[0:1], s[2:3]
	s_mov_b64 exec, s[2:3]
	s_cbranch_execz .LBB83_42
; %bb.41:                               ;   in Loop: Header=BB83_20 Depth=1
	ds_read_b32 v2, v21 offset:4112
	s_waitcnt lgkmcnt(0)
	ds_write_b32 v21, v2 offset:4104
.LBB83_42:                              ;   in Loop: Header=BB83_20 Depth=1
	s_or_b64 exec, exec, s[0:1]
	s_waitcnt lgkmcnt(0)
	s_barrier
	s_mov_b64 s[0:1], -1
	s_and_b64 vcc, exec, s[8:9]
	s_cbranch_vccnz .LBB83_35
	s_branch .LBB83_61
.LBB83_43:                              ;   in Loop: Header=BB83_20 Depth=1
	v_cvt_f32_u32_e32 v3, s34
	v_add_u32_e32 v4, s34, v2
	v_max_u32_e32 v4, s64, v4
	s_lshl_b32 s0, s34, 1
	v_rcp_iflag_f32_e32 v3, v3
	v_sub_u32_e32 v4, v4, v0
	v_cmp_ne_u32_e32 vcc, s0, v4
	s_sub_i32 s1, 0, s34
	v_mul_f32_e32 v3, 0x4f7ffffe, v3
	v_cvt_u32_f32_e32 v3, v3
	v_cndmask_b32_e64 v5, 0, 1, vcc
	v_or_b32_e32 v5, s0, v5
	v_sub_u32_e32 v4, v4, v5
	v_mul_lo_u32 v5, s1, v3
	v_mul_hi_u32 v5, v3, v5
	v_add_u32_e32 v3, v3, v5
	v_mul_hi_u32 v3, v4, v3
	v_mul_lo_u32 v5, v3, s34
	v_sub_u32_e32 v4, v4, v5
	v_add_u32_e32 v5, 1, v3
	v_cmp_le_u32_e64 s[0:1], s34, v4
	s_nop 1
	v_cndmask_b32_e64 v3, v3, v5, s[0:1]
	v_subrev_u32_e32 v5, s34, v4
	v_cndmask_b32_e64 v4, v4, v5, s[0:1]
	v_add_u32_e32 v5, 1, v3
	v_cmp_le_u32_e64 s[0:1], s34, v4
	v_mul_lo_u32 v4, s66, v2
	s_nop 0
	v_cndmask_b32_e64 v3, v3, v5, s[0:1]
	v_addc_co_u32_e32 v3, vcc, 0, v3, vcc
	s_abs_i32 s0, s35
	v_mul_hi_u32 v5, s0, v3
	v_mul_lo_u32 v3, s0, v3
	s_not_b32 s0, s35
	s_ashr_i32 s0, s0, 31
	s_cmp_eq_u32 s34, 1
	v_cmp_eq_u32_e32 vcc, 0, v5
	v_xor_b32_e32 v4, s0, v4
	s_cselect_b64 s[8:9], -1, 0
	v_cmp_le_u32_e64 s[0:1], v3, v4
	s_and_b64 s[8:9], vcc, s[8:9]
	s_and_b64 s[24:25], s[8:9], s[0:1]
	s_mov_b64 s[8:9], -1
	v_mov_b32_e32 v4, v0
                                        ; implicit-def: $vgpr3
	s_and_saveexec_b64 s[0:1], s[24:25]
	s_cbranch_execz .LBB83_51
; %bb.44:                               ;   in Loop: Header=BB83_20 Depth=1
	v_add_u32_e32 v9, 7, v2
	v_add_u32_e32 v8, 6, v2
	;; [unrolled: 1-line block ×7, first 2 shown]
	v_mov_b64_e32 v[16:17], v[8:9]
	s_waitcnt vmcnt(0)
	v_lshlrev_b32_e32 v47, 24, v20
	v_mov_b32_e32 v49, 0
	v_mov_b64_e32 v[14:15], v[6:7]
	v_mov_b64_e32 v[12:13], v[4:5]
	v_mov_b64_e32 v[10:11], v[2:3]
                                        ; implicit-def: $vgpr20
	s_mov_b64 s[8:9], exec
	v_readlane_b32 s24, v81, 19
	v_readlane_b32 s25, v81, 20
	s_and_b64 s[24:25], s[8:9], s[24:25]
	s_mov_b64 exec, s[24:25]
	s_cbranch_execz .LBB83_48
; %bb.45:                               ;   in Loop: Header=BB83_20 Depth=1
	v_mov_b64_e32 v[16:17], v[8:9]
	s_mov_b32 s24, 0
	s_mov_b64 s[30:31], 0
	v_mov_b32_e32 v48, v32
	v_mov_b64_e32 v[14:15], v[6:7]
	v_mov_b64_e32 v[12:13], v[4:5]
	;; [unrolled: 1-line block ×3, first 2 shown]
.LBB83_46:                              ;   Parent Loop BB83_20 Depth=1
                                        ; =>  This Inner Loop Header: Depth=2
	v_mul_lo_u32 v6, v16, s62
	v_mul_lo_u32 v8, v15, s17
	;; [unrolled: 1-line block ×6, first 2 shown]
	v_mov_b32_e32 v57, v21
	v_mov_b32_e32 v55, v21
	;; [unrolled: 1-line block ×5, first 2 shown]
	v_add_u32_e32 v49, 8, v11
	v_add_u32_e32 v51, 8, v12
	v_add_u32_e32 v60, 8, v13
	v_add_u32_e32 v62, 8, v14
	v_add_u32_e32 v64, 8, v15
	v_add_u32_e32 v66, 8, v16
	v_add_u32_e32 v68, 8, v17
	v_mul_lo_u32 v4, v17, s19
	v_mul_lo_u32 v58, v11, s23
	v_mov_b32_e32 v59, v21
	v_mov_b32_e32 v5, v21
	v_add_u32_e32 v3, 8, v10
	v_mov_b32_e32 v61, v21
	v_mov_b32_e32 v63, v21
	;; [unrolled: 1-line block ×5, first 2 shown]
	v_lshl_add_u64 v[74:75], s[74:75], 0, v[20:21]
	v_lshl_add_u64 v[56:57], s[74:75], 0, v[56:57]
	;; [unrolled: 1-line block ×6, first 2 shown]
	v_mul_lo_u32 v72, v68, s19
	v_mul_lo_u32 v70, v66, s62
	;; [unrolled: 1-line block ×7, first 2 shown]
	v_mov_b32_e32 v71, v21
	v_mov_b32_e32 v73, v21
	v_lshl_add_u64 v[58:59], s[74:75], 0, v[58:59]
	v_lshl_add_u64 v[4:5], s[74:75], 0, v[4:5]
	v_mul_lo_u32 v20, v3, s91
	global_load_ubyte v3, v[52:53], off
	global_load_ubyte v51, v[6:7], off
	;; [unrolled: 1-line block ×7, first 2 shown]
	s_nop 0
	global_load_ubyte v74, v[74:75], off
	v_lshl_add_u64 v[6:7], s[74:75], 0, v[60:61]
	v_lshl_add_u64 v[8:9], s[74:75], 0, v[62:63]
	;; [unrolled: 1-line block ×8, first 2 shown]
	global_load_ubyte v52, v[52:53], off
	s_nop 0
	global_load_ubyte v53, v[54:55], off
	s_nop 0
	global_load_ubyte v54, v[58:59], off
	global_load_ubyte v20, v[60:61], off
	;; [unrolled: 1-line block ×3, first 2 shown]
	s_nop 0
	global_load_ubyte v56, v[4:5], off
	s_nop 0
	global_load_ubyte v8, v[8:9], off
	;; [unrolled: 2-line block ×3, first 2 shown]
	v_add_u32_e32 v48, -2, v48
	v_add_u32_e32 v9, s24, v0
	s_add_i32 s24, s24, 16
	v_cmp_eq_u32_e32 vcc, 0, v48
	v_add_u32_e32 v17, 16, v17
	v_add_u32_e32 v16, 16, v16
	;; [unrolled: 1-line block ×8, first 2 shown]
	v_mov_b32_e32 v49, s24
	s_or_b64 s[30:31], vcc, s[30:31]
	s_waitcnt vmcnt(12)
	v_perm_b32 v4, v77, v51, s83
	s_waitcnt vmcnt(11)
	v_perm_b32 v3, v78, v3, s83
	v_lshl_or_b32 v5, v4, 16, v3
	s_waitcnt vmcnt(9)
	v_perm_b32 v7, v80, v79, s83
	s_waitcnt vmcnt(8)
	v_perm_b32 v47, v47, v74, s63
	v_lshl_or_b32 v4, v7, 16, v47
	s_waitcnt vmcnt(6)
	v_perm_b32 v3, v52, v53, s83
	s_waitcnt vmcnt(4)
	v_perm_b32 v51, v54, v20, s83
	;; [unrolled: 2-line block ×4, first 2 shown]
	v_lshl_or_b32 v7, v7, 16, v3
	s_waitcnt vmcnt(0)
	v_perm_b32 v6, v6, v8, s83
	v_perm_b32 v8, v53, v55, s83
	v_lshl_or_b32 v6, v6, 16, v47
	v_lshl_or_b32 v47, v51, 16, v8
	ds_write_b128 v9, v[4:7]
	s_andn2_b64 exec, exec, s[30:31]
	s_cbranch_execnz .LBB83_46
; %bb.47:                               ;   in Loop: Header=BB83_20 Depth=1
	s_or_b64 exec, exec, s[30:31]
.LBB83_48:                              ;   in Loop: Header=BB83_20 Depth=1
	s_or_b64 exec, exec, s[8:9]
	s_mov_b64 s[8:9], exec
	v_readlane_b32 s24, v81, 21
	v_readlane_b32 s25, v81, 22
	s_and_b64 s[24:25], s[8:9], s[24:25]
	s_mov_b64 exec, s[24:25]
	s_cbranch_execz .LBB83_50
; %bb.49:                               ;   in Loop: Header=BB83_20 Depth=1
	v_mul_lo_u32 v4, v16, s62
	v_mul_lo_u32 v6, v15, s17
	;; [unrolled: 1-line block ×3, first 2 shown]
	v_mov_b32_e32 v9, v21
	v_mov_b32_e32 v7, v21
	;; [unrolled: 1-line block ×3, first 2 shown]
	v_mul_lo_u32 v14, v13, s60
	v_mul_lo_u32 v12, v12, s95
	;; [unrolled: 1-line block ×4, first 2 shown]
	v_mov_b32_e32 v53, v21
	v_mov_b32_e32 v13, v21
	;; [unrolled: 1-line block ×3, first 2 shown]
	v_lshl_add_u64 v[8:9], s[74:75], 0, v[8:9]
	v_lshl_add_u64 v[6:7], s[74:75], 0, v[6:7]
	;; [unrolled: 1-line block ×3, first 2 shown]
	v_mul_lo_u32 v16, v17, s19
	v_mov_b32_e32 v17, v21
	v_lshl_add_u64 v[10:11], s[74:75], 0, v[20:21]
	v_lshl_add_u64 v[52:53], s[74:75], 0, v[52:53]
	;; [unrolled: 1-line block ×5, first 2 shown]
	global_load_ubyte v3, v[8:9], off
	s_nop 0
	global_load_ubyte v4, v[4:5], off
	s_nop 0
	global_load_ubyte v20, v[16:17], off
	global_load_ubyte v5, v[6:7], off
	s_nop 0
	global_load_ubyte v6, v[14:15], off
	global_load_ubyte v7, v[12:13], off
	;; [unrolled: 1-line block ×4, first 2 shown]
	s_waitcnt vmcnt(4)
	v_perm_b32 v4, v5, v4, s83
	s_waitcnt vmcnt(3)
	v_perm_b32 v3, v6, v3, s83
	v_lshl_or_b32 v5, v4, 16, v3
	s_waitcnt vmcnt(1)
	v_perm_b32 v6, v8, v7, s83
	s_waitcnt vmcnt(0)
	v_perm_b32 v7, v47, v9, s63
	v_lshl_or_b32 v4, v6, 16, v7
	v_add_u32_e32 v3, v0, v49
	ds_write_b64 v3, v[4:5]
.LBB83_50:                              ;   in Loop: Header=BB83_20 Depth=1
	s_or_b64 exec, exec, s[8:9]
	v_readlane_b32 s8, v81, 23
	v_add_u32_e32 v2, v2, v30
	v_readlane_b32 s9, v81, 24
	v_add_u32_e32 v3, -1, v2
	s_orn2_b64 s[8:9], s[8:9], exec
	v_mov_b32_e32 v4, v31
.LBB83_51:                              ;   in Loop: Header=BB83_20 Depth=1
	s_or_b64 exec, exec, s[0:1]
	v_mov_b32_e32 v5, s35
	s_and_b64 s[0:1], s[8:9], exec
	s_andn2_saveexec_b64 s[8:9], s[28:29]
	s_cbranch_execz .LBB83_39
.LBB83_52:                              ;   in Loop: Header=BB83_20 Depth=1
	v_mov_b32_e32 v5, s35
	s_or_b64 s[0:1], s[0:1], exec
	v_mov_b32_e32 v4, v0
	s_or_b64 exec, exec, s[8:9]
	s_and_saveexec_b64 s[8:9], s[0:1]
	s_cbranch_execz .LBB83_56
.LBB83_53:                              ;   in Loop: Header=BB83_20 Depth=1
	s_sub_i32 s24, 0, s34
	v_mul_lo_u32 v3, s66, v2
	s_mov_b64 s[0:1], 0
.LBB83_54:                              ;   Parent Loop BB83_20 Depth=1
                                        ; =>  This Inner Loop Header: Depth=2
	global_load_ubyte v6, v3, s[74:75]
	v_mov_b32_e32 v7, v2
	v_add_u32_e32 v2, s34, v7
	v_cmp_le_u32_e32 vcc, s64, v2
	s_waitcnt vmcnt(1)
	ds_write_b8 v4, v20
	v_add_u32_e32 v3, v3, v5
	v_mov_b32_e32 v4, v7
	s_or_b64 s[0:1], vcc, s[0:1]
	s_waitcnt vmcnt(0)
	v_mov_b32_e32 v20, v6
	s_andn2_b64 exec, exec, s[0:1]
	s_cbranch_execnz .LBB83_54
; %bb.55:                               ;   in Loop: Header=BB83_20 Depth=1
	s_or_b64 exec, exec, s[0:1]
	v_add_u32_e32 v3, s24, v2
	v_mov_b32_e32 v20, v6
.LBB83_56:                              ;   in Loop: Header=BB83_20 Depth=1
	s_or_b64 exec, exec, s[8:9]
.LBB83_57:                              ;   in Loop: Header=BB83_20 Depth=1
	s_or_b64 exec, exec, s[26:27]
	s_waitcnt vmcnt(0)
	ds_write_b8 v3, v20
.LBB83_58:                              ;   in Loop: Header=BB83_20 Depth=1
	s_or_b64 exec, exec, s[2:3]
	s_waitcnt lgkmcnt(0)
	s_barrier
	s_mov_b64 s[0:1], exec
	v_readlane_b32 s2, v81, 2
	v_readlane_b32 s3, v81, 3
	s_and_b64 s[2:3], s[0:1], s[2:3]
	s_mov_b64 exec, s[2:3]
; %bb.59:                               ;   in Loop: Header=BB83_20 Depth=1
	ds_write_b32 v21, v50 offset:4104
; %bb.60:                               ;   in Loop: Header=BB83_20 Depth=1
	s_or_b64 exec, exec, s[0:1]
	s_mov_b64 s[0:1], -1
	s_waitcnt lgkmcnt(0)
	s_barrier
.LBB83_61:                              ;   in Loop: Header=BB83_20 Depth=1
	s_mov_b32 s93, 0
	s_and_b64 vcc, exec, s[0:1]
	s_cbranch_vccz .LBB83_63
; %bb.62:                               ;   in Loop: Header=BB83_20 Depth=1
	ds_read_b32 v2, v21 offset:4104
	s_waitcnt lgkmcnt(0)
	v_readfirstlane_b32 s93, v2
.LBB83_63:                              ;   in Loop: Header=BB83_20 Depth=1
	s_cmp_lt_i32 s93, 1
	s_mov_b64 s[0:1], -1
                                        ; implicit-def: $vgpr5
	s_cbranch_scc1 .LBB83_73
; %bb.64:                               ;   in Loop: Header=BB83_20 Depth=1
	s_and_b64 vcc, exec, s[0:1]
	s_cbranch_vccnz .LBB83_84
.LBB83_65:                              ;   in Loop: Header=BB83_20 Depth=1
	s_lshl_b32 s8, s92, 6
	s_and_saveexec_b64 s[0:1], s[4:5]
.LBB83_66:                              ;   in Loop: Header=BB83_20 Depth=1
	v_lshl_add_u32 v6, s8, 2, v29
	ds_write_b128 v6, v[2:5]
.LBB83_67:                              ;   in Loop: Header=BB83_20 Depth=1
	s_or_b64 exec, exec, s[0:1]
	s_waitcnt lgkmcnt(0)
	s_barrier
	s_and_saveexec_b64 s[0:1], s[80:81]
	s_cbranch_execz .LBB83_101
; %bb.68:                               ;   in Loop: Header=BB83_20 Depth=1
	v_readlane_b32 s2, v81, 13
	v_readlane_b32 s3, v81, 14
	v_add_u32_e32 v4, s8, v28
	s_andn2_b64 vcc, exec, s[2:3]
	v_mov_b32_e32 v2, 0
	s_cbranch_vccnz .LBB83_100
; %bb.69:                               ;   in Loop: Header=BB83_20 Depth=1
	v_readlane_b32 s2, v81, 25
	v_readlane_b32 s3, v81, 26
	s_andn2_b64 vcc, exec, s[2:3]
	s_cbranch_vccnz .LBB83_93
; %bb.70:                               ;   in Loop: Header=BB83_20 Depth=1
	v_readlane_b32 s2, v81, 27
	v_readlane_b32 s3, v81, 28
	s_andn2_b64 vcc, exec, s[2:3]
	v_lshl_add_u32 v5, v4, 2, v42
	s_cbranch_vccnz .LBB83_94
; %bb.71:                               ;   in Loop: Header=BB83_20 Depth=1
	s_mov_b32 s3, 1
	s_mov_b32 s2, 0
	v_mov_b32_e32 v2, 0
	v_mov_b32_e32 v3, 0
	v_readlane_b32 s9, v81, 29
.LBB83_72:                              ;   Parent Loop BB83_20 Depth=1
                                        ; =>  This Inner Loop Header: Depth=2
	v_lshl_add_u32 v20, s2, 4, v5
	v_lshl_add_u32 v47, s3, 4, v5
	ds_read2_b32 v[6:7], v20 offset1:8
	ds_read2_b32 v[8:9], v47 offset1:8
	ds_read2_b32 v[10:11], v20 offset0:16 offset1:24
	ds_read2_b32 v[12:13], v47 offset0:16 offset1:24
	ds_read2_b32 v[14:15], v20 offset0:32 offset1:40
	ds_read2_b32 v[16:17], v47 offset0:32 offset1:40
	ds_read2_b32 v[48:49], v20 offset0:48 offset1:56
	ds_read2_b32 v[52:53], v47 offset0:48 offset1:56
	s_waitcnt lgkmcnt(7)
	v_add3_u32 v2, v6, v2, v7
	s_waitcnt lgkmcnt(6)
	v_add3_u32 v3, v8, v3, v9
	;; [unrolled: 2-line block ×3, first 2 shown]
	v_add3_u32 v2, v10, v2, v11
	s_add_i32 s3, s3, 16
	s_add_i32 s2, s2, 16
	s_add_i32 s9, s9, -8
	s_waitcnt lgkmcnt(3)
	v_add3_u32 v2, v14, v2, v15
	s_waitcnt lgkmcnt(2)
	v_add3_u32 v3, v16, v3, v17
	s_cmp_lg_u32 s9, 0
	s_waitcnt lgkmcnt(0)
	v_add3_u32 v3, v52, v3, v53
	v_add3_u32 v2, v48, v2, v49
	s_cbranch_scc1 .LBB83_72
	s_branch .LBB83_95
.LBB83_73:                              ;   in Loop: Header=BB83_20 Depth=1
	v_mov_b32_e32 v2, 0
	v_mov_b32_e32 v3, 0
	;; [unrolled: 1-line block ×4, first 2 shown]
	s_mov_b64 s[78:79], exec
	v_readlane_b32 s0, v81, 37
	v_readlane_b32 s1, v81, 38
	s_and_b64 s[0:1], s[78:79], s[0:1]
	s_mov_b64 exec, s[0:1]
	s_cbranch_execz .LBB83_77
; %bb.74:                               ;   in Loop: Header=BB83_20 Depth=1
	s_mov_b32 s94, 0
	s_mov_b64 s[8:9], 0
	s_mov_b32 s95, 0
	s_mov_b32 s24, 0
	;; [unrolled: 1-line block ×4, first 2 shown]
	v_mov_b32_e32 v6, v25
.LBB83_75:                              ;   Parent Loop BB83_20 Depth=1
                                        ; =>  This Inner Loop Header: Depth=2
	v_add_u32_e32 v2, s94, v37
	v_add_u32_e32 v3, s94, v34
	;; [unrolled: 1-line block ×4, first 2 shown]
	global_load_sbyte v2, v2, s[74:75]
	s_nop 0
	global_load_sbyte v3, v3, s[74:75]
	s_nop 0
	;; [unrolled: 2-line block ×3, first 2 shown]
	global_load_sbyte v5, v5, s[74:75]
	v_add_u32_e32 v6, s70, v6
	s_add_i32 s94, s94, s21
	v_cmp_le_u32_e32 vcc, s88, v6
	s_waitcnt vmcnt(3)
	v_add_u32_e32 v2, 0x80, v2
	s_waitcnt vmcnt(2)
	v_add_u32_e32 v3, 0x80, v3
	v_and_b32_e32 v7, v2, v44
	v_bfe_u32 v2, v2, v41, 2
	s_waitcnt vmcnt(1)
	v_add_u32_e32 v4, 0x80, v4
	v_and_b32_e32 v8, v3, v44
	v_bfe_u32 v3, v3, v41, 2
	v_cmp_eq_u32_e64 s[0:1], v7, v38
	v_cmp_eq_u32_e64 s[30:31], 0, v2
	s_waitcnt vmcnt(0)
	v_add_u32_e32 v5, 0x80, v5
	v_and_b32_e32 v9, v4, v44
	v_bfe_u32 v4, v4, v41, 2
	v_cmp_eq_u32_e64 s[2:3], v8, v38
	v_cmp_eq_u32_e64 s[34:35], 0, v3
	s_and_b64 s[30:31], s[0:1], s[30:31]
	v_and_b32_e32 v10, v5, v44
	v_bfe_u32 v5, v5, v41, 2
	v_cmp_eq_u32_e64 s[26:27], v9, v38
	v_cmp_eq_u32_e64 s[36:37], 0, v4
	v_cmp_eq_u32_e64 s[40:41], 1, v2
	v_cmp_eq_u32_e64 s[48:49], 2, v2
	v_cmp_eq_u32_e64 s[56:57], 3, v2
	v_cndmask_b32_e64 v2, 0, 1, s[30:31]
	s_and_b64 s[30:31], s[2:3], s[34:35]
	v_cmp_eq_u32_e64 s[28:29], v10, v38
	v_cmp_eq_u32_e64 s[38:39], 0, v5
	;; [unrolled: 1-line block ×5, first 2 shown]
	v_cndmask_b32_e64 v3, 0, 1, s[30:31]
	s_and_b64 s[30:31], s[26:27], s[36:37]
	v_cmp_eq_u32_e64 s[44:45], 1, v4
	v_cmp_eq_u32_e64 s[52:53], 2, v4
	;; [unrolled: 1-line block ×3, first 2 shown]
	v_cndmask_b32_e64 v4, 0, 1, s[30:31]
	s_and_b64 s[30:31], s[28:29], s[38:39]
	v_cmp_eq_u32_e64 s[46:47], 1, v5
	v_cmp_eq_u32_e64 s[54:55], 2, v5
	;; [unrolled: 1-line block ×3, first 2 shown]
	v_cndmask_b32_e64 v5, 0, 1, s[30:31]
	s_and_b64 s[30:31], s[0:1], s[40:41]
	v_cndmask_b32_e64 v7, 0, 1, s[30:31]
	s_and_b64 s[30:31], s[2:3], s[42:43]
	;; [unrolled: 2-line block ×5, first 2 shown]
	s_and_b64 s[0:1], s[0:1], s[56:57]
	v_cndmask_b32_e64 v11, 0, 1, s[30:31]
	s_and_b64 s[30:31], s[2:3], s[50:51]
	v_cndmask_b32_e64 v15, 0, 1, s[0:1]
	;; [unrolled: 2-line block ×7, first 2 shown]
	v_cndmask_b32_e64 v20, 0, 1, s[0:1]
	v_cmp_ne_u32_e64 s[0:1], 0, v2
	v_cmp_ne_u32_e64 s[2:3], 0, v3
	;; [unrolled: 1-line block ×11, first 2 shown]
	s_bcnt1_i32_b64 s0, s[0:1]
	s_bcnt1_i32_b64 s1, s[2:3]
	;; [unrolled: 1-line block ×8, first 2 shown]
	v_cmp_ne_u32_e64 s[38:39], 0, v10
	v_cmp_ne_u32_e64 s[44:45], 0, v13
	;; [unrolled: 1-line block ×3, first 2 shown]
	s_bcnt1_i32_b64 s27, s[34:35]
	s_bcnt1_i32_b64 s31, s[42:43]
	s_bcnt1_i32_b64 s37, s[50:51]
	s_add_i32 s0, s91, s0
	s_add_i32 s25, s25, s26
	;; [unrolled: 1-line block ×4, first 2 shown]
	v_cmp_ne_u32_e64 s[46:47], 0, v14
	v_cmp_ne_u32_e64 s[54:55], 0, v20
	s_bcnt1_i32_b64 s29, s[38:39]
	s_bcnt1_i32_b64 s34, s[44:45]
	;; [unrolled: 1-line block ×3, first 2 shown]
	s_add_i32 s0, s0, s1
	s_add_i32 s1, s25, s27
	;; [unrolled: 1-line block ×4, first 2 shown]
	s_bcnt1_i32_b64 s35, s[46:47]
	s_bcnt1_i32_b64 s39, s[54:55]
	s_add_i32 s0, s0, s2
	s_add_i32 s1, s1, s28
	;; [unrolled: 1-line block ×8, first 2 shown]
	s_or_b64 s[8:9], vcc, s[8:9]
	v_mov_b32_e32 v2, s91
	v_mov_b32_e32 v3, s25
	;; [unrolled: 1-line block ×4, first 2 shown]
	s_andn2_b64 exec, exec, s[8:9]
	s_cbranch_execnz .LBB83_75
; %bb.76:                               ;   in Loop: Header=BB83_20 Depth=1
	s_or_b64 exec, exec, s[8:9]
	s_mov_b32 s91, s86
	s_mov_b32 s23, s22
	;; [unrolled: 1-line block ×9, first 2 shown]
.LBB83_77:                              ;   in Loop: Header=BB83_20 Depth=1
	s_or_b64 exec, exec, s[78:79]
	s_mov_b64 s[2:3], exec
	v_readlane_b32 s0, v81, 39
	v_readlane_b32 s1, v81, 40
	s_and_b64 s[0:1], s[2:3], s[0:1]
	s_mov_b64 exec, s[0:1]
	s_cbranch_execz .LBB83_83
; %bb.78:                               ;   in Loop: Header=BB83_20 Depth=1
	global_load_ubyte v9, v[26:27], off
	s_mov_b64 s[8:9], 0
	v_mov_b32_e32 v6, v39
	v_mov_b32_e32 v7, v33
	s_branch .LBB83_80
.LBB83_79:                              ;   in Loop: Header=BB83_80 Depth=2
	s_or_b64 exec, exec, s[26:27]
	s_waitcnt vmcnt(0)
	v_add_u32_sdwa v9, sext(v9), s82 dst_sel:DWORD dst_unused:UNUSED_PAD src0_sel:BYTE_0 src1_sel:DWORD
	s_and_b64 s[0:1], exec, vcc
	v_and_b32_e32 v10, v9, v44
	v_bfe_u32 v9, v9, v41, 2
	s_or_b64 s[8:9], s[0:1], s[8:9]
	v_cmp_eq_u32_e32 vcc, v10, v38
	v_cmp_eq_u32_e64 s[0:1], 0, v9
	s_and_b64 s[0:1], vcc, s[0:1]
	v_add_u32_e32 v6, s90, v6
	v_cndmask_b32_e64 v10, 0, 1, s[0:1]
	v_cmp_ne_u32_e64 s[0:1], 0, v10
	s_bcnt1_i32_b64 s0, s[0:1]
	s_nop 0
	v_add_u32_e32 v2, s0, v2
	v_cmp_eq_u32_e64 s[0:1], 1, v9
	s_and_b64 s[0:1], vcc, s[0:1]
	s_nop 0
	v_cndmask_b32_e64 v10, 0, 1, s[0:1]
	v_cmp_ne_u32_e64 s[0:1], 0, v10
	s_bcnt1_i32_b64 s0, s[0:1]
	s_nop 0
	v_add_u32_e32 v3, s0, v3
	v_cmp_eq_u32_e64 s[0:1], 2, v9
	s_and_b64 s[0:1], vcc, s[0:1]
	s_nop 0
	;; [unrolled: 8-line block ×3, first 2 shown]
	v_cndmask_b32_e64 v9, 0, 1, s[0:1]
	v_cmp_ne_u32_e32 vcc, 0, v9
	s_bcnt1_i32_b64 s0, vcc
	v_add_u32_e32 v5, s0, v5
	v_mov_b32_e32 v9, v8
	s_andn2_b64 exec, exec, s[8:9]
	s_cbranch_execz .LBB83_82
.LBB83_80:                              ;   Parent Loop BB83_20 Depth=1
                                        ; =>  This Inner Loop Header: Depth=2
	v_add_u32_e32 v7, s67, v7
	v_cmp_gt_u32_e64 s[0:1], s64, v7
	v_cmp_le_u32_e32 vcc, s64, v7
	v_mov_b32_e32 v8, 0
	s_and_saveexec_b64 s[26:27], s[0:1]
	s_cbranch_execz .LBB83_79
; %bb.81:                               ;   in Loop: Header=BB83_80 Depth=2
	global_load_ubyte v8, v6, s[74:75]
	s_branch .LBB83_79
.LBB83_82:                              ;   in Loop: Header=BB83_20 Depth=1
	s_or_b64 exec, exec, s[8:9]
.LBB83_83:                              ;   in Loop: Header=BB83_20 Depth=1
	s_or_b64 exec, exec, s[2:3]
	s_branch .LBB83_65
.LBB83_84:                              ;   in Loop: Header=BB83_20 Depth=1
	s_mul_hi_u32 s0, s93, s87
	s_mul_i32 s0, s0, s70
	s_sub_i32 s0, s93, s0
	s_sub_i32 s1, s0, s70
	s_cmp_ge_u32 s0, s70
	s_cselect_b32 s0, s1, s0
	s_sub_i32 s1, s0, s70
	s_cmp_ge_u32 s0, s70
	s_cselect_b32 s0, s1, s0
	s_sub_i32 s94, s93, s0
	v_cmp_gt_u32_e32 vcc, s94, v25
	v_mov_b32_e32 v2, 0
	v_mov_b32_e32 v3, 0
	;; [unrolled: 1-line block ×4, first 2 shown]
	s_and_saveexec_b64 s[8:9], vcc
	s_cbranch_execz .LBB83_88
; %bb.85:                               ;   in Loop: Header=BB83_20 Depth=1
	s_mov_b32 s24, 0
	s_mov_b64 s[78:79], 0
	s_mov_b32 s25, 0
	s_mov_b32 s91, 0
	;; [unrolled: 1-line block ×3, first 2 shown]
	v_mov_b32_e32 v6, v25
.LBB83_86:                              ;   Parent Loop BB83_20 Depth=1
                                        ; =>  This Inner Loop Header: Depth=2
	ds_read_b32 v2, v6
	v_add_u32_e32 v6, s70, v6
	v_cmp_le_u32_e32 vcc, s94, v6
	s_waitcnt lgkmcnt(0)
	v_add_u32_sdwa v3, sext(v2), s82 dst_sel:DWORD dst_unused:UNUSED_PAD src0_sel:BYTE_0 src1_sel:DWORD
	v_add_u32_sdwa v4, sext(v2), s82 dst_sel:DWORD dst_unused:UNUSED_PAD src0_sel:BYTE_1 src1_sel:DWORD
	v_and_b32_e32 v7, v3, v44
	v_bfe_u32 v3, v3, v41, 2
	v_add_u32_sdwa v5, sext(v2), s82 dst_sel:DWORD dst_unused:UNUSED_PAD src0_sel:BYTE_2 src1_sel:DWORD
	v_add_u32_sdwa v2, sext(v2), s82 dst_sel:DWORD dst_unused:UNUSED_PAD src0_sel:BYTE_3 src1_sel:DWORD
	v_and_b32_e32 v8, v4, v44
	v_bfe_u32 v4, v4, v41, 2
	v_cmp_eq_u32_e64 s[0:1], v7, v38
	v_cmp_eq_u32_e64 s[30:31], 0, v3
	v_and_b32_e32 v9, v5, v44
	v_and_b32_e32 v10, v2, v44
	v_bfe_u32 v5, v5, v41, 2
	v_bfe_u32 v2, v2, v41, 2
	v_cmp_eq_u32_e64 s[2:3], v8, v38
	v_cmp_eq_u32_e64 s[34:35], 0, v4
	s_and_b64 s[30:31], s[0:1], s[30:31]
	v_cmp_eq_u32_e64 s[26:27], v9, v38
	v_cmp_eq_u32_e64 s[36:37], 0, v5
	;; [unrolled: 1-line block ×6, first 2 shown]
	v_cndmask_b32_e64 v2, 0, 1, s[30:31]
	s_and_b64 s[30:31], s[2:3], s[34:35]
	v_cmp_eq_u32_e64 s[28:29], v10, v38
	v_cmp_eq_u32_e64 s[40:41], 1, v3
	;; [unrolled: 1-line block ×4, first 2 shown]
	v_cndmask_b32_e64 v3, 0, 1, s[30:31]
	s_and_b64 s[30:31], s[26:27], s[36:37]
	v_cmp_eq_u32_e64 s[42:43], 1, v4
	v_cmp_eq_u32_e64 s[50:51], 2, v4
	;; [unrolled: 1-line block ×3, first 2 shown]
	v_cndmask_b32_e64 v4, 0, 1, s[30:31]
	s_and_b64 s[30:31], s[28:29], s[38:39]
	v_cmp_eq_u32_e64 s[44:45], 1, v5
	v_cmp_eq_u32_e64 s[52:53], 2, v5
	v_cmp_eq_u32_e64 s[60:61], 3, v5
	v_cndmask_b32_e64 v5, 0, 1, s[30:31]
	s_and_b64 s[30:31], s[0:1], s[40:41]
	v_cndmask_b32_e64 v7, 0, 1, s[30:31]
	s_and_b64 s[30:31], s[2:3], s[42:43]
	;; [unrolled: 2-line block ×5, first 2 shown]
	s_and_b64 s[0:1], s[0:1], s[56:57]
	v_cndmask_b32_e64 v11, 0, 1, s[30:31]
	s_and_b64 s[30:31], s[2:3], s[50:51]
	v_cndmask_b32_e64 v15, 0, 1, s[0:1]
	s_and_b64 s[0:1], s[2:3], s[58:59]
	v_cndmask_b32_e64 v12, 0, 1, s[30:31]
	s_and_b64 s[30:31], s[26:27], s[52:53]
	v_cndmask_b32_e64 v16, 0, 1, s[0:1]
	s_and_b64 s[0:1], s[26:27], s[60:61]
	v_cndmask_b32_e64 v13, 0, 1, s[30:31]
	s_and_b64 s[30:31], s[28:29], s[54:55]
	v_cndmask_b32_e64 v17, 0, 1, s[0:1]
	s_and_b64 s[0:1], s[28:29], s[62:63]
	v_cndmask_b32_e64 v14, 0, 1, s[30:31]
	v_cndmask_b32_e64 v20, 0, 1, s[0:1]
	v_cmp_ne_u32_e64 s[0:1], 0, v2
	v_cmp_ne_u32_e64 s[2:3], 0, v3
	;; [unrolled: 1-line block ×11, first 2 shown]
	s_bcnt1_i32_b64 s0, s[0:1]
	s_bcnt1_i32_b64 s1, s[2:3]
	;; [unrolled: 1-line block ×8, first 2 shown]
	v_cmp_ne_u32_e64 s[38:39], 0, v10
	v_cmp_ne_u32_e64 s[44:45], 0, v13
	;; [unrolled: 1-line block ×3, first 2 shown]
	s_bcnt1_i32_b64 s27, s[34:35]
	s_bcnt1_i32_b64 s31, s[42:43]
	;; [unrolled: 1-line block ×3, first 2 shown]
	s_add_i32 s0, s95, s0
	s_add_i32 s26, s91, s26
	;; [unrolled: 1-line block ×4, first 2 shown]
	v_cmp_ne_u32_e64 s[46:47], 0, v14
	v_cmp_ne_u32_e64 s[54:55], 0, v20
	s_bcnt1_i32_b64 s29, s[38:39]
	s_bcnt1_i32_b64 s34, s[44:45]
	;; [unrolled: 1-line block ×3, first 2 shown]
	s_add_i32 s0, s0, s1
	s_add_i32 s1, s26, s27
	;; [unrolled: 1-line block ×4, first 2 shown]
	s_bcnt1_i32_b64 s35, s[46:47]
	s_bcnt1_i32_b64 s39, s[54:55]
	s_add_i32 s0, s0, s2
	s_add_i32 s1, s1, s28
	;; [unrolled: 1-line block ×8, first 2 shown]
	s_or_b64 s[78:79], vcc, s[78:79]
	v_mov_b32_e32 v2, s95
	v_mov_b32_e32 v3, s91
	;; [unrolled: 1-line block ×4, first 2 shown]
	s_andn2_b64 exec, exec, s[78:79]
	s_cbranch_execnz .LBB83_86
; %bb.87:                               ;   in Loop: Header=BB83_20 Depth=1
	s_or_b64 exec, exec, s[78:79]
	s_mov_b32 s91, s86
	s_mov_b32 s23, s22
	;; [unrolled: 1-line block ×9, first 2 shown]
.LBB83_88:                              ;   in Loop: Header=BB83_20 Depth=1
	s_or_b64 exec, exec, s[8:9]
	v_add_u32_e32 v6, s94, v0
	v_cmp_gt_u32_e32 vcc, s93, v6
	s_and_saveexec_b64 s[8:9], vcc
	s_cbranch_execz .LBB83_92
; %bb.89:                               ;   in Loop: Header=BB83_20 Depth=1
	s_mov_b64 s[34:35], 0
.LBB83_90:                              ;   Parent Loop BB83_20 Depth=1
                                        ; =>  This Inner Loop Header: Depth=2
	ds_read_i8 v7, v6
	v_add_u32_e32 v6, s67, v6
	v_cmp_le_u32_e32 vcc, s93, v6
	s_waitcnt lgkmcnt(0)
	v_add_u32_e32 v7, 0x80, v7
	v_and_b32_e32 v8, v7, v44
	v_bfe_u32 v7, v7, v41, 2
	v_cmp_eq_u32_e64 s[0:1], v8, v38
	v_cmp_eq_u32_e64 s[2:3], 0, v7
	;; [unrolled: 1-line block ×3, first 2 shown]
	s_and_b64 s[2:3], s[0:1], s[2:3]
	v_cmp_eq_u32_e64 s[28:29], 2, v7
	v_cmp_eq_u32_e64 s[30:31], 3, v7
	v_cndmask_b32_e64 v7, 0, 1, s[2:3]
	s_and_b64 s[2:3], s[0:1], s[26:27]
	v_cndmask_b32_e64 v8, 0, 1, s[2:3]
	s_and_b64 s[2:3], s[0:1], s[28:29]
	s_and_b64 s[0:1], s[0:1], s[30:31]
	v_cndmask_b32_e64 v9, 0, 1, s[2:3]
	v_cndmask_b32_e64 v10, 0, 1, s[0:1]
	v_cmp_ne_u32_e64 s[0:1], 0, v7
	v_cmp_ne_u32_e64 s[2:3], 0, v8
	;; [unrolled: 1-line block ×4, first 2 shown]
	s_bcnt1_i32_b64 s0, s[0:1]
	s_bcnt1_i32_b64 s1, s[2:3]
	;; [unrolled: 1-line block ×4, first 2 shown]
	v_add_u32_e32 v2, s0, v2
	v_add_u32_e32 v3, s1, v3
	;; [unrolled: 1-line block ×3, first 2 shown]
	s_or_b64 s[34:35], vcc, s[34:35]
	v_add_u32_e32 v5, s3, v5
	s_andn2_b64 exec, exec, s[34:35]
	s_cbranch_execnz .LBB83_90
; %bb.91:                               ;   in Loop: Header=BB83_20 Depth=1
	s_or_b64 exec, exec, s[34:35]
.LBB83_92:                              ;   in Loop: Header=BB83_20 Depth=1
	s_or_b64 exec, exec, s[8:9]
	s_lshl_b32 s8, s92, 6
	s_and_saveexec_b64 s[0:1], s[4:5]
	s_cbranch_execnz .LBB83_66
	s_branch .LBB83_67
.LBB83_93:                              ;   in Loop: Header=BB83_20 Depth=1
	v_mov_b32_e32 v2, 0
	s_mov_b32 s9, 0
	s_cbranch_execnz .LBB83_98
	s_branch .LBB83_100
.LBB83_94:                              ;   in Loop: Header=BB83_20 Depth=1
	v_mov_b32_e32 v20, v21
	s_mov_b32 s2, 0
	v_mov_b64_e32 v[2:3], v[20:21]
	s_mov_b32 s3, 1
.LBB83_95:                              ;   in Loop: Header=BB83_20 Depth=1
	v_readlane_b32 s24, v81, 31
	v_readlane_b32 s25, v81, 32
	s_andn2_b64 vcc, exec, s[24:25]
	v_readlane_b32 s9, v81, 30
	s_cbranch_vccnz .LBB83_97
.LBB83_96:                              ;   Parent Loop BB83_20 Depth=1
                                        ; =>  This Inner Loop Header: Depth=2
	v_lshl_add_u32 v6, s2, 4, v5
	v_lshl_add_u32 v7, s3, 4, v5
	ds_read_b32 v7, v7
	ds_read_b32 v6, v6
	s_add_i32 s3, s3, 2
	s_add_i32 s2, s2, 2
	s_add_i32 s9, s9, -1
	s_cmp_lg_u32 s9, 0
	s_waitcnt lgkmcnt(1)
	v_add_u32_e32 v3, v7, v3
	s_waitcnt lgkmcnt(0)
	v_add_u32_e32 v2, v6, v2
	s_cbranch_scc1 .LBB83_96
.LBB83_97:                              ;   in Loop: Header=BB83_20 Depth=1
	v_readlane_b32 s2, v81, 35
	v_add_u32_e32 v2, v2, v3
	v_readlane_b32 s9, v81, 34
	v_readlane_b32 s3, v81, 36
	s_and_b64 vcc, exec, s[2:3]
	s_cbranch_vccz .LBB83_100
.LBB83_98:                              ;   in Loop: Header=BB83_20 Depth=1
	s_lshl_b32 s2, s92, 8
	s_lshl_b32 s3, s9, 4
	s_add_i32 s2, s2, s3
	v_add_u32_e32 v3, s2, v40
	v_readlane_b32 s2, v81, 33
	s_sub_i32 s2, s2, s9
.LBB83_99:                              ;   Parent Loop BB83_20 Depth=1
                                        ; =>  This Inner Loop Header: Depth=2
	ds_read_b32 v5, v3
	s_add_i32 s2, s2, -1
	v_add_u32_e32 v3, 16, v3
	s_cmp_eq_u32 s2, 0
	s_waitcnt lgkmcnt(0)
	v_add_u32_e32 v2, v5, v2
	s_cbranch_scc0 .LBB83_99
.LBB83_100:                             ;   in Loop: Header=BB83_20 Depth=1
	v_lshlrev_b32_e32 v3, 2, v4
	ds_write_b32 v3, v2 offset:3072
.LBB83_101:                             ;   in Loop: Header=BB83_20 Depth=1
	s_or_b64 exec, exec, s[0:1]
	s_lshl_b32 s0, s8, 2
	v_mov_b32_e32 v2, s0
	s_waitcnt lgkmcnt(0)
	s_barrier
	ds_read_b128 v[2:5], v2 offset:3072
	v_cmp_eq_u32_e32 vcc, 1, v46
	s_mov_b64 s[2:3], -1
	s_mov_b64 s[30:31], -1
                                        ; implicit-def: $sgpr28_sgpr29
                                        ; implicit-def: $sgpr8_sgpr9
	s_waitcnt lgkmcnt(0)
	v_readfirstlane_b32 s44, v2
	s_cmp_eq_u32 s44, 1
	v_lshlrev_b32_e64 v2, v41, 3
	s_cselect_b64 s[0:1], -1, 0
	v_readfirstlane_b32 s48, v3
	v_readfirstlane_b32 s56, v4
	;; [unrolled: 1-line block ×3, first 2 shown]
	v_not_b32_e32 v4, v2
	s_and_b64 s[26:27], s[0:1], vcc
	s_and_saveexec_b64 s[0:1], s[26:27]
	s_cbranch_execz .LBB83_127
; %bb.102:                              ;   in Loop: Header=BB83_20 Depth=1
	ds_read_b32 v3, v21 offset:4104
	s_waitcnt lgkmcnt(0)
	s_barrier
	v_readfirstlane_b32 s24, v3
	s_and_saveexec_b64 s[8:9], s[6:7]
; %bb.103:                              ;   in Loop: Header=BB83_20 Depth=1
	ds_write_b8 v0, v21 offset:3072
; %bb.104:                              ;   in Loop: Header=BB83_20 Depth=1
	s_or_b64 exec, exec, s[8:9]
	v_and_b32_e32 v38, v38, v4
	v_or_b32_e32 v44, v44, v2
	s_mov_b64 s[8:9], -1
	s_mov_b64 s[28:29], 0
	s_cmp_eq_u32 s24, 0
	s_mov_b64 s[30:31], 0
	s_mov_b64 s[34:35], -1
	s_waitcnt lgkmcnt(0)
	s_barrier
                                        ; implicit-def: $vgpr45
	s_cbranch_scc1 .LBB83_115
; %bb.105:                              ;   in Loop: Header=BB83_20 Depth=1
	v_readlane_b32 s25, v81, 10
	s_add_i32 s25, s24, s25
	v_readlane_b32 s30, v81, 41
	s_mul_hi_u32 s30, s25, s30
	s_mul_i32 s30, s30, s67
	s_sub_i32 s30, s25, s30
	s_sub_i32 s31, s30, s67
	s_cmp_ge_u32 s30, s67
	s_cselect_b32 s30, s31, s30
	s_sub_i32 s31, s30, s67
	s_cmp_ge_u32 s30, s67
	s_cselect_b32 s30, s31, s30
	s_sub_i32 s25, s25, s30
	v_cmp_gt_u32_e32 vcc, s25, v0
	s_mov_b64 s[34:35], 0
	s_mov_b64 s[30:31], 0
                                        ; implicit-def: $vgpr45
	s_and_saveexec_b64 s[36:37], vcc
	s_cbranch_execz .LBB83_114
; %bb.106:                              ;   in Loop: Header=BB83_20 Depth=1
	v_mov_b32_e32 v3, v0
                                        ; implicit-def: $sgpr38_sgpr39
	s_branch .LBB83_109
.LBB83_107:                             ;   in Loop: Header=BB83_109 Depth=2
	s_or_b64 exec, exec, s[40:41]
	s_waitcnt lgkmcnt(0)
	s_barrier
	ds_read_u16 v5, v21 offset:3072
	s_mov_b64 s[40:41], -1
	s_waitcnt lgkmcnt(0)
	s_barrier
	v_cmp_ne_u32_sdwa s[42:43], v5, v21 src0_sel:BYTE_0 src1_sel:DWORD
	s_and_b64 vcc, exec, s[42:43]
	s_mov_b64 s[42:43], -1
	s_cbranch_vccz .LBB83_112
.LBB83_108:                             ;   in Loop: Header=BB83_109 Depth=2
	s_and_b64 s[40:41], exec, s[40:41]
	s_or_b64 s[30:31], s[40:41], s[30:31]
	s_andn2_b64 s[38:39], s[38:39], exec
	s_and_b64 s[40:41], s[42:43], exec
	s_or_b64 s[38:39], s[38:39], s[40:41]
	s_andn2_b64 exec, exec, s[30:31]
	s_cbranch_execz .LBB83_113
.LBB83_109:                             ;   Parent Loop BB83_20 Depth=1
                                        ; =>  This Inner Loop Header: Depth=2
	v_cmp_gt_u32_e32 vcc, s24, v3
	s_and_saveexec_b64 s[40:41], vcc
	s_cbranch_execz .LBB83_107
; %bb.110:                              ;   in Loop: Header=BB83_109 Depth=2
	ds_read_u8 v5, v3
	s_waitcnt lgkmcnt(0)
	v_add_u32_sdwa v6, sext(v5), s82 dst_sel:DWORD dst_unused:UNUSED_PAD src0_sel:BYTE_0 src1_sel:DWORD
	v_and_b32_e32 v6, v6, v44
	v_cmp_eq_u32_e32 vcc, v6, v38
	s_and_b64 exec, exec, vcc
	s_cbranch_execz .LBB83_107
; %bb.111:                              ;   in Loop: Header=BB83_109 Depth=2
	v_lshlrev_b16_e32 v5, 8, v5
	v_or_b32_e32 v5, 1, v5
	ds_write_b16 v21, v5 offset:3072
	s_branch .LBB83_107
.LBB83_112:                             ;   in Loop: Header=BB83_109 Depth=2
	v_add_u32_e32 v3, s67, v3
	v_cmp_le_u32_e32 vcc, s25, v3
	s_mov_b64 s[42:43], 0
	s_orn2_b64 s[40:41], vcc, exec
	s_branch .LBB83_108
.LBB83_113:                             ;   in Loop: Header=BB83_20 Depth=1
	s_or_b64 exec, exec, s[30:31]
	v_lshrrev_b32_sdwa v45, v43, v5 dst_sel:DWORD dst_unused:UNUSED_PAD src0_sel:DWORD src1_sel:WORD_0
	s_and_b64 s[30:31], s[38:39], exec
.LBB83_114:                             ;   in Loop: Header=BB83_20 Depth=1
	s_or_b64 exec, exec, s[36:37]
.LBB83_115:                             ;   in Loop: Header=BB83_20 Depth=1
	s_and_b64 vcc, exec, s[34:35]
	s_cbranch_vccz .LBB83_126
; %bb.116:                              ;   in Loop: Header=BB83_20 Depth=1
                                        ; implicit-def: $vgpr45
	s_mov_b64 s[8:9], exec
	v_readlane_b32 s24, v81, 42
	v_readlane_b32 s25, v81, 43
	s_and_b64 s[24:25], s[8:9], s[24:25]
	s_mov_b64 exec, s[24:25]
	s_cbranch_execz .LBB83_125
; %bb.117:                              ;   in Loop: Header=BB83_20 Depth=1
	s_mov_b64 s[28:29], 0
	v_mov_b32_e32 v3, v18
	v_mov_b32_e32 v5, v0
                                        ; implicit-def: $sgpr34_sgpr35
	s_branch .LBB83_120
.LBB83_118:                             ;   in Loop: Header=BB83_120 Depth=2
	s_or_b64 exec, exec, s[36:37]
	s_waitcnt lgkmcnt(0)
	s_barrier
	ds_read_u16 v6, v21 offset:3072
	s_mov_b64 s[36:37], -1
	s_mov_b64 s[38:39], -1
	s_waitcnt lgkmcnt(0)
	s_barrier
	v_cmp_ne_u32_sdwa s[24:25], v6, v21 src0_sel:BYTE_0 src1_sel:DWORD
	s_and_b64 vcc, exec, s[24:25]
	s_cbranch_vccz .LBB83_123
.LBB83_119:                             ;   in Loop: Header=BB83_120 Depth=2
	s_and_b64 s[24:25], exec, s[36:37]
	s_or_b64 s[28:29], s[24:25], s[28:29]
	s_andn2_b64 s[24:25], s[34:35], exec
	s_and_b64 s[34:35], s[38:39], exec
	s_or_b64 s[34:35], s[24:25], s[34:35]
	s_andn2_b64 exec, exec, s[28:29]
	s_cbranch_execz .LBB83_124
.LBB83_120:                             ;   Parent Loop BB83_20 Depth=1
                                        ; =>  This Inner Loop Header: Depth=2
	v_cmp_gt_u32_e32 vcc, s64, v5
	s_and_saveexec_b64 s[36:37], vcc
	s_cbranch_execz .LBB83_118
; %bb.121:                              ;   in Loop: Header=BB83_120 Depth=2
	global_load_ubyte v6, v3, s[74:75]
	s_waitcnt vmcnt(0)
	v_add_u32_sdwa v7, sext(v6), s82 dst_sel:DWORD dst_unused:UNUSED_PAD src0_sel:BYTE_0 src1_sel:DWORD
	v_and_b32_e32 v7, v7, v44
	v_cmp_eq_u32_e32 vcc, v7, v38
	s_and_b64 exec, exec, vcc
	s_cbranch_execz .LBB83_118
; %bb.122:                              ;   in Loop: Header=BB83_120 Depth=2
	v_lshlrev_b16_e32 v6, 8, v6
	v_or_b32_e32 v6, 1, v6
	ds_write_b16 v21, v6 offset:3072
	s_branch .LBB83_118
.LBB83_123:                             ;   in Loop: Header=BB83_120 Depth=2
	v_add_u32_e32 v5, s67, v5
	v_cmp_le_u32_e32 vcc, s20, v5
	v_add_u32_e32 v3, s90, v3
	s_mov_b64 s[38:39], 0
	s_orn2_b64 s[36:37], vcc, exec
	s_branch .LBB83_119
.LBB83_124:                             ;   in Loop: Header=BB83_20 Depth=1
	s_or_b64 exec, exec, s[28:29]
	s_andn2_b64 s[24:25], s[30:31], exec
	s_and_b64 s[28:29], s[34:35], exec
	v_lshrrev_b32_sdwa v45, v43, v6 dst_sel:DWORD dst_unused:UNUSED_PAD src0_sel:DWORD src1_sel:WORD_0
	s_or_b64 s[30:31], s[24:25], s[28:29]
.LBB83_125:                             ;   in Loop: Header=BB83_20 Depth=1
	s_or_b64 exec, exec, s[8:9]
	s_mov_b64 s[8:9], 0
	s_mov_b64 s[28:29], -1
.LBB83_126:                             ;   in Loop: Header=BB83_20 Depth=1
	s_orn2_b64 s[30:31], s[30:31], exec
.LBB83_127:                             ;   in Loop: Header=BB83_20 Depth=1
	s_or_b64 exec, exec, s[0:1]
	s_andn2_b64 s[0:1], s[14:15], exec
	s_and_b64 s[14:15], s[28:29], exec
	s_or_b64 s[14:15], s[0:1], s[14:15]
	s_andn2_b64 s[0:1], s[12:13], exec
	s_and_b64 s[8:9], s[8:9], exec
	v_readfirstlane_b32 s24, v0
	s_andn2_b64 s[10:11], s[10:11], exec
	s_or_b64 s[12:13], s[0:1], s[8:9]
                                        ; implicit-def: $vgpr5
	s_and_saveexec_b64 s[0:1], s[30:31]
	s_cbranch_execz .LBB83_19
; %bb.128:                              ;   in Loop: Header=BB83_20 Depth=1
	s_xor_b64 s[8:9], s[26:27], -1
	s_mov_b64 s[26:27], 0
	v_mov_b32_e32 v5, 1
	v_mov_b32_e32 v3, 1
	s_and_saveexec_b64 s[2:3], s[8:9]
	s_cbranch_execz .LBB83_137
; %bb.129:                              ;   in Loop: Header=BB83_20 Depth=1
	v_cmp_ge_u32_e32 vcc, s44, v46
	s_and_saveexec_b64 s[8:9], vcc
	s_xor_b64 s[8:9], exec, s[8:9]
	s_cbranch_execz .LBB83_134
; %bb.130:                              ;   in Loop: Header=BB83_20 Depth=1
	ds_read_b32 v3, v21 offset:4104
	v_and_b32_e32 v38, v38, v4
	v_or_b32_e32 v44, v44, v2
	s_waitcnt lgkmcnt(0)
	v_cmp_ne_u32_e32 vcc, 0, v3
	s_cbranch_vccnz .LBB83_134
; %bb.131:                              ;   in Loop: Header=BB83_20 Depth=1
	s_mov_b64 s[26:27], exec
	v_readlane_b32 s24, v81, 2
	v_readlane_b32 s25, v81, 3
	s_and_b64 s[24:25], s[26:27], s[24:25]
	s_mov_b64 exec, s[24:25]
; %bb.132:                              ;   in Loop: Header=BB83_20 Depth=1
	v_mov_b32_e32 v3, s44
	ds_write_b32 v21, v3 offset:4108
; %bb.133:                              ;   in Loop: Header=BB83_20 Depth=1
	s_or_b64 exec, exec, s[26:27]
	s_waitcnt lgkmcnt(0)
	s_barrier
.LBB83_134:                             ;   in Loop: Header=BB83_20 Depth=1
	s_or_saveexec_b64 s[8:9], s[8:9]
	s_mov_b64 s[26:27], 0
	v_mov_b32_e32 v3, 8
	s_xor_b64 exec, exec, s[8:9]
; %bb.135:                              ;   in Loop: Header=BB83_20 Depth=1
	s_mov_b64 s[26:27], exec
	v_subrev_u32_e32 v46, s44, v46
	v_mov_b32_e32 v3, 0
; %bb.136:                              ;   in Loop: Header=BB83_20 Depth=1
	s_or_b64 exec, exec, s[8:9]
	s_and_b64 s[26:27], s[26:27], exec
	v_mov_b32_e32 v5, v46
.LBB83_137:                             ;   in Loop: Header=BB83_20 Depth=1
	s_or_b64 exec, exec, s[2:3]
	s_mov_b64 s[2:3], -1
	s_mov_b64 s[8:9], -1
                                        ; implicit-def: $sgpr28_sgpr29
                                        ; implicit-def: $sgpr30_sgpr31
	s_and_saveexec_b64 s[24:25], s[26:27]
	s_xor_b64 s[26:27], exec, s[24:25]
	s_cbranch_execz .LBB83_254
; %bb.138:                              ;   in Loop: Header=BB83_20 Depth=1
	s_cmp_eq_u32 s48, 1
	s_cselect_b64 s[8:9], -1, 0
	v_cmp_eq_u32_e32 vcc, 1, v5
	s_and_b64 s[36:37], s[8:9], vcc
	s_mov_b64 s[38:39], -1
                                        ; implicit-def: $sgpr30_sgpr31
                                        ; implicit-def: $sgpr28_sgpr29
	s_and_saveexec_b64 s[8:9], s[36:37]
	s_cbranch_execz .LBB83_164
; %bb.139:                              ;   in Loop: Header=BB83_20 Depth=1
	ds_read_b32 v6, v21 offset:4104
	s_waitcnt lgkmcnt(0)
	s_barrier
	v_readfirstlane_b32 s24, v6
	s_and_saveexec_b64 s[28:29], s[6:7]
; %bb.140:                              ;   in Loop: Header=BB83_20 Depth=1
	ds_write_b8 v0, v21 offset:3072
; %bb.141:                              ;   in Loop: Header=BB83_20 Depth=1
	s_or_b64 exec, exec, s[28:29]
	v_and_b32_e32 v6, v38, v4
	v_lshl_or_b32 v38, 1, v41, v6
	v_or_b32_e32 v44, v44, v2
	s_mov_b64 s[28:29], -1
	s_mov_b64 s[30:31], 0
	s_cmp_eq_u32 s24, 0
	s_mov_b64 s[34:35], 0
	s_waitcnt lgkmcnt(0)
	s_barrier
                                        ; implicit-def: $vgpr45
	s_cbranch_scc1 .LBB83_152
; %bb.142:                              ;   in Loop: Header=BB83_20 Depth=1
	v_readlane_b32 s25, v81, 10
	s_add_i32 s25, s24, s25
	v_readlane_b32 s34, v81, 41
	s_mul_hi_u32 s34, s25, s34
	s_mul_i32 s34, s34, s67
	s_sub_i32 s34, s25, s34
	s_sub_i32 s35, s34, s67
	s_cmp_ge_u32 s34, s67
	s_cselect_b32 s34, s35, s34
	s_sub_i32 s35, s34, s67
	s_cmp_ge_u32 s34, s67
	s_cselect_b32 s34, s35, s34
	s_sub_i32 s25, s25, s34
	v_cmp_gt_u32_e32 vcc, s25, v0
	s_mov_b64 s[38:39], 0
	s_mov_b64 s[34:35], 0
                                        ; implicit-def: $vgpr45
	s_and_saveexec_b64 s[40:41], vcc
	s_cbranch_execz .LBB83_151
; %bb.143:                              ;   in Loop: Header=BB83_20 Depth=1
	v_mov_b32_e32 v6, v0
                                        ; implicit-def: $sgpr42_sgpr43
	s_branch .LBB83_146
.LBB83_144:                             ;   in Loop: Header=BB83_146 Depth=2
	s_or_b64 exec, exec, s[44:45]
	s_waitcnt lgkmcnt(0)
	s_barrier
	ds_read_u16 v7, v21 offset:3072
	s_mov_b64 s[44:45], -1
	s_waitcnt lgkmcnt(0)
	s_barrier
	v_cmp_ne_u32_sdwa s[46:47], v7, v21 src0_sel:BYTE_0 src1_sel:DWORD
	s_and_b64 vcc, exec, s[46:47]
	s_mov_b64 s[46:47], -1
	s_cbranch_vccz .LBB83_149
.LBB83_145:                             ;   in Loop: Header=BB83_146 Depth=2
	s_and_b64 s[44:45], exec, s[44:45]
	s_or_b64 s[34:35], s[44:45], s[34:35]
	s_andn2_b64 s[42:43], s[42:43], exec
	s_and_b64 s[44:45], s[46:47], exec
	s_or_b64 s[42:43], s[42:43], s[44:45]
	s_andn2_b64 exec, exec, s[34:35]
	s_cbranch_execz .LBB83_150
.LBB83_146:                             ;   Parent Loop BB83_20 Depth=1
                                        ; =>  This Inner Loop Header: Depth=2
	v_cmp_gt_u32_e32 vcc, s24, v6
	s_and_saveexec_b64 s[44:45], vcc
	s_cbranch_execz .LBB83_144
; %bb.147:                              ;   in Loop: Header=BB83_146 Depth=2
	ds_read_u8 v7, v6
	s_waitcnt lgkmcnt(0)
	v_add_u32_sdwa v8, sext(v7), s82 dst_sel:DWORD dst_unused:UNUSED_PAD src0_sel:BYTE_0 src1_sel:DWORD
	v_and_b32_e32 v8, v8, v44
	v_cmp_eq_u32_e32 vcc, v8, v38
	s_and_b64 exec, exec, vcc
	s_cbranch_execz .LBB83_144
; %bb.148:                              ;   in Loop: Header=BB83_146 Depth=2
	v_lshlrev_b16_e32 v7, 8, v7
	v_or_b32_e32 v7, 1, v7
	ds_write_b16 v21, v7 offset:3072
	s_branch .LBB83_144
.LBB83_149:                             ;   in Loop: Header=BB83_146 Depth=2
	v_add_u32_e32 v6, s67, v6
	v_cmp_le_u32_e32 vcc, s25, v6
	s_mov_b64 s[46:47], 0
	s_orn2_b64 s[44:45], vcc, exec
	s_branch .LBB83_145
.LBB83_150:                             ;   in Loop: Header=BB83_20 Depth=1
	s_or_b64 exec, exec, s[34:35]
	v_lshrrev_b32_sdwa v45, v43, v7 dst_sel:DWORD dst_unused:UNUSED_PAD src0_sel:DWORD src1_sel:WORD_0
	s_and_b64 s[34:35], s[42:43], exec
.LBB83_151:                             ;   in Loop: Header=BB83_20 Depth=1
	s_or_b64 exec, exec, s[40:41]
.LBB83_152:                             ;   in Loop: Header=BB83_20 Depth=1
	s_and_b64 vcc, exec, s[38:39]
	s_cbranch_vccz .LBB83_163
; %bb.153:                              ;   in Loop: Header=BB83_20 Depth=1
                                        ; implicit-def: $vgpr45
	s_mov_b64 s[28:29], exec
	v_readlane_b32 s24, v81, 42
	v_readlane_b32 s25, v81, 43
	s_and_b64 s[24:25], s[28:29], s[24:25]
	s_mov_b64 exec, s[24:25]
	s_cbranch_execz .LBB83_162
; %bb.154:                              ;   in Loop: Header=BB83_20 Depth=1
	s_mov_b64 s[30:31], 0
	v_mov_b32_e32 v6, v18
	v_mov_b32_e32 v7, v0
                                        ; implicit-def: $sgpr38_sgpr39
	s_branch .LBB83_157
.LBB83_155:                             ;   in Loop: Header=BB83_157 Depth=2
	s_or_b64 exec, exec, s[40:41]
	s_waitcnt lgkmcnt(0)
	s_barrier
	ds_read_u16 v8, v21 offset:3072
	s_mov_b64 s[40:41], -1
	s_mov_b64 s[42:43], -1
	s_waitcnt lgkmcnt(0)
	s_barrier
	v_cmp_eq_u32_sdwa s[24:25], v8, v21 src0_sel:BYTE_0 src1_sel:DWORD
	s_and_b64 vcc, exec, s[24:25]
	s_cbranch_vccnz .LBB83_160
.LBB83_156:                             ;   in Loop: Header=BB83_157 Depth=2
	s_and_b64 s[24:25], exec, s[40:41]
	s_or_b64 s[30:31], s[24:25], s[30:31]
	s_andn2_b64 s[24:25], s[38:39], exec
	s_and_b64 s[38:39], s[42:43], exec
	s_or_b64 s[38:39], s[24:25], s[38:39]
	s_andn2_b64 exec, exec, s[30:31]
	s_cbranch_execz .LBB83_161
.LBB83_157:                             ;   Parent Loop BB83_20 Depth=1
                                        ; =>  This Inner Loop Header: Depth=2
	v_cmp_gt_u32_e32 vcc, s64, v7
	s_and_saveexec_b64 s[40:41], vcc
	s_cbranch_execz .LBB83_155
; %bb.158:                              ;   in Loop: Header=BB83_157 Depth=2
	global_load_ubyte v8, v6, s[74:75]
	s_waitcnt vmcnt(0)
	v_add_u32_sdwa v9, sext(v8), s82 dst_sel:DWORD dst_unused:UNUSED_PAD src0_sel:BYTE_0 src1_sel:DWORD
	v_and_b32_e32 v9, v9, v44
	v_cmp_eq_u32_e32 vcc, v9, v38
	s_and_b64 exec, exec, vcc
	s_cbranch_execz .LBB83_155
; %bb.159:                              ;   in Loop: Header=BB83_157 Depth=2
	v_lshlrev_b16_e32 v8, 8, v8
	v_or_b32_e32 v8, 1, v8
	ds_write_b16 v21, v8 offset:3072
	s_branch .LBB83_155
.LBB83_160:                             ;   in Loop: Header=BB83_157 Depth=2
	v_add_u32_e32 v7, s67, v7
	v_cmp_le_u32_e32 vcc, s20, v7
	v_add_u32_e32 v6, s90, v6
	s_mov_b64 s[42:43], 0
	s_orn2_b64 s[40:41], vcc, exec
	s_branch .LBB83_156
.LBB83_161:                             ;   in Loop: Header=BB83_20 Depth=1
	s_or_b64 exec, exec, s[30:31]
	s_andn2_b64 s[24:25], s[34:35], exec
	s_and_b64 s[30:31], s[38:39], exec
	v_lshrrev_b32_sdwa v45, v43, v8 dst_sel:DWORD dst_unused:UNUSED_PAD src0_sel:DWORD src1_sel:WORD_0
	s_or_b64 s[34:35], s[24:25], s[30:31]
.LBB83_162:                             ;   in Loop: Header=BB83_20 Depth=1
	s_or_b64 exec, exec, s[28:29]
	s_mov_b64 s[28:29], 0
	s_mov_b64 s[30:31], -1
.LBB83_163:                             ;   in Loop: Header=BB83_20 Depth=1
	s_orn2_b64 s[38:39], s[34:35], exec
.LBB83_164:                             ;   in Loop: Header=BB83_20 Depth=1
	s_or_b64 exec, exec, s[8:9]
	s_mov_b64 s[8:9], 0
	s_and_saveexec_b64 s[34:35], s[38:39]
	s_cbranch_execz .LBB83_253
; %bb.165:                              ;   in Loop: Header=BB83_20 Depth=1
	s_xor_b64 s[24:25], s[36:37], -1
	s_mov_b64 s[42:43], 0
	v_mov_b32_e32 v6, 1
	v_mov_b32_e32 v3, 1
	s_and_saveexec_b64 s[8:9], s[24:25]
	s_cbranch_execz .LBB83_174
; %bb.166:                              ;   in Loop: Header=BB83_20 Depth=1
	v_cmp_ge_u32_e32 vcc, s48, v5
	s_and_saveexec_b64 s[24:25], vcc
	s_xor_b64 s[36:37], exec, s[24:25]
	s_cbranch_execz .LBB83_171
; %bb.167:                              ;   in Loop: Header=BB83_20 Depth=1
	ds_read_b32 v3, v21 offset:4104
	v_and_b32_e32 v6, v38, v4
	v_lshl_or_b32 v38, 1, v41, v6
	v_or_b32_e32 v44, v44, v2
	s_waitcnt lgkmcnt(0)
	v_cmp_ne_u32_e32 vcc, 0, v3
	s_cbranch_vccnz .LBB83_171
; %bb.168:                              ;   in Loop: Header=BB83_20 Depth=1
	s_mov_b64 s[38:39], exec
	v_readlane_b32 s24, v81, 2
	v_readlane_b32 s25, v81, 3
	s_and_b64 s[24:25], s[38:39], s[24:25]
	s_mov_b64 exec, s[24:25]
; %bb.169:                              ;   in Loop: Header=BB83_20 Depth=1
	v_mov_b32_e32 v3, s48
	ds_write_b32 v21, v3 offset:4108
; %bb.170:                              ;   in Loop: Header=BB83_20 Depth=1
	s_or_b64 exec, exec, s[38:39]
	s_waitcnt lgkmcnt(0)
	s_barrier
.LBB83_171:                             ;   in Loop: Header=BB83_20 Depth=1
	s_or_saveexec_b64 s[36:37], s[36:37]
	s_mov_b64 s[38:39], 0
	v_mov_b32_e32 v3, 8
	s_xor_b64 exec, exec, s[36:37]
; %bb.172:                              ;   in Loop: Header=BB83_20 Depth=1
	s_mov_b64 s[38:39], exec
	v_subrev_u32_e32 v5, s48, v5
	v_mov_b32_e32 v3, 0
; %bb.173:                              ;   in Loop: Header=BB83_20 Depth=1
	s_or_b64 exec, exec, s[36:37]
	s_and_b64 s[42:43], s[38:39], exec
	v_mov_b32_e32 v6, v5
.LBB83_174:                             ;   in Loop: Header=BB83_20 Depth=1
	s_or_b64 exec, exec, s[8:9]
	s_mov_b64 s[8:9], -1
                                        ; implicit-def: $sgpr38_sgpr39
                                        ; implicit-def: $sgpr40_sgpr41
	s_and_saveexec_b64 s[36:37], s[42:43]
	s_cbranch_execz .LBB83_252
; %bb.175:                              ;   in Loop: Header=BB83_20 Depth=1
	s_cmp_eq_u32 s56, 1
	s_cselect_b64 s[8:9], -1, 0
	v_cmp_eq_u32_e32 vcc, 1, v6
	s_and_b64 s[44:45], s[8:9], vcc
	s_mov_b64 s[46:47], -1
                                        ; implicit-def: $sgpr40_sgpr41
                                        ; implicit-def: $sgpr38_sgpr39
	s_and_saveexec_b64 s[8:9], s[44:45]
	s_cbranch_execz .LBB83_201
; %bb.176:                              ;   in Loop: Header=BB83_20 Depth=1
	ds_read_b32 v5, v21 offset:4104
	s_waitcnt lgkmcnt(0)
	s_barrier
	v_readfirstlane_b32 s24, v5
	s_and_saveexec_b64 s[38:39], s[6:7]
; %bb.177:                              ;   in Loop: Header=BB83_20 Depth=1
	ds_write_b8 v0, v21 offset:3072
; %bb.178:                              ;   in Loop: Header=BB83_20 Depth=1
	s_or_b64 exec, exec, s[38:39]
	v_and_b32_e32 v5, v38, v4
	v_lshl_or_b32 v38, 2, v41, v5
	v_or_b32_e32 v44, v44, v2
	s_mov_b64 s[38:39], -1
	s_mov_b64 s[40:41], 0
	s_cmp_eq_u32 s24, 0
	s_mov_b64 s[42:43], 0
	s_waitcnt lgkmcnt(0)
	s_barrier
                                        ; implicit-def: $vgpr45
	s_cbranch_scc1 .LBB83_189
; %bb.179:                              ;   in Loop: Header=BB83_20 Depth=1
	v_readlane_b32 s25, v81, 10
	s_add_i32 s25, s24, s25
	v_readlane_b32 s42, v81, 41
	s_mul_hi_u32 s42, s25, s42
	s_mul_i32 s42, s42, s67
	s_sub_i32 s42, s25, s42
	s_sub_i32 s43, s42, s67
	s_cmp_ge_u32 s42, s67
	s_cselect_b32 s42, s43, s42
	s_sub_i32 s43, s42, s67
	s_cmp_ge_u32 s42, s67
	s_cselect_b32 s42, s43, s42
	s_sub_i32 s25, s25, s42
	v_cmp_gt_u32_e32 vcc, s25, v0
	s_mov_b64 s[46:47], 0
	s_mov_b64 s[42:43], 0
                                        ; implicit-def: $vgpr45
	s_and_saveexec_b64 s[48:49], vcc
	s_cbranch_execz .LBB83_188
; %bb.180:                              ;   in Loop: Header=BB83_20 Depth=1
	v_mov_b32_e32 v5, v0
                                        ; implicit-def: $sgpr50_sgpr51
	s_branch .LBB83_183
.LBB83_181:                             ;   in Loop: Header=BB83_183 Depth=2
	s_or_b64 exec, exec, s[52:53]
	s_waitcnt lgkmcnt(0)
	s_barrier
	ds_read_u16 v7, v21 offset:3072
	s_mov_b64 s[52:53], -1
	s_waitcnt lgkmcnt(0)
	s_barrier
	v_cmp_ne_u32_sdwa s[54:55], v7, v21 src0_sel:BYTE_0 src1_sel:DWORD
	s_and_b64 vcc, exec, s[54:55]
	s_mov_b64 s[54:55], -1
	s_cbranch_vccz .LBB83_186
.LBB83_182:                             ;   in Loop: Header=BB83_183 Depth=2
	s_and_b64 s[52:53], exec, s[52:53]
	s_or_b64 s[42:43], s[52:53], s[42:43]
	s_andn2_b64 s[50:51], s[50:51], exec
	s_and_b64 s[52:53], s[54:55], exec
	s_or_b64 s[50:51], s[50:51], s[52:53]
	s_andn2_b64 exec, exec, s[42:43]
	s_cbranch_execz .LBB83_187
.LBB83_183:                             ;   Parent Loop BB83_20 Depth=1
                                        ; =>  This Inner Loop Header: Depth=2
	v_cmp_gt_u32_e32 vcc, s24, v5
	s_and_saveexec_b64 s[52:53], vcc
	s_cbranch_execz .LBB83_181
; %bb.184:                              ;   in Loop: Header=BB83_183 Depth=2
	ds_read_u8 v7, v5
	s_waitcnt lgkmcnt(0)
	v_add_u32_sdwa v8, sext(v7), s82 dst_sel:DWORD dst_unused:UNUSED_PAD src0_sel:BYTE_0 src1_sel:DWORD
	v_and_b32_e32 v8, v8, v44
	v_cmp_eq_u32_e32 vcc, v8, v38
	s_and_b64 exec, exec, vcc
	s_cbranch_execz .LBB83_181
; %bb.185:                              ;   in Loop: Header=BB83_183 Depth=2
	v_lshlrev_b16_e32 v7, 8, v7
	v_or_b32_e32 v7, 1, v7
	ds_write_b16 v21, v7 offset:3072
	s_branch .LBB83_181
.LBB83_186:                             ;   in Loop: Header=BB83_183 Depth=2
	v_add_u32_e32 v5, s67, v5
	v_cmp_le_u32_e32 vcc, s25, v5
	s_mov_b64 s[54:55], 0
	s_orn2_b64 s[52:53], vcc, exec
	s_branch .LBB83_182
.LBB83_187:                             ;   in Loop: Header=BB83_20 Depth=1
	s_or_b64 exec, exec, s[42:43]
	v_lshrrev_b32_sdwa v45, v43, v7 dst_sel:DWORD dst_unused:UNUSED_PAD src0_sel:DWORD src1_sel:WORD_0
	s_and_b64 s[42:43], s[50:51], exec
.LBB83_188:                             ;   in Loop: Header=BB83_20 Depth=1
	s_or_b64 exec, exec, s[48:49]
.LBB83_189:                             ;   in Loop: Header=BB83_20 Depth=1
	s_and_b64 vcc, exec, s[46:47]
	s_cbranch_vccz .LBB83_200
; %bb.190:                              ;   in Loop: Header=BB83_20 Depth=1
                                        ; implicit-def: $vgpr45
	s_mov_b64 s[38:39], exec
	v_readlane_b32 s24, v81, 42
	v_readlane_b32 s25, v81, 43
	s_and_b64 s[24:25], s[38:39], s[24:25]
	s_mov_b64 exec, s[24:25]
	s_cbranch_execz .LBB83_199
; %bb.191:                              ;   in Loop: Header=BB83_20 Depth=1
	s_mov_b64 s[40:41], 0
	v_mov_b32_e32 v5, v18
	v_mov_b32_e32 v7, v0
                                        ; implicit-def: $sgpr46_sgpr47
	s_branch .LBB83_194
.LBB83_192:                             ;   in Loop: Header=BB83_194 Depth=2
	s_or_b64 exec, exec, s[48:49]
	s_waitcnt lgkmcnt(0)
	s_barrier
	ds_read_u16 v8, v21 offset:3072
	s_mov_b64 s[48:49], -1
	s_mov_b64 s[50:51], -1
	s_waitcnt lgkmcnt(0)
	s_barrier
	v_cmp_eq_u32_sdwa s[24:25], v8, v21 src0_sel:BYTE_0 src1_sel:DWORD
	s_and_b64 vcc, exec, s[24:25]
	s_cbranch_vccnz .LBB83_197
.LBB83_193:                             ;   in Loop: Header=BB83_194 Depth=2
	s_and_b64 s[24:25], exec, s[48:49]
	s_or_b64 s[40:41], s[24:25], s[40:41]
	s_andn2_b64 s[24:25], s[46:47], exec
	s_and_b64 s[46:47], s[50:51], exec
	s_or_b64 s[46:47], s[24:25], s[46:47]
	s_andn2_b64 exec, exec, s[40:41]
	s_cbranch_execz .LBB83_198
.LBB83_194:                             ;   Parent Loop BB83_20 Depth=1
                                        ; =>  This Inner Loop Header: Depth=2
	v_cmp_gt_u32_e32 vcc, s64, v7
	s_and_saveexec_b64 s[48:49], vcc
	s_cbranch_execz .LBB83_192
; %bb.195:                              ;   in Loop: Header=BB83_194 Depth=2
	global_load_ubyte v8, v5, s[74:75]
	s_waitcnt vmcnt(0)
	v_add_u32_sdwa v9, sext(v8), s82 dst_sel:DWORD dst_unused:UNUSED_PAD src0_sel:BYTE_0 src1_sel:DWORD
	v_and_b32_e32 v9, v9, v44
	v_cmp_eq_u32_e32 vcc, v9, v38
	s_and_b64 exec, exec, vcc
	s_cbranch_execz .LBB83_192
; %bb.196:                              ;   in Loop: Header=BB83_194 Depth=2
	v_lshlrev_b16_e32 v8, 8, v8
	v_or_b32_e32 v8, 1, v8
	ds_write_b16 v21, v8 offset:3072
	s_branch .LBB83_192
.LBB83_197:                             ;   in Loop: Header=BB83_194 Depth=2
	v_add_u32_e32 v7, s67, v7
	v_cmp_le_u32_e32 vcc, s20, v7
	v_add_u32_e32 v5, s90, v5
	s_mov_b64 s[50:51], 0
	s_orn2_b64 s[48:49], vcc, exec
	s_branch .LBB83_193
.LBB83_198:                             ;   in Loop: Header=BB83_20 Depth=1
	s_or_b64 exec, exec, s[40:41]
	s_andn2_b64 s[24:25], s[42:43], exec
	s_and_b64 s[40:41], s[46:47], exec
	v_lshrrev_b32_sdwa v45, v43, v8 dst_sel:DWORD dst_unused:UNUSED_PAD src0_sel:DWORD src1_sel:WORD_0
	s_or_b64 s[42:43], s[24:25], s[40:41]
.LBB83_199:                             ;   in Loop: Header=BB83_20 Depth=1
	s_or_b64 exec, exec, s[38:39]
	s_mov_b64 s[38:39], 0
	s_mov_b64 s[40:41], -1
.LBB83_200:                             ;   in Loop: Header=BB83_20 Depth=1
	s_orn2_b64 s[46:47], s[42:43], exec
.LBB83_201:                             ;   in Loop: Header=BB83_20 Depth=1
	s_or_b64 exec, exec, s[8:9]
	s_mov_b64 s[8:9], 0
	s_and_saveexec_b64 s[42:43], s[46:47]
	s_cbranch_execz .LBB83_251
; %bb.202:                              ;   in Loop: Header=BB83_20 Depth=1
	s_xor_b64 s[24:25], s[44:45], -1
	s_mov_b64 s[50:51], 0
	v_mov_b32_e32 v5, 1
	v_mov_b32_e32 v3, 1
	s_and_saveexec_b64 s[8:9], s[24:25]
	s_cbranch_execz .LBB83_211
; %bb.203:                              ;   in Loop: Header=BB83_20 Depth=1
	v_cmp_ge_u32_e32 vcc, s56, v6
	s_and_saveexec_b64 s[24:25], vcc
	s_xor_b64 s[44:45], exec, s[24:25]
	s_cbranch_execz .LBB83_208
; %bb.204:                              ;   in Loop: Header=BB83_20 Depth=1
	ds_read_b32 v3, v21 offset:4104
	v_and_b32_e32 v4, v38, v4
	v_lshl_or_b32 v38, 2, v41, v4
	v_or_b32_e32 v44, v44, v2
	s_waitcnt lgkmcnt(0)
	v_cmp_ne_u32_e32 vcc, 0, v3
	s_cbranch_vccnz .LBB83_208
; %bb.205:                              ;   in Loop: Header=BB83_20 Depth=1
	s_mov_b64 s[46:47], exec
	v_readlane_b32 s24, v81, 2
	v_readlane_b32 s25, v81, 3
	s_and_b64 s[24:25], s[46:47], s[24:25]
	s_mov_b64 exec, s[24:25]
; %bb.206:                              ;   in Loop: Header=BB83_20 Depth=1
	v_mov_b32_e32 v3, s56
	ds_write_b32 v21, v3 offset:4108
; %bb.207:                              ;   in Loop: Header=BB83_20 Depth=1
	s_or_b64 exec, exec, s[46:47]
	s_waitcnt lgkmcnt(0)
	s_barrier
.LBB83_208:                             ;   in Loop: Header=BB83_20 Depth=1
	s_or_saveexec_b64 s[44:45], s[44:45]
	s_mov_b64 s[46:47], 0
	v_mov_b32_e32 v3, 8
	s_xor_b64 exec, exec, s[44:45]
; %bb.209:                              ;   in Loop: Header=BB83_20 Depth=1
	s_mov_b64 s[46:47], exec
	v_subrev_u32_e32 v6, s56, v6
	v_mov_b32_e32 v3, 0
; %bb.210:                              ;   in Loop: Header=BB83_20 Depth=1
	s_or_b64 exec, exec, s[44:45]
	s_and_b64 s[50:51], s[46:47], exec
	v_mov_b32_e32 v5, v6
.LBB83_211:                             ;   in Loop: Header=BB83_20 Depth=1
	s_or_b64 exec, exec, s[8:9]
	s_mov_b64 s[8:9], -1
                                        ; implicit-def: $sgpr48_sgpr49
                                        ; implicit-def: $sgpr46_sgpr47
	s_and_saveexec_b64 s[44:45], s[50:51]
	s_cbranch_execz .LBB83_250
; %bb.212:                              ;   in Loop: Header=BB83_20 Depth=1
	s_cmp_eq_u32 s78, 1
	s_cselect_b64 s[8:9], -1, 0
	v_cmp_eq_u32_e32 vcc, 1, v5
	s_and_b64 s[50:51], s[8:9], vcc
	s_mov_b64 s[52:53], -1
                                        ; implicit-def: $sgpr48_sgpr49
                                        ; implicit-def: $sgpr46_sgpr47
	s_and_saveexec_b64 s[8:9], s[50:51]
	s_cbranch_execz .LBB83_238
; %bb.213:                              ;   in Loop: Header=BB83_20 Depth=1
	ds_read_b32 v4, v21 offset:4104
	s_waitcnt lgkmcnt(0)
	s_barrier
	v_readfirstlane_b32 s24, v4
	s_and_saveexec_b64 s[46:47], s[6:7]
; %bb.214:                              ;   in Loop: Header=BB83_20 Depth=1
	ds_write_b8 v0, v21 offset:3072
; %bb.215:                              ;   in Loop: Header=BB83_20 Depth=1
	s_or_b64 exec, exec, s[46:47]
	v_or_b32_e32 v38, v38, v2
	v_or_b32_e32 v44, v44, v2
	s_mov_b64 s[46:47], -1
	s_mov_b64 s[48:49], 0
	s_cmp_eq_u32 s24, 0
	s_mov_b64 s[52:53], 0
	s_mov_b64 s[54:55], -1
	s_waitcnt lgkmcnt(0)
	s_barrier
                                        ; implicit-def: $vgpr45
	s_cbranch_scc1 .LBB83_226
; %bb.216:                              ;   in Loop: Header=BB83_20 Depth=1
	v_readlane_b32 s25, v81, 10
	s_add_i32 s25, s24, s25
	v_readlane_b32 s52, v81, 41
	s_mul_hi_u32 s52, s25, s52
	s_mul_i32 s52, s52, s67
	s_sub_i32 s52, s25, s52
	s_sub_i32 s53, s52, s67
	s_cmp_ge_u32 s52, s67
	s_cselect_b32 s52, s53, s52
	s_sub_i32 s53, s52, s67
	s_cmp_ge_u32 s52, s67
	s_cselect_b32 s52, s53, s52
	s_sub_i32 s25, s25, s52
	v_cmp_gt_u32_e32 vcc, s25, v0
	s_mov_b64 s[54:55], 0
	s_mov_b64 s[52:53], 0
                                        ; implicit-def: $vgpr45
	s_and_saveexec_b64 s[56:57], vcc
	s_cbranch_execz .LBB83_225
; %bb.217:                              ;   in Loop: Header=BB83_20 Depth=1
	v_mov_b32_e32 v4, v0
                                        ; implicit-def: $sgpr58_sgpr59
	s_branch .LBB83_220
.LBB83_218:                             ;   in Loop: Header=BB83_220 Depth=2
	s_or_b64 exec, exec, s[60:61]
	s_waitcnt lgkmcnt(0)
	s_barrier
	ds_read_u16 v6, v21 offset:3072
	s_mov_b64 s[60:61], -1
	s_waitcnt lgkmcnt(0)
	s_barrier
	v_cmp_ne_u32_sdwa s[62:63], v6, v21 src0_sel:BYTE_0 src1_sel:DWORD
	s_and_b64 vcc, exec, s[62:63]
	s_mov_b64 s[62:63], -1
	s_cbranch_vccz .LBB83_223
.LBB83_219:                             ;   in Loop: Header=BB83_220 Depth=2
	s_and_b64 s[60:61], exec, s[60:61]
	s_or_b64 s[52:53], s[60:61], s[52:53]
	s_andn2_b64 s[58:59], s[58:59], exec
	s_and_b64 s[60:61], s[62:63], exec
	s_or_b64 s[58:59], s[58:59], s[60:61]
	s_andn2_b64 exec, exec, s[52:53]
	s_cbranch_execz .LBB83_224
.LBB83_220:                             ;   Parent Loop BB83_20 Depth=1
                                        ; =>  This Inner Loop Header: Depth=2
	v_cmp_gt_u32_e32 vcc, s24, v4
	s_and_saveexec_b64 s[60:61], vcc
	s_cbranch_execz .LBB83_218
; %bb.221:                              ;   in Loop: Header=BB83_220 Depth=2
	ds_read_u8 v6, v4
	s_waitcnt lgkmcnt(0)
	v_add_u32_sdwa v7, sext(v6), s82 dst_sel:DWORD dst_unused:UNUSED_PAD src0_sel:BYTE_0 src1_sel:DWORD
	v_and_b32_e32 v7, v7, v44
	v_cmp_eq_u32_e32 vcc, v7, v38
	s_and_b64 exec, exec, vcc
	s_cbranch_execz .LBB83_218
; %bb.222:                              ;   in Loop: Header=BB83_220 Depth=2
	v_lshlrev_b16_e32 v6, 8, v6
	v_or_b32_e32 v6, 1, v6
	ds_write_b16 v21, v6 offset:3072
	s_branch .LBB83_218
.LBB83_223:                             ;   in Loop: Header=BB83_220 Depth=2
	v_add_u32_e32 v4, s67, v4
	v_cmp_le_u32_e32 vcc, s25, v4
	s_mov_b64 s[62:63], 0
	s_orn2_b64 s[60:61], vcc, exec
	s_branch .LBB83_219
.LBB83_224:                             ;   in Loop: Header=BB83_20 Depth=1
	s_or_b64 exec, exec, s[52:53]
	v_lshrrev_b32_sdwa v45, v43, v6 dst_sel:DWORD dst_unused:UNUSED_PAD src0_sel:DWORD src1_sel:WORD_0
	s_and_b64 s[52:53], s[58:59], exec
	s_mov_b32 s60, s89
	s_mov_b32 s61, s84
	;; [unrolled: 1-line block ×6, first 2 shown]
.LBB83_225:                             ;   in Loop: Header=BB83_20 Depth=1
	s_or_b64 exec, exec, s[56:57]
.LBB83_226:                             ;   in Loop: Header=BB83_20 Depth=1
	s_and_b64 vcc, exec, s[54:55]
	s_cbranch_vccz .LBB83_237
; %bb.227:                              ;   in Loop: Header=BB83_20 Depth=1
                                        ; implicit-def: $vgpr45
	s_mov_b64 s[46:47], exec
	v_readlane_b32 s24, v81, 42
	v_readlane_b32 s25, v81, 43
	s_and_b64 s[24:25], s[46:47], s[24:25]
	s_mov_b64 exec, s[24:25]
	s_cbranch_execz .LBB83_236
; %bb.228:                              ;   in Loop: Header=BB83_20 Depth=1
	s_mov_b64 s[48:49], 0
	v_mov_b32_e32 v4, v18
	v_mov_b32_e32 v6, v0
                                        ; implicit-def: $sgpr54_sgpr55
	s_branch .LBB83_231
.LBB83_229:                             ;   in Loop: Header=BB83_231 Depth=2
	s_or_b64 exec, exec, s[56:57]
	s_waitcnt lgkmcnt(0)
	s_barrier
	ds_read_u16 v7, v21 offset:3072
	s_mov_b64 s[56:57], -1
	s_mov_b64 s[58:59], -1
	s_waitcnt lgkmcnt(0)
	s_barrier
	v_cmp_eq_u32_sdwa s[24:25], v7, v21 src0_sel:BYTE_0 src1_sel:DWORD
	s_and_b64 vcc, exec, s[24:25]
	s_cbranch_vccnz .LBB83_234
.LBB83_230:                             ;   in Loop: Header=BB83_231 Depth=2
	s_and_b64 s[24:25], exec, s[56:57]
	s_or_b64 s[48:49], s[24:25], s[48:49]
	s_andn2_b64 s[24:25], s[54:55], exec
	s_and_b64 s[54:55], s[58:59], exec
	s_or_b64 s[54:55], s[24:25], s[54:55]
	s_andn2_b64 exec, exec, s[48:49]
	s_cbranch_execz .LBB83_235
.LBB83_231:                             ;   Parent Loop BB83_20 Depth=1
                                        ; =>  This Inner Loop Header: Depth=2
	v_cmp_gt_u32_e32 vcc, s64, v6
	s_and_saveexec_b64 s[56:57], vcc
	s_cbranch_execz .LBB83_229
; %bb.232:                              ;   in Loop: Header=BB83_231 Depth=2
	global_load_ubyte v7, v4, s[74:75]
	s_waitcnt vmcnt(0)
	v_add_u32_sdwa v8, sext(v7), s82 dst_sel:DWORD dst_unused:UNUSED_PAD src0_sel:BYTE_0 src1_sel:DWORD
	v_and_b32_e32 v8, v8, v44
	v_cmp_eq_u32_e32 vcc, v8, v38
	s_and_b64 exec, exec, vcc
	s_cbranch_execz .LBB83_229
; %bb.233:                              ;   in Loop: Header=BB83_231 Depth=2
	v_lshlrev_b16_e32 v7, 8, v7
	v_or_b32_e32 v7, 1, v7
	ds_write_b16 v21, v7 offset:3072
	s_branch .LBB83_229
.LBB83_234:                             ;   in Loop: Header=BB83_231 Depth=2
	v_add_u32_e32 v6, s67, v6
	v_cmp_le_u32_e32 vcc, s20, v6
	v_add_u32_e32 v4, s90, v4
	s_mov_b64 s[58:59], 0
	s_orn2_b64 s[56:57], vcc, exec
	s_branch .LBB83_230
.LBB83_235:                             ;   in Loop: Header=BB83_20 Depth=1
	s_or_b64 exec, exec, s[48:49]
	s_andn2_b64 s[24:25], s[52:53], exec
	s_and_b64 s[48:49], s[54:55], exec
	v_lshrrev_b32_sdwa v45, v43, v7 dst_sel:DWORD dst_unused:UNUSED_PAD src0_sel:DWORD src1_sel:WORD_0
	s_or_b64 s[52:53], s[24:25], s[48:49]
.LBB83_236:                             ;   in Loop: Header=BB83_20 Depth=1
	s_or_b64 exec, exec, s[46:47]
	s_mov_b64 s[46:47], 0
	s_mov_b64 s[48:49], -1
.LBB83_237:                             ;   in Loop: Header=BB83_20 Depth=1
	s_orn2_b64 s[52:53], s[52:53], exec
.LBB83_238:                             ;   in Loop: Header=BB83_20 Depth=1
	s_or_b64 exec, exec, s[8:9]
	s_mov_b64 s[54:55], 0
	s_and_saveexec_b64 s[8:9], s[52:53]
	s_cbranch_execz .LBB83_249
; %bb.239:                              ;   in Loop: Header=BB83_20 Depth=1
	s_xor_b64 s[24:25], s[50:51], -1
	v_mov_b32_e32 v3, 1
	v_mov_b32_e32 v4, 1
	s_and_saveexec_b64 s[50:51], s[24:25]
	s_cbranch_execz .LBB83_248
; %bb.240:                              ;   in Loop: Header=BB83_20 Depth=1
	v_cmp_ge_u32_e32 vcc, s78, v5
	s_and_saveexec_b64 s[24:25], vcc
	s_xor_b64 s[52:53], exec, s[24:25]
	s_cbranch_execz .LBB83_245
; %bb.241:                              ;   in Loop: Header=BB83_20 Depth=1
	ds_read_b32 v3, v21 offset:4104
	v_or_b32_e32 v38, v38, v2
	v_or_b32_e32 v44, v44, v2
	s_waitcnt lgkmcnt(0)
	v_cmp_ne_u32_e32 vcc, 0, v3
	s_cbranch_vccnz .LBB83_245
; %bb.242:                              ;   in Loop: Header=BB83_20 Depth=1
	s_mov_b64 s[54:55], exec
	v_readlane_b32 s24, v81, 2
	v_readlane_b32 s25, v81, 3
	s_and_b64 s[24:25], s[54:55], s[24:25]
	s_mov_b64 exec, s[24:25]
; %bb.243:                              ;   in Loop: Header=BB83_20 Depth=1
	v_mov_b32_e32 v2, s78
	ds_write_b32 v21, v2 offset:4108
; %bb.244:                              ;   in Loop: Header=BB83_20 Depth=1
	s_or_b64 exec, exec, s[54:55]
	s_waitcnt lgkmcnt(0)
	s_barrier
.LBB83_245:                             ;   in Loop: Header=BB83_20 Depth=1
	s_andn2_saveexec_b64 s[52:53], s[52:53]
; %bb.246:                              ;   in Loop: Header=BB83_20 Depth=1
	v_subrev_u32_e32 v5, s78, v5
; %bb.247:                              ;   in Loop: Header=BB83_20 Depth=1
	s_or_b64 exec, exec, s[52:53]
	v_mov_b32_e32 v3, 8
	v_mov_b32_e32 v4, v5
.LBB83_248:                             ;   in Loop: Header=BB83_20 Depth=1
	s_or_b64 exec, exec, s[50:51]
	s_mov_b64 s[54:55], exec
	v_mov_b32_e32 v5, v4
.LBB83_249:                             ;   in Loop: Header=BB83_20 Depth=1
	s_or_b64 exec, exec, s[8:9]
	s_orn2_b64 s[8:9], s[54:55], exec
.LBB83_250:                             ;   in Loop: Header=BB83_20 Depth=1
	s_or_b64 exec, exec, s[44:45]
	s_andn2_b64 s[24:25], s[40:41], exec
	s_and_b64 s[40:41], s[48:49], exec
	s_or_b64 s[40:41], s[24:25], s[40:41]
	s_andn2_b64 s[24:25], s[38:39], exec
	s_and_b64 s[38:39], s[46:47], exec
	s_or_b64 s[38:39], s[24:25], s[38:39]
	s_and_b64 s[8:9], s[8:9], exec
	v_mov_b32_e32 v6, v5
.LBB83_251:                             ;   in Loop: Header=BB83_20 Depth=1
	s_or_b64 exec, exec, s[42:43]
	s_orn2_b64 s[8:9], s[8:9], exec
.LBB83_252:                             ;   in Loop: Header=BB83_20 Depth=1
	s_or_b64 exec, exec, s[36:37]
	s_andn2_b64 s[24:25], s[30:31], exec
	s_and_b64 s[30:31], s[40:41], exec
	s_or_b64 s[30:31], s[24:25], s[30:31]
	s_andn2_b64 s[24:25], s[28:29], exec
	s_and_b64 s[28:29], s[38:39], exec
	s_or_b64 s[28:29], s[24:25], s[28:29]
	s_and_b64 s[8:9], s[8:9], exec
	v_mov_b32_e32 v5, v6
.LBB83_253:                             ;   in Loop: Header=BB83_20 Depth=1
	s_or_b64 exec, exec, s[34:35]
	s_orn2_b64 s[8:9], s[8:9], exec
.LBB83_254:                             ;   in Loop: Header=BB83_20 Depth=1
	s_or_b64 exec, exec, s[26:27]
	s_mov_b64 s[26:27], 0
                                        ; implicit-def: $sgpr24
	s_and_saveexec_b64 s[34:35], s[8:9]
	s_xor_b64 s[8:9], exec, s[34:35]
	s_cbranch_execz .LBB83_18
; %bb.255:                              ;   in Loop: Header=BB83_20 Depth=1
	v_and_b32_e32 v2, 7, v3
	v_cmp_eq_u32_e32 vcc, 0, v2
	s_mov_b64 s[2:3], -1
	s_mov_b64 s[26:27], -1
                                        ; implicit-def: $sgpr24
	s_and_saveexec_b64 s[34:35], vcc
	s_cbranch_execz .LBB83_17
; %bb.256:                              ;   in Loop: Header=BB83_20 Depth=1
	v_add_u32_e32 v2, -2, v41
	v_cmp_eq_u32_e32 vcc, 0, v41
	s_xor_b32 s24, s92, 1
	s_xor_b64 s[26:27], exec, -1
	s_orn2_b64 s[2:3], vcc, exec
	v_mov_b32_e32 v41, v2
	s_branch .LBB83_17
.LBB83_257:
	s_or_b64 exec, exec, s[96:97]
	s_xor_b64 s[6:7], s[72:73], -1
	s_xor_b64 s[0:1], s[98:99], -1
	;; [unrolled: 1-line block ×3, first 2 shown]
	s_mov_b64 s[2:3], 0
	s_and_saveexec_b64 s[8:9], s[0:1]
	s_xor_b64 s[0:1], exec, s[8:9]
	s_cbranch_execnz .LBB83_262
; %bb.258:
	s_andn2_saveexec_b64 s[0:1], s[0:1]
	s_cbranch_execnz .LBB83_275
.LBB83_259:
	s_or_b64 exec, exec, s[0:1]
	s_and_saveexec_b64 s[0:1], s[2:3]
.LBB83_260:
	; divergent unreachable
.LBB83_261:
	s_endpgm
.LBB83_262:
	s_and_saveexec_b64 s[2:3], s[6:7]
	s_xor_b64 s[2:3], exec, s[2:3]
	s_cbranch_execz .LBB83_273
; %bb.263:
	s_and_saveexec_b64 s[6:7], s[4:5]
	s_xor_b64 s[4:5], exec, s[6:7]
; %bb.264:
	v_xor_b32_e32 v45, 0xffffff80, v38
; %bb.265:
	s_or_b64 exec, exec, s[4:5]
	v_readlane_b32 s4, v81, 0
	s_mul_i32 s4, s4, s33
	s_add_i32 s4, s4, s69
	v_mov_b32_e32 v1, s4
	v_readlane_b32 s4, v81, 4
	v_readlane_b32 s5, v81, 5
	s_nop 4
	global_store_byte v1, v45, s[4:5]
	s_mov_b64 s[4:5], exec
	v_readlane_b32 s6, v81, 8
	v_readlane_b32 s7, v81, 9
	s_and_b64 s[6:7], s[4:5], s[6:7]
	s_mov_b64 exec, s[6:7]
	s_cbranch_execz .LBB83_272
; %bb.266:
	s_mov_b64 s[6:7], 0
                                        ; implicit-def: $sgpr8_sgpr9
                                        ; implicit-def: $sgpr12_sgpr13
                                        ; implicit-def: $sgpr10_sgpr11
	s_branch .LBB83_268
.LBB83_267:                             ;   in Loop: Header=BB83_268 Depth=1
	s_or_b64 exec, exec, s[14:15]
	s_and_b64 s[14:15], exec, s[12:13]
	s_or_b64 s[6:7], s[14:15], s[6:7]
	s_andn2_b64 s[8:9], s[8:9], exec
	s_and_b64 s[14:15], s[10:11], exec
	s_or_b64 s[8:9], s[8:9], s[14:15]
	s_andn2_b64 exec, exec, s[6:7]
	s_cbranch_execz .LBB83_270
.LBB83_268:                             ; =>This Inner Loop Header: Depth=1
	global_load_ubyte v1, v18, s[74:75]
	v_mov_b32_e32 v2, v0
	s_or_b64 s[10:11], s[10:11], exec
	s_or_b64 s[12:13], s[12:13], exec
                                        ; implicit-def: $vgpr0
	s_waitcnt vmcnt(0)
	v_cmp_ne_u16_sdwa s[16:17], v1, v45 src0_sel:DWORD src1_sel:BYTE_0
	s_and_saveexec_b64 s[14:15], s[16:17]
	s_cbranch_execz .LBB83_267
; %bb.269:                              ;   in Loop: Header=BB83_268 Depth=1
	v_add_u32_e32 v0, s67, v2
	v_cmp_le_u32_e32 vcc, s64, v0
	s_andn2_b64 s[12:13], s[12:13], exec
	s_and_b64 s[16:17], vcc, exec
	v_add_u32_e32 v18, s90, v18
	s_andn2_b64 s[10:11], s[10:11], exec
	s_or_b64 s[12:13], s[12:13], s[16:17]
	s_branch .LBB83_267
.LBB83_270:
	s_or_b64 exec, exec, s[6:7]
	s_and_saveexec_b64 s[6:7], s[8:9]
	s_xor_b64 s[6:7], exec, s[6:7]
	s_cbranch_execz .LBB83_272
; %bb.271:
	v_readlane_b32 s6, v81, 1
	s_mul_i32 s6, s6, s65
	s_add_i32 s6, s6, s71
	s_mov_b32 s7, 0
	s_lshl_b64 s[6:7], s[6:7], 3
	v_readlane_b32 s8, v81, 6
	v_readlane_b32 s9, v81, 7
	s_add_u32 s6, s8, s6
	s_addc_u32 s7, s9, s7
	v_mov_b32_e32 v3, 0
	global_store_dwordx2 v3, v[2:3], s[6:7]
.LBB83_272:
	s_or_b64 exec, exec, s[4:5]
.LBB83_273:
	s_or_saveexec_b64 s[2:3], s[2:3]
	s_mov_b64 s[4:5], 0
	s_xor_b64 exec, exec, s[2:3]
	s_cbranch_execnz .LBB83_276
.LBB83_274:
	s_or_b64 exec, exec, s[2:3]
	s_and_b64 s[2:3], s[4:5], exec
	s_andn2_saveexec_b64 s[0:1], s[0:1]
	s_cbranch_execz .LBB83_259
.LBB83_275:
	s_or_b64 s[2:3], s[2:3], exec
	s_trap 2
	s_or_b64 exec, exec, s[0:1]
	s_and_saveexec_b64 s[0:1], s[2:3]
	s_cbranch_execnz .LBB83_260
	s_branch .LBB83_261
.LBB83_276:
	s_mov_b64 s[4:5], exec
	s_trap 2
	s_branch .LBB83_274
	.section	.rodata,"a",@progbits
	.p2align	6, 0x0
	.amdhsa_kernel _ZN2at6native12_GLOBAL__N_112gatherMedianIajLin1EEEvNS_4cuda6detail10TensorInfoIT_T0_EENS5_IlS7_EENS5_IKS6_S7_EES7_S7_S7_b
		.amdhsa_group_segment_fixed_size 4120
		.amdhsa_private_segment_fixed_size 0
		.amdhsa_kernarg_size 920
		.amdhsa_user_sgpr_count 2
		.amdhsa_user_sgpr_dispatch_ptr 0
		.amdhsa_user_sgpr_queue_ptr 0
		.amdhsa_user_sgpr_kernarg_segment_ptr 1
		.amdhsa_user_sgpr_dispatch_id 0
		.amdhsa_user_sgpr_kernarg_preload_length 0
		.amdhsa_user_sgpr_kernarg_preload_offset 0
		.amdhsa_user_sgpr_private_segment_size 0
		.amdhsa_uses_dynamic_stack 0
		.amdhsa_enable_private_segment 0
		.amdhsa_system_sgpr_workgroup_id_x 1
		.amdhsa_system_sgpr_workgroup_id_y 1
		.amdhsa_system_sgpr_workgroup_id_z 1
		.amdhsa_system_sgpr_workgroup_info 0
		.amdhsa_system_vgpr_workitem_id 0
		.amdhsa_next_free_vgpr 82
		.amdhsa_next_free_sgpr 100
		.amdhsa_accum_offset 84
		.amdhsa_reserve_vcc 1
		.amdhsa_float_round_mode_32 0
		.amdhsa_float_round_mode_16_64 0
		.amdhsa_float_denorm_mode_32 3
		.amdhsa_float_denorm_mode_16_64 3
		.amdhsa_dx10_clamp 1
		.amdhsa_ieee_mode 1
		.amdhsa_fp16_overflow 0
		.amdhsa_tg_split 0
		.amdhsa_exception_fp_ieee_invalid_op 0
		.amdhsa_exception_fp_denorm_src 0
		.amdhsa_exception_fp_ieee_div_zero 0
		.amdhsa_exception_fp_ieee_overflow 0
		.amdhsa_exception_fp_ieee_underflow 0
		.amdhsa_exception_fp_ieee_inexact 0
		.amdhsa_exception_int_div_zero 0
	.end_amdhsa_kernel
	.section	.text._ZN2at6native12_GLOBAL__N_112gatherMedianIajLin1EEEvNS_4cuda6detail10TensorInfoIT_T0_EENS5_IlS7_EENS5_IKS6_S7_EES7_S7_S7_b,"axG",@progbits,_ZN2at6native12_GLOBAL__N_112gatherMedianIajLin1EEEvNS_4cuda6detail10TensorInfoIT_T0_EENS5_IlS7_EENS5_IKS6_S7_EES7_S7_S7_b,comdat
.Lfunc_end83:
	.size	_ZN2at6native12_GLOBAL__N_112gatherMedianIajLin1EEEvNS_4cuda6detail10TensorInfoIT_T0_EENS5_IlS7_EENS5_IKS6_S7_EES7_S7_S7_b, .Lfunc_end83-_ZN2at6native12_GLOBAL__N_112gatherMedianIajLin1EEEvNS_4cuda6detail10TensorInfoIT_T0_EENS5_IlS7_EENS5_IKS6_S7_EES7_S7_S7_b
                                        ; -- End function
	.set _ZN2at6native12_GLOBAL__N_112gatherMedianIajLin1EEEvNS_4cuda6detail10TensorInfoIT_T0_EENS5_IlS7_EENS5_IKS6_S7_EES7_S7_S7_b.num_vgpr, 82
	.set _ZN2at6native12_GLOBAL__N_112gatherMedianIajLin1EEEvNS_4cuda6detail10TensorInfoIT_T0_EENS5_IlS7_EENS5_IKS6_S7_EES7_S7_S7_b.num_agpr, 0
	.set _ZN2at6native12_GLOBAL__N_112gatherMedianIajLin1EEEvNS_4cuda6detail10TensorInfoIT_T0_EENS5_IlS7_EENS5_IKS6_S7_EES7_S7_S7_b.numbered_sgpr, 100
	.set _ZN2at6native12_GLOBAL__N_112gatherMedianIajLin1EEEvNS_4cuda6detail10TensorInfoIT_T0_EENS5_IlS7_EENS5_IKS6_S7_EES7_S7_S7_b.num_named_barrier, 0
	.set _ZN2at6native12_GLOBAL__N_112gatherMedianIajLin1EEEvNS_4cuda6detail10TensorInfoIT_T0_EENS5_IlS7_EENS5_IKS6_S7_EES7_S7_S7_b.private_seg_size, 0
	.set _ZN2at6native12_GLOBAL__N_112gatherMedianIajLin1EEEvNS_4cuda6detail10TensorInfoIT_T0_EENS5_IlS7_EENS5_IKS6_S7_EES7_S7_S7_b.uses_vcc, 1
	.set _ZN2at6native12_GLOBAL__N_112gatherMedianIajLin1EEEvNS_4cuda6detail10TensorInfoIT_T0_EENS5_IlS7_EENS5_IKS6_S7_EES7_S7_S7_b.uses_flat_scratch, 0
	.set _ZN2at6native12_GLOBAL__N_112gatherMedianIajLin1EEEvNS_4cuda6detail10TensorInfoIT_T0_EENS5_IlS7_EENS5_IKS6_S7_EES7_S7_S7_b.has_dyn_sized_stack, 0
	.set _ZN2at6native12_GLOBAL__N_112gatherMedianIajLin1EEEvNS_4cuda6detail10TensorInfoIT_T0_EENS5_IlS7_EENS5_IKS6_S7_EES7_S7_S7_b.has_recursion, 0
	.set _ZN2at6native12_GLOBAL__N_112gatherMedianIajLin1EEEvNS_4cuda6detail10TensorInfoIT_T0_EENS5_IlS7_EENS5_IKS6_S7_EES7_S7_S7_b.has_indirect_call, 0
	.section	.AMDGPU.csdata,"",@progbits
; Kernel info:
; codeLenInByte = 11716
; TotalNumSgprs: 106
; NumVgprs: 82
; NumAgprs: 0
; TotalNumVgprs: 82
; ScratchSize: 0
; MemoryBound: 0
; FloatMode: 240
; IeeeMode: 1
; LDSByteSize: 4120 bytes/workgroup (compile time only)
; SGPRBlocks: 13
; VGPRBlocks: 10
; NumSGPRsForWavesPerEU: 106
; NumVGPRsForWavesPerEU: 82
; AccumOffset: 84
; Occupancy: 5
; WaveLimiterHint : 1
; COMPUTE_PGM_RSRC2:SCRATCH_EN: 0
; COMPUTE_PGM_RSRC2:USER_SGPR: 2
; COMPUTE_PGM_RSRC2:TRAP_HANDLER: 0
; COMPUTE_PGM_RSRC2:TGID_X_EN: 1
; COMPUTE_PGM_RSRC2:TGID_Y_EN: 1
; COMPUTE_PGM_RSRC2:TGID_Z_EN: 1
; COMPUTE_PGM_RSRC2:TIDIG_COMP_CNT: 0
; COMPUTE_PGM_RSRC3_GFX90A:ACCUM_OFFSET: 20
; COMPUTE_PGM_RSRC3_GFX90A:TG_SPLIT: 0
	.section	.text._ZN2at6native12_GLOBAL__N_112gatherMedianIamLi1EEEvNS_4cuda6detail10TensorInfoIT_T0_EENS5_IlS7_EENS5_IKS6_S7_EES7_S7_S7_b,"axG",@progbits,_ZN2at6native12_GLOBAL__N_112gatherMedianIamLi1EEEvNS_4cuda6detail10TensorInfoIT_T0_EENS5_IlS7_EENS5_IKS6_S7_EES7_S7_S7_b,comdat
	.globl	_ZN2at6native12_GLOBAL__N_112gatherMedianIamLi1EEEvNS_4cuda6detail10TensorInfoIT_T0_EENS5_IlS7_EENS5_IKS6_S7_EES7_S7_S7_b ; -- Begin function _ZN2at6native12_GLOBAL__N_112gatherMedianIamLi1EEEvNS_4cuda6detail10TensorInfoIT_T0_EENS5_IlS7_EENS5_IKS6_S7_EES7_S7_S7_b
	.p2align	8
	.type	_ZN2at6native12_GLOBAL__N_112gatherMedianIamLi1EEEvNS_4cuda6detail10TensorInfoIT_T0_EENS5_IlS7_EENS5_IKS6_S7_EES7_S7_S7_b,@function
_ZN2at6native12_GLOBAL__N_112gatherMedianIamLi1EEEvNS_4cuda6detail10TensorInfoIT_T0_EENS5_IlS7_EENS5_IKS6_S7_EES7_S7_S7_b: ; @_ZN2at6native12_GLOBAL__N_112gatherMedianIamLi1EEEvNS_4cuda6detail10TensorInfoIT_T0_EENS5_IlS7_EENS5_IKS6_S7_EES7_S7_S7_b
; %bb.0:
	s_load_dwordx2 s[8:9], s[0:1], 0x500
	s_load_dwordx4 s[56:59], s[0:1], 0x4e0
	s_add_u32 s10, s0, 0x500
	s_addc_u32 s11, s1, 0
	s_mov_b32 s19, 0
	s_waitcnt lgkmcnt(0)
	s_mul_i32 s4, s9, s4
	s_add_i32 s3, s4, s3
	s_mul_i32 s3, s3, s8
	s_add_i32 s18, s3, s2
	v_mov_b64_e32 v[2:3], s[18:19]
	v_cmp_le_u64_e32 vcc, s[58:59], v[2:3]
	s_cbranch_vccnz .LBB84_276
; %bb.1:
	s_load_dwordx2 s[68:69], s[0:1], 0x4f0
	s_load_dwordx2 s[6:7], s[0:1], 0x410
	;; [unrolled: 1-line block ×3, first 2 shown]
	v_cmp_eq_u32_e64 s[14:15], 0, v0
	s_mov_b64 s[12:13], exec
                                        ; implicit-def: $vgpr63 : SGPR spill to VGPR lane
	s_nop 0
	v_writelane_b32 v63, s14, 0
	s_nop 1
	v_writelane_b32 v63, s15, 1
	s_and_b64 s[14:15], s[12:13], s[14:15]
	s_mov_b64 exec, s[14:15]
; %bb.2:
	v_mov_b32_e32 v2, 0
	v_mov_b32_e32 v3, v2
	ds_write_b64 v2, v[2:3] offset:5136
; %bb.3:
	s_or_b64 exec, exec, s[12:13]
	s_load_dwordx2 s[12:13], s[0:1], 0x270
	v_mov_b32_e32 v3, 0
	s_waitcnt lgkmcnt(0)
	s_barrier
	v_writelane_b32 v63, s12, 2
	s_barrier
	s_nop 0
	v_writelane_b32 v63, s13, 3
	s_load_dwordx2 s[12:13], s[0:1], 0x1a0
	s_waitcnt lgkmcnt(0)
	ds_read_b64 v[4:5], v3 offset:5136
	v_writelane_b32 v63, s12, 4
	s_nop 1
	v_writelane_b32 v63, s13, 5
	s_load_dwordx2 s[12:13], s[0:1], 0xd0
	s_waitcnt lgkmcnt(0)
	v_writelane_b32 v63, s12, 6
	s_nop 1
	v_writelane_b32 v63, s13, 7
	s_load_dwordx2 s[12:13], s[0:1], 0x0
	s_waitcnt lgkmcnt(0)
	v_writelane_b32 v63, s12, 8
	s_nop 1
	v_writelane_b32 v63, s13, 9
	v_readfirstlane_b32 s12, v4
	v_readfirstlane_b32 s13, v5
	s_mov_b64 s[14:15], exec
	v_readlane_b32 s16, v63, 0
	v_readlane_b32 s17, v63, 1
	s_and_b64 s[16:17], s[14:15], s[16:17]
	s_mov_b64 exec, s[16:17]
	s_cbranch_execz .LBB84_5
; %bb.4:
	v_mov_b32_e32 v4, 0
	v_mov_b32_e32 v6, s56
	;; [unrolled: 1-line block ×4, first 2 shown]
	ds_write_b32 v4, v4 offset:5144
	ds_write_b128 v4, v[4:7] offset:5120
.LBB84_5:
	s_or_b64 exec, exec, s[14:15]
	s_load_dword s3, s[0:1], 0x4f8
	v_cmp_lt_i64_e64 s[0:1], s[12:13], 1
	s_mul_i32 s7, s7, s18
	v_mov_b32_e32 v1, v3
	v_mbcnt_lo_u32_b32 v2, -1, 0
	s_waitcnt lgkmcnt(0)
	s_bitcmp1_b32 s3, 0
	s_cselect_b64 s[14:15], -1, 0
	s_not_b64 s[12:13], s[12:13]
	s_or_b64 s[0:1], s[14:15], s[0:1]
	s_add_u32 s12, s56, s12
	s_addc_u32 s13, s57, s13
	s_lshr_b64 s[12:13], s[12:13], 1
	s_add_u32 s3, s12, 1
	s_addc_u32 s9, s13, 0
	s_and_b64 s[0:1], s[0:1], exec
	s_mul_hi_u32 s0, s6, s18
	s_cselect_b32 s13, s9, s57
	s_cselect_b32 s12, s3, s56
	s_add_i32 s0, s0, s7
	s_mov_b32 s14, s18
	s_mul_i32 s1, s6, s18
	v_writelane_b32 v63, s14, 10
	s_add_u32 s88, s4, s1
	s_addc_u32 s89, s5, s0
	v_writelane_b32 v63, s15, 11
	v_cmp_gt_u64_e64 s[0:1], s[56:57], v[0:1]
	v_mbcnt_hi_u32_b32 v34, -1, v2
	v_cmp_gt_u32_e32 vcc, 64, v0
	v_writelane_b32 v63, s0, 12
	v_mov_b64_e32 v[4:5], 0xc00
	v_mov_b64_e32 v[6:7], s[88:89]
	v_writelane_b32 v63, s1, 13
	v_cmp_gt_i32_e64 s[0:1], 4, v34
	s_and_b64 s[60:61], vcc, s[0:1]
	v_cmp_gt_u32_e64 s[0:1], 2, v0
	s_barrier
	s_nop 0
	v_writelane_b32 v63, s0, 14
	v_mul_lo_u32 v2, s69, v0
	s_nop 0
	v_writelane_b32 v63, s1, 15
	v_cmp_gt_u64_e64 s[0:1], s[56:57], v[4:5]
	v_mov_b32_e32 v9, -1
	v_not_b32_e32 v8, v0
	v_writelane_b32 v63, s0, 16
	v_lshlrev_b32_e32 v14, 2, v0
	s_mov_b32 s55, s69
	v_writelane_b32 v63, s1, 17
	v_mad_u64_u32 v[4:5], s[0:1], s68, v0, 0
	v_mad_u64_u32 v[12:13], s[0:1], s68, v0, v[6:7]
	s_load_dword s0, s[10:11], 0xc
	v_add_u32_e32 v5, v5, v2
	v_add_u32_e32 v13, v2, v13
	v_lshlrev_b32_e32 v2, 2, v34
	v_and_b32_e32 v35, 0x100, v2
	s_waitcnt lgkmcnt(0)
	s_and_b32 s70, s0, 0xffff
	s_bfe_u32 s0, s0, 0xa0006
	v_lshrrev_b32_e32 v2, 1, v0
	s_cmp_gt_u32 s70, 63
	v_and_b32_e32 v2, 0x1e0, v2
	v_lshlrev_b64 v[6:7], v34, -1
	s_cselect_b64 s[6:7], -1, 0
	v_or_b32_e32 v36, 0xc00, v2
	v_add_u32_e32 v2, 2, v0
	v_not_b32_e32 v16, v6
	v_writelane_b32 v63, s6, 18
	s_add_u32 s1, s70, -1
	v_mov_b32_e32 v6, s57
	v_cmp_gt_u64_e32 vcc, s[56:57], v[2:3]
	v_not_b32_e32 v17, v7
	v_writelane_b32 v63, s7, 19
	s_addc_u32 s3, 0, -1
	v_cndmask_b32_e32 v7, 0, v6, vcc
	v_mov_b32_e32 v6, s56
	v_writelane_b32 v63, s1, 20
	s_add_u32 s1, s1, s56
	v_cndmask_b32_e32 v6, v2, v6, vcc
	v_writelane_b32 v63, s1, 21
	s_addc_u32 s83, s3, s57
	v_lshl_add_u64 v[6:7], v[6:7], 0, v[8:9]
	v_writelane_b32 v63, s3, 22
	s_cmp_lt_u32 s2, s8
	v_cmp_lt_u64_e64 s[2:3], 3, v[6:7]
	s_cselect_b32 s1, 12, 18
	v_and_b32_e32 v18, -4, v6
	v_writelane_b32 v63, s2, 23
	v_mov_b32_e32 v19, v7
	s_add_u32 s72, s10, s1
	v_writelane_b32 v63, s3, 24
	v_cmp_ne_u64_e64 s[2:3], v[6:7], v[18:19]
	s_addc_u32 s73, s11, 0
	s_add_i32 s1, s0, -1
	v_writelane_b32 v63, s2, 25
	s_and_b32 s1, s1, 0xffff
	v_or_b32_e32 v6, 3, v14
	v_writelane_b32 v63, s3, 26
	s_bfe_u32 s2, s70, 0x30006
	s_cmp_gt_u32 s1, 6
	s_cselect_b64 s[8:9], -1, 0
	v_writelane_b32 v63, s8, 27
	s_and_b32 s77, s0, 0x3f8
	s_cmp_lg_u32 s2, 0
	v_writelane_b32 v63, s9, 28
	v_writelane_b32 v63, s2, 29
	s_cselect_b64 s[0:1], -1, 0
	v_writelane_b32 v63, s0, 30
	s_mov_b32 s75, 0
	s_mov_b32 s80, s69
	v_writelane_b32 v63, s1, 31
	v_mad_u64_u32 v[22:23], s[0:1], s68, v6, 0
	v_mov_b32_e32 v2, v23
	v_mad_u64_u32 v[6:7], s[0:1], s69, v6, v[2:3]
	v_mov_b32_e32 v23, v6
	v_or_b32_e32 v6, 2, v14
	v_mad_u64_u32 v[24:25], s[0:1], s68, v6, 0
	v_mov_b32_e32 v2, v25
	v_mad_u64_u32 v[6:7], s[0:1], s69, v6, v[2:3]
	v_mov_b32_e32 v25, v6
	v_mov_b64_e32 v[6:7], s[68:69]
	v_writelane_b32 v63, s60, 32
	v_mad_u64_u32 v[26:27], s[0:1], s68, v14, v[6:7]
	s_nop 0
	v_writelane_b32 v63, s61, 33
	v_mov_b32_e32 v2, v27
	v_writelane_b32 v63, s72, 34
	v_mad_u64_u32 v[6:7], s[0:1], s69, v14, v[2:3]
	s_nop 0
	v_writelane_b32 v63, s73, 35
	v_mov_b32_e32 v2, 0xc00
	s_mul_i32 s0, s69, s70
	s_mul_hi_u32 s1, s68, s70
	v_writelane_b32 v63, s55, 36
	v_cmp_eq_u32_e64 s[4:5], 0, v34
	v_mov_b32_e32 v15, v3
	s_mov_b32 s71, s75
	v_lshl_add_u64 v[20:21], v[18:19], 0, v[0:1]
	s_mov_b32 s6, s68
	s_mov_b32 s7, s68
	;; [unrolled: 1-line block ×5, first 2 shown]
	s_lshl_b64 s[90:91], s[68:69], 2
	v_mov_b32_e32 v27, v6
	v_lshlrev_b64 v[28:29], 2, v[4:5]
	v_lshl_or_b32 v37, v34, 3, v2
	s_add_i32 s79, s1, s0
	s_mul_i32 s78, s68, s70
	s_mov_b64 s[92:93], 0
	v_mov_b64_e32 v[30:31], s[12:13]
	s_movk_i32 s85, 0x80
	s_mov_b32 s52, 0xc0c0004
	v_mov_b64_e32 v[46:47], s[56:57]
	v_mov_b32_e32 v39, 0x4f800000
	v_mov_b32_e32 v40, 8
	;; [unrolled: 1-line block ×3, first 2 shown]
	s_mov_b32 s33, 0
	v_mov_b32_e32 v38, 0
	v_mov_b32_e32 v41, 0
	v_writelane_b32 v63, s80, 37
                                        ; implicit-def: $sgpr94_sgpr95
                                        ; implicit-def: $sgpr98_sgpr99
                                        ; implicit-def: $sgpr96_sgpr97
                                        ; implicit-def: $sgpr62_sgpr63
                                        ; implicit-def: $sgpr64_sgpr65
                                        ; implicit-def: $sgpr58_sgpr59
	v_writelane_b32 v63, s81, 38
	s_branch .LBB84_9
.LBB84_6:                               ;   in Loop: Header=BB84_9 Depth=1
	s_or_b64 exec, exec, s[12:13]
	s_and_b64 s[10:11], s[10:11], exec
	s_andn2_b64 s[22:23], s[22:23], exec
	s_andn2_b64 s[0:1], s[0:1], exec
	s_orn2_b64 s[16:17], s[8:9], exec
.LBB84_7:                               ;   in Loop: Header=BB84_9 Depth=1
	s_or_b64 exec, exec, s[2:3]
	s_andn2_b64 s[2:3], s[58:59], exec
	s_and_b64 s[8:9], s[10:11], exec
	s_or_b64 s[58:59], s[2:3], s[8:9]
	s_andn2_b64 s[2:3], s[64:65], exec
	s_and_b64 s[8:9], s[22:23], exec
	s_or_b64 s[64:65], s[2:3], s[8:9]
	;; [unrolled: 3-line block ×3, first 2 shown]
	s_orn2_b64 s[0:1], s[16:17], exec
.LBB84_8:                               ;   in Loop: Header=BB84_9 Depth=1
	s_or_b64 exec, exec, s[14:15]
	s_and_b64 s[0:1], exec, s[0:1]
	s_or_b64 s[92:93], s[0:1], s[92:93]
	s_andn2_b64 s[0:1], s[96:97], exec
	s_and_b64 s[2:3], s[58:59], exec
	s_or_b64 s[96:97], s[0:1], s[2:3]
	s_andn2_b64 s[0:1], s[98:99], exec
	s_and_b64 s[2:3], s[64:65], exec
	;; [unrolled: 3-line block ×3, first 2 shown]
	s_or_b64 s[94:95], s[0:1], s[2:3]
	v_mov_b64_e32 v[30:31], v[8:9]
	s_andn2_b64 exec, exec, s[92:93]
	s_cbranch_execz .LBB84_272
.LBB84_9:                               ; =>This Loop Header: Depth=1
                                        ;     Child Loop BB84_14 Depth 2
                                        ;     Child Loop BB84_28 Depth 2
	;; [unrolled: 1-line block ×17, first 2 shown]
	ds_read_b128 v[4:7], v3 offset:5120
	s_waitcnt lgkmcnt(0)
	v_readfirstlane_b32 s67, v5
	v_readfirstlane_b32 s66, v4
	s_cmp_lg_u64 s[66:67], 0
	s_cbranch_scc1 .LBB84_41
; %bb.10:                               ;   in Loop: Header=BB84_9 Depth=1
	v_readlane_b32 s0, v63, 16
	v_readlane_b32 s1, v63, 17
	s_and_b64 vcc, exec, s[0:1]
	s_cbranch_vccz .LBB84_22
; %bb.11:                               ;   in Loop: Header=BB84_9 Depth=1
	s_mov_b64 s[0:1], 0xc01
	v_cmp_gt_u64_e32 vcc, s[0:1], v[6:7]
	s_mov_b64 s[8:9], 0
	s_mov_b64 s[0:1], 0
	s_cbranch_vccz .LBB84_23
; %bb.12:                               ;   in Loop: Header=BB84_9 Depth=1
	global_load_ushort v6, v3, s[72:73]
	global_load_ubyte v8, v[12:13], off
	v_mov_b64_e32 v[4:5], s[88:89]
	s_mov_b64 s[10:11], 0
	s_waitcnt vmcnt(1)
	v_and_b32_e32 v2, 0xffff, v6
	v_readfirstlane_b32 s0, v6
	v_lshl_add_u64 v[6:7], v[0:1], 0, v[2:3]
	s_and_b32 s2, 0xffff, s0
	v_mad_u64_u32 v[4:5], s[0:1], s68, v6, v[4:5]
	v_mul_lo_u32 v7, s68, v7
	v_mul_lo_u32 v9, s69, v6
	s_mul_i32 s0, s69, s2
	s_mul_hi_u32 s1, s68, s2
	s_mul_i32 s12, s68, s2
	v_add3_u32 v5, v9, v5, v7
	s_add_i32 s13, s1, s0
	v_mov_b64_e32 v[6:7], v[0:1]
	s_branch .LBB84_14
.LBB84_13:                              ;   in Loop: Header=BB84_14 Depth=2
	s_or_b64 exec, exec, s[2:3]
	v_lshl_add_u64 v[4:5], v[4:5], 0, s[12:13]
	v_mov_b32_e32 v8, v9
	s_andn2_b64 exec, exec, s[10:11]
	s_cbranch_execz .LBB84_139
.LBB84_14:                              ;   Parent Loop BB84_9 Depth=1
                                        ; =>  This Inner Loop Header: Depth=2
	v_lshl_add_u64 v[6:7], v[6:7], 0, v[2:3]
	v_cmp_gt_u64_e64 s[0:1], s[56:57], v[6:7]
	v_cmp_le_u64_e32 vcc, s[56:57], v[6:7]
	s_waitcnt lgkmcnt(0)
	v_mov_b32_e32 v10, 0
	v_mov_b32_e32 v9, 0
	s_and_saveexec_b64 s[2:3], s[0:1]
	s_cbranch_execz .LBB84_16
; %bb.15:                               ;   in Loop: Header=BB84_14 Depth=2
	global_load_ubyte v9, v[4:5], off
.LBB84_16:                              ;   in Loop: Header=BB84_14 Depth=2
	s_or_b64 exec, exec, s[2:3]
	s_waitcnt vmcnt(0)
	v_add_u32_sdwa v11, sext(v8), s85 dst_sel:DWORD dst_unused:UNUSED_PAD src0_sel:BYTE_0 src1_sel:DWORD
	v_and_b32_e32 v11, v11, v41
	v_cmp_eq_u32_e64 s[0:1], v11, v38
	s_cmp_lg_u64 s[0:1], 0
	s_cselect_b64 s[2:3], -1, 0
	s_and_b64 s[2:3], s[4:5], s[2:3]
	s_and_saveexec_b64 s[14:15], s[2:3]
	s_cbranch_execz .LBB84_20
; %bb.17:                               ;   in Loop: Header=BB84_14 Depth=2
	s_mov_b64 s[18:19], exec
	v_mbcnt_lo_u32_b32 v10, s18, 0
	v_mbcnt_hi_u32_b32 v10, s19, v10
	s_bcnt1_i32_b64 s20, s[0:1]
	v_cmp_eq_u32_e64 s[2:3], 0, v10
                                        ; implicit-def: $vgpr11
	s_and_saveexec_b64 s[16:17], s[2:3]
; %bb.18:                               ;   in Loop: Header=BB84_14 Depth=2
	s_bcnt1_i32_b64 s2, s[18:19]
	s_mul_i32 s2, s20, s2
	v_mov_b32_e32 v11, s2
	ds_add_rtn_u32 v11, v3, v11 offset:5144
; %bb.19:                               ;   in Loop: Header=BB84_14 Depth=2
	s_or_b64 exec, exec, s[16:17]
	s_waitcnt lgkmcnt(0)
	v_readfirstlane_b32 s2, v11
	s_nop 1
	v_mov_b32_e32 v11, s2
	v_mad_u32_u24 v10, s20, v10, v11
.LBB84_20:                              ;   in Loop: Header=BB84_14 Depth=2
	s_or_b64 exec, exec, s[14:15]
	ds_bpermute_b32 v10, v35, v10
	s_and_b64 s[2:3], exec, vcc
	s_or_b64 s[10:11], s[2:3], s[10:11]
	s_and_saveexec_b64 s[2:3], s[0:1]
	s_cbranch_execz .LBB84_13
; %bb.21:                               ;   in Loop: Header=BB84_14 Depth=2
	v_and_b32_e32 v32, s0, v16
	v_and_b32_e32 v11, s1, v17
	v_bcnt_u32_b32 v32, v32, 0
	v_bcnt_u32_b32 v11, v11, v32
	s_waitcnt lgkmcnt(0)
	v_add_u32_e32 v10, v10, v11
	ds_write_b8 v10, v8
	s_branch .LBB84_13
.LBB84_22:                              ;   in Loop: Header=BB84_9 Depth=1
	s_mov_b64 s[8:9], -1
	s_mov_b64 s[0:1], 0
.LBB84_23:                              ;   in Loop: Header=BB84_9 Depth=1
	s_and_b64 vcc, exec, s[8:9]
	s_cbranch_vccz .LBB84_39
.LBB84_24:                              ;   in Loop: Header=BB84_9 Depth=1
	s_mov_b64 s[0:1], exec
	v_readlane_b32 s2, v63, 12
	v_readlane_b32 s3, v63, 13
	s_and_b64 s[2:3], s[0:1], s[2:3]
	s_mov_b64 exec, s[2:3]
	s_cbranch_execz .LBB84_36
; %bb.25:                               ;   in Loop: Header=BB84_9 Depth=1
	global_load_ushort v2, v3, s[72:73]
	global_load_ubyte v43, v[12:13], off
	v_mov_b32_e32 v8, v0
	s_waitcnt vmcnt(1)
	v_readfirstlane_b32 s8, v2
	v_add_u32_sdwa v2, v2, v0 dst_sel:DWORD dst_unused:UNUSED_PAD src0_sel:WORD_0 src1_sel:DWORD
	v_cmp_gt_u64_e32 vcc, s[56:57], v[2:3]
	s_and_saveexec_b64 s[2:3], vcc
	s_cbranch_execz .LBB84_35
; %bb.26:                               ;   in Loop: Header=BB84_9 Depth=1
	s_and_b32 s74, s8, 0xffff
	s_cmp_eq_u32 s74, 1
	v_readlane_b32 s10, v63, 23
	s_cselect_b64 s[8:9], -1, 0
	v_readlane_b32 s11, v63, 24
	s_and_b64 s[12:13], s[10:11], s[8:9]
	s_mov_b64 s[10:11], -1
	v_mov_b64_e32 v[6:7], v[0:1]
	v_mov_b64_e32 v[4:5], v[2:3]
                                        ; implicit-def: $vgpr8_vgpr9
	s_and_saveexec_b64 s[8:9], s[12:13]
	s_cbranch_execz .LBB84_30
; %bb.27:                               ;   in Loop: Header=BB84_9 Depth=1
	v_lshl_add_u64 v[8:9], v[2:3], 0, 3
	v_lshl_add_u64 v[6:7], v[2:3], 0, 2
	;; [unrolled: 1-line block ×3, first 2 shown]
	v_mov_b64_e32 v[10:11], v[8:9]
	s_waitcnt vmcnt(0)
	v_lshlrev_b32_e32 v45, 24, v43
	s_mov_b64 s[10:11], 0
	v_mov_b64_e32 v[32:33], v[18:19]
	v_mov_b32_e32 v44, v0
	v_mov_b64_e32 v[8:9], v[6:7]
	v_mov_b64_e32 v[6:7], v[4:5]
	;; [unrolled: 1-line block ×3, first 2 shown]
.LBB84_28:                              ;   Parent Loop BB84_9 Depth=1
                                        ; =>  This Inner Loop Header: Depth=2
	v_mov_b64_e32 v[48:49], s[88:89]
	v_mul_lo_u32 v61, v10, s81
	v_mul_lo_u32 v62, v11, s76
	v_mad_u64_u32 v[50:51], s[12:13], v4, s68, v[48:49]
	v_mad_u64_u32 v[52:53], s[12:13], v6, s6, v[48:49]
	v_mad_u64_u32 v[54:55], s[12:13], v8, s7, v[48:49]
	v_mad_u64_u32 v[48:49], s[12:13], v10, s76, v[48:49]
	v_mul_lo_u32 v43, v4, s69
	v_mul_lo_u32 v56, v5, s68
	;; [unrolled: 1-line block ×6, first 2 shown]
	v_add3_u32 v49, v62, v49, v61
	v_add3_u32 v51, v56, v51, v43
	;; [unrolled: 1-line block ×4, first 2 shown]
	global_load_ubyte v43, v[48:49], off
	s_nop 0
	global_load_ubyte v48, v[52:53], off
	global_load_ubyte v49, v[50:51], off
	s_nop 0
	global_load_ubyte v50, v[54:55], off
	s_mov_b32 s12, 0xc0c0007
	v_lshl_add_u64 v[32:33], v[32:33], 0, -4
	v_cmp_eq_u64_e32 vcc, 0, v[32:33]
	v_lshl_add_u64 v[10:11], v[10:11], 0, 4
	v_lshl_add_u64 v[8:9], v[8:9], 0, 4
	;; [unrolled: 1-line block ×4, first 2 shown]
	s_or_b64 s[10:11], vcc, s[10:11]
	s_waitcnt vmcnt(1)
	v_perm_b32 v51, v49, v48, s52
	s_waitcnt vmcnt(0)
	v_perm_b32 v52, v50, v43, s52
	v_perm_b32 v48, v48, v50, s52
	;; [unrolled: 1-line block ×3, first 2 shown]
	v_lshl_or_b32 v49, v52, 16, v51
	v_lshl_or_b32 v45, v48, 16, v45
	ds_write_b32 v44, v45
	v_add_u32_e32 v44, 4, v44
	v_mov_b32_e32 v45, v49
	s_andn2_b64 exec, exec, s[10:11]
	s_cbranch_execnz .LBB84_28
; %bb.29:                               ;   in Loop: Header=BB84_9 Depth=1
	s_or_b64 exec, exec, s[10:11]
	v_readlane_b32 s10, v63, 25
	v_lshl_add_u64 v[4:5], v[2:3], 0, v[18:19]
	v_readlane_b32 s11, v63, 26
	v_lshl_add_u64 v[8:9], v[4:5], 0, -1
	s_orn2_b64 s[10:11], s[10:11], exec
	v_mov_b64_e32 v[6:7], v[20:21]
.LBB84_30:                              ;   in Loop: Header=BB84_9 Depth=1
	s_or_b64 exec, exec, s[8:9]
	s_and_saveexec_b64 s[8:9], s[10:11]
	s_cbranch_execz .LBB84_34
; %bb.31:                               ;   in Loop: Header=BB84_9 Depth=1
	v_mov_b64_e32 v[8:9], s[88:89]
	v_mad_u64_u32 v[8:9], s[14:15], s68, v4, v[8:9]
	s_sub_u32 s10, 0, s74
	v_mul_lo_u32 v2, s68, v5
	v_mul_lo_u32 v7, s69, v4
	s_mul_i32 s14, s69, s74
	s_mul_hi_u32 s15, s68, s74
	s_mov_b64 s[12:13], 0
	s_subb_u32 s11, 0, 0
	v_add3_u32 v9, v7, v9, v2
	s_add_i32 s15, s15, s14
	s_mul_i32 s14, s68, s74
.LBB84_32:                              ;   Parent Loop BB84_9 Depth=1
                                        ; =>  This Inner Loop Header: Depth=2
	global_load_ubyte v2, v[8:9], off
	v_mov_b64_e32 v[10:11], v[4:5]
	v_lshl_add_u64 v[4:5], v[10:11], 0, s[74:75]
	v_cmp_le_u64_e32 vcc, s[56:57], v[4:5]
	s_waitcnt vmcnt(1)
	ds_write_b8 v6, v43
	v_lshl_add_u64 v[8:9], v[8:9], 0, s[14:15]
	v_mov_b64_e32 v[6:7], v[10:11]
	s_or_b64 s[12:13], vcc, s[12:13]
	s_waitcnt vmcnt(0)
	v_mov_b32_e32 v43, v2
	s_andn2_b64 exec, exec, s[12:13]
	s_cbranch_execnz .LBB84_32
; %bb.33:                               ;   in Loop: Header=BB84_9 Depth=1
	s_or_b64 exec, exec, s[12:13]
	v_lshl_add_u64 v[8:9], s[10:11], 0, v[4:5]
	v_mov_b32_e32 v43, v2
.LBB84_34:                              ;   in Loop: Header=BB84_9 Depth=1
	s_or_b64 exec, exec, s[8:9]
.LBB84_35:                              ;   in Loop: Header=BB84_9 Depth=1
	s_or_b64 exec, exec, s[2:3]
	s_waitcnt vmcnt(0)
	ds_write_b8 v8, v43
.LBB84_36:                              ;   in Loop: Header=BB84_9 Depth=1
	s_or_b64 exec, exec, s[0:1]
	s_waitcnt lgkmcnt(0)
	s_barrier
	s_mov_b64 s[0:1], exec
	v_readlane_b32 s2, v63, 0
	v_readlane_b32 s3, v63, 1
	s_and_b64 s[2:3], s[0:1], s[2:3]
	s_mov_b64 exec, s[2:3]
; %bb.37:                               ;   in Loop: Header=BB84_9 Depth=1
	ds_write_b64 v3, v[46:47] offset:5120
; %bb.38:                               ;   in Loop: Header=BB84_9 Depth=1
	s_or_b64 exec, exec, s[0:1]
	s_mov_b64 s[0:1], -1
	s_waitcnt lgkmcnt(0)
	s_barrier
.LBB84_39:                              ;   in Loop: Header=BB84_9 Depth=1
	s_mov_b64 s[66:67], 0
	s_and_b64 vcc, exec, s[0:1]
	s_cbranch_vccz .LBB84_41
; %bb.40:                               ;   in Loop: Header=BB84_9 Depth=1
	ds_read_b64 v[4:5], v3 offset:5120
	s_waitcnt lgkmcnt(0)
	v_readfirstlane_b32 s66, v4
.LBB84_41:                              ;   in Loop: Header=BB84_9 Depth=1
	s_cmp_lt_i32 s66, 1
	s_mov_b64 s[0:1], -1
                                        ; implicit-def: $vgpr10_vgpr11
                                        ; implicit-def: $vgpr6_vgpr7
	s_cbranch_scc1 .LBB84_51
; %bb.42:                               ;   in Loop: Header=BB84_9 Depth=1
	s_and_b64 vcc, exec, s[0:1]
	s_cbranch_vccnz .LBB84_65
.LBB84_43:                              ;   in Loop: Header=BB84_9 Depth=1
	s_lshl_b32 s2, s33, 6
	s_and_saveexec_b64 s[0:1], s[4:5]
	s_cbranch_execz .LBB84_45
.LBB84_44:                              ;   in Loop: Header=BB84_9 Depth=1
	v_lshl_add_u32 v2, s2, 3, v36
	ds_write_b128 v2, v[4:7]
	ds_write_b128 v2, v[8:11] offset:16
.LBB84_45:                              ;   in Loop: Header=BB84_9 Depth=1
	s_or_b64 exec, exec, s[0:1]
	s_waitcnt lgkmcnt(0)
	s_barrier
	s_and_saveexec_b64 s[0:1], s[60:61]
	s_cbranch_execz .LBB84_80
; %bb.46:                               ;   in Loop: Header=BB84_9 Depth=1
	v_readlane_b32 s8, v63, 18
	v_readlane_b32 s9, v63, 19
	s_andn2_b64 vcc, exec, s[8:9]
	v_mov_b64_e32 v[4:5], 0
	s_cbranch_vccnz .LBB84_79
; %bb.47:                               ;   in Loop: Header=BB84_9 Depth=1
	v_readlane_b32 s8, v63, 27
	v_readlane_b32 s9, v63, 28
	s_andn2_b64 vcc, exec, s[8:9]
	s_cbranch_vccnz .LBB84_75
; %bb.48:                               ;   in Loop: Header=BB84_9 Depth=1
	v_lshl_add_u32 v2, s33, 9, v37
	v_mov_b64_e32 v[4:5], 0
	s_mov_b32 s3, 0
.LBB84_49:                              ;   Parent Loop BB84_9 Depth=1
                                        ; =>  This Inner Loop Header: Depth=2
	ds_read2_b64 v[6:9], v2 offset1:4
	ds_read2_b64 v[48:51], v2 offset0:8 offset1:12
	ds_read2_b64 v[52:55], v2 offset0:16 offset1:20
	;; [unrolled: 1-line block ×3, first 2 shown]
	s_add_i32 s3, s3, 8
	s_waitcnt lgkmcnt(3)
	v_lshl_add_u64 v[4:5], v[6:7], 0, v[4:5]
	v_lshl_add_u64 v[4:5], v[8:9], 0, v[4:5]
	s_waitcnt lgkmcnt(2)
	v_lshl_add_u64 v[4:5], v[48:49], 0, v[4:5]
	v_lshl_add_u64 v[4:5], v[50:51], 0, v[4:5]
	s_waitcnt lgkmcnt(1)
	v_lshl_add_u64 v[4:5], v[52:53], 0, v[4:5]
	v_lshl_add_u64 v[4:5], v[54:55], 0, v[4:5]
	s_waitcnt lgkmcnt(0)
	v_lshl_add_u64 v[4:5], v[56:57], 0, v[4:5]
	v_add_u32_e32 v2, 0x100, v2
	s_cmp_eq_u32 s77, s3
	v_lshl_add_u64 v[4:5], v[58:59], 0, v[4:5]
	s_cbranch_scc0 .LBB84_49
; %bb.50:                               ;   in Loop: Header=BB84_9 Depth=1
	s_mov_b32 s3, s77
	s_branch .LBB84_76
.LBB84_51:                              ;   in Loop: Header=BB84_9 Depth=1
	global_load_ushort v2, v3, s[72:73]
	s_mov_b32 s0, s75
	s_waitcnt vmcnt(0)
	v_readfirstlane_b32 s1, v2
	s_and_b32 s12, s1, 0xffff
	s_lshl_b32 s74, s12, 2
	s_mov_b32 s1, s57
	s_cmp_lg_u64 s[0:1], 0
	s_cbranch_scc0 .LBB84_74
; %bb.52:                               ;   in Loop: Header=BB84_9 Depth=1
	v_cvt_f32_u32_e32 v2, s74
	s_sub_u32 s2, 0, s74
	s_subb_u32 s3, 0, 0
	v_fmac_f32_e32 v2, 0, v39
	v_rcp_f32_e32 v2, v2
	s_nop 0
	v_mul_f32_e32 v2, 0x5f7ffffc, v2
	v_mul_f32_e32 v4, 0x2f800000, v2
	v_trunc_f32_e32 v4, v4
	v_fmac_f32_e32 v2, 0xcf800000, v4
	v_cvt_u32_f32_e32 v4, v4
	v_cvt_u32_f32_e32 v2, v2
	v_readfirstlane_b32 s8, v4
	v_readfirstlane_b32 s0, v2
	s_mul_i32 s1, s2, s8
	s_mul_hi_u32 s10, s2, s0
	s_mul_i32 s9, s3, s0
	s_add_i32 s1, s10, s1
	s_mul_i32 s11, s2, s0
	s_add_i32 s1, s1, s9
	s_mul_hi_u32 s10, s0, s11
	s_mul_i32 s13, s0, s1
	s_mul_hi_u32 s9, s0, s1
	s_add_u32 s10, s10, s13
	s_addc_u32 s9, 0, s9
	s_mul_hi_u32 s14, s8, s11
	s_mul_i32 s11, s8, s11
	s_add_u32 s10, s10, s11
	s_mul_hi_u32 s13, s8, s1
	s_addc_u32 s9, s9, s14
	s_addc_u32 s10, s13, 0
	s_mul_i32 s1, s8, s1
	s_add_u32 s1, s9, s1
	s_addc_u32 s9, 0, s10
	s_add_u32 s10, s0, s1
	s_cselect_b64 s[0:1], -1, 0
	s_cmp_lg_u64 s[0:1], 0
	s_addc_u32 s8, s8, s9
	s_mul_i32 s0, s2, s8
	s_mul_hi_u32 s1, s2, s10
	s_add_i32 s0, s1, s0
	s_mul_i32 s3, s3, s10
	s_add_i32 s0, s0, s3
	s_mul_i32 s2, s2, s10
	s_mul_hi_u32 s3, s8, s2
	s_mul_i32 s9, s8, s2
	s_mul_i32 s13, s10, s0
	s_mul_hi_u32 s2, s10, s2
	s_mul_hi_u32 s11, s10, s0
	s_add_u32 s2, s2, s13
	s_addc_u32 s11, 0, s11
	s_add_u32 s2, s2, s9
	s_mul_hi_u32 s1, s8, s0
	s_addc_u32 s2, s11, s3
	s_addc_u32 s1, s1, 0
	s_mul_i32 s0, s8, s0
	s_add_u32 s0, s2, s0
	s_addc_u32 s2, 0, s1
	s_add_u32 s3, s10, s0
	s_cselect_b64 s[0:1], -1, 0
	s_cmp_lg_u64 s[0:1], 0
	s_addc_u32 s0, s8, s2
	s_mul_i32 s2, s56, s0
	s_mul_hi_u32 s8, s56, s3
	s_mul_hi_u32 s1, s56, s0
	s_add_u32 s2, s8, s2
	s_addc_u32 s1, 0, s1
	s_mul_hi_u32 s9, s57, s3
	s_mul_i32 s3, s57, s3
	s_add_u32 s2, s2, s3
	s_mul_hi_u32 s8, s57, s0
	s_addc_u32 s1, s1, s9
	s_addc_u32 s2, s8, 0
	s_mul_i32 s0, s57, s0
	s_add_u32 s0, s1, s0
	s_addc_u32 s1, 0, s2
	s_mul_i32 s1, s74, s1
	s_mul_hi_u32 s2, s74, s0
	s_add_i32 s2, s2, s1
	s_mul_i32 s0, s74, s0
	s_sub_u32 s3, s56, s0
	s_cselect_b64 s[0:1], -1, 0
	s_cmp_lg_u64 s[0:1], 0
	s_subb_u32 s2, s57, s2
	s_sub_u32 s8, s3, s74
	s_cselect_b64 s[0:1], -1, 0
	s_cmp_lg_u64 s[0:1], 0
	s_subb_u32 s9, s2, 0
	;; [unrolled: 4-line block ×3, first 2 shown]
	s_cmp_ge_u32 s8, s74
	s_cselect_b32 s1, -1, 0
	s_cmp_eq_u32 s9, 0
	s_cselect_b32 s1, s1, -1
	s_cmp_lg_u32 s1, 0
	s_cselect_b32 s0, s0, s9
	s_cselect_b32 s8, s10, s8
	s_cmp_ge_u32 s3, s74
	s_cselect_b32 s1, -1, 0
	s_cmp_eq_u32 s2, 0
	s_cselect_b32 s1, s1, -1
	s_cmp_lg_u32 s1, 0
	s_cselect_b32 s1, s0, s2
	s_cselect_b32 s0, s8, s3
	s_cbranch_execnz .LBB84_54
.LBB84_53:                              ;   in Loop: Header=BB84_9 Depth=1
	v_cvt_f32_u32_e32 v2, s74
	s_sub_i32 s0, 0, s74
	v_rcp_iflag_f32_e32 v2, v2
	s_nop 0
	v_mul_f32_e32 v2, 0x4f7ffffe, v2
	v_cvt_u32_f32_e32 v2, v2
	s_nop 0
	v_readfirstlane_b32 s1, v2
	s_mul_i32 s0, s0, s1
	s_mul_hi_u32 s0, s1, s0
	s_add_i32 s1, s1, s0
	s_mul_hi_u32 s0, s56, s1
	s_mul_i32 s0, s0, s74
	s_sub_i32 s0, s56, s0
	s_sub_i32 s1, s0, s74
	s_cmp_ge_u32 s0, s74
	s_cselect_b32 s0, s1, s0
	s_sub_i32 s1, s0, s74
	s_cmp_ge_u32 s0, s74
	s_cselect_b32 s0, s1, s0
	s_mov_b32 s1, s75
.LBB84_54:                              ;   in Loop: Header=BB84_9 Depth=1
	s_sub_u32 s10, s56, s0
	s_subb_u32 s11, s57, s1
	s_mov_b32 s13, s75
	v_cmp_gt_u64_e32 vcc, s[10:11], v[14:15]
	v_mov_b64_e32 v[4:5], 0
	v_mov_b64_e32 v[6:7], 0
	;; [unrolled: 1-line block ×4, first 2 shown]
	s_and_saveexec_b64 s[34:35], vcc
	s_cbranch_execz .LBB84_58
; %bb.55:                               ;   in Loop: Header=BB84_9 Depth=1
	s_mul_i32 s0, s91, s12
	s_mul_hi_u32 s1, s90, s12
	s_add_i32 s67, s1, s0
	s_mov_b64 s[86:87], 0
	s_mov_b64 s[72:73], s[88:89]
	;; [unrolled: 1-line block ×6, first 2 shown]
	v_mov_b64_e32 v[32:33], v[14:15]
.LBB84_56:                              ;   Parent Loop BB84_9 Depth=1
                                        ; =>  This Inner Loop Header: Depth=2
	v_lshl_add_u64 v[4:5], s[72:73], 0, v[28:29]
	v_lshl_add_u64 v[6:7], s[72:73], 0, v[26:27]
	;; [unrolled: 1-line block ×4, first 2 shown]
	global_load_sbyte v2, v[4:5], off
	s_nop 0
	global_load_sbyte v4, v[6:7], off
	global_load_sbyte v5, v[8:9], off
	s_nop 0
	global_load_sbyte v6, v[10:11], off
	s_mul_i32 s82, s90, s12
	v_lshl_add_u64 v[32:33], v[32:33], 0, s[74:75]
	v_cmp_le_u64_e32 vcc, s[10:11], v[32:33]
	s_waitcnt vmcnt(3)
	v_add_u32_e32 v2, 0x80, v2
	s_waitcnt vmcnt(2)
	v_add_u32_e32 v4, 0x80, v4
	v_and_b32_e32 v7, v2, v41
	v_bfe_u32 v2, v2, s84, 2
	s_waitcnt vmcnt(1)
	v_add_u32_e32 v5, 0x80, v5
	v_and_b32_e32 v8, v4, v41
	v_bfe_u32 v4, v4, s84, 2
	v_cmp_eq_u32_e64 s[0:1], v7, v38
	v_cmp_eq_u32_e64 s[18:19], 0, v2
	s_waitcnt vmcnt(0)
	v_add_u32_e32 v6, 0x80, v6
	v_and_b32_e32 v9, v5, v41
	v_bfe_u32 v5, v5, s84, 2
	v_cmp_eq_u32_e64 s[2:3], v8, v38
	v_cmp_eq_u32_e64 s[20:21], 0, v4
	s_and_b64 s[18:19], s[0:1], s[18:19]
	v_and_b32_e32 v10, v6, v41
	v_bfe_u32 v6, v6, s84, 2
	v_cmp_eq_u32_e64 s[14:15], v9, v38
	v_cmp_eq_u32_e64 s[22:23], 0, v5
	;; [unrolled: 1-line block ×5, first 2 shown]
	v_cndmask_b32_e64 v2, 0, 1, s[18:19]
	s_and_b64 s[18:19], s[2:3], s[20:21]
	v_cmp_eq_u32_e64 s[16:17], v10, v38
	v_cmp_eq_u32_e64 s[24:25], 0, v6
	;; [unrolled: 1-line block ×5, first 2 shown]
	v_cndmask_b32_e64 v4, 0, 1, s[18:19]
	s_and_b64 s[18:19], s[14:15], s[22:23]
	v_cmp_eq_u32_e64 s[36:37], 1, v5
	v_cmp_eq_u32_e64 s[44:45], 2, v5
	;; [unrolled: 1-line block ×3, first 2 shown]
	v_cndmask_b32_e64 v5, 0, 1, s[18:19]
	s_and_b64 s[18:19], s[16:17], s[24:25]
	v_cmp_eq_u32_e64 s[38:39], 1, v6
	v_cmp_eq_u32_e64 s[46:47], 2, v6
	;; [unrolled: 1-line block ×3, first 2 shown]
	v_cndmask_b32_e64 v6, 0, 1, s[18:19]
	v_cmp_ne_u32_e64 s[18:19], 0, v2
	v_cmp_ne_u32_e64 s[20:21], 0, v4
	v_cmp_ne_u32_e64 s[22:23], 0, v5
	v_cmp_ne_u32_e64 s[24:25], 0, v6
	s_bcnt1_i32_b64 s18, s[18:19]
	s_bcnt1_i32_b64 s19, s[20:21]
	s_bcnt1_i32_b64 s20, s[22:23]
	s_bcnt1_i32_b64 s21, s[24:25]
	s_add_u32 s18, s18, s80
	s_addc_u32 s22, 0, s81
	s_add_u32 s18, s18, s19
	s_addc_u32 s19, s22, 0
	s_add_u32 s18, s18, s20
	s_addc_u32 s19, s19, 0
	s_add_u32 s80, s18, s21
	s_addc_u32 s81, s19, 0
	s_and_b64 s[18:19], s[0:1], s[26:27]
	v_cndmask_b32_e64 v2, 0, 1, s[18:19]
	s_and_b64 s[18:19], s[2:3], s[28:29]
	v_cndmask_b32_e64 v6, 0, 1, s[18:19]
	s_and_b64 s[18:19], s[14:15], s[36:37]
	v_cndmask_b32_e64 v7, 0, 1, s[18:19]
	s_and_b64 s[18:19], s[16:17], s[38:39]
	v_cndmask_b32_e64 v8, 0, 1, s[18:19]
	v_cmp_ne_u32_e64 s[18:19], 0, v2
	v_cmp_ne_u32_e64 s[20:21], 0, v6
	v_cmp_ne_u32_e64 s[22:23], 0, v7
	v_cmp_ne_u32_e64 s[24:25], 0, v8
	s_bcnt1_i32_b64 s18, s[18:19]
	s_bcnt1_i32_b64 s19, s[20:21]
	s_bcnt1_i32_b64 s20, s[22:23]
	s_bcnt1_i32_b64 s21, s[24:25]
	s_add_u32 s18, s18, s30
	s_addc_u32 s22, 0, s31
	s_add_u32 s18, s18, s19
	s_addc_u32 s19, s22, 0
	s_add_u32 s18, s18, s20
	s_addc_u32 s19, s19, 0
	s_add_u32 s30, s18, s21
	s_addc_u32 s31, s19, 0
	s_and_b64 s[18:19], s[0:1], s[40:41]
	v_cndmask_b32_e64 v2, 0, 1, s[18:19]
	s_and_b64 s[18:19], s[2:3], s[42:43]
	v_cndmask_b32_e64 v8, 0, 1, s[18:19]
	s_and_b64 s[18:19], s[14:15], s[44:45]
	v_cndmask_b32_e64 v9, 0, 1, s[18:19]
	s_and_b64 s[18:19], s[16:17], s[46:47]
	;; [unrolled: 24-line block ×3, first 2 shown]
	v_cndmask_b32_e64 v43, 0, 1, s[0:1]
	v_cmp_ne_u32_e64 s[0:1], 0, v2
	v_cmp_ne_u32_e64 s[2:3], 0, v10
	;; [unrolled: 1-line block ×4, first 2 shown]
	s_bcnt1_i32_b64 s0, s[0:1]
	s_bcnt1_i32_b64 s1, s[2:3]
	;; [unrolled: 1-line block ×4, first 2 shown]
	s_add_u32 s0, s0, s60
	s_addc_u32 s14, 0, s61
	s_add_u32 s0, s0, s1
	s_addc_u32 s1, s14, 0
	;; [unrolled: 2-line block ×5, first 2 shown]
	v_mov_b64_e32 v[4:5], s[80:81]
	v_mov_b64_e32 v[6:7], s[30:31]
	;; [unrolled: 1-line block ×3, first 2 shown]
	s_or_b64 s[86:87], vcc, s[86:87]
	v_mov_b64_e32 v[10:11], s[60:61]
	s_andn2_b64 exec, exec, s[86:87]
	s_cbranch_execnz .LBB84_56
; %bb.57:                               ;   in Loop: Header=BB84_9 Depth=1
	s_or_b64 exec, exec, s[86:87]
	v_readlane_b32 s60, v63, 32
	v_readlane_b32 s72, v63, 34
	;; [unrolled: 1-line block ×7, first 2 shown]
	s_mov_b32 s52, 0xc0c0004
.LBB84_58:                              ;   in Loop: Header=BB84_9 Depth=1
	s_or_b64 exec, exec, s[34:35]
	v_lshl_add_u64 v[32:33], s[10:11], 0, v[0:1]
	v_cmp_gt_u64_e32 vcc, s[56:57], v[32:33]
	s_and_saveexec_b64 s[2:3], vcc
	s_cbranch_execz .LBB84_64
; %bb.59:                               ;   in Loop: Header=BB84_9 Depth=1
	v_mov_b64_e32 v[44:45], s[88:89]
	v_mad_u64_u32 v[44:45], s[0:1], v32, s68, v[44:45]
	v_mul_lo_u32 v2, v32, s69
	v_mul_lo_u32 v43, v33, s68
	v_add3_u32 v45, v43, v45, v2
	global_load_ubyte v43, v[44:45], off
	s_mov_b64 s[8:9], 0
	s_branch .LBB84_61
.LBB84_60:                              ;   in Loop: Header=BB84_61 Depth=2
	s_or_b64 exec, exec, s[10:11]
	s_waitcnt vmcnt(0)
	v_add_u32_sdwa v43, sext(v43), s85 dst_sel:DWORD dst_unused:UNUSED_PAD src0_sel:BYTE_0 src1_sel:DWORD
	s_and_b64 s[0:1], exec, vcc
	v_and_b32_e32 v44, v43, v41
	v_bfe_u32 v43, v43, s84, 2
	s_or_b64 s[8:9], s[0:1], s[8:9]
	v_cmp_eq_u32_e32 vcc, v44, v38
	v_cmp_eq_u32_e64 s[0:1], 0, v43
	s_and_b64 s[0:1], vcc, s[0:1]
	s_nop 0
	v_cndmask_b32_e64 v44, 0, 1, s[0:1]
	v_cmp_ne_u32_e64 s[0:1], 0, v44
	s_bcnt1_i32_b64 s74, s[0:1]
	v_cmp_eq_u32_e64 s[0:1], 1, v43
	s_and_b64 s[0:1], vcc, s[0:1]
	v_lshl_add_u64 v[4:5], s[74:75], 0, v[4:5]
	v_cndmask_b32_e64 v44, 0, 1, s[0:1]
	v_cmp_ne_u32_e64 s[0:1], 0, v44
	s_bcnt1_i32_b64 s74, s[0:1]
	v_cmp_eq_u32_e64 s[0:1], 2, v43
	s_and_b64 s[0:1], vcc, s[0:1]
	v_lshl_add_u64 v[6:7], s[74:75], 0, v[6:7]
	;; [unrolled: 6-line block ×3, first 2 shown]
	v_cndmask_b32_e64 v43, 0, 1, s[0:1]
	v_cmp_ne_u32_e32 vcc, 0, v43
	s_bcnt1_i32_b64 s74, vcc
	v_lshl_add_u64 v[10:11], s[74:75], 0, v[10:11]
	v_mov_b32_e32 v43, v2
	s_andn2_b64 exec, exec, s[8:9]
	s_cbranch_execz .LBB84_63
.LBB84_61:                              ;   Parent Loop BB84_9 Depth=1
                                        ; =>  This Inner Loop Header: Depth=2
	v_lshl_add_u64 v[32:33], v[32:33], 0, s[12:13]
	v_cmp_gt_u64_e64 s[0:1], s[56:57], v[32:33]
	v_cmp_le_u64_e32 vcc, s[56:57], v[32:33]
	v_mov_b32_e32 v2, 0
	s_and_saveexec_b64 s[10:11], s[0:1]
	s_cbranch_execz .LBB84_60
; %bb.62:                               ;   in Loop: Header=BB84_61 Depth=2
	v_mov_b64_e32 v[44:45], s[88:89]
	v_mad_u64_u32 v[44:45], s[0:1], v32, s68, v[44:45]
	v_mul_lo_u32 v2, v32, s69
	v_mul_lo_u32 v48, v33, s68
	v_add3_u32 v45, v48, v45, v2
	global_load_ubyte v2, v[44:45], off
	s_branch .LBB84_60
.LBB84_63:                              ;   in Loop: Header=BB84_9 Depth=1
	s_or_b64 exec, exec, s[8:9]
.LBB84_64:                              ;   in Loop: Header=BB84_9 Depth=1
	s_or_b64 exec, exec, s[2:3]
	s_branch .LBB84_43
.LBB84_65:                              ;   in Loop: Header=BB84_9 Depth=1
	global_load_ushort v2, v3, s[72:73]
	v_mov_b64_e32 v[8:9], 0
	s_waitcnt vmcnt(0)
	v_readfirstlane_b32 s0, v2
	s_and_b32 s67, 0xffff, s0
	s_lshl_b32 s74, s67, 2
	v_cvt_f32_u32_e32 v4, s74
	s_sub_i32 s0, 0, s74
	v_rcp_iflag_f32_e32 v6, v4
	v_mov_b64_e32 v[4:5], 0
	v_mul_f32_e32 v6, 0x4f7ffffe, v6
	v_cvt_u32_f32_e32 v10, v6
	v_mov_b64_e32 v[6:7], 0
	v_readfirstlane_b32 s1, v10
	s_mul_i32 s0, s0, s1
	s_mul_hi_u32 s0, s1, s0
	s_add_i32 s1, s1, s0
	s_mul_hi_u32 s0, s66, s1
	s_mul_i32 s1, s0, s74
	s_sub_i32 s1, s66, s1
	s_add_i32 s2, s0, 1
	s_sub_i32 s3, s1, s74
	s_cmp_ge_u32 s1, s74
	s_cselect_b32 s0, s2, s0
	s_cselect_b32 s1, s3, s1
	s_add_i32 s2, s0, 1
	s_cmp_ge_u32 s1, s74
	s_cselect_b32 s0, s2, s0
	s_mul_hi_u32 s9, s67, s0
	s_mul_i32 s8, s67, s0
	s_lshl_b64 s[10:11], s[8:9], 2
	v_cmp_gt_u64_e32 vcc, s[10:11], v[14:15]
	v_mov_b64_e32 v[10:11], 0
	s_and_saveexec_b64 s[12:13], vcc
	s_cbranch_execz .LBB84_69
; %bb.66:                               ;   in Loop: Header=BB84_9 Depth=1
	s_mov_b64 s[30:31], 0
	v_mov_b32_e32 v43, v14
	s_mov_b64 s[34:35], 0
	s_mov_b64 s[60:61], 0
	;; [unrolled: 1-line block ×4, first 2 shown]
	v_mov_b64_e32 v[32:33], v[14:15]
.LBB84_67:                              ;   Parent Loop BB84_9 Depth=1
                                        ; =>  This Inner Loop Header: Depth=2
	ds_read_b32 v4, v43
	v_lshl_add_u64 v[32:33], v[32:33], 0, s[74:75]
	v_cmp_le_u64_e32 vcc, s[10:11], v[32:33]
	v_add_u32_e32 v43, s74, v43
	s_waitcnt lgkmcnt(0)
	v_add_u32_sdwa v5, sext(v4), s85 dst_sel:DWORD dst_unused:UNUSED_PAD src0_sel:BYTE_0 src1_sel:DWORD
	v_add_u32_sdwa v6, sext(v4), s85 dst_sel:DWORD dst_unused:UNUSED_PAD src0_sel:BYTE_1 src1_sel:DWORD
	v_and_b32_e32 v8, v5, v41
	v_bfe_u32 v5, v5, s84, 2
	v_add_u32_sdwa v7, sext(v4), s85 dst_sel:DWORD dst_unused:UNUSED_PAD src0_sel:BYTE_2 src1_sel:DWORD
	v_add_u32_sdwa v4, sext(v4), s85 dst_sel:DWORD dst_unused:UNUSED_PAD src0_sel:BYTE_3 src1_sel:DWORD
	v_and_b32_e32 v9, v6, v41
	v_bfe_u32 v6, v6, s84, 2
	v_cmp_eq_u32_e64 s[20:21], v8, v38
	v_cmp_eq_u32_e64 s[0:1], 0, v5
	v_and_b32_e32 v10, v7, v41
	v_and_b32_e32 v11, v4, v41
	v_bfe_u32 v7, v7, s84, 2
	v_bfe_u32 v4, v4, s84, 2
	v_cmp_eq_u32_e64 s[18:19], v9, v38
	v_cmp_eq_u32_e64 s[2:3], 0, v6
	s_and_b64 s[0:1], s[20:21], s[0:1]
	v_cmp_eq_u32_e64 s[16:17], v10, v38
	v_cmp_eq_u32_e64 s[36:37], 0, v7
	;; [unrolled: 1-line block ×6, first 2 shown]
	v_cndmask_b32_e64 v4, 0, 1, s[0:1]
	s_and_b64 s[0:1], s[18:19], s[2:3]
	v_cmp_eq_u32_e64 s[14:15], v11, v38
	v_cmp_eq_u32_e64 s[40:41], 1, v5
	;; [unrolled: 1-line block ×4, first 2 shown]
	v_cndmask_b32_e64 v5, 0, 1, s[0:1]
	s_and_b64 s[0:1], s[16:17], s[36:37]
	v_cmp_eq_u32_e64 s[42:43], 1, v6
	v_cmp_eq_u32_e64 s[50:51], 2, v6
	;; [unrolled: 1-line block ×3, first 2 shown]
	v_cndmask_b32_e64 v6, 0, 1, s[0:1]
	s_and_b64 s[0:1], s[14:15], s[38:39]
	v_cmp_eq_u32_e64 s[44:45], 1, v7
	v_cmp_eq_u32_e64 s[52:53], 2, v7
	;; [unrolled: 1-line block ×3, first 2 shown]
	v_cndmask_b32_e64 v7, 0, 1, s[0:1]
	v_cmp_ne_u32_e64 s[0:1], 0, v4
	v_cmp_ne_u32_e64 s[2:3], 0, v5
	v_cmp_ne_u32_e64 s[36:37], 0, v6
	v_cmp_ne_u32_e64 s[38:39], 0, v7
	s_bcnt1_i32_b64 s0, s[0:1]
	s_bcnt1_i32_b64 s1, s[2:3]
	s_bcnt1_i32_b64 s2, s[36:37]
	s_bcnt1_i32_b64 s3, s[38:39]
	s_add_u32 s0, s0, s80
	s_addc_u32 s9, 0, s81
	s_add_u32 s0, s0, s1
	s_addc_u32 s1, s9, 0
	s_add_u32 s0, s0, s2
	s_addc_u32 s1, s1, 0
	s_add_u32 s80, s0, s3
	s_addc_u32 s81, s1, 0
	s_and_b64 s[0:1], s[20:21], s[40:41]
	v_cndmask_b32_e64 v6, 0, 1, s[0:1]
	s_and_b64 s[0:1], s[18:19], s[42:43]
	v_cndmask_b32_e64 v7, 0, 1, s[0:1]
	s_and_b64 s[0:1], s[16:17], s[44:45]
	v_cndmask_b32_e64 v8, 0, 1, s[0:1]
	s_and_b64 s[0:1], s[14:15], s[46:47]
	v_cndmask_b32_e64 v9, 0, 1, s[0:1]
	v_cmp_ne_u32_e64 s[0:1], 0, v6
	v_cmp_ne_u32_e64 s[2:3], 0, v7
	v_cmp_ne_u32_e64 s[36:37], 0, v8
	v_cmp_ne_u32_e64 s[38:39], 0, v9
	s_bcnt1_i32_b64 s0, s[0:1]
	s_bcnt1_i32_b64 s1, s[2:3]
	s_bcnt1_i32_b64 s2, s[36:37]
	s_bcnt1_i32_b64 s3, s[38:39]
	s_add_u32 s0, s0, s72
	s_addc_u32 s9, 0, s73
	s_add_u32 s0, s0, s1
	s_addc_u32 s1, s9, 0
	s_add_u32 s0, s0, s2
	s_addc_u32 s1, s1, 0
	s_add_u32 s72, s0, s3
	s_addc_u32 s73, s1, 0
	s_and_b64 s[0:1], s[20:21], s[48:49]
	v_cndmask_b32_e64 v8, 0, 1, s[0:1]
	s_and_b64 s[0:1], s[18:19], s[50:51]
	v_cndmask_b32_e64 v9, 0, 1, s[0:1]
	s_and_b64 s[0:1], s[16:17], s[52:53]
	v_cndmask_b32_e64 v10, 0, 1, s[0:1]
	s_and_b64 s[0:1], s[14:15], s[54:55]
	;; [unrolled: 24-line block ×3, first 2 shown]
	v_cndmask_b32_e64 v45, 0, 1, s[0:1]
	v_cmp_ne_u32_e64 s[0:1], 0, v10
	v_cmp_ne_u32_e64 s[2:3], 0, v11
	;; [unrolled: 1-line block ×4, first 2 shown]
	s_bcnt1_i32_b64 s0, s[0:1]
	s_bcnt1_i32_b64 s1, s[2:3]
	;; [unrolled: 1-line block ×4, first 2 shown]
	s_add_u32 s0, s0, s34
	s_addc_u32 s9, 0, s35
	s_add_u32 s0, s0, s1
	s_addc_u32 s1, s9, 0
	;; [unrolled: 2-line block ×4, first 2 shown]
	v_mov_b64_e32 v[4:5], s[80:81]
	v_mov_b64_e32 v[6:7], s[72:73]
	;; [unrolled: 1-line block ×3, first 2 shown]
	s_or_b64 s[30:31], vcc, s[30:31]
	v_mov_b64_e32 v[10:11], s[34:35]
	s_andn2_b64 exec, exec, s[30:31]
	s_cbranch_execnz .LBB84_67
; %bb.68:                               ;   in Loop: Header=BB84_9 Depth=1
	s_or_b64 exec, exec, s[30:31]
	v_readlane_b32 s60, v63, 32
	v_readlane_b32 s72, v63, 34
	;; [unrolled: 1-line block ×7, first 2 shown]
	s_mov_b32 s52, 0xc0c0004
.LBB84_69:                              ;   in Loop: Header=BB84_9 Depth=1
	s_or_b64 exec, exec, s[12:13]
	s_and_b32 s12, s66, 0x7fffffff
	s_mov_b32 s13, s75
	v_lshl_add_u64 v[32:33], s[10:11], 0, v[0:1]
	v_and_b32_e32 v2, 0xffff, v2
	v_cmp_gt_u64_e32 vcc, s[12:13], v[32:33]
	s_and_saveexec_b64 s[10:11], vcc
	s_cbranch_execz .LBB84_73
; %bb.70:                               ;   in Loop: Header=BB84_9 Depth=1
	v_lshl_add_u32 v43, s8, 2, v0
	s_mov_b64 s[8:9], 0
.LBB84_71:                              ;   Parent Loop BB84_9 Depth=1
                                        ; =>  This Inner Loop Header: Depth=2
	ds_read_i8 v44, v43
	v_lshl_add_u64 v[32:33], v[32:33], 0, v[2:3]
	v_cmp_le_u64_e32 vcc, s[12:13], v[32:33]
	v_add_u32_e32 v43, s67, v43
	s_waitcnt lgkmcnt(0)
	v_add_u32_e32 v44, 0x80, v44
	v_and_b32_e32 v45, v44, v41
	v_bfe_u32 v44, v44, s84, 2
	v_cmp_eq_u32_e64 s[0:1], v45, v38
	v_cmp_eq_u32_e64 s[2:3], 0, v44
	v_cmp_eq_u32_e64 s[14:15], 1, v44
	s_and_b64 s[2:3], s[0:1], s[2:3]
	v_cmp_eq_u32_e64 s[16:17], 2, v44
	v_cmp_eq_u32_e64 s[18:19], 3, v44
	v_cndmask_b32_e64 v44, 0, 1, s[2:3]
	s_and_b64 s[2:3], s[0:1], s[14:15]
	v_cndmask_b32_e64 v45, 0, 1, s[2:3]
	s_and_b64 s[2:3], s[0:1], s[16:17]
	s_and_b64 s[0:1], s[0:1], s[18:19]
	v_cndmask_b32_e64 v49, 0, 1, s[0:1]
	v_cmp_ne_u32_e64 s[0:1], 0, v44
	v_cndmask_b32_e64 v48, 0, 1, s[2:3]
	v_cmp_ne_u32_e64 s[2:3], 0, v45
	s_bcnt1_i32_b64 s74, s[0:1]
	v_cmp_ne_u32_e64 s[14:15], 0, v48
	v_lshl_add_u64 v[4:5], s[74:75], 0, v[4:5]
	s_bcnt1_i32_b64 s74, s[2:3]
	v_cmp_ne_u32_e64 s[16:17], 0, v49
	v_lshl_add_u64 v[6:7], s[74:75], 0, v[6:7]
	s_bcnt1_i32_b64 s74, s[14:15]
	v_lshl_add_u64 v[8:9], s[74:75], 0, v[8:9]
	s_bcnt1_i32_b64 s74, s[16:17]
	s_or_b64 s[8:9], vcc, s[8:9]
	v_lshl_add_u64 v[10:11], s[74:75], 0, v[10:11]
	s_andn2_b64 exec, exec, s[8:9]
	s_cbranch_execnz .LBB84_71
; %bb.72:                               ;   in Loop: Header=BB84_9 Depth=1
	s_or_b64 exec, exec, s[8:9]
.LBB84_73:                              ;   in Loop: Header=BB84_9 Depth=1
	s_or_b64 exec, exec, s[10:11]
	s_lshl_b32 s2, s33, 6
	s_and_saveexec_b64 s[0:1], s[4:5]
	s_cbranch_execnz .LBB84_44
	s_branch .LBB84_45
.LBB84_74:                              ;   in Loop: Header=BB84_9 Depth=1
                                        ; implicit-def: $sgpr0_sgpr1
	s_branch .LBB84_53
.LBB84_75:                              ;   in Loop: Header=BB84_9 Depth=1
	s_mov_b32 s3, 0
	v_mov_b64_e32 v[4:5], 0
.LBB84_76:                              ;   in Loop: Header=BB84_9 Depth=1
	v_readlane_b32 s8, v63, 30
	v_readlane_b32 s9, v63, 31
	s_andn2_b64 vcc, exec, s[8:9]
	s_cbranch_vccnz .LBB84_79
; %bb.77:                               ;   in Loop: Header=BB84_9 Depth=1
	s_lshl_b32 s8, s33, 9
	s_lshl_b32 s3, s3, 5
	s_add_i32 s8, s8, s3
	v_add_u32_e32 v2, s8, v37
	v_readlane_b32 s3, v63, 29
.LBB84_78:                              ;   Parent Loop BB84_9 Depth=1
                                        ; =>  This Inner Loop Header: Depth=2
	ds_read_b64 v[6:7], v2
	s_add_i32 s3, s3, -1
	v_add_u32_e32 v2, 32, v2
	s_cmp_lg_u32 s3, 0
	s_waitcnt lgkmcnt(0)
	v_lshl_add_u64 v[4:5], v[6:7], 0, v[4:5]
	s_cbranch_scc1 .LBB84_78
.LBB84_79:                              ;   in Loop: Header=BB84_9 Depth=1
	v_add_lshl_u32 v2, s2, v34, 3
	ds_write_b64 v2, v[4:5] offset:3072
.LBB84_80:                              ;   in Loop: Header=BB84_9 Depth=1
	s_or_b64 exec, exec, s[0:1]
	s_lshl_b32 s0, s2, 3
	v_mov_b32_e32 v2, s0
	s_waitcnt lgkmcnt(0)
	s_barrier
	ds_read_b128 v[8:11], v2 offset:3088
	ds_read_b128 v[4:7], v2 offset:3072
	s_lshl_b32 s54, 3, s84
	v_cmp_eq_u64_e64 s[0:1], 1, v[30:31]
	s_not_b32 s48, s54
	s_waitcnt lgkmcnt(1)
	v_readfirstlane_b32 s20, v8
	s_waitcnt lgkmcnt(0)
	v_cmp_eq_u64_e32 vcc, 1, v[4:5]
	v_readfirstlane_b32 s21, v9
	v_readfirstlane_b32 s2, v10
	;; [unrolled: 1-line block ×3, first 2 shown]
	s_and_b64 s[12:13], vcc, s[0:1]
	s_mov_b64 s[0:1], -1
	s_mov_b64 s[16:17], -1
                                        ; implicit-def: $sgpr10_sgpr11
                                        ; implicit-def: $sgpr8_sgpr9
	s_and_saveexec_b64 s[14:15], s[12:13]
	s_cbranch_execz .LBB84_112
; %bb.81:                               ;   in Loop: Header=BB84_9 Depth=1
	ds_read_b64 v[8:9], v3 offset:5120
	s_waitcnt lgkmcnt(0)
	s_barrier
	v_readfirstlane_b32 s18, v8
	v_readfirstlane_b32 s19, v9
	s_mov_b64 s[8:9], exec
	v_readlane_b32 s10, v63, 14
	v_readlane_b32 s11, v63, 15
	s_and_b64 s[10:11], s[8:9], s[10:11]
	s_mov_b64 exec, s[10:11]
; %bb.82:                               ;   in Loop: Header=BB84_9 Depth=1
	ds_write_b8 v0, v3 offset:3072
; %bb.83:                               ;   in Loop: Header=BB84_9 Depth=1
	s_or_b64 exec, exec, s[8:9]
	v_and_b32_e32 v38, s48, v38
	v_or_b32_e32 v41, s54, v41
	s_mov_b64 s[8:9], -1
	s_mov_b64 s[10:11], 0
	s_cmp_eq_u64 s[18:19], 0
	s_mov_b64 s[16:17], 0
	s_mov_b64 s[22:23], -1
	s_waitcnt lgkmcnt(0)
	s_barrier
                                        ; implicit-def: $vgpr42
	s_cbranch_scc1 .LBB84_97
; %bb.84:                               ;   in Loop: Header=BB84_9 Depth=1
	v_readlane_b32 s16, v63, 20
	s_add_u32 s26, s18, s16
	v_readlane_b32 s16, v63, 22
	s_addc_u32 s17, s19, s16
	s_mov_b32 s16, s75
	s_cmp_lg_u64 s[16:17], 0
	s_cbranch_scc0 .LBB84_138
; %bb.85:                               ;   in Loop: Header=BB84_9 Depth=1
	v_cvt_f32_u32_e32 v2, s70
	s_sub_u32 s16, 0, s70
	s_subb_u32 s24, 0, 0
	v_fmac_f32_e32 v2, 0, v39
	v_rcp_f32_e32 v2, v2
	s_nop 0
	v_mul_f32_e32 v2, 0x5f7ffffc, v2
	v_mul_f32_e32 v8, 0x2f800000, v2
	v_trunc_f32_e32 v8, v8
	v_fmac_f32_e32 v2, 0xcf800000, v8
	v_cvt_u32_f32_e32 v8, v8
	v_cvt_u32_f32_e32 v2, v2
	v_readfirstlane_b32 s25, v8
	v_readfirstlane_b32 s22, v2
	s_mul_i32 s23, s16, s25
	s_mul_hi_u32 s28, s16, s22
	s_mul_i32 s27, s24, s22
	s_add_i32 s23, s28, s23
	s_mul_i32 s29, s16, s22
	s_add_i32 s23, s23, s27
	s_mul_hi_u32 s28, s22, s29
	s_mul_i32 s30, s22, s23
	s_mul_hi_u32 s27, s22, s23
	s_add_u32 s28, s28, s30
	s_addc_u32 s27, 0, s27
	s_mul_hi_u32 s31, s25, s29
	s_mul_i32 s29, s25, s29
	s_add_u32 s28, s28, s29
	s_mul_hi_u32 s30, s25, s23
	s_addc_u32 s27, s27, s31
	s_addc_u32 s28, s30, 0
	s_mul_i32 s23, s25, s23
	s_add_u32 s23, s27, s23
	s_addc_u32 s27, 0, s28
	s_add_u32 s28, s22, s23
	s_cselect_b64 s[22:23], -1, 0
	s_cmp_lg_u64 s[22:23], 0
	s_addc_u32 s25, s25, s27
	s_mul_i32 s22, s16, s25
	s_mul_hi_u32 s23, s16, s28
	s_add_i32 s22, s23, s22
	s_mul_i32 s24, s24, s28
	s_add_i32 s22, s22, s24
	s_mul_i32 s16, s16, s28
	s_mul_hi_u32 s24, s25, s16
	s_mul_i32 s27, s25, s16
	s_mul_i32 s30, s28, s22
	s_mul_hi_u32 s16, s28, s16
	s_mul_hi_u32 s29, s28, s22
	s_add_u32 s16, s16, s30
	s_addc_u32 s29, 0, s29
	s_add_u32 s16, s16, s27
	s_mul_hi_u32 s23, s25, s22
	s_addc_u32 s16, s29, s24
	s_addc_u32 s23, s23, 0
	s_mul_i32 s22, s25, s22
	s_add_u32 s16, s16, s22
	s_addc_u32 s24, 0, s23
	s_add_u32 s16, s28, s16
	s_cselect_b64 s[22:23], -1, 0
	s_cmp_lg_u64 s[22:23], 0
	s_addc_u32 s22, s25, s24
	s_mul_i32 s24, s26, s22
	s_mul_hi_u32 s25, s26, s16
	s_mul_hi_u32 s23, s26, s22
	s_add_u32 s24, s25, s24
	s_addc_u32 s23, 0, s23
	s_mul_hi_u32 s27, s17, s16
	s_mul_i32 s16, s17, s16
	s_add_u32 s16, s24, s16
	s_mul_hi_u32 s25, s17, s22
	s_addc_u32 s16, s23, s27
	s_addc_u32 s23, s25, 0
	s_mul_i32 s22, s17, s22
	s_add_u32 s16, s16, s22
	s_addc_u32 s22, 0, s23
	s_mul_i32 s22, s70, s22
	s_mul_hi_u32 s23, s70, s16
	s_add_i32 s24, s23, s22
	s_mul_i32 s16, s70, s16
	s_sub_u32 s16, s26, s16
	s_cselect_b64 s[22:23], -1, 0
	s_cmp_lg_u64 s[22:23], 0
	s_subb_u32 s24, s17, s24
	s_sub_u32 s25, s16, s70
	s_cselect_b64 s[22:23], -1, 0
	s_cmp_lg_u64 s[22:23], 0
	s_subb_u32 s27, s24, 0
	;; [unrolled: 4-line block ×3, first 2 shown]
	s_cmp_ge_u32 s25, s70
	s_cselect_b32 s23, -1, 0
	s_cmp_eq_u32 s27, 0
	s_cselect_b32 s23, s23, -1
	s_cmp_lg_u32 s23, 0
	s_cselect_b32 s22, s22, s27
	s_cselect_b32 s25, s28, s25
	s_cmp_ge_u32 s16, s70
	s_cselect_b32 s23, -1, 0
	s_cmp_eq_u32 s24, 0
	s_cselect_b32 s23, s23, -1
	s_cmp_lg_u32 s23, 0
	s_cselect_b32 s23, s22, s24
	s_cselect_b32 s22, s25, s16
	s_cbranch_execnz .LBB84_87
.LBB84_86:                              ;   in Loop: Header=BB84_9 Depth=1
	v_cvt_f32_u32_e32 v2, s70
	s_sub_i32 s16, 0, s70
	v_rcp_iflag_f32_e32 v2, v2
	s_nop 0
	v_mul_f32_e32 v2, 0x4f7ffffe, v2
	v_cvt_u32_f32_e32 v2, v2
	s_nop 0
	v_readfirstlane_b32 s22, v2
	s_mul_i32 s16, s16, s22
	s_mul_hi_u32 s16, s22, s16
	s_add_i32 s22, s22, s16
	s_mul_hi_u32 s16, s26, s22
	s_mul_i32 s16, s16, s70
	s_sub_i32 s16, s26, s16
	s_sub_i32 s22, s16, s70
	s_cmp_ge_u32 s16, s70
	s_cselect_b32 s16, s22, s16
	s_sub_i32 s22, s16, s70
	s_cmp_ge_u32 s16, s70
	s_cselect_b32 s74, s22, s16
	s_mov_b64 s[22:23], s[74:75]
.LBB84_87:                              ;   in Loop: Header=BB84_9 Depth=1
	s_sub_u32 s26, s26, s22
	s_subb_u32 s27, s17, s23
	v_cmp_gt_u64_e32 vcc, s[26:27], v[0:1]
	s_mov_b64 s[22:23], 0
	s_mov_b64 s[16:17], 0
                                        ; implicit-def: $vgpr42
	s_and_saveexec_b64 s[24:25], vcc
	s_cbranch_execz .LBB84_96
; %bb.88:                               ;   in Loop: Header=BB84_9 Depth=1
	v_mov_b32_e32 v2, v0
	v_mov_b64_e32 v[8:9], v[0:1]
                                        ; implicit-def: $sgpr28_sgpr29
	s_branch .LBB84_91
.LBB84_89:                              ;   in Loop: Header=BB84_91 Depth=2
	s_or_b64 exec, exec, s[30:31]
	s_waitcnt lgkmcnt(0)
	s_barrier
	ds_read_u16 v10, v3 offset:3072
	s_mov_b64 s[30:31], -1
	s_waitcnt lgkmcnt(0)
	s_barrier
	v_cmp_ne_u32_sdwa s[34:35], v10, v3 src0_sel:BYTE_0 src1_sel:DWORD
	s_and_b64 vcc, exec, s[34:35]
	s_mov_b64 s[34:35], -1
	s_cbranch_vccz .LBB84_94
.LBB84_90:                              ;   in Loop: Header=BB84_91 Depth=2
	s_and_b64 s[30:31], exec, s[30:31]
	s_or_b64 s[16:17], s[30:31], s[16:17]
	s_andn2_b64 s[28:29], s[28:29], exec
	s_and_b64 s[30:31], s[34:35], exec
	s_or_b64 s[28:29], s[28:29], s[30:31]
	s_andn2_b64 exec, exec, s[16:17]
	s_cbranch_execz .LBB84_95
.LBB84_91:                              ;   Parent Loop BB84_9 Depth=1
                                        ; =>  This Inner Loop Header: Depth=2
	v_cmp_gt_u64_e32 vcc, s[18:19], v[8:9]
	s_and_saveexec_b64 s[30:31], vcc
	s_cbranch_execz .LBB84_89
; %bb.92:                               ;   in Loop: Header=BB84_91 Depth=2
	ds_read_u8 v10, v2
	s_waitcnt lgkmcnt(0)
	v_add_u32_sdwa v11, sext(v10), s85 dst_sel:DWORD dst_unused:UNUSED_PAD src0_sel:BYTE_0 src1_sel:DWORD
	v_and_b32_e32 v11, v11, v41
	v_cmp_eq_u32_e32 vcc, v11, v38
	s_and_b64 exec, exec, vcc
	s_cbranch_execz .LBB84_89
; %bb.93:                               ;   in Loop: Header=BB84_91 Depth=2
	v_lshlrev_b16_e32 v10, 8, v10
	v_or_b32_e32 v10, 1, v10
	ds_write_b16 v3, v10 offset:3072
	s_branch .LBB84_89
.LBB84_94:                              ;   in Loop: Header=BB84_91 Depth=2
	v_lshl_add_u64 v[8:9], v[8:9], 0, s[70:71]
	v_cmp_le_u64_e32 vcc, s[26:27], v[8:9]
	v_add_u32_e32 v2, s70, v2
	s_mov_b64 s[34:35], 0
	s_orn2_b64 s[30:31], vcc, exec
	s_branch .LBB84_90
.LBB84_95:                              ;   in Loop: Header=BB84_9 Depth=1
	s_or_b64 exec, exec, s[16:17]
	v_lshrrev_b32_sdwa v42, v40, v10 dst_sel:DWORD dst_unused:UNUSED_PAD src0_sel:DWORD src1_sel:WORD_0
	s_and_b64 s[16:17], s[28:29], exec
.LBB84_96:                              ;   in Loop: Header=BB84_9 Depth=1
	s_or_b64 exec, exec, s[24:25]
.LBB84_97:                              ;   in Loop: Header=BB84_9 Depth=1
	s_and_b64 vcc, exec, s[22:23]
	s_cbranch_vccz .LBB84_111
; %bb.98:                               ;   in Loop: Header=BB84_9 Depth=1
	s_mov_b32 s82, s75
	s_cmp_lg_u64 s[82:83], 0
	s_cbranch_scc0 .LBB84_142
; %bb.99:                               ;   in Loop: Header=BB84_9 Depth=1
	v_cvt_f32_u32_e32 v2, s70
	s_sub_u32 s10, 0, s70
	s_subb_u32 s11, 0, 0
	v_fmac_f32_e32 v2, 0, v39
	v_rcp_f32_e32 v2, v2
	s_nop 0
	v_mul_f32_e32 v2, 0x5f7ffffc, v2
	v_mul_f32_e32 v8, 0x2f800000, v2
	v_trunc_f32_e32 v8, v8
	v_fmac_f32_e32 v2, 0xcf800000, v8
	v_cvt_u32_f32_e32 v8, v8
	v_cvt_u32_f32_e32 v2, v2
	v_readfirstlane_b32 s18, v8
	v_readfirstlane_b32 s8, v2
	s_mul_i32 s9, s10, s18
	s_mul_hi_u32 s22, s10, s8
	s_mul_i32 s19, s11, s8
	s_add_i32 s9, s22, s9
	s_mul_i32 s23, s10, s8
	s_add_i32 s9, s9, s19
	s_mul_hi_u32 s22, s8, s23
	s_mul_i32 s24, s8, s9
	s_mul_hi_u32 s19, s8, s9
	s_add_u32 s22, s22, s24
	s_addc_u32 s19, 0, s19
	s_mul_hi_u32 s25, s18, s23
	s_mul_i32 s23, s18, s23
	s_add_u32 s22, s22, s23
	s_mul_hi_u32 s24, s18, s9
	s_addc_u32 s19, s19, s25
	s_addc_u32 s22, s24, 0
	s_mul_i32 s9, s18, s9
	s_add_u32 s9, s19, s9
	s_addc_u32 s19, 0, s22
	s_add_u32 s22, s8, s9
	s_cselect_b64 s[8:9], -1, 0
	s_cmp_lg_u64 s[8:9], 0
	s_addc_u32 s18, s18, s19
	s_mul_i32 s8, s10, s18
	s_mul_hi_u32 s9, s10, s22
	s_add_i32 s8, s9, s8
	s_mul_i32 s11, s11, s22
	s_add_i32 s8, s8, s11
	s_mul_i32 s10, s10, s22
	s_mul_hi_u32 s11, s18, s10
	s_mul_i32 s19, s18, s10
	s_mul_i32 s24, s22, s8
	s_mul_hi_u32 s10, s22, s10
	s_mul_hi_u32 s23, s22, s8
	s_add_u32 s10, s10, s24
	s_addc_u32 s23, 0, s23
	s_add_u32 s10, s10, s19
	s_mul_hi_u32 s9, s18, s8
	s_addc_u32 s10, s23, s11
	s_addc_u32 s9, s9, 0
	s_mul_i32 s8, s18, s8
	s_add_u32 s8, s10, s8
	s_addc_u32 s10, 0, s9
	s_add_u32 s11, s22, s8
	s_cselect_b64 s[8:9], -1, 0
	s_cmp_lg_u64 s[8:9], 0
	s_addc_u32 s8, s18, s10
	v_readlane_b32 s22, v63, 21
	s_mul_i32 s10, s22, s8
	s_mul_hi_u32 s18, s22, s11
	s_mul_hi_u32 s9, s22, s8
	s_add_u32 s10, s18, s10
	s_addc_u32 s9, 0, s9
	s_mul_hi_u32 s19, s83, s11
	s_mul_i32 s11, s83, s11
	s_add_u32 s10, s10, s11
	s_mul_hi_u32 s18, s83, s8
	s_addc_u32 s9, s9, s19
	s_addc_u32 s10, s18, 0
	s_mul_i32 s8, s83, s8
	s_add_u32 s8, s9, s8
	s_addc_u32 s9, 0, s10
	s_mul_i32 s9, s70, s9
	s_mul_hi_u32 s10, s70, s8
	s_add_i32 s10, s10, s9
	s_mul_i32 s8, s70, s8
	s_sub_u32 s11, s22, s8
	s_cselect_b64 s[8:9], -1, 0
	s_cmp_lg_u64 s[8:9], 0
	s_subb_u32 s10, s83, s10
	s_sub_u32 s18, s11, s70
	s_cselect_b64 s[8:9], -1, 0
	s_cmp_lg_u64 s[8:9], 0
	s_subb_u32 s19, s10, 0
	;; [unrolled: 4-line block ×3, first 2 shown]
	s_cmp_ge_u32 s18, s70
	s_cselect_b32 s9, -1, 0
	s_cmp_eq_u32 s19, 0
	s_cselect_b32 s9, s9, -1
	s_cmp_lg_u32 s9, 0
	s_cselect_b32 s8, s8, s19
	s_cselect_b32 s18, s22, s18
	s_cmp_ge_u32 s11, s70
	s_cselect_b32 s9, -1, 0
	s_cmp_eq_u32 s10, 0
	s_cselect_b32 s9, s9, -1
	s_cmp_lg_u32 s9, 0
	s_cselect_b32 s9, s8, s10
	s_cselect_b32 s8, s18, s11
	s_cbranch_execnz .LBB84_101
.LBB84_100:                             ;   in Loop: Header=BB84_9 Depth=1
	v_cvt_f32_u32_e32 v2, s70
	s_sub_i32 s8, 0, s70
	v_readlane_b32 s10, v63, 21
	v_rcp_iflag_f32_e32 v2, v2
	s_nop 0
	v_mul_f32_e32 v2, 0x4f7ffffe, v2
	v_cvt_u32_f32_e32 v2, v2
	s_nop 0
	v_readfirstlane_b32 s9, v2
	s_mul_i32 s8, s8, s9
	s_mul_hi_u32 s8, s9, s8
	s_add_i32 s9, s9, s8
	s_mul_hi_u32 s8, s10, s9
	s_mul_i32 s8, s8, s70
	s_sub_i32 s8, s10, s8
	s_sub_i32 s9, s8, s70
	s_cmp_ge_u32 s8, s70
	s_cselect_b32 s8, s9, s8
	s_sub_i32 s9, s8, s70
	s_cmp_ge_u32 s8, s70
	s_cselect_b32 s74, s9, s8
	s_mov_b64 s[8:9], s[74:75]
.LBB84_101:                             ;   in Loop: Header=BB84_9 Depth=1
	v_readlane_b32 s10, v63, 21
	s_sub_u32 s10, s10, s8
	s_subb_u32 s11, s83, s9
	v_cmp_gt_u64_e32 vcc, s[10:11], v[0:1]
                                        ; implicit-def: $vgpr42
	s_and_saveexec_b64 s[8:9], vcc
	s_cbranch_execz .LBB84_110
; %bb.102:                              ;   in Loop: Header=BB84_9 Depth=1
	s_mov_b64 s[18:19], 0
	v_mov_b64_e32 v[8:9], v[12:13]
	v_mov_b64_e32 v[10:11], v[0:1]
                                        ; implicit-def: $sgpr22_sgpr23
	s_branch .LBB84_105
.LBB84_103:                             ;   in Loop: Header=BB84_105 Depth=2
	s_or_b64 exec, exec, s[24:25]
	s_waitcnt lgkmcnt(0)
	s_barrier
	ds_read_u16 v2, v3 offset:3072
	s_mov_b64 s[24:25], -1
	s_waitcnt lgkmcnt(0)
	s_barrier
	v_cmp_ne_u32_sdwa s[26:27], v2, v3 src0_sel:BYTE_0 src1_sel:DWORD
	s_and_b64 vcc, exec, s[26:27]
	s_mov_b64 s[26:27], -1
	s_cbranch_vccz .LBB84_108
.LBB84_104:                             ;   in Loop: Header=BB84_105 Depth=2
	s_and_b64 s[24:25], exec, s[24:25]
	s_or_b64 s[18:19], s[24:25], s[18:19]
	s_andn2_b64 s[22:23], s[22:23], exec
	s_and_b64 s[24:25], s[26:27], exec
	s_or_b64 s[22:23], s[22:23], s[24:25]
	s_andn2_b64 exec, exec, s[18:19]
	s_cbranch_execz .LBB84_109
.LBB84_105:                             ;   Parent Loop BB84_9 Depth=1
                                        ; =>  This Inner Loop Header: Depth=2
	v_cmp_gt_u64_e32 vcc, s[56:57], v[10:11]
	s_and_saveexec_b64 s[24:25], vcc
	s_cbranch_execz .LBB84_103
; %bb.106:                              ;   in Loop: Header=BB84_105 Depth=2
	global_load_ubyte v2, v[8:9], off
	s_waitcnt vmcnt(0)
	v_add_u32_sdwa v32, sext(v2), s85 dst_sel:DWORD dst_unused:UNUSED_PAD src0_sel:BYTE_0 src1_sel:DWORD
	v_and_b32_e32 v32, v32, v41
	v_cmp_eq_u32_e32 vcc, v32, v38
	s_and_b64 exec, exec, vcc
	s_cbranch_execz .LBB84_103
; %bb.107:                              ;   in Loop: Header=BB84_105 Depth=2
	v_lshlrev_b16_e32 v2, 8, v2
	v_or_b32_e32 v2, 1, v2
	ds_write_b16 v3, v2 offset:3072
	s_branch .LBB84_103
.LBB84_108:                             ;   in Loop: Header=BB84_105 Depth=2
	v_lshl_add_u64 v[10:11], v[10:11], 0, s[70:71]
	v_cmp_le_u64_e32 vcc, s[10:11], v[10:11]
	v_lshl_add_u64 v[8:9], v[8:9], 0, s[78:79]
	s_mov_b64 s[26:27], 0
	s_orn2_b64 s[24:25], vcc, exec
	s_branch .LBB84_104
.LBB84_109:                             ;   in Loop: Header=BB84_9 Depth=1
	s_or_b64 exec, exec, s[18:19]
	s_andn2_b64 s[10:11], s[16:17], exec
	s_and_b64 s[16:17], s[22:23], exec
	v_lshrrev_b32_sdwa v42, v40, v2 dst_sel:DWORD dst_unused:UNUSED_PAD src0_sel:DWORD src1_sel:WORD_0
	s_or_b64 s[16:17], s[10:11], s[16:17]
.LBB84_110:                             ;   in Loop: Header=BB84_9 Depth=1
	s_or_b64 exec, exec, s[8:9]
	s_mov_b64 s[8:9], 0
	s_mov_b64 s[10:11], -1
.LBB84_111:                             ;   in Loop: Header=BB84_9 Depth=1
	s_orn2_b64 s[16:17], s[16:17], exec
.LBB84_112:                             ;   in Loop: Header=BB84_9 Depth=1
	s_or_b64 exec, exec, s[14:15]
	s_andn2_b64 s[14:15], s[64:65], exec
	s_and_b64 s[10:11], s[10:11], exec
	s_or_b64 s[64:65], s[14:15], s[10:11]
	s_andn2_b64 s[10:11], s[62:63], exec
	s_and_b64 s[8:9], s[8:9], exec
	s_andn2_b64 s[58:59], s[58:59], exec
	s_or_b64 s[62:63], s[10:11], s[8:9]
                                        ; implicit-def: $vgpr8_vgpr9
	s_and_saveexec_b64 s[14:15], s[16:17]
	s_cbranch_execz .LBB84_8
; %bb.113:                              ;   in Loop: Header=BB84_9 Depth=1
	s_xor_b64 s[8:9], s[12:13], -1
	v_mov_b32_e32 v2, 1
	s_mov_b64 s[10:11], 0
	v_mov_b64_e32 v[8:9], 1
	s_and_saveexec_b64 s[0:1], s[8:9]
	s_cbranch_execz .LBB84_122
; %bb.114:                              ;   in Loop: Header=BB84_9 Depth=1
	v_cmp_le_u64_e32 vcc, v[30:31], v[4:5]
	s_and_saveexec_b64 s[8:9], vcc
	s_xor_b64 s[8:9], exec, s[8:9]
	s_cbranch_execz .LBB84_119
; %bb.115:                              ;   in Loop: Header=BB84_9 Depth=1
	ds_read_b64 v[8:9], v3 offset:5120
	v_and_b32_e32 v38, s48, v38
	v_or_b32_e32 v41, s54, v41
	s_waitcnt lgkmcnt(0)
	v_cmp_ne_u64_e32 vcc, 0, v[8:9]
	s_cbranch_vccnz .LBB84_119
; %bb.116:                              ;   in Loop: Header=BB84_9 Depth=1
	s_mov_b64 s[10:11], exec
	v_readlane_b32 s12, v63, 0
	v_readlane_b32 s13, v63, 1
	s_and_b64 s[12:13], s[10:11], s[12:13]
	s_mov_b64 exec, s[12:13]
; %bb.117:                              ;   in Loop: Header=BB84_9 Depth=1
	ds_write_b64 v3, v[4:5] offset:5128
; %bb.118:                              ;   in Loop: Header=BB84_9 Depth=1
	s_or_b64 exec, exec, s[10:11]
	s_waitcnt lgkmcnt(0)
	s_barrier
.LBB84_119:                             ;   in Loop: Header=BB84_9 Depth=1
	s_or_saveexec_b64 s[8:9], s[8:9]
	s_mov_b64 s[10:11], 0
	v_mov_b32_e32 v2, 8
	s_xor_b64 exec, exec, s[8:9]
; %bb.120:                              ;   in Loop: Header=BB84_9 Depth=1
	v_sub_co_u32_e32 v30, vcc, v30, v4
	s_mov_b64 s[10:11], exec
	s_nop 0
	v_subb_co_u32_e32 v31, vcc, v31, v5, vcc
	v_mov_b32_e32 v2, 0
; %bb.121:                              ;   in Loop: Header=BB84_9 Depth=1
	s_or_b64 exec, exec, s[8:9]
	s_and_b64 s[10:11], s[10:11], exec
	v_mov_b64_e32 v[8:9], v[30:31]
.LBB84_122:                             ;   in Loop: Header=BB84_9 Depth=1
	s_or_b64 exec, exec, s[0:1]
	s_mov_b64 s[16:17], -1
	s_mov_b64 s[8:9], -1
                                        ; implicit-def: $sgpr0_sgpr1
                                        ; implicit-def: $sgpr22_sgpr23
	s_and_saveexec_b64 s[12:13], s[10:11]
	s_xor_b64 s[18:19], exec, s[12:13]
	s_cbranch_execz .LBB84_267
; %bb.123:                              ;   in Loop: Header=BB84_9 Depth=1
	v_cmp_eq_u64_e32 vcc, 1, v[6:7]
	v_cmp_eq_u64_e64 s[0:1], 1, v[8:9]
	s_and_b64 s[12:13], vcc, s[0:1]
                                        ; implicit-def: $sgpr22_sgpr23
                                        ; implicit-def: $sgpr0_sgpr1
	s_and_saveexec_b64 s[24:25], s[12:13]
	s_cbranch_execz .LBB84_160
; %bb.124:                              ;   in Loop: Header=BB84_9 Depth=1
	ds_read_b64 v[4:5], v3 offset:5120
	s_waitcnt lgkmcnt(0)
	s_barrier
	v_readfirstlane_b32 s10, v4
	v_readfirstlane_b32 s11, v5
	s_mov_b64 s[0:1], exec
	v_readlane_b32 s8, v63, 14
	v_readlane_b32 s9, v63, 15
	s_and_b64 s[8:9], s[0:1], s[8:9]
	s_mov_b64 exec, s[8:9]
; %bb.125:                              ;   in Loop: Header=BB84_9 Depth=1
	ds_write_b8 v0, v3 offset:3072
; %bb.126:                              ;   in Loop: Header=BB84_9 Depth=1
	s_or_b64 exec, exec, s[0:1]
	v_and_b32_e32 v4, s48, v38
	v_lshl_or_b32 v38, 1, s84, v4
	v_or_b32_e32 v41, s54, v41
	s_mov_b64 s[0:1], -1
	s_mov_b64 s[22:23], 0
	s_cmp_eq_u64 s[10:11], 0
	s_mov_b64 s[8:9], 0
	s_mov_b64 s[26:27], -1
	s_waitcnt lgkmcnt(0)
	s_barrier
                                        ; implicit-def: $vgpr42
	s_cbranch_scc1 .LBB84_145
; %bb.127:                              ;   in Loop: Header=BB84_9 Depth=1
	v_readlane_b32 s8, v63, 20
	s_add_u32 s30, s10, s8
	v_readlane_b32 s8, v63, 22
	s_addc_u32 s9, s11, s8
	s_mov_b32 s8, s75
	s_cmp_lg_u64 s[8:9], 0
	s_cbranch_scc0 .LBB84_187
; %bb.128:                              ;   in Loop: Header=BB84_9 Depth=1
	v_cvt_f32_u32_e32 v4, s70
	s_sub_u32 s8, 0, s70
	s_subb_u32 s28, 0, 0
	v_fmac_f32_e32 v4, 0, v39
	v_rcp_f32_e32 v4, v4
	s_nop 0
	v_mul_f32_e32 v4, 0x5f7ffffc, v4
	v_mul_f32_e32 v5, 0x2f800000, v4
	v_trunc_f32_e32 v5, v5
	v_fmac_f32_e32 v4, 0xcf800000, v5
	v_cvt_u32_f32_e32 v5, v5
	v_cvt_u32_f32_e32 v4, v4
	v_readfirstlane_b32 s29, v5
	v_readfirstlane_b32 s26, v4
	s_mul_i32 s27, s8, s29
	s_mul_hi_u32 s34, s8, s26
	s_mul_i32 s31, s28, s26
	s_add_i32 s27, s34, s27
	s_mul_i32 s35, s8, s26
	s_add_i32 s27, s27, s31
	s_mul_hi_u32 s34, s26, s35
	s_mul_i32 s36, s26, s27
	s_mul_hi_u32 s31, s26, s27
	s_add_u32 s34, s34, s36
	s_addc_u32 s31, 0, s31
	s_mul_hi_u32 s37, s29, s35
	s_mul_i32 s35, s29, s35
	s_add_u32 s34, s34, s35
	s_mul_hi_u32 s36, s29, s27
	s_addc_u32 s31, s31, s37
	s_addc_u32 s34, s36, 0
	s_mul_i32 s27, s29, s27
	s_add_u32 s27, s31, s27
	s_addc_u32 s31, 0, s34
	s_add_u32 s34, s26, s27
	s_cselect_b64 s[26:27], -1, 0
	s_cmp_lg_u64 s[26:27], 0
	s_addc_u32 s29, s29, s31
	s_mul_i32 s26, s8, s29
	s_mul_hi_u32 s27, s8, s34
	s_add_i32 s26, s27, s26
	s_mul_i32 s28, s28, s34
	s_add_i32 s26, s26, s28
	s_mul_i32 s8, s8, s34
	s_mul_hi_u32 s28, s29, s8
	s_mul_i32 s31, s29, s8
	s_mul_i32 s36, s34, s26
	s_mul_hi_u32 s8, s34, s8
	s_mul_hi_u32 s35, s34, s26
	s_add_u32 s8, s8, s36
	s_addc_u32 s35, 0, s35
	s_add_u32 s8, s8, s31
	s_mul_hi_u32 s27, s29, s26
	s_addc_u32 s8, s35, s28
	s_addc_u32 s27, s27, 0
	s_mul_i32 s26, s29, s26
	s_add_u32 s8, s8, s26
	s_addc_u32 s28, 0, s27
	s_add_u32 s8, s34, s8
	s_cselect_b64 s[26:27], -1, 0
	s_cmp_lg_u64 s[26:27], 0
	s_addc_u32 s26, s29, s28
	s_mul_i32 s28, s30, s26
	s_mul_hi_u32 s29, s30, s8
	s_mul_hi_u32 s27, s30, s26
	s_add_u32 s28, s29, s28
	s_addc_u32 s27, 0, s27
	s_mul_hi_u32 s31, s9, s8
	s_mul_i32 s8, s9, s8
	s_add_u32 s8, s28, s8
	s_mul_hi_u32 s29, s9, s26
	s_addc_u32 s8, s27, s31
	s_addc_u32 s27, s29, 0
	s_mul_i32 s26, s9, s26
	s_add_u32 s8, s8, s26
	s_addc_u32 s26, 0, s27
	s_mul_i32 s26, s70, s26
	s_mul_hi_u32 s27, s70, s8
	s_add_i32 s28, s27, s26
	s_mul_i32 s8, s70, s8
	s_sub_u32 s8, s30, s8
	s_cselect_b64 s[26:27], -1, 0
	s_cmp_lg_u64 s[26:27], 0
	s_subb_u32 s28, s9, s28
	s_sub_u32 s29, s8, s70
	s_cselect_b64 s[26:27], -1, 0
	s_cmp_lg_u64 s[26:27], 0
	s_subb_u32 s31, s28, 0
	s_sub_u32 s34, s29, s70
	s_cselect_b64 s[26:27], -1, 0
	s_cmp_lg_u64 s[26:27], 0
	s_subb_u32 s26, s31, 0
	s_cmp_ge_u32 s29, s70
	s_cselect_b32 s27, -1, 0
	s_cmp_eq_u32 s31, 0
	s_cselect_b32 s27, s27, -1
	s_cmp_lg_u32 s27, 0
	s_cselect_b32 s26, s26, s31
	s_cselect_b32 s29, s34, s29
	s_cmp_ge_u32 s8, s70
	s_cselect_b32 s27, -1, 0
	s_cmp_eq_u32 s28, 0
	s_cselect_b32 s27, s27, -1
	s_cmp_lg_u32 s27, 0
	s_cselect_b32 s27, s26, s28
	s_cselect_b32 s26, s29, s8
	s_cbranch_execnz .LBB84_130
.LBB84_129:                             ;   in Loop: Header=BB84_9 Depth=1
	v_cvt_f32_u32_e32 v4, s70
	s_sub_i32 s8, 0, s70
	v_rcp_iflag_f32_e32 v4, v4
	s_nop 0
	v_mul_f32_e32 v4, 0x4f7ffffe, v4
	v_cvt_u32_f32_e32 v4, v4
	s_nop 0
	v_readfirstlane_b32 s26, v4
	s_mul_i32 s8, s8, s26
	s_mul_hi_u32 s8, s26, s8
	s_add_i32 s26, s26, s8
	s_mul_hi_u32 s8, s30, s26
	s_mul_i32 s8, s8, s70
	s_sub_i32 s8, s30, s8
	s_sub_i32 s26, s8, s70
	s_cmp_ge_u32 s8, s70
	s_cselect_b32 s8, s26, s8
	s_sub_i32 s26, s8, s70
	s_cmp_ge_u32 s8, s70
	s_cselect_b32 s74, s26, s8
	s_mov_b64 s[26:27], s[74:75]
.LBB84_130:                             ;   in Loop: Header=BB84_9 Depth=1
	s_sub_u32 s30, s30, s26
	s_subb_u32 s31, s9, s27
	v_cmp_gt_u64_e32 vcc, s[30:31], v[0:1]
	s_mov_b64 s[26:27], 0
	s_mov_b64 s[8:9], 0
                                        ; implicit-def: $vgpr42
	s_and_saveexec_b64 s[28:29], vcc
	s_cbranch_execz .LBB84_144
; %bb.131:                              ;   in Loop: Header=BB84_9 Depth=1
	v_mov_b32_e32 v10, v0
	v_mov_b64_e32 v[4:5], v[0:1]
                                        ; implicit-def: $sgpr34_sgpr35
	s_branch .LBB84_134
.LBB84_132:                             ;   in Loop: Header=BB84_134 Depth=2
	s_or_b64 exec, exec, s[36:37]
	s_waitcnt lgkmcnt(0)
	s_barrier
	ds_read_u16 v11, v3 offset:3072
	s_mov_b64 s[36:37], -1
	s_waitcnt lgkmcnt(0)
	s_barrier
	v_cmp_ne_u32_sdwa s[38:39], v11, v3 src0_sel:BYTE_0 src1_sel:DWORD
	s_and_b64 vcc, exec, s[38:39]
	s_mov_b64 s[38:39], -1
	s_cbranch_vccz .LBB84_137
.LBB84_133:                             ;   in Loop: Header=BB84_134 Depth=2
	s_and_b64 s[36:37], exec, s[36:37]
	s_or_b64 s[8:9], s[36:37], s[8:9]
	s_andn2_b64 s[34:35], s[34:35], exec
	s_and_b64 s[36:37], s[38:39], exec
	s_or_b64 s[34:35], s[34:35], s[36:37]
	s_andn2_b64 exec, exec, s[8:9]
	s_cbranch_execz .LBB84_143
.LBB84_134:                             ;   Parent Loop BB84_9 Depth=1
                                        ; =>  This Inner Loop Header: Depth=2
	v_cmp_gt_u64_e32 vcc, s[10:11], v[4:5]
	s_and_saveexec_b64 s[36:37], vcc
	s_cbranch_execz .LBB84_132
; %bb.135:                              ;   in Loop: Header=BB84_134 Depth=2
	ds_read_u8 v11, v10
	s_waitcnt lgkmcnt(0)
	v_add_u32_sdwa v30, sext(v11), s85 dst_sel:DWORD dst_unused:UNUSED_PAD src0_sel:BYTE_0 src1_sel:DWORD
	v_and_b32_e32 v30, v30, v41
	v_cmp_eq_u32_e32 vcc, v30, v38
	s_and_b64 exec, exec, vcc
	s_cbranch_execz .LBB84_132
; %bb.136:                              ;   in Loop: Header=BB84_134 Depth=2
	v_lshlrev_b16_e32 v11, 8, v11
	v_or_b32_e32 v11, 1, v11
	ds_write_b16 v3, v11 offset:3072
	s_branch .LBB84_132
.LBB84_137:                             ;   in Loop: Header=BB84_134 Depth=2
	v_lshl_add_u64 v[4:5], v[4:5], 0, s[70:71]
	v_cmp_le_u64_e32 vcc, s[30:31], v[4:5]
	v_add_u32_e32 v10, s70, v10
	s_mov_b64 s[38:39], 0
	s_orn2_b64 s[36:37], vcc, exec
	s_branch .LBB84_133
.LBB84_138:                             ;   in Loop: Header=BB84_9 Depth=1
                                        ; implicit-def: $sgpr22_sgpr23
	s_branch .LBB84_86
.LBB84_139:                             ;   in Loop: Header=BB84_9 Depth=1
	s_or_b64 exec, exec, s[10:11]
	s_waitcnt lgkmcnt(0)
	s_barrier
	s_mov_b64 s[0:1], exec
	v_readlane_b32 s2, v63, 0
	v_readlane_b32 s3, v63, 1
	s_and_b64 s[2:3], s[0:1], s[2:3]
	s_mov_b64 exec, s[2:3]
	s_cbranch_execz .LBB84_141
; %bb.140:                              ;   in Loop: Header=BB84_9 Depth=1
	ds_read_b32 v4, v3 offset:5144
	s_waitcnt lgkmcnt(0)
	v_ashrrev_i32_e32 v5, 31, v4
	ds_write_b64 v3, v[4:5] offset:5120
.LBB84_141:                             ;   in Loop: Header=BB84_9 Depth=1
	s_or_b64 exec, exec, s[0:1]
	s_waitcnt lgkmcnt(0)
	s_barrier
	s_mov_b64 s[0:1], -1
	s_and_b64 vcc, exec, s[8:9]
	s_cbranch_vccnz .LBB84_24
	s_branch .LBB84_39
.LBB84_142:                             ;   in Loop: Header=BB84_9 Depth=1
                                        ; implicit-def: $sgpr8_sgpr9
	s_branch .LBB84_100
.LBB84_143:                             ;   in Loop: Header=BB84_9 Depth=1
	s_or_b64 exec, exec, s[8:9]
	v_lshrrev_b32_sdwa v42, v40, v11 dst_sel:DWORD dst_unused:UNUSED_PAD src0_sel:DWORD src1_sel:WORD_0
	s_and_b64 s[8:9], s[34:35], exec
.LBB84_144:                             ;   in Loop: Header=BB84_9 Depth=1
	s_or_b64 exec, exec, s[28:29]
.LBB84_145:                             ;   in Loop: Header=BB84_9 Depth=1
	s_and_b64 vcc, exec, s[26:27]
	s_cbranch_vccz .LBB84_159
; %bb.146:                              ;   in Loop: Header=BB84_9 Depth=1
	s_mov_b32 s82, s75
	s_cmp_lg_u64 s[82:83], 0
	s_cbranch_scc0 .LBB84_188
; %bb.147:                              ;   in Loop: Header=BB84_9 Depth=1
	v_cvt_f32_u32_e32 v4, s70
	s_sub_u32 s10, 0, s70
	s_subb_u32 s11, 0, 0
	v_fmac_f32_e32 v4, 0, v39
	v_rcp_f32_e32 v4, v4
	s_nop 0
	v_mul_f32_e32 v4, 0x5f7ffffc, v4
	v_mul_f32_e32 v5, 0x2f800000, v4
	v_trunc_f32_e32 v5, v5
	v_fmac_f32_e32 v4, 0xcf800000, v5
	v_cvt_u32_f32_e32 v5, v5
	v_cvt_u32_f32_e32 v4, v4
	v_readfirstlane_b32 s22, v5
	v_readfirstlane_b32 s0, v4
	s_mul_i32 s1, s10, s22
	s_mul_hi_u32 s26, s10, s0
	s_mul_i32 s23, s11, s0
	s_add_i32 s1, s26, s1
	s_mul_i32 s27, s10, s0
	s_add_i32 s1, s1, s23
	s_mul_hi_u32 s26, s0, s27
	s_mul_i32 s28, s0, s1
	s_mul_hi_u32 s23, s0, s1
	s_add_u32 s26, s26, s28
	s_addc_u32 s23, 0, s23
	s_mul_hi_u32 s29, s22, s27
	s_mul_i32 s27, s22, s27
	s_add_u32 s26, s26, s27
	s_mul_hi_u32 s28, s22, s1
	s_addc_u32 s23, s23, s29
	s_addc_u32 s26, s28, 0
	s_mul_i32 s1, s22, s1
	s_add_u32 s1, s23, s1
	s_addc_u32 s23, 0, s26
	s_add_u32 s26, s0, s1
	s_cselect_b64 s[0:1], -1, 0
	s_cmp_lg_u64 s[0:1], 0
	s_addc_u32 s22, s22, s23
	s_mul_i32 s0, s10, s22
	s_mul_hi_u32 s1, s10, s26
	s_add_i32 s0, s1, s0
	s_mul_i32 s11, s11, s26
	s_add_i32 s0, s0, s11
	s_mul_i32 s10, s10, s26
	s_mul_hi_u32 s11, s22, s10
	s_mul_i32 s23, s22, s10
	s_mul_i32 s28, s26, s0
	s_mul_hi_u32 s10, s26, s10
	s_mul_hi_u32 s27, s26, s0
	s_add_u32 s10, s10, s28
	s_addc_u32 s27, 0, s27
	s_add_u32 s10, s10, s23
	s_mul_hi_u32 s1, s22, s0
	s_addc_u32 s10, s27, s11
	s_addc_u32 s1, s1, 0
	s_mul_i32 s0, s22, s0
	s_add_u32 s0, s10, s0
	s_addc_u32 s10, 0, s1
	s_add_u32 s11, s26, s0
	s_cselect_b64 s[0:1], -1, 0
	s_cmp_lg_u64 s[0:1], 0
	s_addc_u32 s0, s22, s10
	v_readlane_b32 s26, v63, 21
	s_mul_i32 s10, s26, s0
	s_mul_hi_u32 s22, s26, s11
	s_mul_hi_u32 s1, s26, s0
	s_add_u32 s10, s22, s10
	s_addc_u32 s1, 0, s1
	s_mul_hi_u32 s23, s83, s11
	s_mul_i32 s11, s83, s11
	s_add_u32 s10, s10, s11
	s_mul_hi_u32 s22, s83, s0
	s_addc_u32 s1, s1, s23
	s_addc_u32 s10, s22, 0
	s_mul_i32 s0, s83, s0
	s_add_u32 s0, s1, s0
	s_addc_u32 s1, 0, s10
	s_mul_i32 s1, s70, s1
	s_mul_hi_u32 s10, s70, s0
	s_add_i32 s10, s10, s1
	s_mul_i32 s0, s70, s0
	s_sub_u32 s11, s26, s0
	s_cselect_b64 s[0:1], -1, 0
	s_cmp_lg_u64 s[0:1], 0
	s_subb_u32 s10, s83, s10
	s_sub_u32 s22, s11, s70
	s_cselect_b64 s[0:1], -1, 0
	s_cmp_lg_u64 s[0:1], 0
	s_subb_u32 s23, s10, 0
	;; [unrolled: 4-line block ×3, first 2 shown]
	s_cmp_ge_u32 s22, s70
	s_cselect_b32 s1, -1, 0
	s_cmp_eq_u32 s23, 0
	s_cselect_b32 s1, s1, -1
	s_cmp_lg_u32 s1, 0
	s_cselect_b32 s0, s0, s23
	s_cselect_b32 s22, s26, s22
	s_cmp_ge_u32 s11, s70
	s_cselect_b32 s1, -1, 0
	s_cmp_eq_u32 s10, 0
	s_cselect_b32 s1, s1, -1
	s_cmp_lg_u32 s1, 0
	s_cselect_b32 s1, s0, s10
	s_cselect_b32 s0, s22, s11
	s_cbranch_execnz .LBB84_149
.LBB84_148:                             ;   in Loop: Header=BB84_9 Depth=1
	v_cvt_f32_u32_e32 v4, s70
	s_sub_i32 s0, 0, s70
	v_readlane_b32 s10, v63, 21
	v_rcp_iflag_f32_e32 v4, v4
	s_nop 0
	v_mul_f32_e32 v4, 0x4f7ffffe, v4
	v_cvt_u32_f32_e32 v4, v4
	s_nop 0
	v_readfirstlane_b32 s1, v4
	s_mul_i32 s0, s0, s1
	s_mul_hi_u32 s0, s1, s0
	s_add_i32 s1, s1, s0
	s_mul_hi_u32 s0, s10, s1
	s_mul_i32 s0, s0, s70
	s_sub_i32 s0, s10, s0
	s_sub_i32 s1, s0, s70
	s_cmp_ge_u32 s0, s70
	s_cselect_b32 s0, s1, s0
	s_sub_i32 s1, s0, s70
	s_cmp_ge_u32 s0, s70
	s_cselect_b32 s74, s1, s0
	s_mov_b64 s[0:1], s[74:75]
.LBB84_149:                             ;   in Loop: Header=BB84_9 Depth=1
	v_readlane_b32 s10, v63, 21
	s_sub_u32 s10, s10, s0
	s_subb_u32 s11, s83, s1
	v_cmp_gt_u64_e32 vcc, s[10:11], v[0:1]
                                        ; implicit-def: $vgpr42
	s_and_saveexec_b64 s[0:1], vcc
	s_cbranch_execz .LBB84_158
; %bb.150:                              ;   in Loop: Header=BB84_9 Depth=1
	s_mov_b64 s[22:23], 0
	v_mov_b64_e32 v[4:5], v[12:13]
	v_mov_b64_e32 v[10:11], v[0:1]
                                        ; implicit-def: $sgpr26_sgpr27
	s_branch .LBB84_153
.LBB84_151:                             ;   in Loop: Header=BB84_153 Depth=2
	s_or_b64 exec, exec, s[28:29]
	s_waitcnt lgkmcnt(0)
	s_barrier
	ds_read_u16 v30, v3 offset:3072
	s_mov_b64 s[28:29], -1
	s_waitcnt lgkmcnt(0)
	s_barrier
	v_cmp_eq_u32_sdwa s[30:31], v30, v3 src0_sel:BYTE_0 src1_sel:DWORD
	s_and_b64 vcc, exec, s[30:31]
	s_mov_b64 s[30:31], -1
	s_cbranch_vccnz .LBB84_156
.LBB84_152:                             ;   in Loop: Header=BB84_153 Depth=2
	s_and_b64 s[28:29], exec, s[28:29]
	s_or_b64 s[22:23], s[28:29], s[22:23]
	s_andn2_b64 s[26:27], s[26:27], exec
	s_and_b64 s[28:29], s[30:31], exec
	s_or_b64 s[26:27], s[26:27], s[28:29]
	s_andn2_b64 exec, exec, s[22:23]
	s_cbranch_execz .LBB84_157
.LBB84_153:                             ;   Parent Loop BB84_9 Depth=1
                                        ; =>  This Inner Loop Header: Depth=2
	v_cmp_gt_u64_e32 vcc, s[56:57], v[10:11]
	s_and_saveexec_b64 s[28:29], vcc
	s_cbranch_execz .LBB84_151
; %bb.154:                              ;   in Loop: Header=BB84_153 Depth=2
	global_load_ubyte v30, v[4:5], off
	s_waitcnt vmcnt(0)
	v_add_u32_sdwa v31, sext(v30), s85 dst_sel:DWORD dst_unused:UNUSED_PAD src0_sel:BYTE_0 src1_sel:DWORD
	v_and_b32_e32 v31, v31, v41
	v_cmp_eq_u32_e32 vcc, v31, v38
	s_and_b64 exec, exec, vcc
	s_cbranch_execz .LBB84_151
; %bb.155:                              ;   in Loop: Header=BB84_153 Depth=2
	v_lshlrev_b16_e32 v30, 8, v30
	v_or_b32_e32 v30, 1, v30
	ds_write_b16 v3, v30 offset:3072
	s_branch .LBB84_151
.LBB84_156:                             ;   in Loop: Header=BB84_153 Depth=2
	v_lshl_add_u64 v[10:11], v[10:11], 0, s[70:71]
	v_cmp_le_u64_e32 vcc, s[10:11], v[10:11]
	v_lshl_add_u64 v[4:5], v[4:5], 0, s[78:79]
	s_mov_b64 s[30:31], 0
	s_orn2_b64 s[28:29], vcc, exec
	s_branch .LBB84_152
.LBB84_157:                             ;   in Loop: Header=BB84_9 Depth=1
	s_or_b64 exec, exec, s[22:23]
	s_andn2_b64 s[8:9], s[8:9], exec
	s_and_b64 s[10:11], s[26:27], exec
	v_lshrrev_b32_sdwa v42, v40, v30 dst_sel:DWORD dst_unused:UNUSED_PAD src0_sel:DWORD src1_sel:WORD_0
	s_or_b64 s[8:9], s[8:9], s[10:11]
.LBB84_158:                             ;   in Loop: Header=BB84_9 Depth=1
	s_or_b64 exec, exec, s[0:1]
	s_mov_b64 s[0:1], 0
	s_mov_b64 s[22:23], -1
.LBB84_159:                             ;   in Loop: Header=BB84_9 Depth=1
	s_orn2_b64 s[8:9], s[8:9], exec
.LBB84_160:                             ;   in Loop: Header=BB84_9 Depth=1
	s_or_b64 exec, exec, s[24:25]
	s_mov_b64 s[10:11], 0
	s_and_saveexec_b64 s[24:25], s[8:9]
	s_cbranch_execz .LBB84_266
; %bb.161:                              ;   in Loop: Header=BB84_9 Depth=1
	s_xor_b64 s[12:13], s[12:13], -1
	v_mov_b32_e32 v2, 1
	v_mov_b64_e32 v[4:5], 1
	s_and_saveexec_b64 s[8:9], s[12:13]
	s_cbranch_execz .LBB84_171
; %bb.162:                              ;   in Loop: Header=BB84_9 Depth=1
	v_cmp_le_u64_e32 vcc, v[8:9], v[6:7]
	s_and_saveexec_b64 s[10:11], vcc
	s_xor_b64 s[10:11], exec, s[10:11]
	s_cbranch_execz .LBB84_168
; %bb.163:                              ;   in Loop: Header=BB84_9 Depth=1
	ds_read_b64 v[4:5], v3 offset:5120
	v_and_b32_e32 v2, s48, v38
	v_lshl_or_b32 v38, 1, s84, v2
	v_or_b32_e32 v41, s54, v41
	s_waitcnt lgkmcnt(0)
	v_cmp_ne_u64_e32 vcc, 0, v[4:5]
	s_cbranch_vccnz .LBB84_167
; %bb.164:                              ;   in Loop: Header=BB84_9 Depth=1
	s_mov_b64 s[12:13], exec
	v_readlane_b32 s26, v63, 0
	v_readlane_b32 s27, v63, 1
	s_and_b64 s[26:27], s[12:13], s[26:27]
	s_mov_b64 exec, s[26:27]
; %bb.165:                              ;   in Loop: Header=BB84_9 Depth=1
	ds_write_b64 v3, v[6:7] offset:5128
; %bb.166:                              ;   in Loop: Header=BB84_9 Depth=1
	s_or_b64 exec, exec, s[12:13]
	s_waitcnt lgkmcnt(0)
	s_barrier
.LBB84_167:                             ;   in Loop: Header=BB84_9 Depth=1
                                        ; implicit-def: $vgpr4_vgpr5_vgpr6_vgpr7
.LBB84_168:                             ;   in Loop: Header=BB84_9 Depth=1
	s_or_saveexec_b64 s[10:11], s[10:11]
	s_mov_b64 s[12:13], 0
	v_mov_b32_e32 v2, 8
	s_xor_b64 exec, exec, s[10:11]
; %bb.169:                              ;   in Loop: Header=BB84_9 Depth=1
	v_sub_co_u32_e32 v8, vcc, v8, v6
	s_mov_b64 s[12:13], exec
	s_nop 0
	v_subb_co_u32_e32 v9, vcc, v9, v7, vcc
	v_mov_b32_e32 v2, 0
; %bb.170:                              ;   in Loop: Header=BB84_9 Depth=1
	s_or_b64 exec, exec, s[10:11]
	s_and_b64 s[10:11], s[12:13], exec
	v_mov_b64_e32 v[4:5], v[8:9]
.LBB84_171:                             ;   in Loop: Header=BB84_9 Depth=1
	s_or_b64 exec, exec, s[8:9]
	s_mov_b64 s[8:9], -1
                                        ; implicit-def: $sgpr28_sgpr29
                                        ; implicit-def: $sgpr36_sgpr37
	s_and_saveexec_b64 s[26:27], s[10:11]
	s_cbranch_execz .LBB84_265
; %bb.172:                              ;   in Loop: Header=BB84_9 Depth=1
	s_cmp_eq_u64 s[20:21], 1
	s_cselect_b64 s[8:9], -1, 0
	v_cmp_eq_u64_e32 vcc, 1, v[4:5]
	s_and_b64 s[12:13], s[8:9], vcc
	s_mov_b64 s[8:9], -1
                                        ; implicit-def: $sgpr36_sgpr37
                                        ; implicit-def: $sgpr28_sgpr29
	s_and_saveexec_b64 s[38:39], s[12:13]
	s_cbranch_execz .LBB84_206
; %bb.173:                              ;   in Loop: Header=BB84_9 Depth=1
	ds_read_b64 v[6:7], v3 offset:5120
	s_waitcnt lgkmcnt(0)
	s_barrier
	v_readfirstlane_b32 s10, v6
	v_readfirstlane_b32 s11, v7
	s_mov_b64 s[8:9], exec
	v_readlane_b32 s28, v63, 14
	v_readlane_b32 s29, v63, 15
	s_and_b64 s[28:29], s[8:9], s[28:29]
	s_mov_b64 exec, s[28:29]
; %bb.174:                              ;   in Loop: Header=BB84_9 Depth=1
	ds_write_b8 v0, v3 offset:3072
; %bb.175:                              ;   in Loop: Header=BB84_9 Depth=1
	s_or_b64 exec, exec, s[8:9]
	v_and_b32_e32 v6, s48, v38
	v_lshl_or_b32 v38, 2, s84, v6
	v_or_b32_e32 v41, s54, v41
	s_mov_b64 s[28:29], -1
	s_mov_b64 s[36:37], 0
	s_cmp_eq_u64 s[10:11], 0
	s_mov_b64 s[8:9], 0
	s_mov_b64 s[30:31], -1
	s_waitcnt lgkmcnt(0)
	s_barrier
                                        ; implicit-def: $vgpr42
	s_cbranch_scc1 .LBB84_191
; %bb.176:                              ;   in Loop: Header=BB84_9 Depth=1
	v_readlane_b32 s8, v63, 20
	s_add_u32 s40, s10, s8
	v_readlane_b32 s8, v63, 22
	s_addc_u32 s9, s11, s8
	s_mov_b32 s8, s75
	s_cmp_lg_u64 s[8:9], 0
	s_cbranch_scc0 .LBB84_232
; %bb.177:                              ;   in Loop: Header=BB84_9 Depth=1
	v_cvt_f32_u32_e32 v6, s70
	s_sub_u32 s8, 0, s70
	s_subb_u32 s34, 0, 0
	v_fmac_f32_e32 v6, 0, v39
	v_rcp_f32_e32 v6, v6
	s_nop 0
	v_mul_f32_e32 v6, 0x5f7ffffc, v6
	v_mul_f32_e32 v7, 0x2f800000, v6
	v_trunc_f32_e32 v7, v7
	v_fmac_f32_e32 v6, 0xcf800000, v7
	v_cvt_u32_f32_e32 v7, v7
	v_cvt_u32_f32_e32 v6, v6
	v_readfirstlane_b32 s35, v7
	v_readfirstlane_b32 s30, v6
	s_mul_i32 s31, s8, s35
	s_mul_hi_u32 s42, s8, s30
	s_mul_i32 s41, s34, s30
	s_add_i32 s31, s42, s31
	s_mul_i32 s43, s8, s30
	s_add_i32 s31, s31, s41
	s_mul_hi_u32 s42, s30, s43
	s_mul_i32 s44, s30, s31
	s_mul_hi_u32 s41, s30, s31
	s_add_u32 s42, s42, s44
	s_addc_u32 s41, 0, s41
	s_mul_hi_u32 s45, s35, s43
	s_mul_i32 s43, s35, s43
	s_add_u32 s42, s42, s43
	s_mul_hi_u32 s44, s35, s31
	s_addc_u32 s41, s41, s45
	s_addc_u32 s42, s44, 0
	s_mul_i32 s31, s35, s31
	s_add_u32 s31, s41, s31
	s_addc_u32 s41, 0, s42
	s_add_u32 s42, s30, s31
	s_cselect_b64 s[30:31], -1, 0
	s_cmp_lg_u64 s[30:31], 0
	s_addc_u32 s35, s35, s41
	s_mul_i32 s30, s8, s35
	s_mul_hi_u32 s31, s8, s42
	s_add_i32 s30, s31, s30
	s_mul_i32 s34, s34, s42
	s_add_i32 s30, s30, s34
	s_mul_i32 s8, s8, s42
	s_mul_hi_u32 s34, s35, s8
	s_mul_i32 s41, s35, s8
	s_mul_i32 s44, s42, s30
	s_mul_hi_u32 s8, s42, s8
	s_mul_hi_u32 s43, s42, s30
	s_add_u32 s8, s8, s44
	s_addc_u32 s43, 0, s43
	s_add_u32 s8, s8, s41
	s_mul_hi_u32 s31, s35, s30
	s_addc_u32 s8, s43, s34
	s_addc_u32 s31, s31, 0
	s_mul_i32 s30, s35, s30
	s_add_u32 s8, s8, s30
	s_addc_u32 s34, 0, s31
	s_add_u32 s8, s42, s8
	s_cselect_b64 s[30:31], -1, 0
	s_cmp_lg_u64 s[30:31], 0
	s_addc_u32 s30, s35, s34
	s_mul_i32 s34, s40, s30
	s_mul_hi_u32 s35, s40, s8
	s_mul_hi_u32 s31, s40, s30
	s_add_u32 s34, s35, s34
	s_addc_u32 s31, 0, s31
	s_mul_hi_u32 s41, s9, s8
	s_mul_i32 s8, s9, s8
	s_add_u32 s8, s34, s8
	s_mul_hi_u32 s35, s9, s30
	s_addc_u32 s8, s31, s41
	s_addc_u32 s31, s35, 0
	s_mul_i32 s30, s9, s30
	s_add_u32 s8, s8, s30
	s_addc_u32 s30, 0, s31
	s_mul_i32 s30, s70, s30
	s_mul_hi_u32 s31, s70, s8
	s_add_i32 s34, s31, s30
	s_mul_i32 s8, s70, s8
	s_sub_u32 s8, s40, s8
	s_cselect_b64 s[30:31], -1, 0
	s_cmp_lg_u64 s[30:31], 0
	s_subb_u32 s34, s9, s34
	s_sub_u32 s35, s8, s70
	s_cselect_b64 s[30:31], -1, 0
	s_cmp_lg_u64 s[30:31], 0
	s_subb_u32 s41, s34, 0
	;; [unrolled: 4-line block ×3, first 2 shown]
	s_cmp_ge_u32 s35, s70
	s_cselect_b32 s31, -1, 0
	s_cmp_eq_u32 s41, 0
	s_cselect_b32 s31, s31, -1
	s_cmp_lg_u32 s31, 0
	s_cselect_b32 s30, s30, s41
	s_cselect_b32 s35, s42, s35
	s_cmp_ge_u32 s8, s70
	s_cselect_b32 s31, -1, 0
	s_cmp_eq_u32 s34, 0
	s_cselect_b32 s31, s31, -1
	s_cmp_lg_u32 s31, 0
	s_cselect_b32 s31, s30, s34
	s_cselect_b32 s30, s35, s8
	s_cbranch_execnz .LBB84_179
.LBB84_178:                             ;   in Loop: Header=BB84_9 Depth=1
	v_cvt_f32_u32_e32 v6, s70
	s_sub_i32 s8, 0, s70
	v_rcp_iflag_f32_e32 v6, v6
	s_nop 0
	v_mul_f32_e32 v6, 0x4f7ffffe, v6
	v_cvt_u32_f32_e32 v6, v6
	s_nop 0
	v_readfirstlane_b32 s30, v6
	s_mul_i32 s8, s8, s30
	s_mul_hi_u32 s8, s30, s8
	s_add_i32 s30, s30, s8
	s_mul_hi_u32 s8, s40, s30
	s_mul_i32 s8, s8, s70
	s_sub_i32 s8, s40, s8
	s_sub_i32 s30, s8, s70
	s_cmp_ge_u32 s8, s70
	s_cselect_b32 s8, s30, s8
	s_sub_i32 s30, s8, s70
	s_cmp_ge_u32 s8, s70
	s_cselect_b32 s74, s30, s8
	s_mov_b64 s[30:31], s[74:75]
.LBB84_179:                             ;   in Loop: Header=BB84_9 Depth=1
	s_sub_u32 s40, s40, s30
	s_subb_u32 s41, s9, s31
	v_cmp_gt_u64_e32 vcc, s[40:41], v[0:1]
	s_mov_b64 s[30:31], 0
	s_mov_b64 s[8:9], 0
                                        ; implicit-def: $vgpr42
	s_and_saveexec_b64 s[34:35], vcc
	s_cbranch_execz .LBB84_190
; %bb.180:                              ;   in Loop: Header=BB84_9 Depth=1
	v_mov_b32_e32 v8, v0
	v_mov_b64_e32 v[6:7], v[0:1]
                                        ; implicit-def: $sgpr42_sgpr43
	s_branch .LBB84_183
.LBB84_181:                             ;   in Loop: Header=BB84_183 Depth=2
	s_or_b64 exec, exec, s[44:45]
	s_waitcnt lgkmcnt(0)
	s_barrier
	ds_read_u16 v9, v3 offset:3072
	s_mov_b64 s[44:45], -1
	s_waitcnt lgkmcnt(0)
	s_barrier
	v_cmp_ne_u32_sdwa s[46:47], v9, v3 src0_sel:BYTE_0 src1_sel:DWORD
	s_and_b64 vcc, exec, s[46:47]
	s_mov_b64 s[46:47], -1
	s_cbranch_vccz .LBB84_186
.LBB84_182:                             ;   in Loop: Header=BB84_183 Depth=2
	s_and_b64 s[44:45], exec, s[44:45]
	s_or_b64 s[8:9], s[44:45], s[8:9]
	s_andn2_b64 s[42:43], s[42:43], exec
	s_and_b64 s[44:45], s[46:47], exec
	s_or_b64 s[42:43], s[42:43], s[44:45]
	s_andn2_b64 exec, exec, s[8:9]
	s_cbranch_execz .LBB84_189
.LBB84_183:                             ;   Parent Loop BB84_9 Depth=1
                                        ; =>  This Inner Loop Header: Depth=2
	v_cmp_gt_u64_e32 vcc, s[10:11], v[6:7]
	s_and_saveexec_b64 s[44:45], vcc
	s_cbranch_execz .LBB84_181
; %bb.184:                              ;   in Loop: Header=BB84_183 Depth=2
	ds_read_u8 v9, v8
	s_waitcnt lgkmcnt(0)
	v_add_u32_sdwa v10, sext(v9), s85 dst_sel:DWORD dst_unused:UNUSED_PAD src0_sel:BYTE_0 src1_sel:DWORD
	v_and_b32_e32 v10, v10, v41
	v_cmp_eq_u32_e32 vcc, v10, v38
	s_and_b64 exec, exec, vcc
	s_cbranch_execz .LBB84_181
; %bb.185:                              ;   in Loop: Header=BB84_183 Depth=2
	v_lshlrev_b16_e32 v9, 8, v9
	v_or_b32_e32 v9, 1, v9
	ds_write_b16 v3, v9 offset:3072
	s_branch .LBB84_181
.LBB84_186:                             ;   in Loop: Header=BB84_183 Depth=2
	v_lshl_add_u64 v[6:7], v[6:7], 0, s[70:71]
	v_cmp_le_u64_e32 vcc, s[40:41], v[6:7]
	v_add_u32_e32 v8, s70, v8
	s_mov_b64 s[46:47], 0
	s_orn2_b64 s[44:45], vcc, exec
	s_branch .LBB84_182
.LBB84_187:                             ;   in Loop: Header=BB84_9 Depth=1
                                        ; implicit-def: $sgpr26_sgpr27
	s_branch .LBB84_129
.LBB84_188:                             ;   in Loop: Header=BB84_9 Depth=1
                                        ; implicit-def: $sgpr0_sgpr1
	s_branch .LBB84_148
.LBB84_189:                             ;   in Loop: Header=BB84_9 Depth=1
	s_or_b64 exec, exec, s[8:9]
	v_lshrrev_b32_sdwa v42, v40, v9 dst_sel:DWORD dst_unused:UNUSED_PAD src0_sel:DWORD src1_sel:WORD_0
	s_and_b64 s[8:9], s[42:43], exec
.LBB84_190:                             ;   in Loop: Header=BB84_9 Depth=1
	s_or_b64 exec, exec, s[34:35]
.LBB84_191:                             ;   in Loop: Header=BB84_9 Depth=1
	s_and_b64 vcc, exec, s[30:31]
	s_cbranch_vccz .LBB84_205
; %bb.192:                              ;   in Loop: Header=BB84_9 Depth=1
	s_mov_b32 s82, s75
	s_cmp_lg_u64 s[82:83], 0
	s_cbranch_scc0 .LBB84_233
; %bb.193:                              ;   in Loop: Header=BB84_9 Depth=1
	v_cvt_f32_u32_e32 v6, s70
	s_sub_u32 s28, 0, s70
	s_subb_u32 s29, 0, 0
	v_fmac_f32_e32 v6, 0, v39
	v_rcp_f32_e32 v6, v6
	s_nop 0
	v_mul_f32_e32 v6, 0x5f7ffffc, v6
	v_mul_f32_e32 v7, 0x2f800000, v6
	v_trunc_f32_e32 v7, v7
	v_fmac_f32_e32 v6, 0xcf800000, v7
	v_cvt_u32_f32_e32 v7, v7
	v_cvt_u32_f32_e32 v6, v6
	v_readfirstlane_b32 s30, v7
	v_readfirstlane_b32 s10, v6
	s_mul_i32 s11, s28, s30
	s_mul_hi_u32 s34, s28, s10
	s_mul_i32 s31, s29, s10
	s_add_i32 s11, s34, s11
	s_mul_i32 s35, s28, s10
	s_add_i32 s11, s11, s31
	s_mul_hi_u32 s34, s10, s35
	s_mul_i32 s36, s10, s11
	s_mul_hi_u32 s31, s10, s11
	s_add_u32 s34, s34, s36
	s_addc_u32 s31, 0, s31
	s_mul_hi_u32 s37, s30, s35
	s_mul_i32 s35, s30, s35
	s_add_u32 s34, s34, s35
	s_mul_hi_u32 s36, s30, s11
	s_addc_u32 s31, s31, s37
	s_addc_u32 s34, s36, 0
	s_mul_i32 s11, s30, s11
	s_add_u32 s11, s31, s11
	s_addc_u32 s31, 0, s34
	s_add_u32 s34, s10, s11
	s_cselect_b64 s[10:11], -1, 0
	s_cmp_lg_u64 s[10:11], 0
	s_addc_u32 s30, s30, s31
	s_mul_i32 s10, s28, s30
	s_mul_hi_u32 s11, s28, s34
	s_add_i32 s10, s11, s10
	s_mul_i32 s29, s29, s34
	s_add_i32 s10, s10, s29
	s_mul_i32 s28, s28, s34
	s_mul_hi_u32 s29, s30, s28
	s_mul_i32 s31, s30, s28
	s_mul_i32 s36, s34, s10
	s_mul_hi_u32 s28, s34, s28
	s_mul_hi_u32 s35, s34, s10
	s_add_u32 s28, s28, s36
	s_addc_u32 s35, 0, s35
	s_add_u32 s28, s28, s31
	s_mul_hi_u32 s11, s30, s10
	s_addc_u32 s28, s35, s29
	s_addc_u32 s11, s11, 0
	s_mul_i32 s10, s30, s10
	s_add_u32 s10, s28, s10
	s_addc_u32 s28, 0, s11
	s_add_u32 s29, s34, s10
	s_cselect_b64 s[10:11], -1, 0
	s_cmp_lg_u64 s[10:11], 0
	s_addc_u32 s10, s30, s28
	v_readlane_b32 s34, v63, 21
	s_mul_i32 s28, s34, s10
	s_mul_hi_u32 s30, s34, s29
	s_mul_hi_u32 s11, s34, s10
	s_add_u32 s28, s30, s28
	s_addc_u32 s11, 0, s11
	s_mul_hi_u32 s31, s83, s29
	s_mul_i32 s29, s83, s29
	s_add_u32 s28, s28, s29
	s_mul_hi_u32 s30, s83, s10
	s_addc_u32 s11, s11, s31
	s_addc_u32 s28, s30, 0
	s_mul_i32 s10, s83, s10
	s_add_u32 s10, s11, s10
	s_addc_u32 s11, 0, s28
	s_mul_i32 s11, s70, s11
	s_mul_hi_u32 s28, s70, s10
	s_add_i32 s28, s28, s11
	s_mul_i32 s10, s70, s10
	s_sub_u32 s29, s34, s10
	s_cselect_b64 s[10:11], -1, 0
	s_cmp_lg_u64 s[10:11], 0
	s_subb_u32 s28, s83, s28
	s_sub_u32 s30, s29, s70
	s_cselect_b64 s[10:11], -1, 0
	s_cmp_lg_u64 s[10:11], 0
	s_subb_u32 s31, s28, 0
	;; [unrolled: 4-line block ×3, first 2 shown]
	s_cmp_ge_u32 s30, s70
	s_cselect_b32 s11, -1, 0
	s_cmp_eq_u32 s31, 0
	s_cselect_b32 s11, s11, -1
	s_cmp_lg_u32 s11, 0
	s_cselect_b32 s10, s10, s31
	s_cselect_b32 s30, s34, s30
	s_cmp_ge_u32 s29, s70
	s_cselect_b32 s11, -1, 0
	s_cmp_eq_u32 s28, 0
	s_cselect_b32 s11, s11, -1
	s_cmp_lg_u32 s11, 0
	s_cselect_b32 s11, s10, s28
	s_cselect_b32 s10, s30, s29
	s_cbranch_execnz .LBB84_195
.LBB84_194:                             ;   in Loop: Header=BB84_9 Depth=1
	v_cvt_f32_u32_e32 v6, s70
	s_sub_i32 s10, 0, s70
	v_readlane_b32 s28, v63, 21
	v_rcp_iflag_f32_e32 v6, v6
	s_nop 0
	v_mul_f32_e32 v6, 0x4f7ffffe, v6
	v_cvt_u32_f32_e32 v6, v6
	s_nop 0
	v_readfirstlane_b32 s11, v6
	s_mul_i32 s10, s10, s11
	s_mul_hi_u32 s10, s11, s10
	s_add_i32 s11, s11, s10
	s_mul_hi_u32 s10, s28, s11
	s_mul_i32 s10, s10, s70
	s_sub_i32 s10, s28, s10
	s_sub_i32 s11, s10, s70
	s_cmp_ge_u32 s10, s70
	s_cselect_b32 s10, s11, s10
	s_sub_i32 s11, s10, s70
	s_cmp_ge_u32 s10, s70
	s_cselect_b32 s74, s11, s10
	s_mov_b64 s[10:11], s[74:75]
.LBB84_195:                             ;   in Loop: Header=BB84_9 Depth=1
	v_readlane_b32 s28, v63, 21
	s_sub_u32 s28, s28, s10
	s_subb_u32 s29, s83, s11
	v_cmp_gt_u64_e32 vcc, s[28:29], v[0:1]
                                        ; implicit-def: $vgpr42
	s_and_saveexec_b64 s[10:11], vcc
	s_cbranch_execz .LBB84_204
; %bb.196:                              ;   in Loop: Header=BB84_9 Depth=1
	s_mov_b64 s[30:31], 0
	v_mov_b64_e32 v[6:7], v[12:13]
	v_mov_b64_e32 v[8:9], v[0:1]
                                        ; implicit-def: $sgpr34_sgpr35
	s_branch .LBB84_199
.LBB84_197:                             ;   in Loop: Header=BB84_199 Depth=2
	s_or_b64 exec, exec, s[36:37]
	s_waitcnt lgkmcnt(0)
	s_barrier
	ds_read_u16 v10, v3 offset:3072
	s_mov_b64 s[36:37], -1
	s_waitcnt lgkmcnt(0)
	s_barrier
	v_cmp_eq_u32_sdwa s[40:41], v10, v3 src0_sel:BYTE_0 src1_sel:DWORD
	s_and_b64 vcc, exec, s[40:41]
	s_mov_b64 s[40:41], -1
	s_cbranch_vccnz .LBB84_202
.LBB84_198:                             ;   in Loop: Header=BB84_199 Depth=2
	s_and_b64 s[36:37], exec, s[36:37]
	s_or_b64 s[30:31], s[36:37], s[30:31]
	s_andn2_b64 s[34:35], s[34:35], exec
	s_and_b64 s[36:37], s[40:41], exec
	s_or_b64 s[34:35], s[34:35], s[36:37]
	s_andn2_b64 exec, exec, s[30:31]
	s_cbranch_execz .LBB84_203
.LBB84_199:                             ;   Parent Loop BB84_9 Depth=1
                                        ; =>  This Inner Loop Header: Depth=2
	v_cmp_gt_u64_e32 vcc, s[56:57], v[8:9]
	s_and_saveexec_b64 s[36:37], vcc
	s_cbranch_execz .LBB84_197
; %bb.200:                              ;   in Loop: Header=BB84_199 Depth=2
	global_load_ubyte v10, v[6:7], off
	s_waitcnt vmcnt(0)
	v_add_u32_sdwa v11, sext(v10), s85 dst_sel:DWORD dst_unused:UNUSED_PAD src0_sel:BYTE_0 src1_sel:DWORD
	v_and_b32_e32 v11, v11, v41
	v_cmp_eq_u32_e32 vcc, v11, v38
	s_and_b64 exec, exec, vcc
	s_cbranch_execz .LBB84_197
; %bb.201:                              ;   in Loop: Header=BB84_199 Depth=2
	v_lshlrev_b16_e32 v10, 8, v10
	v_or_b32_e32 v10, 1, v10
	ds_write_b16 v3, v10 offset:3072
	s_branch .LBB84_197
.LBB84_202:                             ;   in Loop: Header=BB84_199 Depth=2
	v_lshl_add_u64 v[8:9], v[8:9], 0, s[70:71]
	v_cmp_le_u64_e32 vcc, s[28:29], v[8:9]
	v_lshl_add_u64 v[6:7], v[6:7], 0, s[78:79]
	s_mov_b64 s[40:41], 0
	s_orn2_b64 s[36:37], vcc, exec
	s_branch .LBB84_198
.LBB84_203:                             ;   in Loop: Header=BB84_9 Depth=1
	s_or_b64 exec, exec, s[30:31]
	s_andn2_b64 s[8:9], s[8:9], exec
	s_and_b64 s[28:29], s[34:35], exec
	v_lshrrev_b32_sdwa v42, v40, v10 dst_sel:DWORD dst_unused:UNUSED_PAD src0_sel:DWORD src1_sel:WORD_0
	s_or_b64 s[8:9], s[8:9], s[28:29]
.LBB84_204:                             ;   in Loop: Header=BB84_9 Depth=1
	s_or_b64 exec, exec, s[10:11]
	s_mov_b64 s[28:29], 0
	s_mov_b64 s[36:37], -1
.LBB84_205:                             ;   in Loop: Header=BB84_9 Depth=1
	s_orn2_b64 s[8:9], s[8:9], exec
.LBB84_206:                             ;   in Loop: Header=BB84_9 Depth=1
	s_or_b64 exec, exec, s[38:39]
	s_mov_b64 s[10:11], 0
	s_and_saveexec_b64 s[38:39], s[8:9]
	s_cbranch_execz .LBB84_264
; %bb.207:                              ;   in Loop: Header=BB84_9 Depth=1
	s_xor_b64 s[10:11], s[12:13], -1
	v_mov_b32_e32 v2, 1
	s_mov_b64 s[30:31], 0
	v_mov_b64_e32 v[6:7], 1
	s_and_saveexec_b64 s[8:9], s[10:11]
	s_cbranch_execz .LBB84_216
; %bb.208:                              ;   in Loop: Header=BB84_9 Depth=1
	v_cmp_ge_u64_e32 vcc, s[20:21], v[4:5]
	s_and_saveexec_b64 s[10:11], vcc
	s_xor_b64 s[10:11], exec, s[10:11]
	s_cbranch_execz .LBB84_213
; %bb.209:                              ;   in Loop: Header=BB84_9 Depth=1
	ds_read_b64 v[6:7], v3 offset:5120
	v_and_b32_e32 v2, s48, v38
	v_lshl_or_b32 v38, 2, s84, v2
	v_or_b32_e32 v41, s54, v41
	s_waitcnt lgkmcnt(0)
	v_cmp_ne_u64_e32 vcc, 0, v[6:7]
	s_cbranch_vccnz .LBB84_213
; %bb.210:                              ;   in Loop: Header=BB84_9 Depth=1
	s_mov_b64 s[12:13], exec
	v_readlane_b32 s30, v63, 0
	v_readlane_b32 s31, v63, 1
	s_and_b64 s[30:31], s[12:13], s[30:31]
	s_mov_b64 exec, s[30:31]
; %bb.211:                              ;   in Loop: Header=BB84_9 Depth=1
	v_mov_b64_e32 v[6:7], s[20:21]
	ds_write_b64 v3, v[6:7] offset:5128
; %bb.212:                              ;   in Loop: Header=BB84_9 Depth=1
	s_or_b64 exec, exec, s[12:13]
	s_waitcnt lgkmcnt(0)
	s_barrier
.LBB84_213:                             ;   in Loop: Header=BB84_9 Depth=1
	s_or_saveexec_b64 s[10:11], s[10:11]
	s_mov_b64 s[12:13], 0
	v_mov_b32_e32 v2, 8
	s_xor_b64 exec, exec, s[10:11]
; %bb.214:                              ;   in Loop: Header=BB84_9 Depth=1
	v_mov_b32_e32 v2, s21
	v_subrev_co_u32_e32 v4, vcc, s20, v4
	s_mov_b64 s[12:13], exec
	s_nop 0
	v_subb_co_u32_e32 v5, vcc, v5, v2, vcc
	v_mov_b32_e32 v2, 0
; %bb.215:                              ;   in Loop: Header=BB84_9 Depth=1
	s_or_b64 exec, exec, s[10:11]
	s_and_b64 s[30:31], s[12:13], exec
	v_mov_b64_e32 v[6:7], v[4:5]
.LBB84_216:                             ;   in Loop: Header=BB84_9 Depth=1
	s_or_b64 exec, exec, s[8:9]
	s_mov_b64 s[8:9], -1
                                        ; implicit-def: $sgpr34_sgpr35
                                        ; implicit-def: $sgpr10_sgpr11
	s_and_saveexec_b64 s[12:13], s[30:31]
	s_cbranch_execz .LBB84_263
; %bb.217:                              ;   in Loop: Header=BB84_9 Depth=1
	s_cmp_eq_u64 s[2:3], 1
	s_cselect_b64 s[8:9], -1, 0
	v_cmp_eq_u64_e32 vcc, 1, v[6:7]
	s_and_b64 s[20:21], s[8:9], vcc
	s_mov_b64 s[30:31], -1
                                        ; implicit-def: $sgpr34_sgpr35
                                        ; implicit-def: $sgpr10_sgpr11
	s_and_saveexec_b64 s[40:41], s[20:21]
	s_cbranch_execz .LBB84_251
; %bb.218:                              ;   in Loop: Header=BB84_9 Depth=1
	ds_read_b64 v[4:5], v3 offset:5120
	s_waitcnt lgkmcnt(0)
	s_barrier
	v_readfirstlane_b32 s30, v4
	v_readfirstlane_b32 s31, v5
	s_mov_b64 s[8:9], exec
	v_readlane_b32 s10, v63, 14
	v_readlane_b32 s11, v63, 15
	s_and_b64 s[10:11], s[8:9], s[10:11]
	s_mov_b64 exec, s[10:11]
; %bb.219:                              ;   in Loop: Header=BB84_9 Depth=1
	ds_write_b8 v0, v3 offset:3072
; %bb.220:                              ;   in Loop: Header=BB84_9 Depth=1
	s_or_b64 exec, exec, s[8:9]
	v_or_b32_e32 v38, s54, v38
	v_or_b32_e32 v41, s54, v41
	s_mov_b64 s[10:11], -1
	s_mov_b64 s[34:35], 0
	s_cmp_eq_u64 s[30:31], 0
	s_mov_b64 s[8:9], 0
	s_mov_b64 s[42:43], -1
	s_waitcnt lgkmcnt(0)
	s_barrier
                                        ; implicit-def: $vgpr42
	s_cbranch_scc1 .LBB84_236
; %bb.221:                              ;   in Loop: Header=BB84_9 Depth=1
	v_readlane_b32 s8, v63, 20
	s_add_u32 s46, s30, s8
	v_readlane_b32 s8, v63, 22
	s_addc_u32 s9, s31, s8
	s_mov_b32 s8, s75
	s_cmp_lg_u64 s[8:9], 0
	s_cbranch_scc0 .LBB84_270
; %bb.222:                              ;   in Loop: Header=BB84_9 Depth=1
	v_cvt_f32_u32_e32 v4, s70
	s_sub_u32 s8, 0, s70
	s_subb_u32 s44, 0, 0
	v_fmac_f32_e32 v4, 0, v39
	v_rcp_f32_e32 v4, v4
	s_nop 0
	v_mul_f32_e32 v4, 0x5f7ffffc, v4
	v_mul_f32_e32 v5, 0x2f800000, v4
	v_trunc_f32_e32 v5, v5
	v_fmac_f32_e32 v4, 0xcf800000, v5
	v_cvt_u32_f32_e32 v5, v5
	v_cvt_u32_f32_e32 v4, v4
	v_readfirstlane_b32 s45, v5
	v_readfirstlane_b32 s42, v4
	s_mul_i32 s43, s8, s45
	s_mul_hi_u32 s48, s8, s42
	s_mul_i32 s47, s44, s42
	s_add_i32 s43, s48, s43
	s_mul_i32 s49, s8, s42
	s_add_i32 s43, s43, s47
	s_mul_hi_u32 s48, s42, s49
	s_mul_i32 s50, s42, s43
	s_mul_hi_u32 s47, s42, s43
	s_add_u32 s48, s48, s50
	s_addc_u32 s47, 0, s47
	s_mul_hi_u32 s51, s45, s49
	s_mul_i32 s49, s45, s49
	s_add_u32 s48, s48, s49
	s_mul_hi_u32 s50, s45, s43
	s_addc_u32 s47, s47, s51
	s_addc_u32 s48, s50, 0
	s_mul_i32 s43, s45, s43
	s_add_u32 s43, s47, s43
	s_addc_u32 s47, 0, s48
	s_add_u32 s48, s42, s43
	s_cselect_b64 s[42:43], -1, 0
	s_cmp_lg_u64 s[42:43], 0
	s_addc_u32 s45, s45, s47
	s_mul_i32 s42, s8, s45
	s_mul_hi_u32 s43, s8, s48
	s_add_i32 s42, s43, s42
	s_mul_i32 s44, s44, s48
	s_add_i32 s42, s42, s44
	s_mul_i32 s8, s8, s48
	s_mul_hi_u32 s44, s45, s8
	s_mul_i32 s47, s45, s8
	s_mul_i32 s50, s48, s42
	s_mul_hi_u32 s8, s48, s8
	s_mul_hi_u32 s49, s48, s42
	s_add_u32 s8, s8, s50
	s_addc_u32 s49, 0, s49
	s_add_u32 s8, s8, s47
	s_mul_hi_u32 s43, s45, s42
	s_addc_u32 s8, s49, s44
	s_addc_u32 s43, s43, 0
	s_mul_i32 s42, s45, s42
	s_add_u32 s8, s8, s42
	s_addc_u32 s44, 0, s43
	s_add_u32 s8, s48, s8
	s_cselect_b64 s[42:43], -1, 0
	s_cmp_lg_u64 s[42:43], 0
	s_addc_u32 s42, s45, s44
	s_mul_i32 s44, s46, s42
	s_mul_hi_u32 s45, s46, s8
	s_mul_hi_u32 s43, s46, s42
	s_add_u32 s44, s45, s44
	s_addc_u32 s43, 0, s43
	s_mul_hi_u32 s47, s9, s8
	s_mul_i32 s8, s9, s8
	s_add_u32 s8, s44, s8
	s_mul_hi_u32 s45, s9, s42
	s_addc_u32 s8, s43, s47
	s_addc_u32 s43, s45, 0
	s_mul_i32 s42, s9, s42
	s_add_u32 s8, s8, s42
	s_addc_u32 s42, 0, s43
	s_mul_i32 s42, s70, s42
	s_mul_hi_u32 s43, s70, s8
	s_add_i32 s44, s43, s42
	s_mul_i32 s8, s70, s8
	s_sub_u32 s8, s46, s8
	s_cselect_b64 s[42:43], -1, 0
	s_cmp_lg_u64 s[42:43], 0
	s_subb_u32 s44, s9, s44
	s_sub_u32 s45, s8, s70
	s_cselect_b64 s[42:43], -1, 0
	s_cmp_lg_u64 s[42:43], 0
	s_subb_u32 s47, s44, 0
	;; [unrolled: 4-line block ×3, first 2 shown]
	s_cmp_ge_u32 s45, s70
	s_cselect_b32 s43, -1, 0
	s_cmp_eq_u32 s47, 0
	s_cselect_b32 s43, s43, -1
	s_cmp_lg_u32 s43, 0
	s_cselect_b32 s42, s42, s47
	s_cselect_b32 s45, s48, s45
	s_cmp_ge_u32 s8, s70
	s_cselect_b32 s43, -1, 0
	s_cmp_eq_u32 s44, 0
	s_cselect_b32 s43, s43, -1
	s_cmp_lg_u32 s43, 0
	s_cselect_b32 s43, s42, s44
	s_cselect_b32 s42, s45, s8
	s_cbranch_execnz .LBB84_224
.LBB84_223:                             ;   in Loop: Header=BB84_9 Depth=1
	v_cvt_f32_u32_e32 v4, s70
	s_sub_i32 s8, 0, s70
	v_rcp_iflag_f32_e32 v4, v4
	s_nop 0
	v_mul_f32_e32 v4, 0x4f7ffffe, v4
	v_cvt_u32_f32_e32 v4, v4
	s_nop 0
	v_readfirstlane_b32 s42, v4
	s_mul_i32 s8, s8, s42
	s_mul_hi_u32 s8, s42, s8
	s_add_i32 s42, s42, s8
	s_mul_hi_u32 s8, s46, s42
	s_mul_i32 s8, s8, s70
	s_sub_i32 s8, s46, s8
	s_sub_i32 s42, s8, s70
	s_cmp_ge_u32 s8, s70
	s_cselect_b32 s8, s42, s8
	s_sub_i32 s42, s8, s70
	s_cmp_ge_u32 s8, s70
	s_cselect_b32 s74, s42, s8
	s_mov_b64 s[42:43], s[74:75]
.LBB84_224:                             ;   in Loop: Header=BB84_9 Depth=1
	s_sub_u32 s46, s46, s42
	s_subb_u32 s47, s9, s43
	v_cmp_gt_u64_e32 vcc, s[46:47], v[0:1]
	s_mov_b64 s[42:43], 0
	s_mov_b64 s[8:9], 0
                                        ; implicit-def: $vgpr42
	s_and_saveexec_b64 s[44:45], vcc
	s_cbranch_execz .LBB84_235
; %bb.225:                              ;   in Loop: Header=BB84_9 Depth=1
	v_mov_b32_e32 v8, v0
	v_mov_b64_e32 v[4:5], v[0:1]
                                        ; implicit-def: $sgpr48_sgpr49
	s_branch .LBB84_228
.LBB84_226:                             ;   in Loop: Header=BB84_228 Depth=2
	s_or_b64 exec, exec, s[50:51]
	s_waitcnt lgkmcnt(0)
	s_barrier
	ds_read_u16 v9, v3 offset:3072
	s_mov_b64 s[50:51], -1
	s_waitcnt lgkmcnt(0)
	s_barrier
	v_cmp_ne_u32_sdwa s[52:53], v9, v3 src0_sel:BYTE_0 src1_sel:DWORD
	s_and_b64 vcc, exec, s[52:53]
	s_mov_b64 s[52:53], -1
	s_cbranch_vccz .LBB84_231
.LBB84_227:                             ;   in Loop: Header=BB84_228 Depth=2
	s_and_b64 s[50:51], exec, s[50:51]
	s_or_b64 s[8:9], s[50:51], s[8:9]
	s_andn2_b64 s[48:49], s[48:49], exec
	s_and_b64 s[50:51], s[52:53], exec
	s_or_b64 s[48:49], s[48:49], s[50:51]
	s_andn2_b64 exec, exec, s[8:9]
	s_cbranch_execz .LBB84_234
.LBB84_228:                             ;   Parent Loop BB84_9 Depth=1
                                        ; =>  This Inner Loop Header: Depth=2
	v_cmp_gt_u64_e32 vcc, s[30:31], v[4:5]
	s_and_saveexec_b64 s[50:51], vcc
	s_cbranch_execz .LBB84_226
; %bb.229:                              ;   in Loop: Header=BB84_228 Depth=2
	ds_read_u8 v9, v8
	s_waitcnt lgkmcnt(0)
	v_add_u32_sdwa v10, sext(v9), s85 dst_sel:DWORD dst_unused:UNUSED_PAD src0_sel:BYTE_0 src1_sel:DWORD
	v_and_b32_e32 v10, v10, v41
	v_cmp_eq_u32_e32 vcc, v10, v38
	s_and_b64 exec, exec, vcc
	s_cbranch_execz .LBB84_226
; %bb.230:                              ;   in Loop: Header=BB84_228 Depth=2
	v_lshlrev_b16_e32 v9, 8, v9
	v_or_b32_e32 v9, 1, v9
	ds_write_b16 v3, v9 offset:3072
	s_branch .LBB84_226
.LBB84_231:                             ;   in Loop: Header=BB84_228 Depth=2
	v_lshl_add_u64 v[4:5], v[4:5], 0, s[70:71]
	v_cmp_le_u64_e32 vcc, s[46:47], v[4:5]
	v_add_u32_e32 v8, s70, v8
	s_mov_b64 s[52:53], 0
	s_orn2_b64 s[50:51], vcc, exec
	s_branch .LBB84_227
.LBB84_232:                             ;   in Loop: Header=BB84_9 Depth=1
                                        ; implicit-def: $sgpr30_sgpr31
	s_branch .LBB84_178
.LBB84_233:                             ;   in Loop: Header=BB84_9 Depth=1
                                        ; implicit-def: $sgpr10_sgpr11
	s_branch .LBB84_194
.LBB84_234:                             ;   in Loop: Header=BB84_9 Depth=1
	s_or_b64 exec, exec, s[8:9]
	v_lshrrev_b32_sdwa v42, v40, v9 dst_sel:DWORD dst_unused:UNUSED_PAD src0_sel:DWORD src1_sel:WORD_0
	s_and_b64 s[8:9], s[48:49], exec
	s_mov_b32 s52, 0xc0c0004
.LBB84_235:                             ;   in Loop: Header=BB84_9 Depth=1
	s_or_b64 exec, exec, s[44:45]
.LBB84_236:                             ;   in Loop: Header=BB84_9 Depth=1
	s_and_b64 vcc, exec, s[42:43]
	s_cbranch_vccz .LBB84_250
; %bb.237:                              ;   in Loop: Header=BB84_9 Depth=1
	s_mov_b32 s82, s75
	s_cmp_lg_u64 s[82:83], 0
	s_cbranch_scc0 .LBB84_271
; %bb.238:                              ;   in Loop: Header=BB84_9 Depth=1
	v_cvt_f32_u32_e32 v4, s70
	s_sub_u32 s30, 0, s70
	s_subb_u32 s31, 0, 0
	v_fmac_f32_e32 v4, 0, v39
	v_rcp_f32_e32 v4, v4
	s_nop 0
	v_mul_f32_e32 v4, 0x5f7ffffc, v4
	v_mul_f32_e32 v5, 0x2f800000, v4
	v_trunc_f32_e32 v5, v5
	v_fmac_f32_e32 v4, 0xcf800000, v5
	v_cvt_u32_f32_e32 v5, v5
	v_cvt_u32_f32_e32 v4, v4
	v_readfirstlane_b32 s34, v5
	v_readfirstlane_b32 s10, v4
	s_mul_i32 s11, s30, s34
	s_mul_hi_u32 s42, s30, s10
	s_mul_i32 s35, s31, s10
	s_add_i32 s11, s42, s11
	s_mul_i32 s43, s30, s10
	s_add_i32 s11, s11, s35
	s_mul_hi_u32 s42, s10, s43
	s_mul_i32 s44, s10, s11
	s_mul_hi_u32 s35, s10, s11
	s_add_u32 s42, s42, s44
	s_addc_u32 s35, 0, s35
	s_mul_hi_u32 s45, s34, s43
	s_mul_i32 s43, s34, s43
	s_add_u32 s42, s42, s43
	s_mul_hi_u32 s44, s34, s11
	s_addc_u32 s35, s35, s45
	s_addc_u32 s42, s44, 0
	s_mul_i32 s11, s34, s11
	s_add_u32 s11, s35, s11
	s_addc_u32 s35, 0, s42
	s_add_u32 s42, s10, s11
	s_cselect_b64 s[10:11], -1, 0
	s_cmp_lg_u64 s[10:11], 0
	s_addc_u32 s34, s34, s35
	s_mul_i32 s10, s30, s34
	s_mul_hi_u32 s11, s30, s42
	s_add_i32 s10, s11, s10
	s_mul_i32 s31, s31, s42
	s_add_i32 s10, s10, s31
	s_mul_i32 s30, s30, s42
	s_mul_hi_u32 s31, s34, s30
	s_mul_i32 s35, s34, s30
	s_mul_i32 s44, s42, s10
	s_mul_hi_u32 s30, s42, s30
	s_mul_hi_u32 s43, s42, s10
	s_add_u32 s30, s30, s44
	s_addc_u32 s43, 0, s43
	s_add_u32 s30, s30, s35
	s_mul_hi_u32 s11, s34, s10
	s_addc_u32 s30, s43, s31
	s_addc_u32 s11, s11, 0
	s_mul_i32 s10, s34, s10
	s_add_u32 s10, s30, s10
	s_addc_u32 s30, 0, s11
	s_add_u32 s31, s42, s10
	s_cselect_b64 s[10:11], -1, 0
	s_cmp_lg_u64 s[10:11], 0
	s_addc_u32 s10, s34, s30
	v_readlane_b32 s42, v63, 21
	s_mul_i32 s30, s42, s10
	s_mul_hi_u32 s34, s42, s31
	s_mul_hi_u32 s11, s42, s10
	s_add_u32 s30, s34, s30
	s_addc_u32 s11, 0, s11
	s_mul_hi_u32 s35, s83, s31
	s_mul_i32 s31, s83, s31
	s_add_u32 s30, s30, s31
	s_mul_hi_u32 s34, s83, s10
	s_addc_u32 s11, s11, s35
	s_addc_u32 s30, s34, 0
	s_mul_i32 s10, s83, s10
	s_add_u32 s10, s11, s10
	s_addc_u32 s11, 0, s30
	s_mul_i32 s11, s70, s11
	s_mul_hi_u32 s30, s70, s10
	s_add_i32 s30, s30, s11
	s_mul_i32 s10, s70, s10
	s_sub_u32 s31, s42, s10
	s_cselect_b64 s[10:11], -1, 0
	s_cmp_lg_u64 s[10:11], 0
	s_subb_u32 s30, s83, s30
	s_sub_u32 s34, s31, s70
	s_cselect_b64 s[10:11], -1, 0
	s_cmp_lg_u64 s[10:11], 0
	s_subb_u32 s35, s30, 0
	;; [unrolled: 4-line block ×3, first 2 shown]
	s_cmp_ge_u32 s34, s70
	s_cselect_b32 s11, -1, 0
	s_cmp_eq_u32 s35, 0
	s_cselect_b32 s11, s11, -1
	s_cmp_lg_u32 s11, 0
	s_cselect_b32 s10, s10, s35
	s_cselect_b32 s34, s42, s34
	s_cmp_ge_u32 s31, s70
	s_cselect_b32 s11, -1, 0
	s_cmp_eq_u32 s30, 0
	s_cselect_b32 s11, s11, -1
	s_cmp_lg_u32 s11, 0
	s_cselect_b32 s11, s10, s30
	s_cselect_b32 s10, s34, s31
	s_cbranch_execnz .LBB84_240
.LBB84_239:                             ;   in Loop: Header=BB84_9 Depth=1
	v_cvt_f32_u32_e32 v4, s70
	s_sub_i32 s10, 0, s70
	v_readlane_b32 s30, v63, 21
	v_rcp_iflag_f32_e32 v4, v4
	s_nop 0
	v_mul_f32_e32 v4, 0x4f7ffffe, v4
	v_cvt_u32_f32_e32 v4, v4
	s_nop 0
	v_readfirstlane_b32 s11, v4
	s_mul_i32 s10, s10, s11
	s_mul_hi_u32 s10, s11, s10
	s_add_i32 s11, s11, s10
	s_mul_hi_u32 s10, s30, s11
	s_mul_i32 s10, s10, s70
	s_sub_i32 s10, s30, s10
	s_sub_i32 s11, s10, s70
	s_cmp_ge_u32 s10, s70
	s_cselect_b32 s10, s11, s10
	s_sub_i32 s11, s10, s70
	s_cmp_ge_u32 s10, s70
	s_cselect_b32 s74, s11, s10
	s_mov_b64 s[10:11], s[74:75]
.LBB84_240:                             ;   in Loop: Header=BB84_9 Depth=1
	v_readlane_b32 s30, v63, 21
	s_sub_u32 s30, s30, s10
	s_subb_u32 s31, s83, s11
	v_cmp_gt_u64_e32 vcc, s[30:31], v[0:1]
                                        ; implicit-def: $vgpr42
	s_and_saveexec_b64 s[10:11], vcc
	s_cbranch_execz .LBB84_249
; %bb.241:                              ;   in Loop: Header=BB84_9 Depth=1
	s_mov_b64 s[34:35], 0
	v_mov_b64_e32 v[4:5], v[12:13]
	v_mov_b64_e32 v[8:9], v[0:1]
                                        ; implicit-def: $sgpr42_sgpr43
	s_branch .LBB84_244
.LBB84_242:                             ;   in Loop: Header=BB84_244 Depth=2
	s_or_b64 exec, exec, s[44:45]
	s_waitcnt lgkmcnt(0)
	s_barrier
	ds_read_u16 v10, v3 offset:3072
	s_mov_b64 s[44:45], -1
	s_waitcnt lgkmcnt(0)
	s_barrier
	v_cmp_eq_u32_sdwa s[46:47], v10, v3 src0_sel:BYTE_0 src1_sel:DWORD
	s_and_b64 vcc, exec, s[46:47]
	s_mov_b64 s[46:47], -1
	s_cbranch_vccnz .LBB84_247
.LBB84_243:                             ;   in Loop: Header=BB84_244 Depth=2
	s_and_b64 s[44:45], exec, s[44:45]
	s_or_b64 s[34:35], s[44:45], s[34:35]
	s_andn2_b64 s[42:43], s[42:43], exec
	s_and_b64 s[44:45], s[46:47], exec
	s_or_b64 s[42:43], s[42:43], s[44:45]
	s_andn2_b64 exec, exec, s[34:35]
	s_cbranch_execz .LBB84_248
.LBB84_244:                             ;   Parent Loop BB84_9 Depth=1
                                        ; =>  This Inner Loop Header: Depth=2
	v_cmp_gt_u64_e32 vcc, s[56:57], v[8:9]
	s_and_saveexec_b64 s[44:45], vcc
	s_cbranch_execz .LBB84_242
; %bb.245:                              ;   in Loop: Header=BB84_244 Depth=2
	global_load_ubyte v10, v[4:5], off
	s_waitcnt vmcnt(0)
	v_add_u32_sdwa v11, sext(v10), s85 dst_sel:DWORD dst_unused:UNUSED_PAD src0_sel:BYTE_0 src1_sel:DWORD
	v_and_b32_e32 v11, v11, v41
	v_cmp_eq_u32_e32 vcc, v11, v38
	s_and_b64 exec, exec, vcc
	s_cbranch_execz .LBB84_242
; %bb.246:                              ;   in Loop: Header=BB84_244 Depth=2
	v_lshlrev_b16_e32 v10, 8, v10
	v_or_b32_e32 v10, 1, v10
	ds_write_b16 v3, v10 offset:3072
	s_branch .LBB84_242
.LBB84_247:                             ;   in Loop: Header=BB84_244 Depth=2
	v_lshl_add_u64 v[8:9], v[8:9], 0, s[70:71]
	v_cmp_le_u64_e32 vcc, s[30:31], v[8:9]
	v_lshl_add_u64 v[4:5], v[4:5], 0, s[78:79]
	s_mov_b64 s[46:47], 0
	s_orn2_b64 s[44:45], vcc, exec
	s_branch .LBB84_243
.LBB84_248:                             ;   in Loop: Header=BB84_9 Depth=1
	s_or_b64 exec, exec, s[34:35]
	s_andn2_b64 s[8:9], s[8:9], exec
	s_and_b64 s[30:31], s[42:43], exec
	v_lshrrev_b32_sdwa v42, v40, v10 dst_sel:DWORD dst_unused:UNUSED_PAD src0_sel:DWORD src1_sel:WORD_0
	s_or_b64 s[8:9], s[8:9], s[30:31]
.LBB84_249:                             ;   in Loop: Header=BB84_9 Depth=1
	s_or_b64 exec, exec, s[10:11]
	s_mov_b64 s[10:11], 0
	s_mov_b64 s[34:35], -1
.LBB84_250:                             ;   in Loop: Header=BB84_9 Depth=1
	s_orn2_b64 s[30:31], s[8:9], exec
.LBB84_251:                             ;   in Loop: Header=BB84_9 Depth=1
	s_or_b64 exec, exec, s[40:41]
	s_mov_b64 s[40:41], 0
	s_and_saveexec_b64 s[8:9], s[30:31]
	s_cbranch_execz .LBB84_262
; %bb.252:                              ;   in Loop: Header=BB84_9 Depth=1
	s_xor_b64 s[30:31], s[20:21], -1
	v_mov_b64_e32 v[4:5], 1
	v_mov_b32_e32 v2, 1
	s_and_saveexec_b64 s[20:21], s[30:31]
	s_cbranch_execz .LBB84_261
; %bb.253:                              ;   in Loop: Header=BB84_9 Depth=1
	v_cmp_ge_u64_e32 vcc, s[2:3], v[6:7]
	s_and_saveexec_b64 s[30:31], vcc
	s_xor_b64 s[30:31], exec, s[30:31]
	s_cbranch_execz .LBB84_258
; %bb.254:                              ;   in Loop: Header=BB84_9 Depth=1
	ds_read_b64 v[4:5], v3 offset:5120
	v_or_b32_e32 v38, s54, v38
	v_or_b32_e32 v41, s54, v41
	s_waitcnt lgkmcnt(0)
	v_cmp_ne_u64_e32 vcc, 0, v[4:5]
	s_cbranch_vccnz .LBB84_258
; %bb.255:                              ;   in Loop: Header=BB84_9 Depth=1
	s_mov_b64 s[40:41], exec
	v_readlane_b32 s42, v63, 0
	v_readlane_b32 s43, v63, 1
	s_and_b64 s[42:43], s[40:41], s[42:43]
	s_mov_b64 exec, s[42:43]
; %bb.256:                              ;   in Loop: Header=BB84_9 Depth=1
	v_mov_b64_e32 v[4:5], s[2:3]
	ds_write_b64 v3, v[4:5] offset:5128
; %bb.257:                              ;   in Loop: Header=BB84_9 Depth=1
	s_or_b64 exec, exec, s[40:41]
	s_waitcnt lgkmcnt(0)
	s_barrier
.LBB84_258:                             ;   in Loop: Header=BB84_9 Depth=1
	s_andn2_saveexec_b64 s[30:31], s[30:31]
; %bb.259:                              ;   in Loop: Header=BB84_9 Depth=1
	v_mov_b32_e32 v2, s3
	v_subrev_co_u32_e32 v6, vcc, s2, v6
	s_nop 1
	v_subb_co_u32_e32 v7, vcc, v7, v2, vcc
; %bb.260:                              ;   in Loop: Header=BB84_9 Depth=1
	s_or_b64 exec, exec, s[30:31]
	v_mov_b32_e32 v2, 8
	v_mov_b64_e32 v[4:5], v[6:7]
.LBB84_261:                             ;   in Loop: Header=BB84_9 Depth=1
	s_or_b64 exec, exec, s[20:21]
	s_mov_b64 s[40:41], exec
	v_mov_b64_e32 v[6:7], v[4:5]
.LBB84_262:                             ;   in Loop: Header=BB84_9 Depth=1
	s_or_b64 exec, exec, s[8:9]
	s_orn2_b64 s[8:9], s[40:41], exec
.LBB84_263:                             ;   in Loop: Header=BB84_9 Depth=1
	s_or_b64 exec, exec, s[12:13]
	s_andn2_b64 s[2:3], s[36:37], exec
	s_and_b64 s[12:13], s[34:35], exec
	s_or_b64 s[36:37], s[2:3], s[12:13]
	s_andn2_b64 s[2:3], s[28:29], exec
	s_and_b64 s[10:11], s[10:11], exec
	s_or_b64 s[28:29], s[2:3], s[10:11]
	s_and_b64 s[10:11], s[8:9], exec
	v_mov_b64_e32 v[4:5], v[6:7]
.LBB84_264:                             ;   in Loop: Header=BB84_9 Depth=1
	s_or_b64 exec, exec, s[38:39]
	s_orn2_b64 s[8:9], s[10:11], exec
.LBB84_265:                             ;   in Loop: Header=BB84_9 Depth=1
	s_or_b64 exec, exec, s[26:27]
	s_andn2_b64 s[2:3], s[22:23], exec
	s_and_b64 s[10:11], s[36:37], exec
	s_or_b64 s[22:23], s[2:3], s[10:11]
	s_andn2_b64 s[0:1], s[0:1], exec
	s_and_b64 s[2:3], s[28:29], exec
	s_or_b64 s[0:1], s[0:1], s[2:3]
	s_and_b64 s[10:11], s[8:9], exec
	v_mov_b64_e32 v[8:9], v[4:5]
.LBB84_266:                             ;   in Loop: Header=BB84_9 Depth=1
	s_or_b64 exec, exec, s[24:25]
	s_orn2_b64 s[8:9], s[10:11], exec
.LBB84_267:                             ;   in Loop: Header=BB84_9 Depth=1
	s_or_b64 exec, exec, s[18:19]
	s_mov_b64 s[10:11], 0
	s_and_saveexec_b64 s[2:3], s[8:9]
	s_xor_b64 s[2:3], exec, s[2:3]
	s_cbranch_execz .LBB84_7
; %bb.268:                              ;   in Loop: Header=BB84_9 Depth=1
	v_and_b32_e32 v2, 7, v2
	v_cmp_eq_u32_e32 vcc, 0, v2
	s_mov_b64 s[8:9], -1
	s_mov_b64 s[10:11], -1
	s_and_saveexec_b64 s[12:13], vcc
	s_cbranch_execz .LBB84_6
; %bb.269:                              ;   in Loop: Header=BB84_9 Depth=1
	s_xor_b32 s33, s33, 1
	s_add_i32 s16, s84, -2
	s_cmp_eq_u32 s84, 0
	s_cselect_b64 s[8:9], -1, 0
	s_xor_b64 s[10:11], exec, -1
	s_orn2_b64 s[8:9], s[8:9], exec
	s_mov_b32 s84, s16
	s_branch .LBB84_6
.LBB84_270:                             ;   in Loop: Header=BB84_9 Depth=1
                                        ; implicit-def: $sgpr42_sgpr43
	s_branch .LBB84_223
.LBB84_271:                             ;   in Loop: Header=BB84_9 Depth=1
                                        ; implicit-def: $sgpr10_sgpr11
	s_branch .LBB84_239
.LBB84_272:
	s_or_b64 exec, exec, s[92:93]
	s_xor_b64 s[6:7], s[98:99], -1
	s_xor_b64 s[0:1], s[94:95], -1
	s_xor_b64 s[4:5], s[96:97], -1
	s_mov_b64 s[2:3], 0
	s_and_saveexec_b64 s[8:9], s[0:1]
	s_xor_b64 s[0:1], exec, s[8:9]
	s_cbranch_execnz .LBB84_277
; %bb.273:
	s_andn2_saveexec_b64 s[0:1], s[0:1]
	s_cbranch_execnz .LBB84_290
.LBB84_274:
	s_or_b64 exec, exec, s[0:1]
	s_and_saveexec_b64 s[0:1], s[2:3]
.LBB84_275:
	; divergent unreachable
.LBB84_276:
	s_endpgm
.LBB84_277:
	s_and_saveexec_b64 s[2:3], s[6:7]
	s_xor_b64 s[2:3], exec, s[2:3]
	s_cbranch_execz .LBB84_288
; %bb.278:
	s_and_saveexec_b64 s[6:7], s[4:5]
	s_xor_b64 s[4:5], exec, s[6:7]
; %bb.279:
	v_xor_b32_e32 v42, 0xffffff80, v38
; %bb.280:
	s_or_b64 exec, exec, s[4:5]
	v_readlane_b32 s6, v63, 6
	v_readlane_b32 s18, v63, 10
	;; [unrolled: 1-line block ×3, first 2 shown]
	s_mul_i32 s4, s7, s18
	s_mul_hi_u32 s5, s6, s18
	s_add_i32 s5, s5, s4
	s_mul_i32 s4, s6, s18
	v_readlane_b32 s6, v63, 8
	v_readlane_b32 s7, v63, 9
	s_add_u32 s4, s6, s4
	s_addc_u32 s5, s7, s5
	v_mov_b32_e32 v2, 0
	v_readlane_b32 s19, v63, 11
	global_store_byte v2, v42, s[4:5]
	s_mov_b64 s[4:5], exec
	v_readlane_b32 s6, v63, 12
	v_readlane_b32 s7, v63, 13
	s_and_b64 s[6:7], s[4:5], s[6:7]
	s_mov_b64 exec, s[6:7]
	s_cbranch_execz .LBB84_287
; %bb.281:
	s_mov_b64 s[6:7], 0
                                        ; implicit-def: $sgpr8_sgpr9
                                        ; implicit-def: $sgpr12_sgpr13
                                        ; implicit-def: $sgpr10_sgpr11
	s_branch .LBB84_283
.LBB84_282:                             ;   in Loop: Header=BB84_283 Depth=1
	s_or_b64 exec, exec, s[14:15]
	s_and_b64 s[14:15], exec, s[12:13]
	s_or_b64 s[6:7], s[14:15], s[6:7]
	s_andn2_b64 s[8:9], s[8:9], exec
	s_and_b64 s[14:15], s[10:11], exec
	s_or_b64 s[8:9], s[8:9], s[14:15]
	s_andn2_b64 exec, exec, s[6:7]
	s_cbranch_execz .LBB84_285
.LBB84_283:                             ; =>This Inner Loop Header: Depth=1
	global_load_ubyte v4, v[12:13], off
	v_mov_b64_e32 v[2:3], v[0:1]
	s_or_b64 s[10:11], s[10:11], exec
	s_or_b64 s[12:13], s[12:13], exec
                                        ; implicit-def: $vgpr0_vgpr1
	s_waitcnt vmcnt(0)
	v_cmp_ne_u16_sdwa s[16:17], v4, v42 src0_sel:DWORD src1_sel:BYTE_0
	s_and_saveexec_b64 s[14:15], s[16:17]
	s_cbranch_execz .LBB84_282
; %bb.284:                              ;   in Loop: Header=BB84_283 Depth=1
	v_lshl_add_u64 v[0:1], v[2:3], 0, s[70:71]
	v_cmp_le_u64_e32 vcc, s[56:57], v[0:1]
	s_andn2_b64 s[12:13], s[12:13], exec
	s_and_b64 s[16:17], vcc, exec
	v_lshl_add_u64 v[12:13], v[12:13], 0, s[78:79]
	s_andn2_b64 s[10:11], s[10:11], exec
	s_or_b64 s[12:13], s[12:13], s[16:17]
	s_branch .LBB84_282
.LBB84_285:
	s_or_b64 exec, exec, s[6:7]
	s_and_saveexec_b64 s[6:7], s[8:9]
	s_xor_b64 s[6:7], exec, s[6:7]
	s_cbranch_execz .LBB84_287
; %bb.286:
	v_readlane_b32 s8, v63, 2
	v_readlane_b32 s9, v63, 3
	s_mul_i32 s6, s9, s18
	s_mul_hi_u32 s7, s8, s18
	s_add_i32 s7, s7, s6
	s_mul_i32 s6, s8, s18
	s_lshl_b64 s[6:7], s[6:7], 3
	v_readlane_b32 s8, v63, 4
	v_readlane_b32 s9, v63, 5
	s_add_u32 s6, s8, s6
	s_addc_u32 s7, s9, s7
	v_mov_b32_e32 v0, 0
	global_store_dwordx2 v0, v[2:3], s[6:7]
.LBB84_287:
	s_or_b64 exec, exec, s[4:5]
.LBB84_288:
	s_or_saveexec_b64 s[2:3], s[2:3]
	s_mov_b64 s[4:5], 0
	s_xor_b64 exec, exec, s[2:3]
	s_cbranch_execnz .LBB84_291
.LBB84_289:
	s_or_b64 exec, exec, s[2:3]
	s_and_b64 s[2:3], s[4:5], exec
	s_andn2_saveexec_b64 s[0:1], s[0:1]
	s_cbranch_execz .LBB84_274
.LBB84_290:
	s_or_b64 s[2:3], s[2:3], exec
	s_trap 2
	s_or_b64 exec, exec, s[0:1]
	s_and_saveexec_b64 s[0:1], s[2:3]
	s_cbranch_execnz .LBB84_275
	s_branch .LBB84_276
.LBB84_291:
	s_mov_b64 s[4:5], exec
	s_trap 2
	s_branch .LBB84_289
	.section	.rodata,"a",@progbits
	.p2align	6, 0x0
	.amdhsa_kernel _ZN2at6native12_GLOBAL__N_112gatherMedianIamLi1EEEvNS_4cuda6detail10TensorInfoIT_T0_EENS5_IlS7_EENS5_IKS6_S7_EES7_S7_S7_b
		.amdhsa_group_segment_fixed_size 5152
		.amdhsa_private_segment_fixed_size 0
		.amdhsa_kernarg_size 1536
		.amdhsa_user_sgpr_count 2
		.amdhsa_user_sgpr_dispatch_ptr 0
		.amdhsa_user_sgpr_queue_ptr 0
		.amdhsa_user_sgpr_kernarg_segment_ptr 1
		.amdhsa_user_sgpr_dispatch_id 0
		.amdhsa_user_sgpr_kernarg_preload_length 0
		.amdhsa_user_sgpr_kernarg_preload_offset 0
		.amdhsa_user_sgpr_private_segment_size 0
		.amdhsa_uses_dynamic_stack 0
		.amdhsa_enable_private_segment 0
		.amdhsa_system_sgpr_workgroup_id_x 1
		.amdhsa_system_sgpr_workgroup_id_y 1
		.amdhsa_system_sgpr_workgroup_id_z 1
		.amdhsa_system_sgpr_workgroup_info 0
		.amdhsa_system_vgpr_workitem_id 0
		.amdhsa_next_free_vgpr 64
		.amdhsa_next_free_sgpr 100
		.amdhsa_accum_offset 64
		.amdhsa_reserve_vcc 1
		.amdhsa_float_round_mode_32 0
		.amdhsa_float_round_mode_16_64 0
		.amdhsa_float_denorm_mode_32 3
		.amdhsa_float_denorm_mode_16_64 3
		.amdhsa_dx10_clamp 1
		.amdhsa_ieee_mode 1
		.amdhsa_fp16_overflow 0
		.amdhsa_tg_split 0
		.amdhsa_exception_fp_ieee_invalid_op 0
		.amdhsa_exception_fp_denorm_src 0
		.amdhsa_exception_fp_ieee_div_zero 0
		.amdhsa_exception_fp_ieee_overflow 0
		.amdhsa_exception_fp_ieee_underflow 0
		.amdhsa_exception_fp_ieee_inexact 0
		.amdhsa_exception_int_div_zero 0
	.end_amdhsa_kernel
	.section	.text._ZN2at6native12_GLOBAL__N_112gatherMedianIamLi1EEEvNS_4cuda6detail10TensorInfoIT_T0_EENS5_IlS7_EENS5_IKS6_S7_EES7_S7_S7_b,"axG",@progbits,_ZN2at6native12_GLOBAL__N_112gatherMedianIamLi1EEEvNS_4cuda6detail10TensorInfoIT_T0_EENS5_IlS7_EENS5_IKS6_S7_EES7_S7_S7_b,comdat
.Lfunc_end84:
	.size	_ZN2at6native12_GLOBAL__N_112gatherMedianIamLi1EEEvNS_4cuda6detail10TensorInfoIT_T0_EENS5_IlS7_EENS5_IKS6_S7_EES7_S7_S7_b, .Lfunc_end84-_ZN2at6native12_GLOBAL__N_112gatherMedianIamLi1EEEvNS_4cuda6detail10TensorInfoIT_T0_EENS5_IlS7_EENS5_IKS6_S7_EES7_S7_S7_b
                                        ; -- End function
	.set _ZN2at6native12_GLOBAL__N_112gatherMedianIamLi1EEEvNS_4cuda6detail10TensorInfoIT_T0_EENS5_IlS7_EENS5_IKS6_S7_EES7_S7_S7_b.num_vgpr, 64
	.set _ZN2at6native12_GLOBAL__N_112gatherMedianIamLi1EEEvNS_4cuda6detail10TensorInfoIT_T0_EENS5_IlS7_EENS5_IKS6_S7_EES7_S7_S7_b.num_agpr, 0
	.set _ZN2at6native12_GLOBAL__N_112gatherMedianIamLi1EEEvNS_4cuda6detail10TensorInfoIT_T0_EENS5_IlS7_EENS5_IKS6_S7_EES7_S7_S7_b.numbered_sgpr, 100
	.set _ZN2at6native12_GLOBAL__N_112gatherMedianIamLi1EEEvNS_4cuda6detail10TensorInfoIT_T0_EENS5_IlS7_EENS5_IKS6_S7_EES7_S7_S7_b.num_named_barrier, 0
	.set _ZN2at6native12_GLOBAL__N_112gatherMedianIamLi1EEEvNS_4cuda6detail10TensorInfoIT_T0_EENS5_IlS7_EENS5_IKS6_S7_EES7_S7_S7_b.private_seg_size, 0
	.set _ZN2at6native12_GLOBAL__N_112gatherMedianIamLi1EEEvNS_4cuda6detail10TensorInfoIT_T0_EENS5_IlS7_EENS5_IKS6_S7_EES7_S7_S7_b.uses_vcc, 1
	.set _ZN2at6native12_GLOBAL__N_112gatherMedianIamLi1EEEvNS_4cuda6detail10TensorInfoIT_T0_EENS5_IlS7_EENS5_IKS6_S7_EES7_S7_S7_b.uses_flat_scratch, 0
	.set _ZN2at6native12_GLOBAL__N_112gatherMedianIamLi1EEEvNS_4cuda6detail10TensorInfoIT_T0_EENS5_IlS7_EENS5_IKS6_S7_EES7_S7_S7_b.has_dyn_sized_stack, 0
	.set _ZN2at6native12_GLOBAL__N_112gatherMedianIamLi1EEEvNS_4cuda6detail10TensorInfoIT_T0_EENS5_IlS7_EENS5_IKS6_S7_EES7_S7_S7_b.has_recursion, 0
	.set _ZN2at6native12_GLOBAL__N_112gatherMedianIamLi1EEEvNS_4cuda6detail10TensorInfoIT_T0_EENS5_IlS7_EENS5_IKS6_S7_EES7_S7_S7_b.has_indirect_call, 0
	.section	.AMDGPU.csdata,"",@progbits
; Kernel info:
; codeLenInByte = 15200
; TotalNumSgprs: 106
; NumVgprs: 64
; NumAgprs: 0
; TotalNumVgprs: 64
; ScratchSize: 0
; MemoryBound: 0
; FloatMode: 240
; IeeeMode: 1
; LDSByteSize: 5152 bytes/workgroup (compile time only)
; SGPRBlocks: 13
; VGPRBlocks: 7
; NumSGPRsForWavesPerEU: 106
; NumVGPRsForWavesPerEU: 64
; AccumOffset: 64
; Occupancy: 7
; WaveLimiterHint : 1
; COMPUTE_PGM_RSRC2:SCRATCH_EN: 0
; COMPUTE_PGM_RSRC2:USER_SGPR: 2
; COMPUTE_PGM_RSRC2:TRAP_HANDLER: 0
; COMPUTE_PGM_RSRC2:TGID_X_EN: 1
; COMPUTE_PGM_RSRC2:TGID_Y_EN: 1
; COMPUTE_PGM_RSRC2:TGID_Z_EN: 1
; COMPUTE_PGM_RSRC2:TIDIG_COMP_CNT: 0
; COMPUTE_PGM_RSRC3_GFX90A:ACCUM_OFFSET: 15
; COMPUTE_PGM_RSRC3_GFX90A:TG_SPLIT: 0
	.section	.text._ZN2at6native12_GLOBAL__N_112gatherMedianIamLi2EEEvNS_4cuda6detail10TensorInfoIT_T0_EENS5_IlS7_EENS5_IKS6_S7_EES7_S7_S7_b,"axG",@progbits,_ZN2at6native12_GLOBAL__N_112gatherMedianIamLi2EEEvNS_4cuda6detail10TensorInfoIT_T0_EENS5_IlS7_EENS5_IKS6_S7_EES7_S7_S7_b,comdat
	.globl	_ZN2at6native12_GLOBAL__N_112gatherMedianIamLi2EEEvNS_4cuda6detail10TensorInfoIT_T0_EENS5_IlS7_EENS5_IKS6_S7_EES7_S7_S7_b ; -- Begin function _ZN2at6native12_GLOBAL__N_112gatherMedianIamLi2EEEvNS_4cuda6detail10TensorInfoIT_T0_EENS5_IlS7_EENS5_IKS6_S7_EES7_S7_S7_b
	.p2align	8
	.type	_ZN2at6native12_GLOBAL__N_112gatherMedianIamLi2EEEvNS_4cuda6detail10TensorInfoIT_T0_EENS5_IlS7_EENS5_IKS6_S7_EES7_S7_S7_b,@function
_ZN2at6native12_GLOBAL__N_112gatherMedianIamLi2EEEvNS_4cuda6detail10TensorInfoIT_T0_EENS5_IlS7_EENS5_IKS6_S7_EES7_S7_S7_b: ; @_ZN2at6native12_GLOBAL__N_112gatherMedianIamLi2EEEvNS_4cuda6detail10TensorInfoIT_T0_EENS5_IlS7_EENS5_IKS6_S7_EES7_S7_S7_b
; %bb.0:
	s_load_dwordx2 s[8:9], s[0:1], 0x500
	s_load_dwordx4 s[56:59], s[0:1], 0x4e0
	s_add_u32 s10, s0, 0x500
	s_addc_u32 s11, s1, 0
	s_mov_b32 s25, 0
	s_waitcnt lgkmcnt(0)
	s_mul_i32 s4, s9, s4
	s_add_i32 s3, s4, s3
	s_mul_i32 s3, s3, s8
	s_add_i32 s24, s3, s2
	v_mov_b64_e32 v[2:3], s[24:25]
	v_cmp_le_u64_e32 vcc, s[58:59], v[2:3]
	s_cbranch_vccnz .LBB85_286
; %bb.1:
	s_load_dwordx2 s[16:17], s[0:1], 0x10
	s_load_dwordx2 s[12:13], s[0:1], 0x350
	s_load_dwordx2 s[14:15], s[0:1], 0x1b0
	s_mov_b64 s[4:5], 0
                                        ; implicit-def: $vgpr57 : SGPR spill to VGPR lane
	v_writelane_b32 v57, s4, 0
	s_waitcnt lgkmcnt(0)
	v_mov_b64_e32 v[2:3], s[16:17]
	v_cmp_lt_u64_e32 vcc, s[24:25], v[2:3]
	v_writelane_b32 v57, s5, 1
	s_mov_b64 s[4:5], 0
	s_cbranch_vccnz .LBB85_3
; %bb.2:
	v_cvt_f32_u32_e32 v1, s16
	s_sub_i32 s3, 0, s16
	v_rcp_iflag_f32_e32 v1, v1
	s_nop 0
	v_mul_f32_e32 v1, 0x4f7ffffe, v1
	v_cvt_u32_f32_e32 v1, v1
	s_nop 0
	v_readfirstlane_b32 s4, v1
	s_mul_i32 s3, s3, s4
	s_mul_hi_u32 s3, s4, s3
	s_add_i32 s4, s4, s3
	s_mul_hi_u32 s3, s24, s4
	s_mul_i32 s5, s3, s16
	s_sub_i32 s5, s24, s5
	s_add_i32 s4, s3, 1
	s_sub_i32 s6, s5, s16
	s_cmp_ge_u32 s5, s16
	s_cselect_b32 s3, s4, s3
	s_cselect_b32 s5, s6, s5
	s_add_i32 s4, s3, 1
	s_cmp_ge_u32 s5, s16
	s_cselect_b32 s4, s4, s3
.LBB85_3:
	s_load_dwordx2 s[72:73], s[0:1], 0x4f0
	v_writelane_b32 v57, s4, 2
	v_mov_b64_e32 v[2:3], s[14:15]
	v_cmp_lt_u64_e32 vcc, s[24:25], v[2:3]
	v_writelane_b32 v57, s5, 3
	v_writelane_b32 v57, s16, 4
	s_nop 1
	v_writelane_b32 v57, s17, 5
	s_cbranch_vccnz .LBB85_5
; %bb.4:
	v_cvt_f32_u32_e32 v1, s14
	s_sub_i32 s3, 0, s14
	v_rcp_iflag_f32_e32 v1, v1
	s_nop 0
	v_mul_f32_e32 v1, 0x4f7ffffe, v1
	v_cvt_u32_f32_e32 v1, v1
	s_nop 0
	v_readfirstlane_b32 s4, v1
	s_mul_i32 s3, s3, s4
	s_mul_hi_u32 s3, s4, s3
	s_add_i32 s4, s4, s3
	s_mul_hi_u32 s3, s24, s4
	s_mul_i32 s5, s3, s14
	s_sub_i32 s5, s24, s5
	s_add_i32 s4, s3, 1
	s_sub_i32 s6, s5, s14
	s_cmp_ge_u32 s5, s14
	s_cselect_b32 s3, s4, s3
	s_cselect_b32 s5, s6, s5
	s_add_i32 s4, s3, 1
	s_cmp_ge_u32 s5, s14
	s_cselect_b32 s4, s4, s3
	v_writelane_b32 v57, s4, 0
	s_nop 1
	v_writelane_b32 v57, s5, 1
.LBB85_5:
	v_mov_b64_e32 v[2:3], s[12:13]
	v_cmp_lt_u64_e32 vcc, s[24:25], v[2:3]
	v_writelane_b32 v57, s14, 6
	s_mov_b64 s[18:19], 0
	s_nop 0
	v_writelane_b32 v57, s15, 7
	s_cbranch_vccnz .LBB85_7
; %bb.6:
	v_cvt_f32_u32_e32 v1, s12
	s_sub_i32 s3, 0, s12
	v_rcp_iflag_f32_e32 v1, v1
	s_nop 0
	v_mul_f32_e32 v1, 0x4f7ffffe, v1
	v_cvt_u32_f32_e32 v1, v1
	s_nop 0
	v_readfirstlane_b32 s4, v1
	s_mul_i32 s3, s3, s4
	s_mul_hi_u32 s3, s4, s3
	s_add_i32 s4, s4, s3
	s_mul_hi_u32 s3, s24, s4
	s_mul_i32 s5, s3, s12
	s_sub_i32 s5, s24, s5
	s_add_i32 s4, s3, 1
	s_sub_i32 s6, s5, s12
	s_cmp_ge_u32 s5, s12
	s_cselect_b32 s3, s4, s3
	s_cselect_b32 s5, s6, s5
	s_add_i32 s4, s3, 1
	s_cmp_ge_u32 s5, s12
	s_cselect_b32 s18, s4, s3
.LBB85_7:
	s_load_dwordx2 s[20:21], s[0:1], 0x340
	v_cmp_eq_u32_e64 s[6:7], 0, v0
	s_mov_b64 s[4:5], exec
	s_nop 0
	v_writelane_b32 v57, s6, 8
	s_nop 1
	v_writelane_b32 v57, s7, 9
	s_and_b64 s[6:7], s[4:5], s[6:7]
	s_mov_b64 exec, s[6:7]
; %bb.8:
	v_mov_b32_e32 v2, 0
	v_mov_b32_e32 v3, v2
	ds_write_b64 v2, v[2:3] offset:5136
; %bb.9:
	s_or_b64 exec, exec, s[4:5]
	s_load_dwordx2 s[4:5], s[0:1], 0x1a0
	v_mov_b32_e32 v3, 0
	s_waitcnt lgkmcnt(0)
	s_barrier
	v_writelane_b32 v57, s4, 10
	s_barrier
	s_nop 0
	v_writelane_b32 v57, s5, 11
	s_load_dwordx2 s[4:5], s[0:1], 0x0
	s_waitcnt lgkmcnt(0)
	ds_read_b64 v[4:5], v3 offset:5136
	v_writelane_b32 v57, s4, 12
	s_nop 1
	v_writelane_b32 v57, s5, 13
	s_load_dwordx4 s[4:7], s[0:1], 0x410
	s_waitcnt lgkmcnt(0)
	v_readfirstlane_b32 s16, v4
	v_readfirstlane_b32 s17, v5
	s_mov_b64 s[22:23], exec
	v_readlane_b32 s14, v57, 8
	v_readlane_b32 s15, v57, 9
	s_and_b64 s[14:15], s[22:23], s[14:15]
	s_mov_b64 exec, s[14:15]
	s_cbranch_execz .LBB85_11
; %bb.10:
	v_mov_b32_e32 v4, 0
	v_mov_b32_e32 v6, s56
	;; [unrolled: 1-line block ×4, first 2 shown]
	ds_write_b32 v4, v4 offset:5144
	ds_write_b128 v4, v[4:7] offset:5120
.LBB85_11:
	s_or_b64 exec, exec, s[22:23]
	s_load_dword s3, s[0:1], 0x4f8
	s_load_dwordx4 s[28:31], s[0:1], 0x270
                                        ; kill: killed $sgpr0 killed $sgpr1
	v_mov_b32_e32 v1, v3
	v_mbcnt_lo_u32_b32 v2, -1, 0
	v_mbcnt_hi_u32_b32 v28, -1, v2
	s_waitcnt lgkmcnt(0)
	s_bitcmp1_b32 s3, 0
	v_writelane_b32 v57, s28, 14
	s_cselect_b64 s[14:15], -1, 0
	v_cmp_gt_u32_e32 vcc, 64, v0
	v_writelane_b32 v57, s29, 15
	v_writelane_b32 v57, s30, 16
	;; [unrolled: 1-line block ×3, first 2 shown]
	s_load_dwordx4 s[28:31], s[0:1], 0xd0
	v_cmp_lt_i64_e64 s[0:1], s[16:17], 1
	s_not_b64 s[16:17], s[16:17]
	s_or_b64 s[0:1], s[14:15], s[0:1]
	s_add_u32 s14, s56, s16
	s_addc_u32 s15, s57, s17
	s_lshr_b64 s[14:15], s[14:15], 1
	s_add_u32 s3, s14, 1
	s_addc_u32 s9, s15, 0
	s_and_b64 s[0:1], s[0:1], exec
	s_mul_i32 s0, s18, s13
	s_mul_hi_u32 s1, s18, s12
	s_cselect_b32 s17, s9, s57
	s_cselect_b32 s16, s3, s56
	s_add_i32 s1, s1, s0
	s_mul_i32 s0, s18, s12
	s_sub_u32 s0, s24, s0
	s_subb_u32 s1, 0, s1
	s_mul_i32 s3, s0, s7
	s_mul_hi_u32 s7, s0, s6
	s_waitcnt lgkmcnt(0)
	v_writelane_b32 v57, s28, 18
	s_add_i32 s3, s7, s3
	s_mul_i32 s1, s1, s6
	v_writelane_b32 v57, s29, 19
	s_add_i32 s3, s3, s1
	s_mul_i32 s1, s18, s5
	s_mul_hi_u32 s5, s18, s4
	v_writelane_b32 v57, s30, 20
	s_add_i32 s5, s5, s1
	s_mul_i32 s1, s18, s4
	v_writelane_b32 v57, s31, 21
	s_mov_b32 s12, s24
	s_add_u32 s1, s20, s1
	v_writelane_b32 v57, s12, 22
	s_mul_i32 s0, s0, s6
	s_addc_u32 s4, s21, s5
	v_writelane_b32 v57, s13, 23
	s_add_u32 s84, s1, s0
	v_cmp_gt_u64_e64 s[0:1], s[56:57], v[0:1]
	v_mov_b64_e32 v[4:5], 0xc00
	s_addc_u32 s85, s4, s3
	v_writelane_b32 v57, s0, 24
	v_mov_b64_e32 v[12:13], s[84:85]
	s_nop 0
	v_writelane_b32 v57, s1, 25
	v_cmp_gt_i32_e64 s[0:1], 4, v28
	s_and_b64 s[74:75], vcc, s[0:1]
	v_cmp_gt_u64_e64 s[0:1], s[56:57], v[4:5]
	s_barrier
	s_nop 0
	v_writelane_b32 v57, s0, 26
	v_mov_b32_e32 v7, -1
	v_not_b32_e32 v6, v0
	v_writelane_b32 v57, s1, 27
	v_mad_u64_u32 v[14:15], s[0:1], s72, v0, v[12:13]
	v_mov_b32_e32 v2, v15
	v_mad_u64_u32 v[4:5], s[0:1], s73, v0, v[2:3]
	s_load_dword s0, s[10:11], 0xc
	v_lshlrev_b32_e32 v2, 2, v28
	v_and_b32_e32 v29, 0x100, v2
	v_lshrrev_b32_e32 v2, 1, v0
	v_and_b32_e32 v2, 0x1e0, v2
	s_waitcnt lgkmcnt(0)
	s_and_b32 s82, s0, 0xffff
	s_bfe_u32 s0, s0, 0xa0006
	v_mov_b32_e32 v15, v4
	v_lshlrev_b64 v[4:5], v28, -1
	s_cmp_gt_u32 s82, 63
	v_or_b32_e32 v30, 0xc00, v2
	v_add_u32_e32 v2, 2, v0
	v_not_b32_e32 v18, v4
	s_cselect_b64 s[6:7], -1, 0
	s_add_u32 s1, s82, -1
	v_mov_b32_e32 v4, s57
	v_cmp_gt_u64_e32 vcc, s[56:57], v[2:3]
	v_not_b32_e32 v19, v5
	v_writelane_b32 v57, s6, 28
	s_addc_u32 s3, 0, -1
	v_cndmask_b32_e32 v5, 0, v4, vcc
	v_mov_b32_e32 v4, s56
	v_writelane_b32 v57, s7, 29
	s_add_u32 s14, s1, s56
	v_cndmask_b32_e32 v4, v2, v4, vcc
	v_writelane_b32 v57, s1, 30
	s_addc_u32 s93, s3, s57
	v_lshl_add_u64 v[4:5], v[4:5], 0, v[6:7]
	v_writelane_b32 v57, s3, 31
	s_cmp_lt_u32 s2, s8
	v_cmp_lt_u64_e64 s[2:3], 3, v[4:5]
	s_cselect_b32 s1, 12, 18
	v_and_b32_e32 v20, -4, v4
	v_writelane_b32 v57, s2, 32
	v_mov_b32_e32 v21, v5
	s_add_u32 s94, s10, s1
	v_writelane_b32 v57, s3, 33
	v_cmp_ne_u64_e64 s[2:3], v[4:5], v[20:21]
	s_addc_u32 s95, s11, 0
	s_add_i32 s1, s0, -1
	v_writelane_b32 v57, s2, 34
	s_and_b32 s1, s1, 0xffff
	s_mov_b32 s92, s73
	v_writelane_b32 v57, s3, 35
	s_bfe_u32 s2, s82, 0x30006
	s_cmp_gt_u32 s1, 6
	s_cselect_b64 s[8:9], -1, 0
	v_writelane_b32 v57, s8, 36
	s_and_b32 s6, s0, 0x3f8
	s_cmp_lg_u32 s2, 0
	v_writelane_b32 v57, s9, 37
	v_writelane_b32 v57, s2, 38
	s_cselect_b64 s[0:1], -1, 0
	v_writelane_b32 v57, s0, 39
	s_mov_b32 s87, 0
	s_mov_b32 s88, s73
	v_writelane_b32 v57, s1, 40
	v_writelane_b32 v57, s74, 41
	v_mov_b32_e32 v2, 0xc00
	v_cmp_eq_u32_e64 s[4:5], 0, v28
	v_writelane_b32 v57, s75, 42
	v_writelane_b32 v57, s92, 43
	v_cmp_gt_u32_e64 s[98:99], 2, v0
	v_lshlrev_b32_e32 v16, 2, v0
	v_mov_b32_e32 v17, v3
	s_mov_b32 s83, s87
	v_lshl_add_u64 v[22:23], v[20:21], 0, v[0:1]
	s_mov_b32 s15, s72
	s_mov_b32 s33, s72
	;; [unrolled: 1-line block ×5, first 2 shown]
	v_lshl_or_b32 v32, v28, 3, v2
	s_mov_b64 s[78:79], 0
	v_mov_b64_e32 v[24:25], s[16:17]
	s_movk_i32 s68, 0x80
	s_mov_b32 s69, 0xc0c0004
	v_mov_b64_e32 v[40:41], s[56:57]
	v_mov_b32_e32 v33, 0x4f800000
	v_mov_b32_e32 v34, 8
	;; [unrolled: 1-line block ×3, first 2 shown]
	s_mov_b32 s91, 0
	v_mov_b32_e32 v31, 0
	v_mov_b32_e32 v35, 0
	v_writelane_b32 v57, s88, 44
                                        ; implicit-def: $sgpr60_sgpr61
                                        ; implicit-def: $sgpr80_sgpr81
                                        ; implicit-def: $sgpr62_sgpr63
                                        ; implicit-def: $sgpr70_sgpr71
                                        ; implicit-def: $sgpr12_sgpr13
                                        ; implicit-def: $sgpr10_sgpr11
	v_writelane_b32 v57, s89, 45
	s_branch .LBB85_15
.LBB85_12:                              ;   in Loop: Header=BB85_15 Depth=1
	s_or_b64 exec, exec, s[20:21]
	s_and_b64 s[20:21], s[18:19], exec
	s_andn2_b64 s[24:25], s[24:25], exec
	s_andn2_b64 s[0:1], s[0:1], exec
	s_orn2_b64 s[18:19], s[8:9], exec
.LBB85_13:                              ;   in Loop: Header=BB85_15 Depth=1
	s_or_b64 exec, exec, s[2:3]
	s_andn2_b64 s[2:3], s[10:11], exec
	s_and_b64 s[8:9], s[20:21], exec
	s_or_b64 s[10:11], s[2:3], s[8:9]
	s_andn2_b64 s[2:3], s[12:13], exec
	s_and_b64 s[8:9], s[24:25], exec
	s_or_b64 s[12:13], s[2:3], s[8:9]
	;; [unrolled: 3-line block ×3, first 2 shown]
	s_orn2_b64 s[0:1], s[18:19], exec
.LBB85_14:                              ;   in Loop: Header=BB85_15 Depth=1
	s_or_b64 exec, exec, s[16:17]
	s_and_b64 s[0:1], exec, s[0:1]
	s_or_b64 s[78:79], s[0:1], s[78:79]
	s_andn2_b64 s[0:1], s[62:63], exec
	s_and_b64 s[2:3], s[10:11], exec
	s_or_b64 s[62:63], s[0:1], s[2:3]
	s_andn2_b64 s[0:1], s[80:81], exec
	s_and_b64 s[2:3], s[12:13], exec
	;; [unrolled: 3-line block ×3, first 2 shown]
	s_or_b64 s[60:61], s[0:1], s[2:3]
	v_mov_b64_e32 v[24:25], v[8:9]
	s_andn2_b64 exec, exec, s[78:79]
	s_cbranch_execz .LBB85_282
.LBB85_15:                              ; =>This Loop Header: Depth=1
                                        ;     Child Loop BB85_20 Depth 2
                                        ;     Child Loop BB85_34 Depth 2
	;; [unrolled: 1-line block ×17, first 2 shown]
	ds_read_b128 v[4:7], v3 offset:5120
	s_waitcnt lgkmcnt(0)
	v_readfirstlane_b32 s65, v5
	v_readfirstlane_b32 s64, v4
	s_cmp_lg_u64 s[64:65], 0
	s_cbranch_scc1 .LBB85_47
; %bb.16:                               ;   in Loop: Header=BB85_15 Depth=1
	v_readlane_b32 s0, v57, 26
	v_readlane_b32 s1, v57, 27
	s_and_b64 vcc, exec, s[0:1]
	s_cbranch_vccz .LBB85_28
; %bb.17:                               ;   in Loop: Header=BB85_15 Depth=1
	s_mov_b64 s[0:1], 0xc01
	v_cmp_gt_u64_e32 vcc, s[0:1], v[6:7]
	s_mov_b64 s[8:9], 0
	s_mov_b64 s[0:1], 0
	s_cbranch_vccz .LBB85_29
; %bb.18:                               ;   in Loop: Header=BB85_15 Depth=1
	global_load_ushort v2, v3, s[94:95]
	global_load_ubyte v6, v[14:15], off
	s_mov_b64 s[16:17], 0
	v_mov_b64_e32 v[4:5], v[0:1]
	s_waitcnt vmcnt(1)
	v_and_b32_e32 v2, 0xffff, v2
	s_branch .LBB85_20
.LBB85_19:                              ;   in Loop: Header=BB85_20 Depth=2
	s_or_b64 exec, exec, s[2:3]
	v_mov_b32_e32 v6, v7
	s_andn2_b64 exec, exec, s[16:17]
	s_cbranch_execz .LBB85_107
.LBB85_20:                              ;   Parent Loop BB85_15 Depth=1
                                        ; =>  This Inner Loop Header: Depth=2
	v_lshl_add_u64 v[4:5], v[4:5], 0, v[2:3]
	v_cmp_gt_u64_e64 s[0:1], s[56:57], v[4:5]
	v_cmp_le_u64_e32 vcc, s[56:57], v[4:5]
	s_waitcnt lgkmcnt(0)
	v_mov_b32_e32 v8, 0
	v_mov_b32_e32 v7, 0
	s_and_saveexec_b64 s[2:3], s[0:1]
	s_cbranch_execz .LBB85_22
; %bb.21:                               ;   in Loop: Header=BB85_20 Depth=2
	v_mad_u64_u32 v[10:11], s[0:1], v4, s72, v[12:13]
	v_mul_lo_u32 v7, v4, s73
	v_mul_lo_u32 v9, v5, s72
	v_add3_u32 v11, v9, v11, v7
	global_load_ubyte v7, v[10:11], off
.LBB85_22:                              ;   in Loop: Header=BB85_20 Depth=2
	s_or_b64 exec, exec, s[2:3]
	s_waitcnt vmcnt(0)
	v_add_u32_sdwa v9, sext(v6), s68 dst_sel:DWORD dst_unused:UNUSED_PAD src0_sel:BYTE_0 src1_sel:DWORD
	v_and_b32_e32 v9, v9, v35
	v_cmp_eq_u32_e64 s[0:1], v9, v31
	s_cmp_lg_u64 s[0:1], 0
	s_cselect_b64 s[2:3], -1, 0
	s_and_b64 s[2:3], s[4:5], s[2:3]
	s_and_saveexec_b64 s[18:19], s[2:3]
	s_cbranch_execz .LBB85_26
; %bb.23:                               ;   in Loop: Header=BB85_20 Depth=2
	s_mov_b64 s[22:23], exec
	v_mbcnt_lo_u32_b32 v8, s22, 0
	v_mbcnt_hi_u32_b32 v8, s23, v8
	s_bcnt1_i32_b64 s24, s[0:1]
	v_cmp_eq_u32_e64 s[2:3], 0, v8
                                        ; implicit-def: $vgpr9
	s_and_saveexec_b64 s[20:21], s[2:3]
; %bb.24:                               ;   in Loop: Header=BB85_20 Depth=2
	s_bcnt1_i32_b64 s2, s[22:23]
	s_mul_i32 s2, s24, s2
	v_mov_b32_e32 v9, s2
	ds_add_rtn_u32 v9, v3, v9 offset:5144
; %bb.25:                               ;   in Loop: Header=BB85_20 Depth=2
	s_or_b64 exec, exec, s[20:21]
	s_waitcnt lgkmcnt(0)
	v_readfirstlane_b32 s2, v9
	s_nop 1
	v_mov_b32_e32 v9, s2
	v_mad_u32_u24 v8, s24, v8, v9
.LBB85_26:                              ;   in Loop: Header=BB85_20 Depth=2
	s_or_b64 exec, exec, s[18:19]
	ds_bpermute_b32 v8, v29, v8
	s_and_b64 s[2:3], exec, vcc
	s_or_b64 s[16:17], s[2:3], s[16:17]
	s_and_saveexec_b64 s[2:3], s[0:1]
	s_cbranch_execz .LBB85_19
; %bb.27:                               ;   in Loop: Header=BB85_20 Depth=2
	v_and_b32_e32 v10, s0, v18
	v_and_b32_e32 v9, s1, v19
	v_bcnt_u32_b32 v10, v10, 0
	v_bcnt_u32_b32 v9, v9, v10
	s_waitcnt lgkmcnt(0)
	v_add_u32_e32 v8, v8, v9
	ds_write_b8 v8, v6
	s_branch .LBB85_19
.LBB85_28:                              ;   in Loop: Header=BB85_15 Depth=1
	s_mov_b64 s[8:9], -1
	s_mov_b64 s[0:1], 0
.LBB85_29:                              ;   in Loop: Header=BB85_15 Depth=1
	s_and_b64 vcc, exec, s[8:9]
	s_cbranch_vccz .LBB85_45
.LBB85_30:                              ;   in Loop: Header=BB85_15 Depth=1
	s_mov_b64 s[0:1], exec
	v_readlane_b32 s2, v57, 24
	v_readlane_b32 s3, v57, 25
	s_and_b64 s[2:3], s[0:1], s[2:3]
	s_mov_b64 exec, s[2:3]
	s_cbranch_execz .LBB85_42
; %bb.31:                               ;   in Loop: Header=BB85_15 Depth=1
	global_load_ushort v2, v3, s[94:95]
	global_load_ubyte v37, v[14:15], off
	v_mov_b32_e32 v6, v0
	s_waitcnt vmcnt(1)
	v_readfirstlane_b32 s8, v2
	v_add_u32_sdwa v2, v2, v0 dst_sel:DWORD dst_unused:UNUSED_PAD src0_sel:WORD_0 src1_sel:DWORD
	v_cmp_gt_u64_e32 vcc, s[56:57], v[2:3]
	s_and_saveexec_b64 s[2:3], vcc
	s_cbranch_execz .LBB85_41
; %bb.32:                               ;   in Loop: Header=BB85_15 Depth=1
	s_and_b32 s86, s8, 0xffff
	s_cmp_eq_u32 s86, 1
	v_readlane_b32 s16, v57, 32
	s_cselect_b64 s[8:9], -1, 0
	v_readlane_b32 s17, v57, 33
	s_and_b64 s[18:19], s[16:17], s[8:9]
	s_mov_b64 s[16:17], -1
	v_mov_b64_e32 v[8:9], v[0:1]
	v_mov_b64_e32 v[4:5], v[2:3]
                                        ; implicit-def: $vgpr6_vgpr7
	s_and_saveexec_b64 s[8:9], s[18:19]
	s_cbranch_execz .LBB85_36
; %bb.33:                               ;   in Loop: Header=BB85_15 Depth=1
	v_lshl_add_u64 v[8:9], v[2:3], 0, 3
	v_lshl_add_u64 v[6:7], v[2:3], 0, 2
	;; [unrolled: 1-line block ×3, first 2 shown]
	v_mov_b64_e32 v[10:11], v[8:9]
	s_waitcnt vmcnt(0)
	v_lshlrev_b32_e32 v39, 24, v37
	s_mov_b64 s[16:17], 0
	v_mov_b64_e32 v[26:27], v[20:21]
	v_mov_b32_e32 v38, v0
	v_mov_b64_e32 v[8:9], v[6:7]
	v_mov_b64_e32 v[6:7], v[4:5]
	;; [unrolled: 1-line block ×3, first 2 shown]
.LBB85_34:                              ;   Parent Loop BB85_15 Depth=1
                                        ; =>  This Inner Loop Header: Depth=2
	v_mov_b64_e32 v[42:43], s[84:85]
	v_mul_lo_u32 v55, v10, s89
	v_mul_lo_u32 v56, v11, s90
	v_mad_u64_u32 v[44:45], s[18:19], v4, s72, v[42:43]
	v_mad_u64_u32 v[46:47], s[18:19], v6, s15, v[42:43]
	;; [unrolled: 1-line block ×4, first 2 shown]
	v_mul_lo_u32 v37, v4, s73
	v_mul_lo_u32 v50, v5, s72
	;; [unrolled: 1-line block ×6, first 2 shown]
	v_add3_u32 v43, v56, v43, v55
	v_add3_u32 v45, v50, v45, v37
	v_add3_u32 v47, v52, v47, v51
	v_add3_u32 v49, v54, v49, v53
	global_load_ubyte v37, v[42:43], off
	s_nop 0
	global_load_ubyte v42, v[46:47], off
	global_load_ubyte v43, v[44:45], off
	s_nop 0
	global_load_ubyte v44, v[48:49], off
	s_mov_b32 s18, 0xc0c0007
	v_lshl_add_u64 v[26:27], v[26:27], 0, -4
	v_cmp_eq_u64_e32 vcc, 0, v[26:27]
	v_lshl_add_u64 v[10:11], v[10:11], 0, 4
	v_lshl_add_u64 v[8:9], v[8:9], 0, 4
	;; [unrolled: 1-line block ×4, first 2 shown]
	s_or_b64 s[16:17], vcc, s[16:17]
	s_waitcnt vmcnt(1)
	v_perm_b32 v45, v43, v42, s69
	s_waitcnt vmcnt(0)
	v_perm_b32 v46, v44, v37, s69
	v_perm_b32 v42, v42, v44, s69
	;; [unrolled: 1-line block ×3, first 2 shown]
	v_lshl_or_b32 v43, v46, 16, v45
	v_lshl_or_b32 v39, v42, 16, v39
	ds_write_b32 v38, v39
	v_add_u32_e32 v38, 4, v38
	v_mov_b32_e32 v39, v43
	s_andn2_b64 exec, exec, s[16:17]
	s_cbranch_execnz .LBB85_34
; %bb.35:                               ;   in Loop: Header=BB85_15 Depth=1
	s_or_b64 exec, exec, s[16:17]
	v_readlane_b32 s16, v57, 34
	v_lshl_add_u64 v[4:5], v[2:3], 0, v[20:21]
	v_readlane_b32 s17, v57, 35
	v_lshl_add_u64 v[6:7], v[4:5], 0, -1
	s_orn2_b64 s[16:17], s[16:17], exec
	v_mov_b64_e32 v[8:9], v[22:23]
.LBB85_36:                              ;   in Loop: Header=BB85_15 Depth=1
	s_or_b64 exec, exec, s[8:9]
	s_and_saveexec_b64 s[8:9], s[16:17]
	s_cbranch_execz .LBB85_40
; %bb.37:                               ;   in Loop: Header=BB85_15 Depth=1
	s_sub_u32 s16, 0, s86
	s_mov_b64 s[18:19], 0
	s_subb_u32 s17, 0, 0
.LBB85_38:                              ;   Parent Loop BB85_15 Depth=1
                                        ; =>  This Inner Loop Header: Depth=2
	v_mov_b64_e32 v[6:7], v[4:5]
	v_mov_b64_e32 v[4:5], s[84:85]
	v_mad_u64_u32 v[4:5], s[20:21], v6, s72, v[4:5]
	v_mul_lo_u32 v2, v6, s73
	v_mul_lo_u32 v9, v7, s72
	v_add3_u32 v5, v9, v5, v2
	global_load_ubyte v2, v[4:5], off
	v_lshl_add_u64 v[4:5], v[6:7], 0, s[86:87]
	v_cmp_le_u64_e32 vcc, s[56:57], v[4:5]
	s_waitcnt vmcnt(1)
	ds_write_b8 v8, v37
	v_mov_b64_e32 v[8:9], v[6:7]
	s_or_b64 s[18:19], vcc, s[18:19]
	s_waitcnt vmcnt(0)
	v_mov_b32_e32 v37, v2
	s_andn2_b64 exec, exec, s[18:19]
	s_cbranch_execnz .LBB85_38
; %bb.39:                               ;   in Loop: Header=BB85_15 Depth=1
	s_or_b64 exec, exec, s[18:19]
	v_lshl_add_u64 v[6:7], s[16:17], 0, v[4:5]
	v_mov_b32_e32 v37, v2
.LBB85_40:                              ;   in Loop: Header=BB85_15 Depth=1
	s_or_b64 exec, exec, s[8:9]
.LBB85_41:                              ;   in Loop: Header=BB85_15 Depth=1
	s_or_b64 exec, exec, s[2:3]
	s_waitcnt vmcnt(0)
	ds_write_b8 v6, v37
.LBB85_42:                              ;   in Loop: Header=BB85_15 Depth=1
	s_or_b64 exec, exec, s[0:1]
	s_waitcnt lgkmcnt(0)
	s_barrier
	s_mov_b64 s[0:1], exec
	v_readlane_b32 s2, v57, 8
	v_readlane_b32 s3, v57, 9
	s_and_b64 s[2:3], s[0:1], s[2:3]
	s_mov_b64 exec, s[2:3]
; %bb.43:                               ;   in Loop: Header=BB85_15 Depth=1
	ds_write_b64 v3, v[40:41] offset:5120
; %bb.44:                               ;   in Loop: Header=BB85_15 Depth=1
	s_or_b64 exec, exec, s[0:1]
	s_mov_b64 s[0:1], -1
	s_waitcnt lgkmcnt(0)
	s_barrier
.LBB85_45:                              ;   in Loop: Header=BB85_15 Depth=1
	s_mov_b64 s[64:65], 0
	s_and_b64 vcc, exec, s[0:1]
	s_cbranch_vccz .LBB85_47
; %bb.46:                               ;   in Loop: Header=BB85_15 Depth=1
	ds_read_b64 v[4:5], v3 offset:5120
	s_waitcnt lgkmcnt(0)
	v_readfirstlane_b32 s64, v4
.LBB85_47:                              ;   in Loop: Header=BB85_15 Depth=1
	s_cmp_lt_i32 s64, 1
	s_mov_b64 s[0:1], -1
                                        ; implicit-def: $vgpr10_vgpr11
                                        ; implicit-def: $vgpr6_vgpr7
	s_cbranch_scc1 .LBB85_57
; %bb.48:                               ;   in Loop: Header=BB85_15 Depth=1
	s_and_b64 vcc, exec, s[0:1]
	s_cbranch_vccnz .LBB85_71
.LBB85_49:                              ;   in Loop: Header=BB85_15 Depth=1
	s_lshl_b32 s2, s91, 6
	s_and_saveexec_b64 s[0:1], s[4:5]
	s_cbranch_execz .LBB85_51
.LBB85_50:                              ;   in Loop: Header=BB85_15 Depth=1
	v_lshl_add_u32 v2, s2, 3, v30
	ds_write_b128 v2, v[4:7]
	ds_write_b128 v2, v[8:11] offset:16
.LBB85_51:                              ;   in Loop: Header=BB85_15 Depth=1
	s_or_b64 exec, exec, s[0:1]
	s_waitcnt lgkmcnt(0)
	s_barrier
	s_and_saveexec_b64 s[0:1], s[74:75]
	s_cbranch_execz .LBB85_86
; %bb.52:                               ;   in Loop: Header=BB85_15 Depth=1
	v_readlane_b32 s8, v57, 28
	v_readlane_b32 s9, v57, 29
	s_andn2_b64 vcc, exec, s[8:9]
	v_mov_b64_e32 v[4:5], 0
	s_cbranch_vccnz .LBB85_85
; %bb.53:                               ;   in Loop: Header=BB85_15 Depth=1
	v_readlane_b32 s8, v57, 36
	v_readlane_b32 s9, v57, 37
	s_andn2_b64 vcc, exec, s[8:9]
	s_cbranch_vccnz .LBB85_81
; %bb.54:                               ;   in Loop: Header=BB85_15 Depth=1
	v_lshl_add_u32 v2, s91, 9, v32
	v_mov_b64_e32 v[4:5], 0
	s_mov_b32 s3, 0
.LBB85_55:                              ;   Parent Loop BB85_15 Depth=1
                                        ; =>  This Inner Loop Header: Depth=2
	ds_read2_b64 v[6:9], v2 offset1:4
	ds_read2_b64 v[42:45], v2 offset0:8 offset1:12
	ds_read2_b64 v[46:49], v2 offset0:16 offset1:20
	;; [unrolled: 1-line block ×3, first 2 shown]
	s_add_i32 s3, s3, 8
	s_waitcnt lgkmcnt(3)
	v_lshl_add_u64 v[4:5], v[6:7], 0, v[4:5]
	v_lshl_add_u64 v[4:5], v[8:9], 0, v[4:5]
	s_waitcnt lgkmcnt(2)
	v_lshl_add_u64 v[4:5], v[42:43], 0, v[4:5]
	v_lshl_add_u64 v[4:5], v[44:45], 0, v[4:5]
	;; [unrolled: 3-line block ×3, first 2 shown]
	s_waitcnt lgkmcnt(0)
	v_lshl_add_u64 v[4:5], v[50:51], 0, v[4:5]
	v_add_u32_e32 v2, 0x100, v2
	s_cmp_eq_u32 s6, s3
	v_lshl_add_u64 v[4:5], v[52:53], 0, v[4:5]
	s_cbranch_scc0 .LBB85_55
; %bb.56:                               ;   in Loop: Header=BB85_15 Depth=1
	s_mov_b32 s3, s6
	s_branch .LBB85_82
.LBB85_57:                              ;   in Loop: Header=BB85_15 Depth=1
	global_load_ushort v2, v3, s[94:95]
	s_mov_b32 s0, s87
	s_waitcnt vmcnt(0)
	v_readfirstlane_b32 s1, v2
	s_and_b32 s1, 0xffff, s1
	s_lshl_b32 s86, s1, 2
	s_mov_b32 s1, s57
	s_cmp_lg_u64 s[0:1], 0
	s_cbranch_scc0 .LBB85_80
; %bb.58:                               ;   in Loop: Header=BB85_15 Depth=1
	v_cvt_f32_u32_e32 v4, s86
	s_sub_u32 s2, 0, s86
	s_subb_u32 s3, 0, 0
	v_fmac_f32_e32 v4, 0, v33
	v_rcp_f32_e32 v4, v4
	s_nop 0
	v_mul_f32_e32 v4, 0x5f7ffffc, v4
	v_mul_f32_e32 v5, 0x2f800000, v4
	v_trunc_f32_e32 v5, v5
	v_fmac_f32_e32 v4, 0xcf800000, v5
	v_cvt_u32_f32_e32 v5, v5
	v_cvt_u32_f32_e32 v4, v4
	v_readfirstlane_b32 s8, v5
	v_readfirstlane_b32 s0, v4
	s_mul_i32 s1, s2, s8
	s_mul_hi_u32 s16, s2, s0
	s_mul_i32 s9, s3, s0
	s_add_i32 s1, s16, s1
	s_mul_i32 s17, s2, s0
	s_add_i32 s1, s1, s9
	s_mul_hi_u32 s16, s0, s17
	s_mul_i32 s18, s0, s1
	s_mul_hi_u32 s9, s0, s1
	s_add_u32 s16, s16, s18
	s_addc_u32 s9, 0, s9
	s_mul_hi_u32 s19, s8, s17
	s_mul_i32 s17, s8, s17
	s_add_u32 s16, s16, s17
	s_mul_hi_u32 s18, s8, s1
	s_addc_u32 s9, s9, s19
	s_addc_u32 s16, s18, 0
	s_mul_i32 s1, s8, s1
	s_add_u32 s1, s9, s1
	s_addc_u32 s9, 0, s16
	s_add_u32 s16, s0, s1
	s_cselect_b64 s[0:1], -1, 0
	s_cmp_lg_u64 s[0:1], 0
	s_addc_u32 s8, s8, s9
	s_mul_i32 s0, s2, s8
	s_mul_hi_u32 s1, s2, s16
	s_add_i32 s0, s1, s0
	s_mul_i32 s3, s3, s16
	s_add_i32 s0, s0, s3
	s_mul_i32 s2, s2, s16
	s_mul_hi_u32 s3, s8, s2
	s_mul_i32 s9, s8, s2
	s_mul_i32 s18, s16, s0
	s_mul_hi_u32 s2, s16, s2
	s_mul_hi_u32 s17, s16, s0
	s_add_u32 s2, s2, s18
	s_addc_u32 s17, 0, s17
	s_add_u32 s2, s2, s9
	s_mul_hi_u32 s1, s8, s0
	s_addc_u32 s2, s17, s3
	s_addc_u32 s1, s1, 0
	s_mul_i32 s0, s8, s0
	s_add_u32 s0, s2, s0
	s_addc_u32 s2, 0, s1
	s_add_u32 s3, s16, s0
	s_cselect_b64 s[0:1], -1, 0
	s_cmp_lg_u64 s[0:1], 0
	s_addc_u32 s0, s8, s2
	s_mul_i32 s2, s56, s0
	s_mul_hi_u32 s8, s56, s3
	s_mul_hi_u32 s1, s56, s0
	s_add_u32 s2, s8, s2
	s_addc_u32 s1, 0, s1
	s_mul_hi_u32 s9, s57, s3
	s_mul_i32 s3, s57, s3
	s_add_u32 s2, s2, s3
	s_mul_hi_u32 s8, s57, s0
	s_addc_u32 s1, s1, s9
	s_addc_u32 s2, s8, 0
	s_mul_i32 s0, s57, s0
	s_add_u32 s0, s1, s0
	s_addc_u32 s1, 0, s2
	s_mul_i32 s1, s86, s1
	s_mul_hi_u32 s2, s86, s0
	s_add_i32 s2, s2, s1
	s_mul_i32 s0, s86, s0
	s_sub_u32 s3, s56, s0
	s_cselect_b64 s[0:1], -1, 0
	s_cmp_lg_u64 s[0:1], 0
	s_subb_u32 s2, s57, s2
	s_sub_u32 s8, s3, s86
	s_cselect_b64 s[0:1], -1, 0
	s_cmp_lg_u64 s[0:1], 0
	s_subb_u32 s9, s2, 0
	;; [unrolled: 4-line block ×3, first 2 shown]
	s_cmp_ge_u32 s8, s86
	s_cselect_b32 s1, -1, 0
	s_cmp_eq_u32 s9, 0
	s_cselect_b32 s1, s1, -1
	s_cmp_lg_u32 s1, 0
	s_cselect_b32 s0, s0, s9
	s_cselect_b32 s8, s16, s8
	s_cmp_ge_u32 s3, s86
	s_cselect_b32 s1, -1, 0
	s_cmp_eq_u32 s2, 0
	s_cselect_b32 s1, s1, -1
	s_cmp_lg_u32 s1, 0
	s_cselect_b32 s1, s0, s2
	s_cselect_b32 s0, s8, s3
	s_cbranch_execnz .LBB85_60
.LBB85_59:                              ;   in Loop: Header=BB85_15 Depth=1
	v_cvt_f32_u32_e32 v4, s86
	s_sub_i32 s0, 0, s86
	v_rcp_iflag_f32_e32 v4, v4
	s_nop 0
	v_mul_f32_e32 v4, 0x4f7ffffe, v4
	v_cvt_u32_f32_e32 v4, v4
	s_nop 0
	v_readfirstlane_b32 s1, v4
	s_mul_i32 s0, s0, s1
	s_mul_hi_u32 s0, s1, s0
	s_add_i32 s1, s1, s0
	s_mul_hi_u32 s0, s56, s1
	s_mul_i32 s0, s0, s86
	s_sub_i32 s0, s56, s0
	s_sub_i32 s1, s0, s86
	s_cmp_ge_u32 s0, s86
	s_cselect_b32 s0, s1, s0
	s_sub_i32 s1, s0, s86
	s_cmp_ge_u32 s0, s86
	s_cselect_b32 s0, s1, s0
	s_mov_b32 s1, s87
.LBB85_60:                              ;   in Loop: Header=BB85_15 Depth=1
	s_sub_u32 s54, s56, s0
	s_subb_u32 s55, s57, s1
	v_cmp_gt_u64_e32 vcc, s[54:55], v[16:17]
	v_mov_b64_e32 v[4:5], 0
	v_mov_b64_e32 v[6:7], 0
	;; [unrolled: 1-line block ×4, first 2 shown]
	s_and_saveexec_b64 s[66:67], vcc
	s_cbranch_execz .LBB85_64
; %bb.61:                               ;   in Loop: Header=BB85_15 Depth=1
	s_mov_b64 s[76:77], 0
	s_mov_b64 s[58:59], 0
	;; [unrolled: 1-line block ×5, first 2 shown]
	v_mov_b64_e32 v[26:27], v[16:17]
.LBB85_62:                              ;   Parent Loop BB85_15 Depth=1
                                        ; =>  This Inner Loop Header: Depth=2
	v_mov_b64_e32 v[4:5], s[84:85]
	v_mul_lo_u32 v6, v26, s73
	v_mul_lo_u32 v7, v27, s72
	v_mad_u64_u32 v[4:5], s[0:1], v26, s72, v[4:5]
	v_add3_u32 v5, v7, v5, v6
	v_lshl_add_u64 v[6:7], v[4:5], 0, s[72:73]
	global_load_sbyte v8, v[4:5], off
	global_load_sbyte v9, v[6:7], off
	v_lshl_add_u64 v[4:5], v[6:7], 0, s[72:73]
	global_load_sbyte v6, v[4:5], off
	v_lshl_add_u64 v[4:5], v[4:5], 0, s[72:73]
	;; [unrolled: 2-line block ×3, first 2 shown]
	v_cmp_le_u64_e32 vcc, s[54:55], v[26:27]
	s_waitcnt vmcnt(3)
	v_add_u32_e32 v5, 0x80, v8
	v_and_b32_e32 v8, v5, v35
	v_bfe_u32 v5, v5, s7, 2
	s_waitcnt vmcnt(2)
	v_add_u32_e32 v7, 0x80, v9
	s_waitcnt vmcnt(1)
	v_add_u32_e32 v6, 0x80, v6
	v_cmp_eq_u32_e64 s[0:1], v8, v31
	v_cmp_eq_u32_e64 s[2:3], 0, v5
	v_and_b32_e32 v8, v7, v35
	v_bfe_u32 v7, v7, s7, 2
	v_cmp_eq_u32_e64 s[34:35], 1, v5
	v_cmp_eq_u32_e64 s[36:37], 2, v5
	v_cmp_eq_u32_e64 s[18:19], 3, v5
	s_waitcnt vmcnt(0)
	v_add_u32_e32 v4, 0x80, v4
	v_and_b32_e32 v5, v6, v35
	v_bfe_u32 v6, v6, s7, 2
	s_and_b64 s[2:3], s[0:1], s[2:3]
	v_cmp_eq_u32_e64 s[16:17], v8, v31
	v_cmp_eq_u32_e64 s[26:27], 0, v7
	;; [unrolled: 1-line block ×5, first 2 shown]
	v_cndmask_b32_e64 v7, 0, 1, s[2:3]
	v_cmp_eq_u32_e64 s[22:23], v5, v31
	v_and_b32_e32 v5, v4, v35
	v_bfe_u32 v4, v4, s7, 2
	v_cmp_eq_u32_e64 s[2:3], 0, v6
	s_and_b64 s[8:9], s[16:17], s[26:27]
	v_cmp_eq_u32_e64 s[26:27], v5, v31
	v_cmp_eq_u32_e64 s[48:49], 0, v4
	s_and_b64 s[2:3], s[22:23], s[2:3]
	v_cmp_eq_u32_e64 s[42:43], 1, v6
	v_cmp_eq_u32_e64 s[44:45], 2, v6
	;; [unrolled: 1-line block ×3, first 2 shown]
	v_cndmask_b32_e64 v6, 0, 1, s[8:9]
	v_cmp_eq_u32_e64 s[50:51], 1, v4
	v_cmp_eq_u32_e64 s[52:53], 2, v4
	;; [unrolled: 1-line block ×3, first 2 shown]
	v_cndmask_b32_e64 v4, 0, 1, s[2:3]
	s_and_b64 s[8:9], s[26:27], s[48:49]
	v_cmp_ne_u32_e64 s[46:47], 0, v7
	v_cmp_ne_u32_e64 s[2:3], 0, v4
	v_cndmask_b32_e64 v4, 0, 1, s[8:9]
	s_bcnt1_i32_b64 s65, s[46:47]
	v_cmp_ne_u32_e64 s[46:47], 0, v6
	s_bcnt1_i32_b64 s8, s[2:3]
	v_cmp_ne_u32_e64 s[2:3], 0, v4
	s_bcnt1_i32_b64 s46, s[46:47]
	s_bcnt1_i32_b64 s2, s[2:3]
	s_add_u32 s3, s65, s96
	s_addc_u32 s9, 0, s97
	s_add_u32 s3, s3, s46
	s_addc_u32 s9, s9, 0
	s_add_u32 s3, s3, s8
	s_addc_u32 s8, s9, 0
	s_add_u32 s96, s3, s2
	s_addc_u32 s97, s8, 0
	s_and_b64 s[2:3], s[0:1], s[34:35]
	v_cndmask_b32_e64 v6, 0, 1, s[2:3]
	s_and_b64 s[2:3], s[16:17], s[38:39]
	v_cndmask_b32_e64 v7, 0, 1, s[2:3]
	s_and_b64 s[2:3], s[22:23], s[42:43]
	v_cndmask_b32_e64 v8, 0, 1, s[2:3]
	s_and_b64 s[2:3], s[26:27], s[50:51]
	v_cndmask_b32_e64 v9, 0, 1, s[2:3]
	v_cmp_ne_u32_e64 s[2:3], 0, v6
	v_cmp_ne_u32_e64 s[34:35], 0, v7
	v_cmp_ne_u32_e64 s[38:39], 0, v8
	v_cmp_ne_u32_e64 s[42:43], 0, v9
	s_bcnt1_i32_b64 s2, s[2:3]
	s_bcnt1_i32_b64 s3, s[34:35]
	s_bcnt1_i32_b64 s8, s[38:39]
	s_bcnt1_i32_b64 s9, s[42:43]
	s_add_u32 s2, s2, s30
	s_addc_u32 s30, 0, s31
	s_add_u32 s2, s2, s3
	s_addc_u32 s3, s30, 0
	s_add_u32 s2, s2, s8
	s_addc_u32 s3, s3, 0
	s_add_u32 s30, s2, s9
	s_addc_u32 s31, s3, 0
	s_and_b64 s[2:3], s[0:1], s[36:37]
	v_cndmask_b32_e64 v8, 0, 1, s[2:3]
	s_and_b64 s[2:3], s[16:17], s[40:41]
	v_cndmask_b32_e64 v9, 0, 1, s[2:3]
	s_and_b64 s[2:3], s[22:23], s[44:45]
	v_cndmask_b32_e64 v10, 0, 1, s[2:3]
	s_and_b64 s[2:3], s[26:27], s[52:53]
	v_cndmask_b32_e64 v11, 0, 1, s[2:3]
	v_cmp_ne_u32_e64 s[2:3], 0, v8
	v_cmp_ne_u32_e64 s[34:35], 0, v9
	v_cmp_ne_u32_e64 s[36:37], 0, v10
	v_cmp_ne_u32_e64 s[38:39], 0, v11
	s_bcnt1_i32_b64 s2, s[2:3]
	s_bcnt1_i32_b64 s3, s[34:35]
	;; [unrolled: 24-line block ×3, first 2 shown]
	s_bcnt1_i32_b64 s2, s[16:17]
	s_bcnt1_i32_b64 s3, s[18:19]
	s_add_u32 s0, s0, s58
	s_addc_u32 s8, 0, s59
	s_add_u32 s0, s0, s1
	s_addc_u32 s1, s8, 0
	s_add_u32 s0, s0, s2
	s_addc_u32 s1, s1, 0
	s_add_u32 s58, s0, s3
	s_addc_u32 s59, s1, 0
	v_mov_b64_e32 v[4:5], s[96:97]
	v_mov_b64_e32 v[6:7], s[30:31]
	;; [unrolled: 1-line block ×3, first 2 shown]
	s_or_b64 s[76:77], vcc, s[76:77]
	v_mov_b64_e32 v[10:11], s[58:59]
	s_andn2_b64 exec, exec, s[76:77]
	s_cbranch_execnz .LBB85_62
; %bb.63:                               ;   in Loop: Header=BB85_15 Depth=1
	s_or_b64 exec, exec, s[76:77]
	v_readlane_b32 s74, v57, 41
	v_readlane_b32 s75, v57, 42
	;; [unrolled: 1-line block ×4, first 2 shown]
.LBB85_64:                              ;   in Loop: Header=BB85_15 Depth=1
	s_or_b64 exec, exec, s[66:67]
	v_lshl_add_u64 v[26:27], s[54:55], 0, v[0:1]
	v_and_b32_e32 v2, 0xffff, v2
	v_cmp_gt_u64_e32 vcc, s[56:57], v[26:27]
	s_and_saveexec_b64 s[2:3], vcc
	s_cbranch_execz .LBB85_70
; %bb.65:                               ;   in Loop: Header=BB85_15 Depth=1
	v_mov_b64_e32 v[38:39], s[84:85]
	v_mad_u64_u32 v[38:39], s[0:1], v26, s72, v[38:39]
	v_mul_lo_u32 v37, v26, s73
	v_mul_lo_u32 v42, v27, s72
	v_add3_u32 v39, v42, v39, v37
	global_load_ubyte v38, v[38:39], off
	s_mov_b64 s[8:9], 0
	s_branch .LBB85_67
.LBB85_66:                              ;   in Loop: Header=BB85_67 Depth=2
	s_or_b64 exec, exec, s[16:17]
	s_waitcnt vmcnt(0)
	v_add_u32_sdwa v38, sext(v38), s68 dst_sel:DWORD dst_unused:UNUSED_PAD src0_sel:BYTE_0 src1_sel:DWORD
	s_and_b64 s[0:1], exec, vcc
	v_and_b32_e32 v39, v38, v35
	v_bfe_u32 v38, v38, s7, 2
	s_or_b64 s[8:9], s[0:1], s[8:9]
	v_cmp_eq_u32_e32 vcc, v39, v31
	v_cmp_eq_u32_e64 s[0:1], 0, v38
	s_and_b64 s[0:1], vcc, s[0:1]
	s_nop 0
	v_cndmask_b32_e64 v39, 0, 1, s[0:1]
	v_cmp_ne_u32_e64 s[0:1], 0, v39
	s_bcnt1_i32_b64 s86, s[0:1]
	v_cmp_eq_u32_e64 s[0:1], 1, v38
	s_and_b64 s[0:1], vcc, s[0:1]
	v_lshl_add_u64 v[4:5], s[86:87], 0, v[4:5]
	v_cndmask_b32_e64 v39, 0, 1, s[0:1]
	v_cmp_ne_u32_e64 s[0:1], 0, v39
	s_bcnt1_i32_b64 s86, s[0:1]
	v_cmp_eq_u32_e64 s[0:1], 2, v38
	s_and_b64 s[0:1], vcc, s[0:1]
	v_lshl_add_u64 v[6:7], s[86:87], 0, v[6:7]
	;; [unrolled: 6-line block ×3, first 2 shown]
	v_cndmask_b32_e64 v38, 0, 1, s[0:1]
	v_cmp_ne_u32_e32 vcc, 0, v38
	s_bcnt1_i32_b64 s86, vcc
	v_lshl_add_u64 v[10:11], s[86:87], 0, v[10:11]
	v_mov_b32_e32 v38, v37
	s_andn2_b64 exec, exec, s[8:9]
	s_cbranch_execz .LBB85_69
.LBB85_67:                              ;   Parent Loop BB85_15 Depth=1
                                        ; =>  This Inner Loop Header: Depth=2
	v_lshl_add_u64 v[26:27], v[26:27], 0, v[2:3]
	v_cmp_gt_u64_e64 s[0:1], s[56:57], v[26:27]
	v_cmp_le_u64_e32 vcc, s[56:57], v[26:27]
	v_mov_b32_e32 v37, 0
	s_and_saveexec_b64 s[16:17], s[0:1]
	s_cbranch_execz .LBB85_66
; %bb.68:                               ;   in Loop: Header=BB85_67 Depth=2
	v_mov_b64_e32 v[42:43], s[84:85]
	v_mad_u64_u32 v[42:43], s[0:1], v26, s72, v[42:43]
	v_mul_lo_u32 v37, v26, s73
	v_mul_lo_u32 v39, v27, s72
	v_add3_u32 v43, v39, v43, v37
	global_load_ubyte v37, v[42:43], off
	s_branch .LBB85_66
.LBB85_69:                              ;   in Loop: Header=BB85_15 Depth=1
	s_or_b64 exec, exec, s[8:9]
.LBB85_70:                              ;   in Loop: Header=BB85_15 Depth=1
	s_or_b64 exec, exec, s[2:3]
	s_branch .LBB85_49
.LBB85_71:                              ;   in Loop: Header=BB85_15 Depth=1
	global_load_ushort v2, v3, s[94:95]
	v_mov_b64_e32 v[8:9], 0
	s_waitcnt vmcnt(0)
	v_readfirstlane_b32 s0, v2
	s_and_b32 s65, 0xffff, s0
	s_lshl_b32 s86, s65, 2
	v_cvt_f32_u32_e32 v4, s86
	s_sub_i32 s0, 0, s86
	v_rcp_iflag_f32_e32 v6, v4
	v_mov_b64_e32 v[4:5], 0
	v_mul_f32_e32 v6, 0x4f7ffffe, v6
	v_cvt_u32_f32_e32 v10, v6
	v_mov_b64_e32 v[6:7], 0
	v_readfirstlane_b32 s1, v10
	s_mul_i32 s0, s0, s1
	s_mul_hi_u32 s0, s1, s0
	s_add_i32 s1, s1, s0
	s_mul_hi_u32 s0, s64, s1
	s_mul_i32 s1, s0, s86
	s_sub_i32 s1, s64, s1
	s_add_i32 s2, s0, 1
	s_sub_i32 s3, s1, s86
	s_cmp_ge_u32 s1, s86
	s_cselect_b32 s0, s2, s0
	s_cselect_b32 s1, s3, s1
	s_add_i32 s2, s0, 1
	s_cmp_ge_u32 s1, s86
	s_cselect_b32 s0, s2, s0
	s_mul_hi_u32 s67, s65, s0
	s_mul_i32 s66, s65, s0
	s_lshl_b64 s[76:77], s[66:67], 2
	v_cmp_gt_u64_e32 vcc, s[76:77], v[16:17]
	v_mov_b64_e32 v[10:11], 0
	s_and_saveexec_b64 s[58:59], vcc
	s_cbranch_execz .LBB85_75
; %bb.72:                               ;   in Loop: Header=BB85_15 Depth=1
	s_mov_b64 s[88:89], s[98:99]
	s_mov_b64 s[30:31], 0
	v_mov_b32_e32 v37, v16
	s_mov_b64 s[74:75], 0
	s_mov_b64 s[96:97], 0
	s_mov_b64 s[98:99], 0
	s_mov_b64 s[8:9], 0
	v_mov_b64_e32 v[26:27], v[16:17]
.LBB85_73:                              ;   Parent Loop BB85_15 Depth=1
                                        ; =>  This Inner Loop Header: Depth=2
	ds_read_b32 v4, v37
	v_lshl_add_u64 v[26:27], v[26:27], 0, s[86:87]
	v_cmp_le_u64_e32 vcc, s[76:77], v[26:27]
	v_add_u32_e32 v37, s86, v37
	s_waitcnt lgkmcnt(0)
	v_add_u32_sdwa v5, sext(v4), s68 dst_sel:DWORD dst_unused:UNUSED_PAD src0_sel:BYTE_0 src1_sel:DWORD
	v_add_u32_sdwa v6, sext(v4), s68 dst_sel:DWORD dst_unused:UNUSED_PAD src0_sel:BYTE_1 src1_sel:DWORD
	v_and_b32_e32 v8, v5, v35
	v_bfe_u32 v5, v5, s7, 2
	v_add_u32_sdwa v7, sext(v4), s68 dst_sel:DWORD dst_unused:UNUSED_PAD src0_sel:BYTE_2 src1_sel:DWORD
	v_add_u32_sdwa v4, sext(v4), s68 dst_sel:DWORD dst_unused:UNUSED_PAD src0_sel:BYTE_3 src1_sel:DWORD
	v_and_b32_e32 v9, v6, v35
	v_bfe_u32 v6, v6, s7, 2
	v_cmp_eq_u32_e64 s[20:21], v8, v31
	v_cmp_eq_u32_e64 s[2:3], 0, v5
	v_and_b32_e32 v10, v7, v35
	v_and_b32_e32 v11, v4, v35
	v_bfe_u32 v7, v7, s7, 2
	v_bfe_u32 v4, v4, s7, 2
	v_cmp_eq_u32_e64 s[18:19], v9, v31
	v_cmp_eq_u32_e64 s[34:35], 0, v6
	s_and_b64 s[2:3], s[20:21], s[2:3]
	v_cmp_eq_u32_e64 s[16:17], v10, v31
	v_cmp_eq_u32_e64 s[36:37], 0, v7
	;; [unrolled: 1-line block ×6, first 2 shown]
	v_cndmask_b32_e64 v4, 0, 1, s[2:3]
	s_and_b64 s[2:3], s[18:19], s[34:35]
	v_cmp_eq_u32_e64 s[0:1], v11, v31
	v_cmp_eq_u32_e64 s[40:41], 1, v5
	;; [unrolled: 1-line block ×4, first 2 shown]
	v_cndmask_b32_e64 v5, 0, 1, s[2:3]
	s_and_b64 s[2:3], s[16:17], s[36:37]
	v_cmp_eq_u32_e64 s[42:43], 1, v6
	v_cmp_eq_u32_e64 s[50:51], 2, v6
	;; [unrolled: 1-line block ×3, first 2 shown]
	v_cndmask_b32_e64 v6, 0, 1, s[2:3]
	s_and_b64 s[2:3], s[0:1], s[38:39]
	v_cmp_eq_u32_e64 s[44:45], 1, v7
	v_cmp_eq_u32_e64 s[52:53], 2, v7
	;; [unrolled: 1-line block ×3, first 2 shown]
	v_cndmask_b32_e64 v7, 0, 1, s[2:3]
	v_cmp_ne_u32_e64 s[2:3], 0, v4
	v_cmp_ne_u32_e64 s[34:35], 0, v5
	;; [unrolled: 1-line block ×4, first 2 shown]
	s_bcnt1_i32_b64 s2, s[2:3]
	s_bcnt1_i32_b64 s3, s[34:35]
	;; [unrolled: 1-line block ×4, first 2 shown]
	s_add_u32 s2, s2, s8
	s_addc_u32 s8, 0, s9
	s_add_u32 s2, s2, s3
	s_addc_u32 s3, s8, 0
	;; [unrolled: 2-line block ×4, first 2 shown]
	s_and_b64 s[2:3], s[20:21], s[40:41]
	v_cndmask_b32_e64 v6, 0, 1, s[2:3]
	s_and_b64 s[2:3], s[18:19], s[42:43]
	v_cndmask_b32_e64 v7, 0, 1, s[2:3]
	;; [unrolled: 2-line block ×4, first 2 shown]
	v_cmp_ne_u32_e64 s[2:3], 0, v6
	v_cmp_ne_u32_e64 s[34:35], 0, v7
	v_cmp_ne_u32_e64 s[36:37], 0, v8
	v_cmp_ne_u32_e64 s[38:39], 0, v9
	s_bcnt1_i32_b64 s2, s[2:3]
	s_bcnt1_i32_b64 s3, s[34:35]
	s_bcnt1_i32_b64 s34, s[36:37]
	s_bcnt1_i32_b64 s35, s[38:39]
	s_add_u32 s2, s2, s98
	s_addc_u32 s36, 0, s99
	s_add_u32 s2, s2, s3
	s_addc_u32 s3, s36, 0
	;; [unrolled: 2-line block ×4, first 2 shown]
	s_and_b64 s[2:3], s[20:21], s[48:49]
	v_cndmask_b32_e64 v8, 0, 1, s[2:3]
	s_and_b64 s[2:3], s[18:19], s[50:51]
	v_cndmask_b32_e64 v9, 0, 1, s[2:3]
	;; [unrolled: 2-line block ×4, first 2 shown]
	v_cmp_ne_u32_e64 s[2:3], 0, v8
	v_cmp_ne_u32_e64 s[34:35], 0, v9
	;; [unrolled: 1-line block ×4, first 2 shown]
	s_bcnt1_i32_b64 s2, s[2:3]
	s_bcnt1_i32_b64 s3, s[34:35]
	s_bcnt1_i32_b64 s34, s[36:37]
	s_bcnt1_i32_b64 s35, s[38:39]
	s_add_u32 s2, s2, s96
	s_addc_u32 s36, 0, s97
	s_add_u32 s2, s2, s3
	s_addc_u32 s3, s36, 0
	;; [unrolled: 2-line block ×4, first 2 shown]
	s_and_b64 s[2:3], s[20:21], s[28:29]
	v_cndmask_b32_e64 v10, 0, 1, s[2:3]
	s_and_b64 s[2:3], s[18:19], s[26:27]
	v_cndmask_b32_e64 v11, 0, 1, s[2:3]
	s_and_b64 s[2:3], s[16:17], s[24:25]
	s_and_b64 s[0:1], s[0:1], s[22:23]
	v_cndmask_b32_e64 v38, 0, 1, s[2:3]
	v_cndmask_b32_e64 v39, 0, 1, s[0:1]
	v_cmp_ne_u32_e64 s[0:1], 0, v10
	v_cmp_ne_u32_e64 s[2:3], 0, v11
	;; [unrolled: 1-line block ×4, first 2 shown]
	s_bcnt1_i32_b64 s0, s[0:1]
	s_bcnt1_i32_b64 s1, s[2:3]
	s_bcnt1_i32_b64 s2, s[16:17]
	s_bcnt1_i32_b64 s3, s[18:19]
	s_add_u32 s0, s0, s74
	s_addc_u32 s16, 0, s75
	s_add_u32 s0, s0, s1
	s_addc_u32 s1, s16, 0
	;; [unrolled: 2-line block ×4, first 2 shown]
	v_mov_b64_e32 v[4:5], s[8:9]
	v_mov_b64_e32 v[6:7], s[98:99]
	;; [unrolled: 1-line block ×3, first 2 shown]
	s_or_b64 s[30:31], vcc, s[30:31]
	v_mov_b64_e32 v[10:11], s[74:75]
	s_andn2_b64 exec, exec, s[30:31]
	s_cbranch_execnz .LBB85_73
; %bb.74:                               ;   in Loop: Header=BB85_15 Depth=1
	s_or_b64 exec, exec, s[30:31]
	v_readlane_b32 s74, v57, 41
	s_mov_b64 s[98:99], s[88:89]
	v_readlane_b32 s75, v57, 42
	v_readlane_b32 s88, v57, 44
	;; [unrolled: 1-line block ×3, first 2 shown]
.LBB85_75:                              ;   in Loop: Header=BB85_15 Depth=1
	s_or_b64 exec, exec, s[58:59]
	s_and_b32 s8, s64, 0x7fffffff
	s_mov_b32 s9, s87
	v_lshl_add_u64 v[26:27], s[76:77], 0, v[0:1]
	v_and_b32_e32 v2, 0xffff, v2
	v_cmp_gt_u64_e32 vcc, s[8:9], v[26:27]
	s_and_saveexec_b64 s[22:23], vcc
	s_cbranch_execz .LBB85_79
; %bb.76:                               ;   in Loop: Header=BB85_15 Depth=1
	v_lshl_add_u32 v37, s66, 2, v0
	s_mov_b64 s[24:25], 0
.LBB85_77:                              ;   Parent Loop BB85_15 Depth=1
                                        ; =>  This Inner Loop Header: Depth=2
	ds_read_i8 v38, v37
	v_lshl_add_u64 v[26:27], v[26:27], 0, v[2:3]
	v_cmp_le_u64_e32 vcc, s[8:9], v[26:27]
	v_add_u32_e32 v37, s65, v37
	s_waitcnt lgkmcnt(0)
	v_add_u32_e32 v38, 0x80, v38
	v_and_b32_e32 v39, v38, v35
	v_bfe_u32 v38, v38, s7, 2
	v_cmp_eq_u32_e64 s[0:1], v39, v31
	v_cmp_eq_u32_e64 s[2:3], 0, v38
	;; [unrolled: 1-line block ×3, first 2 shown]
	s_and_b64 s[2:3], s[0:1], s[2:3]
	v_cmp_eq_u32_e64 s[18:19], 2, v38
	v_cmp_eq_u32_e64 s[20:21], 3, v38
	v_cndmask_b32_e64 v38, 0, 1, s[2:3]
	s_and_b64 s[2:3], s[0:1], s[16:17]
	v_cndmask_b32_e64 v39, 0, 1, s[2:3]
	s_and_b64 s[2:3], s[0:1], s[18:19]
	s_and_b64 s[0:1], s[0:1], s[20:21]
	v_cndmask_b32_e64 v43, 0, 1, s[0:1]
	v_cmp_ne_u32_e64 s[0:1], 0, v38
	v_cndmask_b32_e64 v42, 0, 1, s[2:3]
	v_cmp_ne_u32_e64 s[2:3], 0, v39
	s_bcnt1_i32_b64 s86, s[0:1]
	v_cmp_ne_u32_e64 s[16:17], 0, v42
	v_lshl_add_u64 v[4:5], s[86:87], 0, v[4:5]
	s_bcnt1_i32_b64 s86, s[2:3]
	v_cmp_ne_u32_e64 s[18:19], 0, v43
	v_lshl_add_u64 v[6:7], s[86:87], 0, v[6:7]
	s_bcnt1_i32_b64 s86, s[16:17]
	v_lshl_add_u64 v[8:9], s[86:87], 0, v[8:9]
	s_bcnt1_i32_b64 s86, s[18:19]
	s_or_b64 s[24:25], vcc, s[24:25]
	v_lshl_add_u64 v[10:11], s[86:87], 0, v[10:11]
	s_andn2_b64 exec, exec, s[24:25]
	s_cbranch_execnz .LBB85_77
; %bb.78:                               ;   in Loop: Header=BB85_15 Depth=1
	s_or_b64 exec, exec, s[24:25]
.LBB85_79:                              ;   in Loop: Header=BB85_15 Depth=1
	s_or_b64 exec, exec, s[22:23]
	s_lshl_b32 s2, s91, 6
	s_and_saveexec_b64 s[0:1], s[4:5]
	s_cbranch_execnz .LBB85_50
	s_branch .LBB85_51
.LBB85_80:                              ;   in Loop: Header=BB85_15 Depth=1
                                        ; implicit-def: $sgpr0_sgpr1
	s_branch .LBB85_59
.LBB85_81:                              ;   in Loop: Header=BB85_15 Depth=1
	s_mov_b32 s3, 0
	v_mov_b64_e32 v[4:5], 0
.LBB85_82:                              ;   in Loop: Header=BB85_15 Depth=1
	v_readlane_b32 s8, v57, 39
	v_readlane_b32 s9, v57, 40
	s_andn2_b64 vcc, exec, s[8:9]
	s_cbranch_vccnz .LBB85_85
; %bb.83:                               ;   in Loop: Header=BB85_15 Depth=1
	s_lshl_b32 s8, s91, 9
	s_lshl_b32 s3, s3, 5
	s_add_i32 s8, s8, s3
	v_add_u32_e32 v2, s8, v32
	v_readlane_b32 s3, v57, 38
.LBB85_84:                              ;   Parent Loop BB85_15 Depth=1
                                        ; =>  This Inner Loop Header: Depth=2
	ds_read_b64 v[6:7], v2
	s_add_i32 s3, s3, -1
	v_add_u32_e32 v2, 32, v2
	s_cmp_lg_u32 s3, 0
	s_waitcnt lgkmcnt(0)
	v_lshl_add_u64 v[4:5], v[6:7], 0, v[4:5]
	s_cbranch_scc1 .LBB85_84
.LBB85_85:                              ;   in Loop: Header=BB85_15 Depth=1
	v_add_lshl_u32 v2, s2, v28, 3
	ds_write_b64 v2, v[4:5] offset:3072
.LBB85_86:                              ;   in Loop: Header=BB85_15 Depth=1
	s_or_b64 exec, exec, s[0:1]
	s_lshl_b32 s0, s2, 3
	v_mov_b32_e32 v2, s0
	s_waitcnt lgkmcnt(0)
	s_barrier
	ds_read_b128 v[8:11], v2 offset:3088
	ds_read_b128 v[4:7], v2 offset:3072
	s_lshl_b32 s66, 3, s7
	v_cmp_eq_u64_e64 s[0:1], 1, v[24:25]
	s_not_b32 s54, s66
	s_waitcnt lgkmcnt(1)
	v_readfirstlane_b32 s22, v8
	s_waitcnt lgkmcnt(0)
	v_cmp_eq_u64_e32 vcc, 1, v[4:5]
	v_readfirstlane_b32 s23, v9
	v_readfirstlane_b32 s2, v10
	;; [unrolled: 1-line block ×3, first 2 shown]
	s_and_b64 s[18:19], vcc, s[0:1]
	s_mov_b64 s[0:1], -1
	s_mov_b64 s[8:9], -1
                                        ; implicit-def: $sgpr24_sgpr25
                                        ; implicit-def: $sgpr20_sgpr21
	s_and_saveexec_b64 s[16:17], s[18:19]
	s_cbranch_execz .LBB85_124
; %bb.87:                               ;   in Loop: Header=BB85_15 Depth=1
	ds_read_b64 v[8:9], v3 offset:5120
	s_waitcnt lgkmcnt(0)
	s_barrier
	v_readfirstlane_b32 s26, v8
	v_readfirstlane_b32 s27, v9
	s_and_saveexec_b64 s[8:9], s[98:99]
; %bb.88:                               ;   in Loop: Header=BB85_15 Depth=1
	ds_write_b8 v0, v3 offset:3072
; %bb.89:                               ;   in Loop: Header=BB85_15 Depth=1
	s_or_b64 exec, exec, s[8:9]
	v_and_b32_e32 v31, s54, v31
	v_or_b32_e32 v35, s66, v35
	s_mov_b64 s[20:21], -1
	s_mov_b64 s[24:25], 0
	s_cmp_eq_u64 s[26:27], 0
	s_mov_b64 s[8:9], 0
	s_mov_b64 s[28:29], -1
	s_waitcnt lgkmcnt(0)
	s_barrier
                                        ; implicit-def: $vgpr36
	s_cbranch_scc1 .LBB85_103
; %bb.90:                               ;   in Loop: Header=BB85_15 Depth=1
	v_readlane_b32 s8, v57, 30
	s_add_u32 s34, s26, s8
	v_readlane_b32 s8, v57, 31
	s_addc_u32 s9, s27, s8
	s_mov_b32 s8, s87
	s_cmp_lg_u64 s[8:9], 0
	s_cbranch_scc0 .LBB85_106
; %bb.91:                               ;   in Loop: Header=BB85_15 Depth=1
	v_cvt_f32_u32_e32 v2, s82
	s_sub_u32 s8, 0, s82
	s_subb_u32 s30, 0, 0
	v_fmac_f32_e32 v2, 0, v33
	v_rcp_f32_e32 v2, v2
	s_nop 0
	v_mul_f32_e32 v2, 0x5f7ffffc, v2
	v_mul_f32_e32 v8, 0x2f800000, v2
	v_trunc_f32_e32 v8, v8
	v_fmac_f32_e32 v2, 0xcf800000, v8
	v_cvt_u32_f32_e32 v8, v8
	v_cvt_u32_f32_e32 v2, v2
	v_readfirstlane_b32 s31, v8
	v_readfirstlane_b32 s28, v2
	s_mul_i32 s29, s8, s31
	s_mul_hi_u32 s36, s8, s28
	s_mul_i32 s35, s30, s28
	s_add_i32 s29, s36, s29
	s_mul_i32 s37, s8, s28
	s_add_i32 s29, s29, s35
	s_mul_hi_u32 s36, s28, s37
	s_mul_i32 s38, s28, s29
	s_mul_hi_u32 s35, s28, s29
	s_add_u32 s36, s36, s38
	s_addc_u32 s35, 0, s35
	s_mul_hi_u32 s39, s31, s37
	s_mul_i32 s37, s31, s37
	s_add_u32 s36, s36, s37
	s_mul_hi_u32 s38, s31, s29
	s_addc_u32 s35, s35, s39
	s_addc_u32 s36, s38, 0
	s_mul_i32 s29, s31, s29
	s_add_u32 s29, s35, s29
	s_addc_u32 s35, 0, s36
	s_add_u32 s36, s28, s29
	s_cselect_b64 s[28:29], -1, 0
	s_cmp_lg_u64 s[28:29], 0
	s_addc_u32 s31, s31, s35
	s_mul_i32 s28, s8, s31
	s_mul_hi_u32 s29, s8, s36
	s_add_i32 s28, s29, s28
	s_mul_i32 s30, s30, s36
	s_add_i32 s28, s28, s30
	s_mul_i32 s8, s8, s36
	s_mul_hi_u32 s30, s31, s8
	s_mul_i32 s35, s31, s8
	s_mul_i32 s38, s36, s28
	s_mul_hi_u32 s8, s36, s8
	s_mul_hi_u32 s37, s36, s28
	s_add_u32 s8, s8, s38
	s_addc_u32 s37, 0, s37
	s_add_u32 s8, s8, s35
	s_mul_hi_u32 s29, s31, s28
	s_addc_u32 s8, s37, s30
	s_addc_u32 s29, s29, 0
	s_mul_i32 s28, s31, s28
	s_add_u32 s8, s8, s28
	s_addc_u32 s30, 0, s29
	s_add_u32 s8, s36, s8
	s_cselect_b64 s[28:29], -1, 0
	s_cmp_lg_u64 s[28:29], 0
	s_addc_u32 s28, s31, s30
	s_mul_i32 s30, s34, s28
	s_mul_hi_u32 s31, s34, s8
	s_mul_hi_u32 s29, s34, s28
	s_add_u32 s30, s31, s30
	s_addc_u32 s29, 0, s29
	s_mul_hi_u32 s35, s9, s8
	s_mul_i32 s8, s9, s8
	s_add_u32 s8, s30, s8
	s_mul_hi_u32 s31, s9, s28
	s_addc_u32 s8, s29, s35
	s_addc_u32 s29, s31, 0
	s_mul_i32 s28, s9, s28
	s_add_u32 s8, s8, s28
	s_addc_u32 s28, 0, s29
	s_mul_i32 s28, s82, s28
	s_mul_hi_u32 s29, s82, s8
	s_add_i32 s30, s29, s28
	s_mul_i32 s8, s82, s8
	s_sub_u32 s8, s34, s8
	s_cselect_b64 s[28:29], -1, 0
	s_cmp_lg_u64 s[28:29], 0
	s_subb_u32 s30, s9, s30
	s_sub_u32 s31, s8, s82
	s_cselect_b64 s[28:29], -1, 0
	s_cmp_lg_u64 s[28:29], 0
	s_subb_u32 s35, s30, 0
	;; [unrolled: 4-line block ×3, first 2 shown]
	s_cmp_ge_u32 s31, s82
	s_cselect_b32 s29, -1, 0
	s_cmp_eq_u32 s35, 0
	s_cselect_b32 s29, s29, -1
	s_cmp_lg_u32 s29, 0
	s_cselect_b32 s28, s28, s35
	s_cselect_b32 s31, s36, s31
	s_cmp_ge_u32 s8, s82
	s_cselect_b32 s29, -1, 0
	s_cmp_eq_u32 s30, 0
	s_cselect_b32 s29, s29, -1
	s_cmp_lg_u32 s29, 0
	s_cselect_b32 s29, s28, s30
	s_cselect_b32 s28, s31, s8
	s_cbranch_execnz .LBB85_93
.LBB85_92:                              ;   in Loop: Header=BB85_15 Depth=1
	v_cvt_f32_u32_e32 v2, s82
	s_sub_i32 s8, 0, s82
	v_rcp_iflag_f32_e32 v2, v2
	s_nop 0
	v_mul_f32_e32 v2, 0x4f7ffffe, v2
	v_cvt_u32_f32_e32 v2, v2
	s_nop 0
	v_readfirstlane_b32 s28, v2
	s_mul_i32 s8, s8, s28
	s_mul_hi_u32 s8, s28, s8
	s_add_i32 s28, s28, s8
	s_mul_hi_u32 s8, s34, s28
	s_mul_i32 s8, s8, s82
	s_sub_i32 s8, s34, s8
	s_sub_i32 s28, s8, s82
	s_cmp_ge_u32 s8, s82
	s_cselect_b32 s8, s28, s8
	s_sub_i32 s28, s8, s82
	s_cmp_ge_u32 s8, s82
	s_cselect_b32 s86, s28, s8
	s_mov_b64 s[28:29], s[86:87]
.LBB85_93:                              ;   in Loop: Header=BB85_15 Depth=1
	s_sub_u32 s34, s34, s28
	s_subb_u32 s35, s9, s29
	v_cmp_gt_u64_e32 vcc, s[34:35], v[0:1]
	s_mov_b64 s[28:29], 0
	s_mov_b64 s[8:9], 0
                                        ; implicit-def: $vgpr36
	s_and_saveexec_b64 s[30:31], vcc
	s_cbranch_execz .LBB85_102
; %bb.94:                               ;   in Loop: Header=BB85_15 Depth=1
	v_mov_b32_e32 v2, v0
	v_mov_b64_e32 v[8:9], v[0:1]
                                        ; implicit-def: $sgpr36_sgpr37
	s_branch .LBB85_97
.LBB85_95:                              ;   in Loop: Header=BB85_97 Depth=2
	s_or_b64 exec, exec, s[38:39]
	s_waitcnt lgkmcnt(0)
	s_barrier
	ds_read_u16 v10, v3 offset:3072
	s_mov_b64 s[38:39], -1
	s_waitcnt lgkmcnt(0)
	s_barrier
	v_cmp_ne_u32_sdwa s[40:41], v10, v3 src0_sel:BYTE_0 src1_sel:DWORD
	s_and_b64 vcc, exec, s[40:41]
	s_mov_b64 s[40:41], -1
	s_cbranch_vccz .LBB85_100
.LBB85_96:                              ;   in Loop: Header=BB85_97 Depth=2
	s_and_b64 s[38:39], exec, s[38:39]
	s_or_b64 s[8:9], s[38:39], s[8:9]
	s_andn2_b64 s[36:37], s[36:37], exec
	s_and_b64 s[38:39], s[40:41], exec
	s_or_b64 s[36:37], s[36:37], s[38:39]
	s_andn2_b64 exec, exec, s[8:9]
	s_cbranch_execz .LBB85_101
.LBB85_97:                              ;   Parent Loop BB85_15 Depth=1
                                        ; =>  This Inner Loop Header: Depth=2
	v_cmp_gt_u64_e32 vcc, s[26:27], v[8:9]
	s_and_saveexec_b64 s[38:39], vcc
	s_cbranch_execz .LBB85_95
; %bb.98:                               ;   in Loop: Header=BB85_97 Depth=2
	ds_read_u8 v10, v2
	s_waitcnt lgkmcnt(0)
	v_add_u32_sdwa v11, sext(v10), s68 dst_sel:DWORD dst_unused:UNUSED_PAD src0_sel:BYTE_0 src1_sel:DWORD
	v_and_b32_e32 v11, v11, v35
	v_cmp_eq_u32_e32 vcc, v11, v31
	s_and_b64 exec, exec, vcc
	s_cbranch_execz .LBB85_95
; %bb.99:                               ;   in Loop: Header=BB85_97 Depth=2
	v_lshlrev_b16_e32 v10, 8, v10
	v_or_b32_e32 v10, 1, v10
	ds_write_b16 v3, v10 offset:3072
	s_branch .LBB85_95
.LBB85_100:                             ;   in Loop: Header=BB85_97 Depth=2
	v_lshl_add_u64 v[8:9], v[8:9], 0, s[82:83]
	v_cmp_le_u64_e32 vcc, s[34:35], v[8:9]
	v_add_u32_e32 v2, s82, v2
	s_mov_b64 s[40:41], 0
	s_orn2_b64 s[38:39], vcc, exec
	s_branch .LBB85_96
.LBB85_101:                             ;   in Loop: Header=BB85_15 Depth=1
	s_or_b64 exec, exec, s[8:9]
	v_lshrrev_b32_sdwa v36, v34, v10 dst_sel:DWORD dst_unused:UNUSED_PAD src0_sel:DWORD src1_sel:WORD_0
	s_and_b64 s[8:9], s[36:37], exec
.LBB85_102:                             ;   in Loop: Header=BB85_15 Depth=1
	s_or_b64 exec, exec, s[30:31]
.LBB85_103:                             ;   in Loop: Header=BB85_15 Depth=1
	s_and_b64 vcc, exec, s[28:29]
	s_cbranch_vccz .LBB85_123
; %bb.104:                              ;   in Loop: Header=BB85_15 Depth=1
	s_mov_b32 s92, s87
	s_cmp_lg_u64 s[92:93], 0
	s_cbranch_scc0 .LBB85_110
; %bb.105:                              ;   in Loop: Header=BB85_15 Depth=1
	v_cvt_f32_u32_e32 v2, s82
	s_sub_u32 s24, 0, s82
	s_subb_u32 s25, 0, 0
	v_fmac_f32_e32 v2, 0, v33
	v_rcp_f32_e32 v2, v2
	s_nop 0
	v_mul_f32_e32 v2, 0x5f7ffffc, v2
	v_mul_f32_e32 v8, 0x2f800000, v2
	v_trunc_f32_e32 v8, v8
	v_fmac_f32_e32 v2, 0xcf800000, v8
	v_cvt_u32_f32_e32 v8, v8
	v_cvt_u32_f32_e32 v2, v2
	v_readfirstlane_b32 s26, v8
	v_readfirstlane_b32 s20, v2
	s_mul_i32 s21, s24, s26
	s_mul_hi_u32 s28, s24, s20
	s_mul_i32 s27, s25, s20
	s_add_i32 s21, s28, s21
	s_mul_i32 s29, s24, s20
	s_add_i32 s21, s21, s27
	s_mul_hi_u32 s28, s20, s29
	s_mul_i32 s30, s20, s21
	s_mul_hi_u32 s27, s20, s21
	s_add_u32 s28, s28, s30
	s_addc_u32 s27, 0, s27
	s_mul_hi_u32 s31, s26, s29
	s_mul_i32 s29, s26, s29
	s_add_u32 s28, s28, s29
	s_mul_hi_u32 s30, s26, s21
	s_addc_u32 s27, s27, s31
	s_addc_u32 s28, s30, 0
	s_mul_i32 s21, s26, s21
	s_add_u32 s21, s27, s21
	s_addc_u32 s27, 0, s28
	s_add_u32 s28, s20, s21
	s_cselect_b64 s[20:21], -1, 0
	s_cmp_lg_u64 s[20:21], 0
	s_addc_u32 s26, s26, s27
	s_mul_i32 s20, s24, s26
	s_mul_hi_u32 s21, s24, s28
	s_add_i32 s20, s21, s20
	s_mul_i32 s25, s25, s28
	s_add_i32 s20, s20, s25
	s_mul_i32 s24, s24, s28
	s_mul_hi_u32 s25, s26, s24
	s_mul_i32 s27, s26, s24
	s_mul_i32 s30, s28, s20
	s_mul_hi_u32 s24, s28, s24
	s_mul_hi_u32 s29, s28, s20
	s_add_u32 s24, s24, s30
	s_addc_u32 s29, 0, s29
	s_add_u32 s24, s24, s27
	s_mul_hi_u32 s21, s26, s20
	s_addc_u32 s24, s29, s25
	s_addc_u32 s21, s21, 0
	s_mul_i32 s20, s26, s20
	s_add_u32 s20, s24, s20
	s_addc_u32 s24, 0, s21
	s_add_u32 s25, s28, s20
	s_cselect_b64 s[20:21], -1, 0
	s_cmp_lg_u64 s[20:21], 0
	s_addc_u32 s20, s26, s24
	s_mul_i32 s24, s14, s20
	s_mul_hi_u32 s26, s14, s25
	s_mul_hi_u32 s21, s14, s20
	s_add_u32 s24, s26, s24
	s_addc_u32 s21, 0, s21
	s_mul_hi_u32 s27, s93, s25
	s_mul_i32 s25, s93, s25
	s_add_u32 s24, s24, s25
	s_mul_hi_u32 s26, s93, s20
	s_addc_u32 s21, s21, s27
	s_addc_u32 s24, s26, 0
	s_mul_i32 s20, s93, s20
	s_add_u32 s20, s21, s20
	s_addc_u32 s21, 0, s24
	s_mul_i32 s21, s82, s21
	s_mul_hi_u32 s24, s82, s20
	s_add_i32 s24, s24, s21
	s_mul_i32 s20, s82, s20
	s_sub_u32 s25, s14, s20
	s_cselect_b64 s[20:21], -1, 0
	s_cmp_lg_u64 s[20:21], 0
	s_subb_u32 s24, s93, s24
	s_sub_u32 s26, s25, s82
	s_cselect_b64 s[20:21], -1, 0
	s_cmp_lg_u64 s[20:21], 0
	s_subb_u32 s27, s24, 0
	;; [unrolled: 4-line block ×3, first 2 shown]
	s_cmp_ge_u32 s26, s82
	s_cselect_b32 s21, -1, 0
	s_cmp_eq_u32 s27, 0
	s_cselect_b32 s21, s21, -1
	s_cmp_lg_u32 s21, 0
	s_cselect_b32 s20, s20, s27
	s_cselect_b32 s26, s28, s26
	s_cmp_ge_u32 s25, s82
	s_cselect_b32 s21, -1, 0
	s_cmp_eq_u32 s24, 0
	s_cselect_b32 s21, s21, -1
	s_cmp_lg_u32 s21, 0
	s_cselect_b32 s21, s20, s24
	s_cselect_b32 s20, s26, s25
	s_mov_b64 s[24:25], 0
	s_branch .LBB85_111
.LBB85_106:                             ;   in Loop: Header=BB85_15 Depth=1
                                        ; implicit-def: $sgpr28_sgpr29
	s_branch .LBB85_92
.LBB85_107:                             ;   in Loop: Header=BB85_15 Depth=1
	s_or_b64 exec, exec, s[16:17]
	s_waitcnt lgkmcnt(0)
	s_barrier
	s_mov_b64 s[0:1], exec
	v_readlane_b32 s2, v57, 8
	v_readlane_b32 s3, v57, 9
	s_and_b64 s[2:3], s[0:1], s[2:3]
	s_mov_b64 exec, s[2:3]
	s_cbranch_execz .LBB85_109
; %bb.108:                              ;   in Loop: Header=BB85_15 Depth=1
	ds_read_b32 v4, v3 offset:5144
	s_waitcnt lgkmcnt(0)
	v_ashrrev_i32_e32 v5, 31, v4
	ds_write_b64 v3, v[4:5] offset:5120
.LBB85_109:                             ;   in Loop: Header=BB85_15 Depth=1
	s_or_b64 exec, exec, s[0:1]
	s_waitcnt lgkmcnt(0)
	s_barrier
	s_mov_b64 s[0:1], -1
	s_and_b64 vcc, exec, s[8:9]
	s_cbranch_vccnz .LBB85_30
	s_branch .LBB85_45
.LBB85_110:                             ;   in Loop: Header=BB85_15 Depth=1
	s_mov_b64 s[24:25], -1
                                        ; implicit-def: $sgpr20_sgpr21
.LBB85_111:                             ;   in Loop: Header=BB85_15 Depth=1
	s_andn2_b64 vcc, exec, s[24:25]
	v_readlane_b32 s92, v57, 43
	s_cbranch_vccnz .LBB85_113
; %bb.112:                              ;   in Loop: Header=BB85_15 Depth=1
	v_cvt_f32_u32_e32 v2, s82
	s_sub_i32 s20, 0, s82
	v_rcp_iflag_f32_e32 v2, v2
	s_nop 0
	v_mul_f32_e32 v2, 0x4f7ffffe, v2
	v_cvt_u32_f32_e32 v2, v2
	s_nop 0
	v_readfirstlane_b32 s21, v2
	s_mul_i32 s20, s20, s21
	s_mul_hi_u32 s20, s21, s20
	s_add_i32 s21, s21, s20
	s_mul_hi_u32 s20, s14, s21
	s_mul_i32 s20, s20, s82
	s_sub_i32 s20, s14, s20
	s_sub_i32 s21, s20, s82
	s_cmp_ge_u32 s20, s82
	s_cselect_b32 s20, s21, s20
	s_sub_i32 s21, s20, s82
	s_cmp_ge_u32 s20, s82
	s_cselect_b32 s86, s21, s20
	s_mov_b64 s[20:21], s[86:87]
.LBB85_113:                             ;   in Loop: Header=BB85_15 Depth=1
	s_sub_u32 s24, s14, s20
	s_subb_u32 s25, s93, s21
	v_cmp_gt_u64_e32 vcc, s[24:25], v[0:1]
                                        ; implicit-def: $vgpr36
	s_and_saveexec_b64 s[20:21], vcc
	s_cbranch_execz .LBB85_122
; %bb.114:                              ;   in Loop: Header=BB85_15 Depth=1
	s_mov_b64 s[26:27], 0
	v_mov_b64_e32 v[8:9], v[0:1]
                                        ; implicit-def: $sgpr28_sgpr29
	s_branch .LBB85_117
.LBB85_115:                             ;   in Loop: Header=BB85_117 Depth=2
	s_or_b64 exec, exec, s[30:31]
	s_waitcnt lgkmcnt(0)
	s_barrier
	ds_read_u16 v2, v3 offset:3072
	s_mov_b64 s[30:31], -1
	s_waitcnt lgkmcnt(0)
	s_barrier
	v_cmp_ne_u32_sdwa s[34:35], v2, v3 src0_sel:BYTE_0 src1_sel:DWORD
	s_and_b64 vcc, exec, s[34:35]
	s_mov_b64 s[34:35], -1
	s_cbranch_vccz .LBB85_120
.LBB85_116:                             ;   in Loop: Header=BB85_117 Depth=2
	s_and_b64 s[30:31], exec, s[30:31]
	s_or_b64 s[26:27], s[30:31], s[26:27]
	s_andn2_b64 s[28:29], s[28:29], exec
	s_and_b64 s[30:31], s[34:35], exec
	s_or_b64 s[28:29], s[28:29], s[30:31]
	s_andn2_b64 exec, exec, s[26:27]
	s_cbranch_execz .LBB85_121
.LBB85_117:                             ;   Parent Loop BB85_15 Depth=1
                                        ; =>  This Inner Loop Header: Depth=2
	v_cmp_gt_u64_e32 vcc, s[56:57], v[8:9]
	s_and_saveexec_b64 s[30:31], vcc
	s_cbranch_execz .LBB85_115
; %bb.118:                              ;   in Loop: Header=BB85_117 Depth=2
	v_mov_b64_e32 v[10:11], s[84:85]
	v_mad_u64_u32 v[10:11], s[34:35], v8, s72, v[10:11]
	v_mul_lo_u32 v2, v8, s73
	v_mul_lo_u32 v26, v9, s72
	v_add3_u32 v11, v26, v11, v2
	global_load_ubyte v2, v[10:11], off
	s_waitcnt vmcnt(0)
	v_add_u32_sdwa v10, sext(v2), s68 dst_sel:DWORD dst_unused:UNUSED_PAD src0_sel:BYTE_0 src1_sel:DWORD
	v_and_b32_e32 v10, v10, v35
	v_cmp_eq_u32_e32 vcc, v10, v31
	s_and_b64 exec, exec, vcc
	s_cbranch_execz .LBB85_115
; %bb.119:                              ;   in Loop: Header=BB85_117 Depth=2
	v_lshlrev_b16_e32 v2, 8, v2
	v_or_b32_e32 v2, 1, v2
	ds_write_b16 v3, v2 offset:3072
	s_branch .LBB85_115
.LBB85_120:                             ;   in Loop: Header=BB85_117 Depth=2
	v_lshl_add_u64 v[8:9], v[8:9], 0, s[82:83]
	v_cmp_le_u64_e32 vcc, s[24:25], v[8:9]
	s_mov_b64 s[34:35], 0
	s_orn2_b64 s[30:31], vcc, exec
	s_branch .LBB85_116
.LBB85_121:                             ;   in Loop: Header=BB85_15 Depth=1
	s_or_b64 exec, exec, s[26:27]
	s_andn2_b64 s[8:9], s[8:9], exec
	s_and_b64 s[24:25], s[28:29], exec
	v_lshrrev_b32_sdwa v36, v34, v2 dst_sel:DWORD dst_unused:UNUSED_PAD src0_sel:DWORD src1_sel:WORD_0
	s_or_b64 s[8:9], s[8:9], s[24:25]
.LBB85_122:                             ;   in Loop: Header=BB85_15 Depth=1
	s_or_b64 exec, exec, s[20:21]
	s_mov_b64 s[20:21], 0
	s_mov_b64 s[24:25], -1
.LBB85_123:                             ;   in Loop: Header=BB85_15 Depth=1
	s_orn2_b64 s[8:9], s[8:9], exec
.LBB85_124:                             ;   in Loop: Header=BB85_15 Depth=1
	s_or_b64 exec, exec, s[16:17]
	s_andn2_b64 s[12:13], s[12:13], exec
	s_and_b64 s[16:17], s[24:25], exec
	s_or_b64 s[12:13], s[12:13], s[16:17]
	s_andn2_b64 s[16:17], s[70:71], exec
	s_and_b64 s[20:21], s[20:21], exec
	s_andn2_b64 s[10:11], s[10:11], exec
	s_or_b64 s[70:71], s[16:17], s[20:21]
                                        ; implicit-def: $vgpr8_vgpr9
	s_and_saveexec_b64 s[16:17], s[8:9]
	s_cbranch_execz .LBB85_14
; %bb.125:                              ;   in Loop: Header=BB85_15 Depth=1
	s_xor_b64 s[8:9], s[18:19], -1
	v_mov_b32_e32 v2, 1
	s_mov_b64 s[20:21], 0
	v_mov_b64_e32 v[8:9], 1
	s_and_saveexec_b64 s[0:1], s[8:9]
	s_cbranch_execz .LBB85_134
; %bb.126:                              ;   in Loop: Header=BB85_15 Depth=1
	v_cmp_le_u64_e32 vcc, v[24:25], v[4:5]
	s_and_saveexec_b64 s[8:9], vcc
	s_xor_b64 s[8:9], exec, s[8:9]
	s_cbranch_execz .LBB85_131
; %bb.127:                              ;   in Loop: Header=BB85_15 Depth=1
	ds_read_b64 v[8:9], v3 offset:5120
	v_and_b32_e32 v31, s54, v31
	v_or_b32_e32 v35, s66, v35
	s_waitcnt lgkmcnt(0)
	v_cmp_ne_u64_e32 vcc, 0, v[8:9]
	s_cbranch_vccnz .LBB85_131
; %bb.128:                              ;   in Loop: Header=BB85_15 Depth=1
	s_mov_b64 s[18:19], exec
	v_readlane_b32 s20, v57, 8
	v_readlane_b32 s21, v57, 9
	s_and_b64 s[20:21], s[18:19], s[20:21]
	s_mov_b64 exec, s[20:21]
; %bb.129:                              ;   in Loop: Header=BB85_15 Depth=1
	ds_write_b64 v3, v[4:5] offset:5128
; %bb.130:                              ;   in Loop: Header=BB85_15 Depth=1
	s_or_b64 exec, exec, s[18:19]
	s_waitcnt lgkmcnt(0)
	s_barrier
.LBB85_131:                             ;   in Loop: Header=BB85_15 Depth=1
	s_or_saveexec_b64 s[8:9], s[8:9]
	s_mov_b64 s[18:19], 0
	v_mov_b32_e32 v2, 8
	s_xor_b64 exec, exec, s[8:9]
; %bb.132:                              ;   in Loop: Header=BB85_15 Depth=1
	v_sub_co_u32_e32 v24, vcc, v24, v4
	s_mov_b64 s[18:19], exec
	s_nop 0
	v_subb_co_u32_e32 v25, vcc, v25, v5, vcc
	v_mov_b32_e32 v2, 0
; %bb.133:                              ;   in Loop: Header=BB85_15 Depth=1
	s_or_b64 exec, exec, s[8:9]
	s_and_b64 s[20:21], s[18:19], exec
	v_mov_b64_e32 v[8:9], v[24:25]
.LBB85_134:                             ;   in Loop: Header=BB85_15 Depth=1
	s_or_b64 exec, exec, s[0:1]
	s_mov_b64 s[18:19], -1
	s_mov_b64 s[8:9], -1
                                        ; implicit-def: $sgpr0_sgpr1
                                        ; implicit-def: $sgpr24_sgpr25
	s_and_saveexec_b64 s[26:27], s[20:21]
	s_xor_b64 s[20:21], exec, s[26:27]
	s_cbranch_execz .LBB85_279
; %bb.135:                              ;   in Loop: Header=BB85_15 Depth=1
	v_cmp_eq_u64_e32 vcc, 1, v[6:7]
	v_cmp_eq_u64_e64 s[0:1], 1, v[8:9]
	s_and_b64 s[28:29], vcc, s[0:1]
                                        ; implicit-def: $sgpr24_sgpr25
                                        ; implicit-def: $sgpr0_sgpr1
	s_and_saveexec_b64 s[26:27], s[28:29]
	s_cbranch_execz .LBB85_170
; %bb.136:                              ;   in Loop: Header=BB85_15 Depth=1
	ds_read_b64 v[4:5], v3 offset:5120
	s_waitcnt lgkmcnt(0)
	s_barrier
	v_readfirstlane_b32 s30, v4
	v_readfirstlane_b32 s31, v5
	s_and_saveexec_b64 s[0:1], s[98:99]
; %bb.137:                              ;   in Loop: Header=BB85_15 Depth=1
	ds_write_b8 v0, v3 offset:3072
; %bb.138:                              ;   in Loop: Header=BB85_15 Depth=1
	s_or_b64 exec, exec, s[0:1]
	v_and_b32_e32 v4, s54, v31
	v_lshl_or_b32 v31, 1, s7, v4
	v_or_b32_e32 v35, s66, v35
	s_mov_b64 s[0:1], -1
	s_mov_b64 s[24:25], 0
	s_cmp_eq_u64 s[30:31], 0
	s_mov_b64 s[8:9], 0
	s_mov_b64 s[34:35], -1
	s_waitcnt lgkmcnt(0)
	s_barrier
                                        ; implicit-def: $vgpr36
	s_cbranch_scc1 .LBB85_152
; %bb.139:                              ;   in Loop: Header=BB85_15 Depth=1
	v_readlane_b32 s8, v57, 30
	s_add_u32 s38, s30, s8
	v_readlane_b32 s8, v57, 31
	s_addc_u32 s9, s31, s8
	s_mov_b32 s8, s87
	s_cmp_lg_u64 s[8:9], 0
	s_cbranch_scc0 .LBB85_155
; %bb.140:                              ;   in Loop: Header=BB85_15 Depth=1
	v_cvt_f32_u32_e32 v4, s82
	s_sub_u32 s8, 0, s82
	s_subb_u32 s36, 0, 0
	v_fmac_f32_e32 v4, 0, v33
	v_rcp_f32_e32 v4, v4
	s_nop 0
	v_mul_f32_e32 v4, 0x5f7ffffc, v4
	v_mul_f32_e32 v5, 0x2f800000, v4
	v_trunc_f32_e32 v5, v5
	v_fmac_f32_e32 v4, 0xcf800000, v5
	v_cvt_u32_f32_e32 v5, v5
	v_cvt_u32_f32_e32 v4, v4
	v_readfirstlane_b32 s37, v5
	v_readfirstlane_b32 s34, v4
	s_mul_i32 s35, s8, s37
	s_mul_hi_u32 s40, s8, s34
	s_mul_i32 s39, s36, s34
	s_add_i32 s35, s40, s35
	s_mul_i32 s41, s8, s34
	s_add_i32 s35, s35, s39
	s_mul_hi_u32 s40, s34, s41
	s_mul_i32 s42, s34, s35
	s_mul_hi_u32 s39, s34, s35
	s_add_u32 s40, s40, s42
	s_addc_u32 s39, 0, s39
	s_mul_hi_u32 s43, s37, s41
	s_mul_i32 s41, s37, s41
	s_add_u32 s40, s40, s41
	s_mul_hi_u32 s42, s37, s35
	s_addc_u32 s39, s39, s43
	s_addc_u32 s40, s42, 0
	s_mul_i32 s35, s37, s35
	s_add_u32 s35, s39, s35
	s_addc_u32 s39, 0, s40
	s_add_u32 s40, s34, s35
	s_cselect_b64 s[34:35], -1, 0
	s_cmp_lg_u64 s[34:35], 0
	s_addc_u32 s37, s37, s39
	s_mul_i32 s34, s8, s37
	s_mul_hi_u32 s35, s8, s40
	s_add_i32 s34, s35, s34
	s_mul_i32 s36, s36, s40
	s_add_i32 s34, s34, s36
	s_mul_i32 s8, s8, s40
	s_mul_hi_u32 s36, s37, s8
	s_mul_i32 s39, s37, s8
	s_mul_i32 s42, s40, s34
	s_mul_hi_u32 s8, s40, s8
	s_mul_hi_u32 s41, s40, s34
	s_add_u32 s8, s8, s42
	s_addc_u32 s41, 0, s41
	s_add_u32 s8, s8, s39
	s_mul_hi_u32 s35, s37, s34
	s_addc_u32 s8, s41, s36
	s_addc_u32 s35, s35, 0
	s_mul_i32 s34, s37, s34
	s_add_u32 s8, s8, s34
	s_addc_u32 s36, 0, s35
	s_add_u32 s8, s40, s8
	s_cselect_b64 s[34:35], -1, 0
	s_cmp_lg_u64 s[34:35], 0
	s_addc_u32 s34, s37, s36
	s_mul_i32 s36, s38, s34
	s_mul_hi_u32 s37, s38, s8
	s_mul_hi_u32 s35, s38, s34
	s_add_u32 s36, s37, s36
	s_addc_u32 s35, 0, s35
	s_mul_hi_u32 s39, s9, s8
	s_mul_i32 s8, s9, s8
	s_add_u32 s8, s36, s8
	s_mul_hi_u32 s37, s9, s34
	s_addc_u32 s8, s35, s39
	s_addc_u32 s35, s37, 0
	s_mul_i32 s34, s9, s34
	s_add_u32 s8, s8, s34
	s_addc_u32 s34, 0, s35
	s_mul_i32 s34, s82, s34
	s_mul_hi_u32 s35, s82, s8
	s_add_i32 s36, s35, s34
	s_mul_i32 s8, s82, s8
	s_sub_u32 s8, s38, s8
	s_cselect_b64 s[34:35], -1, 0
	s_cmp_lg_u64 s[34:35], 0
	s_subb_u32 s36, s9, s36
	s_sub_u32 s37, s8, s82
	s_cselect_b64 s[34:35], -1, 0
	s_cmp_lg_u64 s[34:35], 0
	s_subb_u32 s39, s36, 0
	;; [unrolled: 4-line block ×3, first 2 shown]
	s_cmp_ge_u32 s37, s82
	s_cselect_b32 s35, -1, 0
	s_cmp_eq_u32 s39, 0
	s_cselect_b32 s35, s35, -1
	s_cmp_lg_u32 s35, 0
	s_cselect_b32 s34, s34, s39
	s_cselect_b32 s37, s40, s37
	s_cmp_ge_u32 s8, s82
	s_cselect_b32 s35, -1, 0
	s_cmp_eq_u32 s36, 0
	s_cselect_b32 s35, s35, -1
	s_cmp_lg_u32 s35, 0
	s_cselect_b32 s35, s34, s36
	s_cselect_b32 s34, s37, s8
	s_cbranch_execnz .LBB85_142
.LBB85_141:                             ;   in Loop: Header=BB85_15 Depth=1
	v_cvt_f32_u32_e32 v4, s82
	s_sub_i32 s8, 0, s82
	v_rcp_iflag_f32_e32 v4, v4
	s_nop 0
	v_mul_f32_e32 v4, 0x4f7ffffe, v4
	v_cvt_u32_f32_e32 v4, v4
	s_nop 0
	v_readfirstlane_b32 s34, v4
	s_mul_i32 s8, s8, s34
	s_mul_hi_u32 s8, s34, s8
	s_add_i32 s34, s34, s8
	s_mul_hi_u32 s8, s38, s34
	s_mul_i32 s8, s8, s82
	s_sub_i32 s8, s38, s8
	s_sub_i32 s34, s8, s82
	s_cmp_ge_u32 s8, s82
	s_cselect_b32 s8, s34, s8
	s_sub_i32 s34, s8, s82
	s_cmp_ge_u32 s8, s82
	s_cselect_b32 s86, s34, s8
	s_mov_b64 s[34:35], s[86:87]
.LBB85_142:                             ;   in Loop: Header=BB85_15 Depth=1
	s_sub_u32 s38, s38, s34
	s_subb_u32 s39, s9, s35
	v_cmp_gt_u64_e32 vcc, s[38:39], v[0:1]
	s_mov_b64 s[34:35], 0
	s_mov_b64 s[8:9], 0
                                        ; implicit-def: $vgpr36
	s_and_saveexec_b64 s[36:37], vcc
	s_cbranch_execz .LBB85_151
; %bb.143:                              ;   in Loop: Header=BB85_15 Depth=1
	v_mov_b32_e32 v10, v0
	v_mov_b64_e32 v[4:5], v[0:1]
                                        ; implicit-def: $sgpr40_sgpr41
	s_branch .LBB85_146
.LBB85_144:                             ;   in Loop: Header=BB85_146 Depth=2
	s_or_b64 exec, exec, s[42:43]
	s_waitcnt lgkmcnt(0)
	s_barrier
	ds_read_u16 v11, v3 offset:3072
	s_mov_b64 s[42:43], -1
	s_waitcnt lgkmcnt(0)
	s_barrier
	v_cmp_ne_u32_sdwa s[44:45], v11, v3 src0_sel:BYTE_0 src1_sel:DWORD
	s_and_b64 vcc, exec, s[44:45]
	s_mov_b64 s[44:45], -1
	s_cbranch_vccz .LBB85_149
.LBB85_145:                             ;   in Loop: Header=BB85_146 Depth=2
	s_and_b64 s[42:43], exec, s[42:43]
	s_or_b64 s[8:9], s[42:43], s[8:9]
	s_andn2_b64 s[40:41], s[40:41], exec
	s_and_b64 s[42:43], s[44:45], exec
	s_or_b64 s[40:41], s[40:41], s[42:43]
	s_andn2_b64 exec, exec, s[8:9]
	s_cbranch_execz .LBB85_150
.LBB85_146:                             ;   Parent Loop BB85_15 Depth=1
                                        ; =>  This Inner Loop Header: Depth=2
	v_cmp_gt_u64_e32 vcc, s[30:31], v[4:5]
	s_and_saveexec_b64 s[42:43], vcc
	s_cbranch_execz .LBB85_144
; %bb.147:                              ;   in Loop: Header=BB85_146 Depth=2
	ds_read_u8 v11, v10
	s_waitcnt lgkmcnt(0)
	v_add_u32_sdwa v24, sext(v11), s68 dst_sel:DWORD dst_unused:UNUSED_PAD src0_sel:BYTE_0 src1_sel:DWORD
	v_and_b32_e32 v24, v24, v35
	v_cmp_eq_u32_e32 vcc, v24, v31
	s_and_b64 exec, exec, vcc
	s_cbranch_execz .LBB85_144
; %bb.148:                              ;   in Loop: Header=BB85_146 Depth=2
	v_lshlrev_b16_e32 v11, 8, v11
	v_or_b32_e32 v11, 1, v11
	ds_write_b16 v3, v11 offset:3072
	s_branch .LBB85_144
.LBB85_149:                             ;   in Loop: Header=BB85_146 Depth=2
	v_lshl_add_u64 v[4:5], v[4:5], 0, s[82:83]
	v_cmp_le_u64_e32 vcc, s[38:39], v[4:5]
	v_add_u32_e32 v10, s82, v10
	s_mov_b64 s[44:45], 0
	s_orn2_b64 s[42:43], vcc, exec
	s_branch .LBB85_145
.LBB85_150:                             ;   in Loop: Header=BB85_15 Depth=1
	s_or_b64 exec, exec, s[8:9]
	v_lshrrev_b32_sdwa v36, v34, v11 dst_sel:DWORD dst_unused:UNUSED_PAD src0_sel:DWORD src1_sel:WORD_0
	s_and_b64 s[8:9], s[40:41], exec
.LBB85_151:                             ;   in Loop: Header=BB85_15 Depth=1
	s_or_b64 exec, exec, s[36:37]
.LBB85_152:                             ;   in Loop: Header=BB85_15 Depth=1
	s_and_b64 vcc, exec, s[34:35]
	s_cbranch_vccz .LBB85_169
; %bb.153:                              ;   in Loop: Header=BB85_15 Depth=1
	s_mov_b32 s92, s87
	s_cmp_lg_u64 s[92:93], 0
	s_cbranch_scc0 .LBB85_156
; %bb.154:                              ;   in Loop: Header=BB85_15 Depth=1
	v_cvt_f32_u32_e32 v4, s82
	s_sub_u32 s24, 0, s82
	s_subb_u32 s25, 0, 0
	v_fmac_f32_e32 v4, 0, v33
	v_rcp_f32_e32 v4, v4
	s_nop 0
	v_mul_f32_e32 v4, 0x5f7ffffc, v4
	v_mul_f32_e32 v5, 0x2f800000, v4
	v_trunc_f32_e32 v5, v5
	v_fmac_f32_e32 v4, 0xcf800000, v5
	v_cvt_u32_f32_e32 v5, v5
	v_cvt_u32_f32_e32 v4, v4
	v_readfirstlane_b32 s30, v5
	v_readfirstlane_b32 s0, v4
	s_mul_i32 s1, s24, s30
	s_mul_hi_u32 s34, s24, s0
	s_mul_i32 s31, s25, s0
	s_add_i32 s1, s34, s1
	s_mul_i32 s35, s24, s0
	s_add_i32 s1, s1, s31
	s_mul_hi_u32 s34, s0, s35
	s_mul_i32 s36, s0, s1
	s_mul_hi_u32 s31, s0, s1
	s_add_u32 s34, s34, s36
	s_addc_u32 s31, 0, s31
	s_mul_hi_u32 s37, s30, s35
	s_mul_i32 s35, s30, s35
	s_add_u32 s34, s34, s35
	s_mul_hi_u32 s36, s30, s1
	s_addc_u32 s31, s31, s37
	s_addc_u32 s34, s36, 0
	s_mul_i32 s1, s30, s1
	s_add_u32 s1, s31, s1
	s_addc_u32 s31, 0, s34
	s_add_u32 s34, s0, s1
	s_cselect_b64 s[0:1], -1, 0
	s_cmp_lg_u64 s[0:1], 0
	s_addc_u32 s30, s30, s31
	s_mul_i32 s0, s24, s30
	s_mul_hi_u32 s1, s24, s34
	s_add_i32 s0, s1, s0
	s_mul_i32 s25, s25, s34
	s_add_i32 s0, s0, s25
	s_mul_i32 s24, s24, s34
	s_mul_hi_u32 s25, s30, s24
	s_mul_i32 s31, s30, s24
	s_mul_i32 s36, s34, s0
	s_mul_hi_u32 s24, s34, s24
	s_mul_hi_u32 s35, s34, s0
	s_add_u32 s24, s24, s36
	s_addc_u32 s35, 0, s35
	s_add_u32 s24, s24, s31
	s_mul_hi_u32 s1, s30, s0
	s_addc_u32 s24, s35, s25
	s_addc_u32 s1, s1, 0
	s_mul_i32 s0, s30, s0
	s_add_u32 s0, s24, s0
	s_addc_u32 s24, 0, s1
	s_add_u32 s25, s34, s0
	s_cselect_b64 s[0:1], -1, 0
	s_cmp_lg_u64 s[0:1], 0
	s_addc_u32 s0, s30, s24
	s_mul_i32 s24, s14, s0
	s_mul_hi_u32 s30, s14, s25
	s_mul_hi_u32 s1, s14, s0
	s_add_u32 s24, s30, s24
	s_addc_u32 s1, 0, s1
	s_mul_hi_u32 s31, s93, s25
	s_mul_i32 s25, s93, s25
	s_add_u32 s24, s24, s25
	s_mul_hi_u32 s30, s93, s0
	s_addc_u32 s1, s1, s31
	s_addc_u32 s24, s30, 0
	s_mul_i32 s0, s93, s0
	s_add_u32 s0, s1, s0
	s_addc_u32 s1, 0, s24
	s_mul_i32 s1, s82, s1
	s_mul_hi_u32 s24, s82, s0
	s_add_i32 s24, s24, s1
	s_mul_i32 s0, s82, s0
	s_sub_u32 s25, s14, s0
	s_cselect_b64 s[0:1], -1, 0
	s_cmp_lg_u64 s[0:1], 0
	s_subb_u32 s24, s93, s24
	s_sub_u32 s30, s25, s82
	s_cselect_b64 s[0:1], -1, 0
	s_cmp_lg_u64 s[0:1], 0
	s_subb_u32 s31, s24, 0
	;; [unrolled: 4-line block ×3, first 2 shown]
	s_cmp_ge_u32 s30, s82
	s_cselect_b32 s1, -1, 0
	s_cmp_eq_u32 s31, 0
	s_cselect_b32 s1, s1, -1
	s_cmp_lg_u32 s1, 0
	s_cselect_b32 s0, s0, s31
	s_cselect_b32 s30, s34, s30
	s_cmp_ge_u32 s25, s82
	s_cselect_b32 s1, -1, 0
	s_cmp_eq_u32 s24, 0
	s_cselect_b32 s1, s1, -1
	s_cmp_lg_u32 s1, 0
	s_cselect_b32 s1, s0, s24
	s_cselect_b32 s0, s30, s25
	s_mov_b64 s[24:25], 0
	s_branch .LBB85_157
.LBB85_155:                             ;   in Loop: Header=BB85_15 Depth=1
                                        ; implicit-def: $sgpr34_sgpr35
	s_branch .LBB85_141
.LBB85_156:                             ;   in Loop: Header=BB85_15 Depth=1
	s_mov_b64 s[24:25], -1
                                        ; implicit-def: $sgpr0_sgpr1
.LBB85_157:                             ;   in Loop: Header=BB85_15 Depth=1
	s_andn2_b64 vcc, exec, s[24:25]
	v_readlane_b32 s92, v57, 43
	s_cbranch_vccnz .LBB85_159
; %bb.158:                              ;   in Loop: Header=BB85_15 Depth=1
	v_cvt_f32_u32_e32 v4, s82
	s_sub_i32 s0, 0, s82
	v_rcp_iflag_f32_e32 v4, v4
	s_nop 0
	v_mul_f32_e32 v4, 0x4f7ffffe, v4
	v_cvt_u32_f32_e32 v4, v4
	s_nop 0
	v_readfirstlane_b32 s1, v4
	s_mul_i32 s0, s0, s1
	s_mul_hi_u32 s0, s1, s0
	s_add_i32 s1, s1, s0
	s_mul_hi_u32 s0, s14, s1
	s_mul_i32 s0, s0, s82
	s_sub_i32 s0, s14, s0
	s_sub_i32 s1, s0, s82
	s_cmp_ge_u32 s0, s82
	s_cselect_b32 s0, s1, s0
	s_sub_i32 s1, s0, s82
	s_cmp_ge_u32 s0, s82
	s_cselect_b32 s86, s1, s0
	s_mov_b64 s[0:1], s[86:87]
.LBB85_159:                             ;   in Loop: Header=BB85_15 Depth=1
	s_sub_u32 s24, s14, s0
	s_subb_u32 s25, s93, s1
	v_cmp_gt_u64_e32 vcc, s[24:25], v[0:1]
                                        ; implicit-def: $vgpr36
	s_and_saveexec_b64 s[0:1], vcc
	s_cbranch_execz .LBB85_168
; %bb.160:                              ;   in Loop: Header=BB85_15 Depth=1
	s_mov_b64 s[30:31], 0
	v_mov_b64_e32 v[4:5], v[0:1]
                                        ; implicit-def: $sgpr34_sgpr35
	s_branch .LBB85_163
.LBB85_161:                             ;   in Loop: Header=BB85_163 Depth=2
	s_or_b64 exec, exec, s[36:37]
	s_waitcnt lgkmcnt(0)
	s_barrier
	ds_read_u16 v10, v3 offset:3072
	s_mov_b64 s[36:37], -1
	s_waitcnt lgkmcnt(0)
	s_barrier
	v_cmp_eq_u32_sdwa s[38:39], v10, v3 src0_sel:BYTE_0 src1_sel:DWORD
	s_and_b64 vcc, exec, s[38:39]
	s_mov_b64 s[38:39], -1
	s_cbranch_vccnz .LBB85_166
.LBB85_162:                             ;   in Loop: Header=BB85_163 Depth=2
	s_and_b64 s[36:37], exec, s[36:37]
	s_or_b64 s[30:31], s[36:37], s[30:31]
	s_andn2_b64 s[34:35], s[34:35], exec
	s_and_b64 s[36:37], s[38:39], exec
	s_or_b64 s[34:35], s[34:35], s[36:37]
	s_andn2_b64 exec, exec, s[30:31]
	s_cbranch_execz .LBB85_167
.LBB85_163:                             ;   Parent Loop BB85_15 Depth=1
                                        ; =>  This Inner Loop Header: Depth=2
	v_cmp_gt_u64_e32 vcc, s[56:57], v[4:5]
	s_and_saveexec_b64 s[36:37], vcc
	s_cbranch_execz .LBB85_161
; %bb.164:                              ;   in Loop: Header=BB85_163 Depth=2
	v_mov_b64_e32 v[10:11], s[84:85]
	v_mad_u64_u32 v[10:11], s[38:39], v4, s72, v[10:11]
	v_mul_lo_u32 v24, v4, s73
	v_mul_lo_u32 v25, v5, s72
	v_add3_u32 v11, v25, v11, v24
	global_load_ubyte v10, v[10:11], off
	s_waitcnt vmcnt(0)
	v_add_u32_sdwa v11, sext(v10), s68 dst_sel:DWORD dst_unused:UNUSED_PAD src0_sel:BYTE_0 src1_sel:DWORD
	v_and_b32_e32 v11, v11, v35
	v_cmp_eq_u32_e32 vcc, v11, v31
	s_and_b64 exec, exec, vcc
	s_cbranch_execz .LBB85_161
; %bb.165:                              ;   in Loop: Header=BB85_163 Depth=2
	v_lshlrev_b16_e32 v10, 8, v10
	v_or_b32_e32 v10, 1, v10
	ds_write_b16 v3, v10 offset:3072
	s_branch .LBB85_161
.LBB85_166:                             ;   in Loop: Header=BB85_163 Depth=2
	v_lshl_add_u64 v[4:5], v[4:5], 0, s[82:83]
	v_cmp_le_u64_e32 vcc, s[24:25], v[4:5]
	s_mov_b64 s[38:39], 0
	s_orn2_b64 s[36:37], vcc, exec
	s_branch .LBB85_162
.LBB85_167:                             ;   in Loop: Header=BB85_15 Depth=1
	s_or_b64 exec, exec, s[30:31]
	s_andn2_b64 s[8:9], s[8:9], exec
	s_and_b64 s[24:25], s[34:35], exec
	v_lshrrev_b32_sdwa v36, v34, v10 dst_sel:DWORD dst_unused:UNUSED_PAD src0_sel:DWORD src1_sel:WORD_0
	s_or_b64 s[8:9], s[8:9], s[24:25]
.LBB85_168:                             ;   in Loop: Header=BB85_15 Depth=1
	s_or_b64 exec, exec, s[0:1]
	s_mov_b64 s[0:1], 0
	s_mov_b64 s[24:25], -1
.LBB85_169:                             ;   in Loop: Header=BB85_15 Depth=1
	s_orn2_b64 s[8:9], s[8:9], exec
.LBB85_170:                             ;   in Loop: Header=BB85_15 Depth=1
	s_or_b64 exec, exec, s[26:27]
	s_mov_b64 s[30:31], 0
	s_and_saveexec_b64 s[26:27], s[8:9]
	s_cbranch_execz .LBB85_278
; %bb.171:                              ;   in Loop: Header=BB85_15 Depth=1
	s_xor_b64 s[28:29], s[28:29], -1
	v_mov_b32_e32 v2, 1
	v_mov_b64_e32 v[4:5], 1
	s_and_saveexec_b64 s[8:9], s[28:29]
	s_cbranch_execz .LBB85_181
; %bb.172:                              ;   in Loop: Header=BB85_15 Depth=1
	v_cmp_le_u64_e32 vcc, v[8:9], v[6:7]
	s_and_saveexec_b64 s[28:29], vcc
	s_xor_b64 s[28:29], exec, s[28:29]
	s_cbranch_execz .LBB85_178
; %bb.173:                              ;   in Loop: Header=BB85_15 Depth=1
	ds_read_b64 v[4:5], v3 offset:5120
	v_and_b32_e32 v2, s54, v31
	v_lshl_or_b32 v31, 1, s7, v2
	v_or_b32_e32 v35, s66, v35
	s_waitcnt lgkmcnt(0)
	v_cmp_ne_u64_e32 vcc, 0, v[4:5]
	s_cbranch_vccnz .LBB85_177
; %bb.174:                              ;   in Loop: Header=BB85_15 Depth=1
	s_mov_b64 s[30:31], exec
	v_readlane_b32 s34, v57, 8
	v_readlane_b32 s35, v57, 9
	s_and_b64 s[34:35], s[30:31], s[34:35]
	s_mov_b64 exec, s[34:35]
; %bb.175:                              ;   in Loop: Header=BB85_15 Depth=1
	ds_write_b64 v3, v[6:7] offset:5128
; %bb.176:                              ;   in Loop: Header=BB85_15 Depth=1
	s_or_b64 exec, exec, s[30:31]
	s_waitcnt lgkmcnt(0)
	s_barrier
.LBB85_177:                             ;   in Loop: Header=BB85_15 Depth=1
                                        ; implicit-def: $vgpr4_vgpr5_vgpr6_vgpr7
.LBB85_178:                             ;   in Loop: Header=BB85_15 Depth=1
	s_or_saveexec_b64 s[28:29], s[28:29]
	s_mov_b64 s[30:31], 0
	v_mov_b32_e32 v2, 8
	s_xor_b64 exec, exec, s[28:29]
; %bb.179:                              ;   in Loop: Header=BB85_15 Depth=1
	v_sub_co_u32_e32 v8, vcc, v8, v6
	s_mov_b64 s[30:31], exec
	s_nop 0
	v_subb_co_u32_e32 v9, vcc, v9, v7, vcc
	v_mov_b32_e32 v2, 0
; %bb.180:                              ;   in Loop: Header=BB85_15 Depth=1
	s_or_b64 exec, exec, s[28:29]
	s_and_b64 s[30:31], s[30:31], exec
	v_mov_b64_e32 v[4:5], v[8:9]
.LBB85_181:                             ;   in Loop: Header=BB85_15 Depth=1
	s_or_b64 exec, exec, s[8:9]
	s_mov_b64 s[8:9], -1
                                        ; implicit-def: $sgpr34_sgpr35
                                        ; implicit-def: $sgpr36_sgpr37
	s_and_saveexec_b64 s[28:29], s[30:31]
	s_cbranch_execz .LBB85_277
; %bb.182:                              ;   in Loop: Header=BB85_15 Depth=1
	s_cmp_eq_u64 s[22:23], 1
	s_cselect_b64 s[8:9], -1, 0
	v_cmp_eq_u64_e32 vcc, 1, v[4:5]
	s_and_b64 s[40:41], s[8:9], vcc
	s_mov_b64 s[8:9], -1
                                        ; implicit-def: $sgpr36_sgpr37
                                        ; implicit-def: $sgpr34_sgpr35
	s_and_saveexec_b64 s[38:39], s[40:41]
	s_cbranch_execz .LBB85_217
; %bb.183:                              ;   in Loop: Header=BB85_15 Depth=1
	ds_read_b64 v[6:7], v3 offset:5120
	s_waitcnt lgkmcnt(0)
	s_barrier
	v_readfirstlane_b32 s30, v6
	v_readfirstlane_b32 s31, v7
	s_and_saveexec_b64 s[8:9], s[98:99]
; %bb.184:                              ;   in Loop: Header=BB85_15 Depth=1
	ds_write_b8 v0, v3 offset:3072
; %bb.185:                              ;   in Loop: Header=BB85_15 Depth=1
	s_or_b64 exec, exec, s[8:9]
	v_and_b32_e32 v6, s54, v31
	v_lshl_or_b32 v31, 2, s7, v6
	v_or_b32_e32 v35, s66, v35
	s_mov_b64 s[34:35], -1
	s_mov_b64 s[36:37], 0
	s_cmp_eq_u64 s[30:31], 0
	s_mov_b64 s[8:9], 0
	s_mov_b64 s[42:43], -1
	s_waitcnt lgkmcnt(0)
	s_barrier
                                        ; implicit-def: $vgpr36
	s_cbranch_scc1 .LBB85_199
; %bb.186:                              ;   in Loop: Header=BB85_15 Depth=1
	v_readlane_b32 s8, v57, 30
	s_add_u32 s46, s30, s8
	v_readlane_b32 s8, v57, 31
	s_addc_u32 s9, s31, s8
	s_mov_b32 s8, s87
	s_cmp_lg_u64 s[8:9], 0
	s_cbranch_scc0 .LBB85_202
; %bb.187:                              ;   in Loop: Header=BB85_15 Depth=1
	v_cvt_f32_u32_e32 v6, s82
	s_sub_u32 s8, 0, s82
	s_subb_u32 s44, 0, 0
	v_fmac_f32_e32 v6, 0, v33
	v_rcp_f32_e32 v6, v6
	s_nop 0
	v_mul_f32_e32 v6, 0x5f7ffffc, v6
	v_mul_f32_e32 v7, 0x2f800000, v6
	v_trunc_f32_e32 v7, v7
	v_fmac_f32_e32 v6, 0xcf800000, v7
	v_cvt_u32_f32_e32 v7, v7
	v_cvt_u32_f32_e32 v6, v6
	v_readfirstlane_b32 s45, v7
	v_readfirstlane_b32 s42, v6
	s_mul_i32 s43, s8, s45
	s_mul_hi_u32 s48, s8, s42
	s_mul_i32 s47, s44, s42
	s_add_i32 s43, s48, s43
	s_mul_i32 s49, s8, s42
	s_add_i32 s43, s43, s47
	s_mul_hi_u32 s48, s42, s49
	s_mul_i32 s50, s42, s43
	s_mul_hi_u32 s47, s42, s43
	s_add_u32 s48, s48, s50
	s_addc_u32 s47, 0, s47
	s_mul_hi_u32 s51, s45, s49
	s_mul_i32 s49, s45, s49
	s_add_u32 s48, s48, s49
	s_mul_hi_u32 s50, s45, s43
	s_addc_u32 s47, s47, s51
	s_addc_u32 s48, s50, 0
	s_mul_i32 s43, s45, s43
	s_add_u32 s43, s47, s43
	s_addc_u32 s47, 0, s48
	s_add_u32 s48, s42, s43
	s_cselect_b64 s[42:43], -1, 0
	s_cmp_lg_u64 s[42:43], 0
	s_addc_u32 s45, s45, s47
	s_mul_i32 s42, s8, s45
	s_mul_hi_u32 s43, s8, s48
	s_add_i32 s42, s43, s42
	s_mul_i32 s44, s44, s48
	s_add_i32 s42, s42, s44
	s_mul_i32 s8, s8, s48
	s_mul_hi_u32 s44, s45, s8
	s_mul_i32 s47, s45, s8
	s_mul_i32 s50, s48, s42
	s_mul_hi_u32 s8, s48, s8
	s_mul_hi_u32 s49, s48, s42
	s_add_u32 s8, s8, s50
	s_addc_u32 s49, 0, s49
	s_add_u32 s8, s8, s47
	s_mul_hi_u32 s43, s45, s42
	s_addc_u32 s8, s49, s44
	s_addc_u32 s43, s43, 0
	s_mul_i32 s42, s45, s42
	s_add_u32 s8, s8, s42
	s_addc_u32 s44, 0, s43
	s_add_u32 s8, s48, s8
	s_cselect_b64 s[42:43], -1, 0
	s_cmp_lg_u64 s[42:43], 0
	s_addc_u32 s42, s45, s44
	s_mul_i32 s44, s46, s42
	s_mul_hi_u32 s45, s46, s8
	s_mul_hi_u32 s43, s46, s42
	s_add_u32 s44, s45, s44
	s_addc_u32 s43, 0, s43
	s_mul_hi_u32 s47, s9, s8
	s_mul_i32 s8, s9, s8
	s_add_u32 s8, s44, s8
	s_mul_hi_u32 s45, s9, s42
	s_addc_u32 s8, s43, s47
	s_addc_u32 s43, s45, 0
	s_mul_i32 s42, s9, s42
	s_add_u32 s8, s8, s42
	s_addc_u32 s42, 0, s43
	s_mul_i32 s42, s82, s42
	s_mul_hi_u32 s43, s82, s8
	s_add_i32 s44, s43, s42
	s_mul_i32 s8, s82, s8
	s_sub_u32 s8, s46, s8
	s_cselect_b64 s[42:43], -1, 0
	s_cmp_lg_u64 s[42:43], 0
	s_subb_u32 s44, s9, s44
	s_sub_u32 s45, s8, s82
	s_cselect_b64 s[42:43], -1, 0
	s_cmp_lg_u64 s[42:43], 0
	s_subb_u32 s47, s44, 0
	;; [unrolled: 4-line block ×3, first 2 shown]
	s_cmp_ge_u32 s45, s82
	s_cselect_b32 s43, -1, 0
	s_cmp_eq_u32 s47, 0
	s_cselect_b32 s43, s43, -1
	s_cmp_lg_u32 s43, 0
	s_cselect_b32 s42, s42, s47
	s_cselect_b32 s45, s48, s45
	s_cmp_ge_u32 s8, s82
	s_cselect_b32 s43, -1, 0
	s_cmp_eq_u32 s44, 0
	s_cselect_b32 s43, s43, -1
	s_cmp_lg_u32 s43, 0
	s_cselect_b32 s43, s42, s44
	s_cselect_b32 s42, s45, s8
	s_cbranch_execnz .LBB85_189
.LBB85_188:                             ;   in Loop: Header=BB85_15 Depth=1
	v_cvt_f32_u32_e32 v6, s82
	s_sub_i32 s8, 0, s82
	v_rcp_iflag_f32_e32 v6, v6
	s_nop 0
	v_mul_f32_e32 v6, 0x4f7ffffe, v6
	v_cvt_u32_f32_e32 v6, v6
	s_nop 0
	v_readfirstlane_b32 s42, v6
	s_mul_i32 s8, s8, s42
	s_mul_hi_u32 s8, s42, s8
	s_add_i32 s42, s42, s8
	s_mul_hi_u32 s8, s46, s42
	s_mul_i32 s8, s8, s82
	s_sub_i32 s8, s46, s8
	s_sub_i32 s42, s8, s82
	s_cmp_ge_u32 s8, s82
	s_cselect_b32 s8, s42, s8
	s_sub_i32 s42, s8, s82
	s_cmp_ge_u32 s8, s82
	s_cselect_b32 s86, s42, s8
	s_mov_b64 s[42:43], s[86:87]
.LBB85_189:                             ;   in Loop: Header=BB85_15 Depth=1
	s_sub_u32 s46, s46, s42
	s_subb_u32 s47, s9, s43
	v_cmp_gt_u64_e32 vcc, s[46:47], v[0:1]
	s_mov_b64 s[42:43], 0
	s_mov_b64 s[8:9], 0
                                        ; implicit-def: $vgpr36
	s_and_saveexec_b64 s[44:45], vcc
	s_cbranch_execz .LBB85_198
; %bb.190:                              ;   in Loop: Header=BB85_15 Depth=1
	v_mov_b32_e32 v8, v0
	v_mov_b64_e32 v[6:7], v[0:1]
                                        ; implicit-def: $sgpr48_sgpr49
	s_branch .LBB85_193
.LBB85_191:                             ;   in Loop: Header=BB85_193 Depth=2
	s_or_b64 exec, exec, s[50:51]
	s_waitcnt lgkmcnt(0)
	s_barrier
	ds_read_u16 v9, v3 offset:3072
	s_mov_b64 s[50:51], -1
	s_waitcnt lgkmcnt(0)
	s_barrier
	v_cmp_ne_u32_sdwa s[52:53], v9, v3 src0_sel:BYTE_0 src1_sel:DWORD
	s_and_b64 vcc, exec, s[52:53]
	s_mov_b64 s[52:53], -1
	s_cbranch_vccz .LBB85_196
.LBB85_192:                             ;   in Loop: Header=BB85_193 Depth=2
	s_and_b64 s[50:51], exec, s[50:51]
	s_or_b64 s[8:9], s[50:51], s[8:9]
	s_andn2_b64 s[48:49], s[48:49], exec
	s_and_b64 s[50:51], s[52:53], exec
	s_or_b64 s[48:49], s[48:49], s[50:51]
	s_andn2_b64 exec, exec, s[8:9]
	s_cbranch_execz .LBB85_197
.LBB85_193:                             ;   Parent Loop BB85_15 Depth=1
                                        ; =>  This Inner Loop Header: Depth=2
	v_cmp_gt_u64_e32 vcc, s[30:31], v[6:7]
	s_and_saveexec_b64 s[50:51], vcc
	s_cbranch_execz .LBB85_191
; %bb.194:                              ;   in Loop: Header=BB85_193 Depth=2
	ds_read_u8 v9, v8
	s_waitcnt lgkmcnt(0)
	v_add_u32_sdwa v10, sext(v9), s68 dst_sel:DWORD dst_unused:UNUSED_PAD src0_sel:BYTE_0 src1_sel:DWORD
	v_and_b32_e32 v10, v10, v35
	v_cmp_eq_u32_e32 vcc, v10, v31
	s_and_b64 exec, exec, vcc
	s_cbranch_execz .LBB85_191
; %bb.195:                              ;   in Loop: Header=BB85_193 Depth=2
	v_lshlrev_b16_e32 v9, 8, v9
	v_or_b32_e32 v9, 1, v9
	ds_write_b16 v3, v9 offset:3072
	s_branch .LBB85_191
.LBB85_196:                             ;   in Loop: Header=BB85_193 Depth=2
	v_lshl_add_u64 v[6:7], v[6:7], 0, s[82:83]
	v_cmp_le_u64_e32 vcc, s[46:47], v[6:7]
	v_add_u32_e32 v8, s82, v8
	s_mov_b64 s[52:53], 0
	s_orn2_b64 s[50:51], vcc, exec
	s_branch .LBB85_192
.LBB85_197:                             ;   in Loop: Header=BB85_15 Depth=1
	s_or_b64 exec, exec, s[8:9]
	v_lshrrev_b32_sdwa v36, v34, v9 dst_sel:DWORD dst_unused:UNUSED_PAD src0_sel:DWORD src1_sel:WORD_0
	s_and_b64 s[8:9], s[48:49], exec
.LBB85_198:                             ;   in Loop: Header=BB85_15 Depth=1
	s_or_b64 exec, exec, s[44:45]
.LBB85_199:                             ;   in Loop: Header=BB85_15 Depth=1
	s_and_b64 vcc, exec, s[42:43]
	s_cbranch_vccz .LBB85_216
; %bb.200:                              ;   in Loop: Header=BB85_15 Depth=1
	s_mov_b32 s92, s87
	s_cmp_lg_u64 s[92:93], 0
	s_cbranch_scc0 .LBB85_203
; %bb.201:                              ;   in Loop: Header=BB85_15 Depth=1
	v_cvt_f32_u32_e32 v6, s82
	s_sub_u32 s34, 0, s82
	s_subb_u32 s35, 0, 0
	v_fmac_f32_e32 v6, 0, v33
	v_rcp_f32_e32 v6, v6
	s_nop 0
	v_mul_f32_e32 v6, 0x5f7ffffc, v6
	v_mul_f32_e32 v7, 0x2f800000, v6
	v_trunc_f32_e32 v7, v7
	v_fmac_f32_e32 v6, 0xcf800000, v7
	v_cvt_u32_f32_e32 v7, v7
	v_cvt_u32_f32_e32 v6, v6
	v_readfirstlane_b32 s36, v7
	v_readfirstlane_b32 s30, v6
	s_mul_i32 s31, s34, s36
	s_mul_hi_u32 s42, s34, s30
	s_mul_i32 s37, s35, s30
	s_add_i32 s31, s42, s31
	s_mul_i32 s43, s34, s30
	s_add_i32 s31, s31, s37
	s_mul_hi_u32 s42, s30, s43
	s_mul_i32 s44, s30, s31
	s_mul_hi_u32 s37, s30, s31
	s_add_u32 s42, s42, s44
	s_addc_u32 s37, 0, s37
	s_mul_hi_u32 s45, s36, s43
	s_mul_i32 s43, s36, s43
	s_add_u32 s42, s42, s43
	s_mul_hi_u32 s44, s36, s31
	s_addc_u32 s37, s37, s45
	s_addc_u32 s42, s44, 0
	s_mul_i32 s31, s36, s31
	s_add_u32 s31, s37, s31
	s_addc_u32 s37, 0, s42
	s_add_u32 s42, s30, s31
	s_cselect_b64 s[30:31], -1, 0
	s_cmp_lg_u64 s[30:31], 0
	s_addc_u32 s36, s36, s37
	s_mul_i32 s30, s34, s36
	s_mul_hi_u32 s31, s34, s42
	s_add_i32 s30, s31, s30
	s_mul_i32 s35, s35, s42
	s_add_i32 s30, s30, s35
	s_mul_i32 s34, s34, s42
	s_mul_hi_u32 s35, s36, s34
	s_mul_i32 s37, s36, s34
	s_mul_i32 s44, s42, s30
	s_mul_hi_u32 s34, s42, s34
	s_mul_hi_u32 s43, s42, s30
	s_add_u32 s34, s34, s44
	s_addc_u32 s43, 0, s43
	s_add_u32 s34, s34, s37
	s_mul_hi_u32 s31, s36, s30
	s_addc_u32 s34, s43, s35
	s_addc_u32 s31, s31, 0
	s_mul_i32 s30, s36, s30
	s_add_u32 s30, s34, s30
	s_addc_u32 s34, 0, s31
	s_add_u32 s35, s42, s30
	s_cselect_b64 s[30:31], -1, 0
	s_cmp_lg_u64 s[30:31], 0
	s_addc_u32 s30, s36, s34
	s_mul_i32 s34, s14, s30
	s_mul_hi_u32 s36, s14, s35
	s_mul_hi_u32 s31, s14, s30
	s_add_u32 s34, s36, s34
	s_addc_u32 s31, 0, s31
	s_mul_hi_u32 s37, s93, s35
	s_mul_i32 s35, s93, s35
	s_add_u32 s34, s34, s35
	s_mul_hi_u32 s36, s93, s30
	s_addc_u32 s31, s31, s37
	s_addc_u32 s34, s36, 0
	s_mul_i32 s30, s93, s30
	s_add_u32 s30, s31, s30
	s_addc_u32 s31, 0, s34
	s_mul_i32 s31, s82, s31
	s_mul_hi_u32 s34, s82, s30
	s_add_i32 s34, s34, s31
	s_mul_i32 s30, s82, s30
	s_sub_u32 s35, s14, s30
	s_cselect_b64 s[30:31], -1, 0
	s_cmp_lg_u64 s[30:31], 0
	s_subb_u32 s34, s93, s34
	s_sub_u32 s36, s35, s82
	s_cselect_b64 s[30:31], -1, 0
	s_cmp_lg_u64 s[30:31], 0
	s_subb_u32 s37, s34, 0
	;; [unrolled: 4-line block ×3, first 2 shown]
	s_cmp_ge_u32 s36, s82
	s_cselect_b32 s31, -1, 0
	s_cmp_eq_u32 s37, 0
	s_cselect_b32 s31, s31, -1
	s_cmp_lg_u32 s31, 0
	s_cselect_b32 s30, s30, s37
	s_cselect_b32 s36, s42, s36
	s_cmp_ge_u32 s35, s82
	s_cselect_b32 s31, -1, 0
	s_cmp_eq_u32 s34, 0
	s_cselect_b32 s31, s31, -1
	s_cmp_lg_u32 s31, 0
	s_cselect_b32 s31, s30, s34
	s_cselect_b32 s30, s36, s35
	s_mov_b64 s[34:35], 0
	s_branch .LBB85_204
.LBB85_202:                             ;   in Loop: Header=BB85_15 Depth=1
                                        ; implicit-def: $sgpr42_sgpr43
	s_branch .LBB85_188
.LBB85_203:                             ;   in Loop: Header=BB85_15 Depth=1
	s_mov_b64 s[34:35], -1
                                        ; implicit-def: $sgpr30_sgpr31
.LBB85_204:                             ;   in Loop: Header=BB85_15 Depth=1
	s_andn2_b64 vcc, exec, s[34:35]
	v_readlane_b32 s92, v57, 43
	s_cbranch_vccnz .LBB85_206
; %bb.205:                              ;   in Loop: Header=BB85_15 Depth=1
	v_cvt_f32_u32_e32 v6, s82
	s_sub_i32 s30, 0, s82
	v_rcp_iflag_f32_e32 v6, v6
	s_nop 0
	v_mul_f32_e32 v6, 0x4f7ffffe, v6
	v_cvt_u32_f32_e32 v6, v6
	s_nop 0
	v_readfirstlane_b32 s31, v6
	s_mul_i32 s30, s30, s31
	s_mul_hi_u32 s30, s31, s30
	s_add_i32 s31, s31, s30
	s_mul_hi_u32 s30, s14, s31
	s_mul_i32 s30, s30, s82
	s_sub_i32 s30, s14, s30
	s_sub_i32 s31, s30, s82
	s_cmp_ge_u32 s30, s82
	s_cselect_b32 s30, s31, s30
	s_sub_i32 s31, s30, s82
	s_cmp_ge_u32 s30, s82
	s_cselect_b32 s86, s31, s30
	s_mov_b64 s[30:31], s[86:87]
.LBB85_206:                             ;   in Loop: Header=BB85_15 Depth=1
	s_sub_u32 s34, s14, s30
	s_subb_u32 s35, s93, s31
	v_cmp_gt_u64_e32 vcc, s[34:35], v[0:1]
                                        ; implicit-def: $vgpr36
	s_and_saveexec_b64 s[30:31], vcc
	s_cbranch_execz .LBB85_215
; %bb.207:                              ;   in Loop: Header=BB85_15 Depth=1
	s_mov_b64 s[36:37], 0
	v_mov_b64_e32 v[6:7], v[0:1]
                                        ; implicit-def: $sgpr42_sgpr43
	s_branch .LBB85_210
.LBB85_208:                             ;   in Loop: Header=BB85_210 Depth=2
	s_or_b64 exec, exec, s[44:45]
	s_waitcnt lgkmcnt(0)
	s_barrier
	ds_read_u16 v8, v3 offset:3072
	s_mov_b64 s[44:45], -1
	s_waitcnt lgkmcnt(0)
	s_barrier
	v_cmp_eq_u32_sdwa s[46:47], v8, v3 src0_sel:BYTE_0 src1_sel:DWORD
	s_and_b64 vcc, exec, s[46:47]
	s_mov_b64 s[46:47], -1
	s_cbranch_vccnz .LBB85_213
.LBB85_209:                             ;   in Loop: Header=BB85_210 Depth=2
	s_and_b64 s[44:45], exec, s[44:45]
	s_or_b64 s[36:37], s[44:45], s[36:37]
	s_andn2_b64 s[42:43], s[42:43], exec
	s_and_b64 s[44:45], s[46:47], exec
	s_or_b64 s[42:43], s[42:43], s[44:45]
	s_andn2_b64 exec, exec, s[36:37]
	s_cbranch_execz .LBB85_214
.LBB85_210:                             ;   Parent Loop BB85_15 Depth=1
                                        ; =>  This Inner Loop Header: Depth=2
	v_cmp_gt_u64_e32 vcc, s[56:57], v[6:7]
	s_and_saveexec_b64 s[44:45], vcc
	s_cbranch_execz .LBB85_208
; %bb.211:                              ;   in Loop: Header=BB85_210 Depth=2
	v_mov_b64_e32 v[8:9], s[84:85]
	v_mad_u64_u32 v[8:9], s[46:47], v6, s72, v[8:9]
	v_mul_lo_u32 v10, v6, s73
	v_mul_lo_u32 v11, v7, s72
	v_add3_u32 v9, v11, v9, v10
	global_load_ubyte v8, v[8:9], off
	s_waitcnt vmcnt(0)
	v_add_u32_sdwa v9, sext(v8), s68 dst_sel:DWORD dst_unused:UNUSED_PAD src0_sel:BYTE_0 src1_sel:DWORD
	v_and_b32_e32 v9, v9, v35
	v_cmp_eq_u32_e32 vcc, v9, v31
	s_and_b64 exec, exec, vcc
	s_cbranch_execz .LBB85_208
; %bb.212:                              ;   in Loop: Header=BB85_210 Depth=2
	v_lshlrev_b16_e32 v8, 8, v8
	v_or_b32_e32 v8, 1, v8
	ds_write_b16 v3, v8 offset:3072
	s_branch .LBB85_208
.LBB85_213:                             ;   in Loop: Header=BB85_210 Depth=2
	v_lshl_add_u64 v[6:7], v[6:7], 0, s[82:83]
	v_cmp_le_u64_e32 vcc, s[34:35], v[6:7]
	s_mov_b64 s[46:47], 0
	s_orn2_b64 s[44:45], vcc, exec
	s_branch .LBB85_209
.LBB85_214:                             ;   in Loop: Header=BB85_15 Depth=1
	s_or_b64 exec, exec, s[36:37]
	s_andn2_b64 s[8:9], s[8:9], exec
	s_and_b64 s[34:35], s[42:43], exec
	v_lshrrev_b32_sdwa v36, v34, v8 dst_sel:DWORD dst_unused:UNUSED_PAD src0_sel:DWORD src1_sel:WORD_0
	s_or_b64 s[8:9], s[8:9], s[34:35]
.LBB85_215:                             ;   in Loop: Header=BB85_15 Depth=1
	s_or_b64 exec, exec, s[30:31]
	s_mov_b64 s[34:35], 0
	s_mov_b64 s[36:37], -1
.LBB85_216:                             ;   in Loop: Header=BB85_15 Depth=1
	s_orn2_b64 s[8:9], s[8:9], exec
.LBB85_217:                             ;   in Loop: Header=BB85_15 Depth=1
	s_or_b64 exec, exec, s[38:39]
	s_mov_b64 s[30:31], 0
	s_and_saveexec_b64 s[38:39], s[8:9]
	s_cbranch_execz .LBB85_276
; %bb.218:                              ;   in Loop: Header=BB85_15 Depth=1
	s_xor_b64 s[40:41], s[40:41], -1
	v_mov_b32_e32 v2, 1
	v_mov_b64_e32 v[6:7], 1
	s_and_saveexec_b64 s[8:9], s[40:41]
	s_cbranch_execz .LBB85_227
; %bb.219:                              ;   in Loop: Header=BB85_15 Depth=1
	v_cmp_ge_u64_e32 vcc, s[22:23], v[4:5]
	s_and_saveexec_b64 s[30:31], vcc
	s_xor_b64 s[30:31], exec, s[30:31]
	s_cbranch_execz .LBB85_224
; %bb.220:                              ;   in Loop: Header=BB85_15 Depth=1
	ds_read_b64 v[6:7], v3 offset:5120
	v_and_b32_e32 v2, s54, v31
	v_lshl_or_b32 v31, 2, s7, v2
	v_or_b32_e32 v35, s66, v35
	s_waitcnt lgkmcnt(0)
	v_cmp_ne_u64_e32 vcc, 0, v[6:7]
	s_cbranch_vccnz .LBB85_224
; %bb.221:                              ;   in Loop: Header=BB85_15 Depth=1
	s_mov_b64 s[40:41], exec
	v_readlane_b32 s42, v57, 8
	v_readlane_b32 s43, v57, 9
	s_and_b64 s[42:43], s[40:41], s[42:43]
	s_mov_b64 exec, s[42:43]
; %bb.222:                              ;   in Loop: Header=BB85_15 Depth=1
	v_mov_b64_e32 v[6:7], s[22:23]
	ds_write_b64 v3, v[6:7] offset:5128
; %bb.223:                              ;   in Loop: Header=BB85_15 Depth=1
	s_or_b64 exec, exec, s[40:41]
	s_waitcnt lgkmcnt(0)
	s_barrier
.LBB85_224:                             ;   in Loop: Header=BB85_15 Depth=1
	s_or_saveexec_b64 s[30:31], s[30:31]
	s_mov_b64 s[40:41], 0
	v_mov_b32_e32 v2, 8
	s_xor_b64 exec, exec, s[30:31]
; %bb.225:                              ;   in Loop: Header=BB85_15 Depth=1
	v_mov_b32_e32 v2, s23
	v_subrev_co_u32_e32 v4, vcc, s22, v4
	s_mov_b64 s[40:41], exec
	s_nop 0
	v_subb_co_u32_e32 v5, vcc, v5, v2, vcc
	v_mov_b32_e32 v2, 0
; %bb.226:                              ;   in Loop: Header=BB85_15 Depth=1
	s_or_b64 exec, exec, s[30:31]
	s_and_b64 s[30:31], s[40:41], exec
	v_mov_b64_e32 v[6:7], v[4:5]
.LBB85_227:                             ;   in Loop: Header=BB85_15 Depth=1
	s_or_b64 exec, exec, s[8:9]
	s_mov_b64 s[8:9], -1
                                        ; implicit-def: $sgpr46_sgpr47
                                        ; implicit-def: $sgpr44_sgpr45
	s_and_saveexec_b64 s[22:23], s[30:31]
	s_cbranch_execz .LBB85_275
; %bb.228:                              ;   in Loop: Header=BB85_15 Depth=1
	s_cmp_eq_u64 s[2:3], 1
	s_cselect_b64 s[8:9], -1, 0
	v_cmp_eq_u64_e32 vcc, 1, v[6:7]
	s_and_b64 s[40:41], s[8:9], vcc
	s_mov_b64 s[30:31], -1
                                        ; implicit-def: $sgpr46_sgpr47
                                        ; implicit-def: $sgpr44_sgpr45
	s_and_saveexec_b64 s[42:43], s[40:41]
	s_cbranch_execz .LBB85_263
; %bb.229:                              ;   in Loop: Header=BB85_15 Depth=1
	ds_read_b64 v[4:5], v3 offset:5120
	s_waitcnt lgkmcnt(0)
	s_barrier
	v_readfirstlane_b32 s30, v4
	v_readfirstlane_b32 s31, v5
	s_and_saveexec_b64 s[8:9], s[98:99]
; %bb.230:                              ;   in Loop: Header=BB85_15 Depth=1
	ds_write_b8 v0, v3 offset:3072
; %bb.231:                              ;   in Loop: Header=BB85_15 Depth=1
	s_or_b64 exec, exec, s[8:9]
	v_or_b32_e32 v31, s66, v31
	v_or_b32_e32 v35, s66, v35
	s_mov_b64 s[44:45], -1
	s_mov_b64 s[46:47], 0
	s_cmp_eq_u64 s[30:31], 0
	s_mov_b64 s[8:9], 0
	s_mov_b64 s[48:49], -1
	s_waitcnt lgkmcnt(0)
	s_barrier
                                        ; implicit-def: $vgpr36
	s_cbranch_scc1 .LBB85_245
; %bb.232:                              ;   in Loop: Header=BB85_15 Depth=1
	v_readlane_b32 s8, v57, 30
	s_add_u32 s52, s30, s8
	v_readlane_b32 s8, v57, 31
	s_addc_u32 s9, s31, s8
	s_mov_b32 s8, s87
	s_cmp_lg_u64 s[8:9], 0
	s_cbranch_scc0 .LBB85_248
; %bb.233:                              ;   in Loop: Header=BB85_15 Depth=1
	v_cvt_f32_u32_e32 v4, s82
	s_sub_u32 s8, 0, s82
	s_subb_u32 s50, 0, 0
	v_fmac_f32_e32 v4, 0, v33
	v_rcp_f32_e32 v4, v4
	s_nop 0
	v_mul_f32_e32 v4, 0x5f7ffffc, v4
	v_mul_f32_e32 v5, 0x2f800000, v4
	v_trunc_f32_e32 v5, v5
	v_fmac_f32_e32 v4, 0xcf800000, v5
	v_cvt_u32_f32_e32 v5, v5
	v_cvt_u32_f32_e32 v4, v4
	v_readfirstlane_b32 s51, v5
	v_readfirstlane_b32 s48, v4
	s_mul_i32 s49, s8, s51
	s_mul_hi_u32 s54, s8, s48
	s_mul_i32 s53, s50, s48
	s_add_i32 s49, s54, s49
	s_mul_i32 s55, s8, s48
	s_add_i32 s49, s49, s53
	s_mul_hi_u32 s54, s48, s55
	s_mul_i32 s58, s48, s49
	s_mul_hi_u32 s53, s48, s49
	s_add_u32 s54, s54, s58
	s_addc_u32 s53, 0, s53
	s_mul_hi_u32 s59, s51, s55
	s_mul_i32 s55, s51, s55
	s_add_u32 s54, s54, s55
	s_mul_hi_u32 s58, s51, s49
	s_addc_u32 s53, s53, s59
	s_addc_u32 s54, s58, 0
	s_mul_i32 s49, s51, s49
	s_add_u32 s49, s53, s49
	s_addc_u32 s53, 0, s54
	s_add_u32 s54, s48, s49
	s_cselect_b64 s[48:49], -1, 0
	s_cmp_lg_u64 s[48:49], 0
	s_addc_u32 s51, s51, s53
	s_mul_i32 s48, s8, s51
	s_mul_hi_u32 s49, s8, s54
	s_add_i32 s48, s49, s48
	s_mul_i32 s50, s50, s54
	s_add_i32 s48, s48, s50
	s_mul_i32 s8, s8, s54
	s_mul_hi_u32 s50, s51, s8
	s_mul_i32 s53, s51, s8
	s_mul_i32 s58, s54, s48
	s_mul_hi_u32 s8, s54, s8
	s_mul_hi_u32 s55, s54, s48
	s_add_u32 s8, s8, s58
	s_addc_u32 s55, 0, s55
	s_add_u32 s8, s8, s53
	s_mul_hi_u32 s49, s51, s48
	s_addc_u32 s8, s55, s50
	s_addc_u32 s49, s49, 0
	s_mul_i32 s48, s51, s48
	s_add_u32 s8, s8, s48
	s_addc_u32 s50, 0, s49
	s_add_u32 s8, s54, s8
	s_cselect_b64 s[48:49], -1, 0
	s_cmp_lg_u64 s[48:49], 0
	s_addc_u32 s48, s51, s50
	s_mul_i32 s50, s52, s48
	s_mul_hi_u32 s51, s52, s8
	s_mul_hi_u32 s49, s52, s48
	s_add_u32 s50, s51, s50
	s_addc_u32 s49, 0, s49
	s_mul_hi_u32 s53, s9, s8
	s_mul_i32 s8, s9, s8
	s_add_u32 s8, s50, s8
	s_mul_hi_u32 s51, s9, s48
	s_addc_u32 s8, s49, s53
	s_addc_u32 s49, s51, 0
	s_mul_i32 s48, s9, s48
	s_add_u32 s8, s8, s48
	s_addc_u32 s48, 0, s49
	s_mul_i32 s48, s82, s48
	s_mul_hi_u32 s49, s82, s8
	s_add_i32 s50, s49, s48
	s_mul_i32 s8, s82, s8
	s_sub_u32 s8, s52, s8
	s_cselect_b64 s[48:49], -1, 0
	s_cmp_lg_u64 s[48:49], 0
	s_subb_u32 s50, s9, s50
	s_sub_u32 s51, s8, s82
	s_cselect_b64 s[48:49], -1, 0
	s_cmp_lg_u64 s[48:49], 0
	s_subb_u32 s53, s50, 0
	;; [unrolled: 4-line block ×3, first 2 shown]
	s_cmp_ge_u32 s51, s82
	s_cselect_b32 s49, -1, 0
	s_cmp_eq_u32 s53, 0
	s_cselect_b32 s49, s49, -1
	s_cmp_lg_u32 s49, 0
	s_cselect_b32 s48, s48, s53
	s_cselect_b32 s51, s54, s51
	s_cmp_ge_u32 s8, s82
	s_cselect_b32 s49, -1, 0
	s_cmp_eq_u32 s50, 0
	s_cselect_b32 s49, s49, -1
	s_cmp_lg_u32 s49, 0
	s_cselect_b32 s49, s48, s50
	s_cselect_b32 s48, s51, s8
	s_cbranch_execnz .LBB85_235
.LBB85_234:                             ;   in Loop: Header=BB85_15 Depth=1
	v_cvt_f32_u32_e32 v4, s82
	s_sub_i32 s8, 0, s82
	v_rcp_iflag_f32_e32 v4, v4
	s_nop 0
	v_mul_f32_e32 v4, 0x4f7ffffe, v4
	v_cvt_u32_f32_e32 v4, v4
	s_nop 0
	v_readfirstlane_b32 s48, v4
	s_mul_i32 s8, s8, s48
	s_mul_hi_u32 s8, s48, s8
	s_add_i32 s48, s48, s8
	s_mul_hi_u32 s8, s52, s48
	s_mul_i32 s8, s8, s82
	s_sub_i32 s8, s52, s8
	s_sub_i32 s48, s8, s82
	s_cmp_ge_u32 s8, s82
	s_cselect_b32 s8, s48, s8
	s_sub_i32 s48, s8, s82
	s_cmp_ge_u32 s8, s82
	s_cselect_b32 s86, s48, s8
	s_mov_b64 s[48:49], s[86:87]
.LBB85_235:                             ;   in Loop: Header=BB85_15 Depth=1
	s_sub_u32 s52, s52, s48
	s_subb_u32 s53, s9, s49
	v_cmp_gt_u64_e32 vcc, s[52:53], v[0:1]
	s_mov_b64 s[48:49], 0
	s_mov_b64 s[8:9], 0
                                        ; implicit-def: $vgpr36
	s_and_saveexec_b64 s[50:51], vcc
	s_cbranch_execz .LBB85_244
; %bb.236:                              ;   in Loop: Header=BB85_15 Depth=1
	v_mov_b32_e32 v8, v0
	v_mov_b64_e32 v[4:5], v[0:1]
                                        ; implicit-def: $sgpr54_sgpr55
	s_branch .LBB85_239
.LBB85_237:                             ;   in Loop: Header=BB85_239 Depth=2
	s_or_b64 exec, exec, s[58:59]
	s_waitcnt lgkmcnt(0)
	s_barrier
	ds_read_u16 v9, v3 offset:3072
	s_mov_b64 s[58:59], -1
	s_waitcnt lgkmcnt(0)
	s_barrier
	v_cmp_ne_u32_sdwa s[64:65], v9, v3 src0_sel:BYTE_0 src1_sel:DWORD
	s_and_b64 vcc, exec, s[64:65]
	s_mov_b64 s[64:65], -1
	s_cbranch_vccz .LBB85_242
.LBB85_238:                             ;   in Loop: Header=BB85_239 Depth=2
	s_and_b64 s[58:59], exec, s[58:59]
	s_or_b64 s[8:9], s[58:59], s[8:9]
	s_andn2_b64 s[54:55], s[54:55], exec
	s_and_b64 s[58:59], s[64:65], exec
	s_or_b64 s[54:55], s[54:55], s[58:59]
	s_andn2_b64 exec, exec, s[8:9]
	s_cbranch_execz .LBB85_243
.LBB85_239:                             ;   Parent Loop BB85_15 Depth=1
                                        ; =>  This Inner Loop Header: Depth=2
	v_cmp_gt_u64_e32 vcc, s[30:31], v[4:5]
	s_and_saveexec_b64 s[58:59], vcc
	s_cbranch_execz .LBB85_237
; %bb.240:                              ;   in Loop: Header=BB85_239 Depth=2
	ds_read_u8 v9, v8
	s_waitcnt lgkmcnt(0)
	v_add_u32_sdwa v10, sext(v9), s68 dst_sel:DWORD dst_unused:UNUSED_PAD src0_sel:BYTE_0 src1_sel:DWORD
	v_and_b32_e32 v10, v10, v35
	v_cmp_eq_u32_e32 vcc, v10, v31
	s_and_b64 exec, exec, vcc
	s_cbranch_execz .LBB85_237
; %bb.241:                              ;   in Loop: Header=BB85_239 Depth=2
	v_lshlrev_b16_e32 v9, 8, v9
	v_or_b32_e32 v9, 1, v9
	ds_write_b16 v3, v9 offset:3072
	s_branch .LBB85_237
.LBB85_242:                             ;   in Loop: Header=BB85_239 Depth=2
	v_lshl_add_u64 v[4:5], v[4:5], 0, s[82:83]
	v_cmp_le_u64_e32 vcc, s[52:53], v[4:5]
	v_add_u32_e32 v8, s82, v8
	s_mov_b64 s[64:65], 0
	s_orn2_b64 s[58:59], vcc, exec
	s_branch .LBB85_238
.LBB85_243:                             ;   in Loop: Header=BB85_15 Depth=1
	s_or_b64 exec, exec, s[8:9]
	v_lshrrev_b32_sdwa v36, v34, v9 dst_sel:DWORD dst_unused:UNUSED_PAD src0_sel:DWORD src1_sel:WORD_0
	s_and_b64 s[8:9], s[54:55], exec
.LBB85_244:                             ;   in Loop: Header=BB85_15 Depth=1
	s_or_b64 exec, exec, s[50:51]
.LBB85_245:                             ;   in Loop: Header=BB85_15 Depth=1
	s_and_b64 vcc, exec, s[48:49]
	s_cbranch_vccz .LBB85_262
; %bb.246:                              ;   in Loop: Header=BB85_15 Depth=1
	s_mov_b32 s92, s87
	s_cmp_lg_u64 s[92:93], 0
	s_cbranch_scc0 .LBB85_249
; %bb.247:                              ;   in Loop: Header=BB85_15 Depth=1
	v_cvt_f32_u32_e32 v4, s82
	s_sub_u32 s44, 0, s82
	s_subb_u32 s45, 0, 0
	v_fmac_f32_e32 v4, 0, v33
	v_rcp_f32_e32 v4, v4
	s_nop 0
	v_mul_f32_e32 v4, 0x5f7ffffc, v4
	v_mul_f32_e32 v5, 0x2f800000, v4
	v_trunc_f32_e32 v5, v5
	v_fmac_f32_e32 v4, 0xcf800000, v5
	v_cvt_u32_f32_e32 v5, v5
	v_cvt_u32_f32_e32 v4, v4
	v_readfirstlane_b32 s46, v5
	v_readfirstlane_b32 s30, v4
	s_mul_i32 s31, s44, s46
	s_mul_hi_u32 s48, s44, s30
	s_mul_i32 s47, s45, s30
	s_add_i32 s31, s48, s31
	s_mul_i32 s49, s44, s30
	s_add_i32 s31, s31, s47
	s_mul_hi_u32 s48, s30, s49
	s_mul_i32 s50, s30, s31
	s_mul_hi_u32 s47, s30, s31
	s_add_u32 s48, s48, s50
	s_addc_u32 s47, 0, s47
	s_mul_hi_u32 s51, s46, s49
	s_mul_i32 s49, s46, s49
	s_add_u32 s48, s48, s49
	s_mul_hi_u32 s50, s46, s31
	s_addc_u32 s47, s47, s51
	s_addc_u32 s48, s50, 0
	s_mul_i32 s31, s46, s31
	s_add_u32 s31, s47, s31
	s_addc_u32 s47, 0, s48
	s_add_u32 s48, s30, s31
	s_cselect_b64 s[30:31], -1, 0
	s_cmp_lg_u64 s[30:31], 0
	s_addc_u32 s46, s46, s47
	s_mul_i32 s30, s44, s46
	s_mul_hi_u32 s31, s44, s48
	s_add_i32 s30, s31, s30
	s_mul_i32 s45, s45, s48
	s_add_i32 s30, s30, s45
	s_mul_i32 s44, s44, s48
	s_mul_hi_u32 s45, s46, s44
	s_mul_i32 s47, s46, s44
	s_mul_i32 s50, s48, s30
	s_mul_hi_u32 s44, s48, s44
	s_mul_hi_u32 s49, s48, s30
	s_add_u32 s44, s44, s50
	s_addc_u32 s49, 0, s49
	s_add_u32 s44, s44, s47
	s_mul_hi_u32 s31, s46, s30
	s_addc_u32 s44, s49, s45
	s_addc_u32 s31, s31, 0
	s_mul_i32 s30, s46, s30
	s_add_u32 s30, s44, s30
	s_addc_u32 s44, 0, s31
	s_add_u32 s45, s48, s30
	s_cselect_b64 s[30:31], -1, 0
	s_cmp_lg_u64 s[30:31], 0
	s_addc_u32 s30, s46, s44
	s_mul_i32 s44, s14, s30
	s_mul_hi_u32 s46, s14, s45
	s_mul_hi_u32 s31, s14, s30
	s_add_u32 s44, s46, s44
	s_addc_u32 s31, 0, s31
	s_mul_hi_u32 s47, s93, s45
	s_mul_i32 s45, s93, s45
	s_add_u32 s44, s44, s45
	s_mul_hi_u32 s46, s93, s30
	s_addc_u32 s31, s31, s47
	s_addc_u32 s44, s46, 0
	s_mul_i32 s30, s93, s30
	s_add_u32 s30, s31, s30
	s_addc_u32 s31, 0, s44
	s_mul_i32 s31, s82, s31
	s_mul_hi_u32 s44, s82, s30
	s_add_i32 s44, s44, s31
	s_mul_i32 s30, s82, s30
	s_sub_u32 s45, s14, s30
	s_cselect_b64 s[30:31], -1, 0
	s_cmp_lg_u64 s[30:31], 0
	s_subb_u32 s44, s93, s44
	s_sub_u32 s46, s45, s82
	s_cselect_b64 s[30:31], -1, 0
	s_cmp_lg_u64 s[30:31], 0
	s_subb_u32 s47, s44, 0
	;; [unrolled: 4-line block ×3, first 2 shown]
	s_cmp_ge_u32 s46, s82
	s_cselect_b32 s31, -1, 0
	s_cmp_eq_u32 s47, 0
	s_cselect_b32 s31, s31, -1
	s_cmp_lg_u32 s31, 0
	s_cselect_b32 s30, s30, s47
	s_cselect_b32 s46, s48, s46
	s_cmp_ge_u32 s45, s82
	s_cselect_b32 s31, -1, 0
	s_cmp_eq_u32 s44, 0
	s_cselect_b32 s31, s31, -1
	s_cmp_lg_u32 s31, 0
	s_cselect_b32 s31, s30, s44
	s_cselect_b32 s30, s46, s45
	s_mov_b64 s[44:45], 0
	s_branch .LBB85_250
.LBB85_248:                             ;   in Loop: Header=BB85_15 Depth=1
                                        ; implicit-def: $sgpr48_sgpr49
	s_branch .LBB85_234
.LBB85_249:                             ;   in Loop: Header=BB85_15 Depth=1
	s_mov_b64 s[44:45], -1
                                        ; implicit-def: $sgpr30_sgpr31
.LBB85_250:                             ;   in Loop: Header=BB85_15 Depth=1
	s_andn2_b64 vcc, exec, s[44:45]
	v_readlane_b32 s92, v57, 43
	s_cbranch_vccnz .LBB85_252
; %bb.251:                              ;   in Loop: Header=BB85_15 Depth=1
	v_cvt_f32_u32_e32 v4, s82
	s_sub_i32 s30, 0, s82
	v_rcp_iflag_f32_e32 v4, v4
	s_nop 0
	v_mul_f32_e32 v4, 0x4f7ffffe, v4
	v_cvt_u32_f32_e32 v4, v4
	s_nop 0
	v_readfirstlane_b32 s31, v4
	s_mul_i32 s30, s30, s31
	s_mul_hi_u32 s30, s31, s30
	s_add_i32 s31, s31, s30
	s_mul_hi_u32 s30, s14, s31
	s_mul_i32 s30, s30, s82
	s_sub_i32 s30, s14, s30
	s_sub_i32 s31, s30, s82
	s_cmp_ge_u32 s30, s82
	s_cselect_b32 s30, s31, s30
	s_sub_i32 s31, s30, s82
	s_cmp_ge_u32 s30, s82
	s_cselect_b32 s86, s31, s30
	s_mov_b64 s[30:31], s[86:87]
.LBB85_252:                             ;   in Loop: Header=BB85_15 Depth=1
	s_sub_u32 s44, s14, s30
	s_subb_u32 s45, s93, s31
	v_cmp_gt_u64_e32 vcc, s[44:45], v[0:1]
                                        ; implicit-def: $vgpr36
	s_and_saveexec_b64 s[30:31], vcc
	s_cbranch_execz .LBB85_261
; %bb.253:                              ;   in Loop: Header=BB85_15 Depth=1
	s_mov_b64 s[46:47], 0
	v_mov_b64_e32 v[4:5], v[0:1]
                                        ; implicit-def: $sgpr48_sgpr49
	s_branch .LBB85_256
.LBB85_254:                             ;   in Loop: Header=BB85_256 Depth=2
	s_or_b64 exec, exec, s[50:51]
	s_waitcnt lgkmcnt(0)
	s_barrier
	ds_read_u16 v8, v3 offset:3072
	s_mov_b64 s[50:51], -1
	s_waitcnt lgkmcnt(0)
	s_barrier
	v_cmp_eq_u32_sdwa s[52:53], v8, v3 src0_sel:BYTE_0 src1_sel:DWORD
	s_and_b64 vcc, exec, s[52:53]
	s_mov_b64 s[52:53], -1
	s_cbranch_vccnz .LBB85_259
.LBB85_255:                             ;   in Loop: Header=BB85_256 Depth=2
	s_and_b64 s[50:51], exec, s[50:51]
	s_or_b64 s[46:47], s[50:51], s[46:47]
	s_andn2_b64 s[48:49], s[48:49], exec
	s_and_b64 s[50:51], s[52:53], exec
	s_or_b64 s[48:49], s[48:49], s[50:51]
	s_andn2_b64 exec, exec, s[46:47]
	s_cbranch_execz .LBB85_260
.LBB85_256:                             ;   Parent Loop BB85_15 Depth=1
                                        ; =>  This Inner Loop Header: Depth=2
	v_cmp_gt_u64_e32 vcc, s[56:57], v[4:5]
	s_and_saveexec_b64 s[50:51], vcc
	s_cbranch_execz .LBB85_254
; %bb.257:                              ;   in Loop: Header=BB85_256 Depth=2
	v_mov_b64_e32 v[8:9], s[84:85]
	v_mad_u64_u32 v[8:9], s[52:53], v4, s72, v[8:9]
	v_mul_lo_u32 v10, v4, s73
	v_mul_lo_u32 v11, v5, s72
	v_add3_u32 v9, v11, v9, v10
	global_load_ubyte v8, v[8:9], off
	s_waitcnt vmcnt(0)
	v_add_u32_sdwa v9, sext(v8), s68 dst_sel:DWORD dst_unused:UNUSED_PAD src0_sel:BYTE_0 src1_sel:DWORD
	v_and_b32_e32 v9, v9, v35
	v_cmp_eq_u32_e32 vcc, v9, v31
	s_and_b64 exec, exec, vcc
	s_cbranch_execz .LBB85_254
; %bb.258:                              ;   in Loop: Header=BB85_256 Depth=2
	v_lshlrev_b16_e32 v8, 8, v8
	v_or_b32_e32 v8, 1, v8
	ds_write_b16 v3, v8 offset:3072
	s_branch .LBB85_254
.LBB85_259:                             ;   in Loop: Header=BB85_256 Depth=2
	v_lshl_add_u64 v[4:5], v[4:5], 0, s[82:83]
	v_cmp_le_u64_e32 vcc, s[44:45], v[4:5]
	s_mov_b64 s[52:53], 0
	s_orn2_b64 s[50:51], vcc, exec
	s_branch .LBB85_255
.LBB85_260:                             ;   in Loop: Header=BB85_15 Depth=1
	s_or_b64 exec, exec, s[46:47]
	s_andn2_b64 s[8:9], s[8:9], exec
	s_and_b64 s[44:45], s[48:49], exec
	v_lshrrev_b32_sdwa v36, v34, v8 dst_sel:DWORD dst_unused:UNUSED_PAD src0_sel:DWORD src1_sel:WORD_0
	s_or_b64 s[8:9], s[8:9], s[44:45]
.LBB85_261:                             ;   in Loop: Header=BB85_15 Depth=1
	s_or_b64 exec, exec, s[30:31]
	s_mov_b64 s[44:45], 0
	s_mov_b64 s[46:47], -1
.LBB85_262:                             ;   in Loop: Header=BB85_15 Depth=1
	s_orn2_b64 s[30:31], s[8:9], exec
.LBB85_263:                             ;   in Loop: Header=BB85_15 Depth=1
	s_or_b64 exec, exec, s[42:43]
	s_mov_b64 s[42:43], 0
	s_and_saveexec_b64 s[8:9], s[30:31]
	s_cbranch_execz .LBB85_274
; %bb.264:                              ;   in Loop: Header=BB85_15 Depth=1
	s_xor_b64 s[40:41], s[40:41], -1
	v_mov_b64_e32 v[4:5], 1
	v_mov_b32_e32 v2, 1
	s_and_saveexec_b64 s[30:31], s[40:41]
	s_cbranch_execz .LBB85_273
; %bb.265:                              ;   in Loop: Header=BB85_15 Depth=1
	v_cmp_ge_u64_e32 vcc, s[2:3], v[6:7]
	s_and_saveexec_b64 s[40:41], vcc
	s_xor_b64 s[40:41], exec, s[40:41]
	s_cbranch_execz .LBB85_270
; %bb.266:                              ;   in Loop: Header=BB85_15 Depth=1
	ds_read_b64 v[4:5], v3 offset:5120
	v_or_b32_e32 v31, s66, v31
	v_or_b32_e32 v35, s66, v35
	s_waitcnt lgkmcnt(0)
	v_cmp_ne_u64_e32 vcc, 0, v[4:5]
	s_cbranch_vccnz .LBB85_270
; %bb.267:                              ;   in Loop: Header=BB85_15 Depth=1
	s_mov_b64 s[42:43], exec
	v_readlane_b32 s48, v57, 8
	v_readlane_b32 s49, v57, 9
	s_and_b64 s[48:49], s[42:43], s[48:49]
	s_mov_b64 exec, s[48:49]
; %bb.268:                              ;   in Loop: Header=BB85_15 Depth=1
	v_mov_b64_e32 v[4:5], s[2:3]
	ds_write_b64 v3, v[4:5] offset:5128
; %bb.269:                              ;   in Loop: Header=BB85_15 Depth=1
	s_or_b64 exec, exec, s[42:43]
	s_waitcnt lgkmcnt(0)
	s_barrier
.LBB85_270:                             ;   in Loop: Header=BB85_15 Depth=1
	s_andn2_saveexec_b64 s[40:41], s[40:41]
; %bb.271:                              ;   in Loop: Header=BB85_15 Depth=1
	v_mov_b32_e32 v2, s3
	v_subrev_co_u32_e32 v6, vcc, s2, v6
	s_nop 1
	v_subb_co_u32_e32 v7, vcc, v7, v2, vcc
; %bb.272:                              ;   in Loop: Header=BB85_15 Depth=1
	s_or_b64 exec, exec, s[40:41]
	v_mov_b32_e32 v2, 8
	v_mov_b64_e32 v[4:5], v[6:7]
.LBB85_273:                             ;   in Loop: Header=BB85_15 Depth=1
	s_or_b64 exec, exec, s[30:31]
	s_mov_b64 s[42:43], exec
	v_mov_b64_e32 v[6:7], v[4:5]
.LBB85_274:                             ;   in Loop: Header=BB85_15 Depth=1
	s_or_b64 exec, exec, s[8:9]
	s_orn2_b64 s[8:9], s[42:43], exec
.LBB85_275:                             ;   in Loop: Header=BB85_15 Depth=1
	s_or_b64 exec, exec, s[22:23]
	s_andn2_b64 s[2:3], s[36:37], exec
	s_and_b64 s[22:23], s[46:47], exec
	s_or_b64 s[36:37], s[2:3], s[22:23]
	s_andn2_b64 s[2:3], s[34:35], exec
	s_and_b64 s[22:23], s[44:45], exec
	s_or_b64 s[34:35], s[2:3], s[22:23]
	s_and_b64 s[30:31], s[8:9], exec
	v_mov_b64_e32 v[4:5], v[6:7]
.LBB85_276:                             ;   in Loop: Header=BB85_15 Depth=1
	s_or_b64 exec, exec, s[38:39]
	s_orn2_b64 s[8:9], s[30:31], exec
.LBB85_277:                             ;   in Loop: Header=BB85_15 Depth=1
	s_or_b64 exec, exec, s[28:29]
	s_andn2_b64 s[2:3], s[24:25], exec
	s_and_b64 s[22:23], s[36:37], exec
	s_or_b64 s[24:25], s[2:3], s[22:23]
	s_andn2_b64 s[0:1], s[0:1], exec
	s_and_b64 s[2:3], s[34:35], exec
	s_or_b64 s[0:1], s[0:1], s[2:3]
	s_and_b64 s[30:31], s[8:9], exec
	v_mov_b64_e32 v[8:9], v[4:5]
.LBB85_278:                             ;   in Loop: Header=BB85_15 Depth=1
	s_or_b64 exec, exec, s[26:27]
	s_orn2_b64 s[8:9], s[30:31], exec
.LBB85_279:                             ;   in Loop: Header=BB85_15 Depth=1
	s_or_b64 exec, exec, s[20:21]
	s_mov_b64 s[20:21], 0
	s_and_saveexec_b64 s[2:3], s[8:9]
	s_xor_b64 s[2:3], exec, s[2:3]
	s_cbranch_execz .LBB85_13
; %bb.280:                              ;   in Loop: Header=BB85_15 Depth=1
	v_and_b32_e32 v2, 7, v2
	v_cmp_eq_u32_e32 vcc, 0, v2
	s_mov_b64 s[8:9], -1
	s_mov_b64 s[18:19], -1
	s_and_saveexec_b64 s[20:21], vcc
	s_cbranch_execz .LBB85_12
; %bb.281:                              ;   in Loop: Header=BB85_15 Depth=1
	s_xor_b32 s91, s91, 1
	s_add_i32 s22, s7, -2
	s_cmp_eq_u32 s7, 0
	s_cselect_b64 s[8:9], -1, 0
	s_xor_b64 s[18:19], exec, -1
	s_orn2_b64 s[8:9], s[8:9], exec
	s_mov_b32 s7, s22
	s_branch .LBB85_12
.LBB85_282:
	s_or_b64 exec, exec, s[78:79]
	s_xor_b64 s[6:7], s[80:81], -1
	s_xor_b64 s[0:1], s[60:61], -1
	;; [unrolled: 1-line block ×3, first 2 shown]
	s_mov_b64 s[2:3], 0
	s_and_saveexec_b64 s[8:9], s[0:1]
	s_xor_b64 s[0:1], exec, s[8:9]
	s_cbranch_execnz .LBB85_287
; %bb.283:
	s_andn2_saveexec_b64 s[0:1], s[0:1]
	s_cbranch_execnz .LBB85_300
.LBB85_284:
	s_or_b64 exec, exec, s[0:1]
	s_and_saveexec_b64 s[0:1], s[2:3]
.LBB85_285:
	; divergent unreachable
.LBB85_286:
	s_endpgm
.LBB85_287:
	s_and_saveexec_b64 s[2:3], s[6:7]
	s_xor_b64 s[2:3], exec, s[2:3]
	s_cbranch_execz .LBB85_298
; %bb.288:
	s_and_saveexec_b64 s[6:7], s[4:5]
	s_xor_b64 s[4:5], exec, s[6:7]
; %bb.289:
	v_xor_b32_e32 v36, 0xffffff80, v31
; %bb.290:
	s_or_b64 exec, exec, s[4:5]
	v_readlane_b32 s6, v57, 4
	v_readlane_b32 s4, v57, 2
	;; [unrolled: 1-line block ×4, first 2 shown]
	s_mov_b32 s8, s4
	s_mul_i32 s4, s4, s7
	s_mul_hi_u32 s5, s8, s6
	s_add_i32 s5, s5, s4
	s_mul_i32 s4, s8, s6
	v_readlane_b32 s18, v57, 22
	v_readlane_b32 s12, v57, 18
	s_sub_u32 s4, s18, s4
	v_readlane_b32 s14, v57, 20
	v_readlane_b32 s15, v57, 21
	s_subb_u32 s5, 0, s5
	s_mul_i32 s6, s4, s15
	s_mul_hi_u32 s7, s4, s14
	v_readlane_b32 s13, v57, 19
	s_add_i32 s6, s7, s6
	s_mul_i32 s5, s5, s14
	s_add_i32 s6, s6, s5
	s_mul_i32 s5, s8, s13
	s_mul_hi_u32 s7, s8, s12
	s_add_i32 s7, s7, s5
	s_mul_i32 s5, s8, s12
	v_readlane_b32 s8, v57, 12
	v_readlane_b32 s9, v57, 13
	s_add_u32 s5, s8, s5
	s_mul_i32 s4, s4, s14
	s_addc_u32 s7, s9, s7
	s_add_u32 s4, s5, s4
	s_addc_u32 s5, s7, s6
	v_mov_b32_e32 v2, 0
	v_readlane_b32 s19, v57, 23
	global_store_byte v2, v36, s[4:5]
	s_mov_b64 s[4:5], exec
	v_readlane_b32 s6, v57, 24
	v_readlane_b32 s7, v57, 25
	s_and_b64 s[6:7], s[4:5], s[6:7]
	s_mov_b64 exec, s[6:7]
	s_cbranch_execz .LBB85_297
; %bb.291:
	s_mov_b64 s[6:7], 0
	v_mov_b64_e32 v[4:5], s[84:85]
                                        ; implicit-def: $sgpr8_sgpr9
                                        ; implicit-def: $sgpr12_sgpr13
                                        ; implicit-def: $sgpr10_sgpr11
	s_branch .LBB85_293
.LBB85_292:                             ;   in Loop: Header=BB85_293 Depth=1
	s_or_b64 exec, exec, s[14:15]
	s_and_b64 s[14:15], exec, s[12:13]
	s_or_b64 s[6:7], s[14:15], s[6:7]
	s_andn2_b64 s[8:9], s[8:9], exec
	s_and_b64 s[14:15], s[10:11], exec
	s_or_b64 s[8:9], s[8:9], s[14:15]
	s_andn2_b64 exec, exec, s[6:7]
	s_cbranch_execz .LBB85_295
.LBB85_293:                             ; =>This Inner Loop Header: Depth=1
	v_mov_b64_e32 v[2:3], v[0:1]
	v_mad_u64_u32 v[0:1], s[14:15], v2, s72, v[4:5]
	v_mul_lo_u32 v6, v2, s73
	v_mul_lo_u32 v7, v3, s72
	v_add3_u32 v1, v7, v1, v6
	global_load_ubyte v0, v[0:1], off
	s_or_b64 s[10:11], s[10:11], exec
	s_or_b64 s[12:13], s[12:13], exec
	s_waitcnt vmcnt(0)
	v_cmp_ne_u16_sdwa s[16:17], v0, v36 src0_sel:DWORD src1_sel:BYTE_0
                                        ; implicit-def: $vgpr0_vgpr1
	s_and_saveexec_b64 s[14:15], s[16:17]
	s_cbranch_execz .LBB85_292
; %bb.294:                              ;   in Loop: Header=BB85_293 Depth=1
	v_lshl_add_u64 v[0:1], v[2:3], 0, s[82:83]
	v_cmp_le_u64_e32 vcc, s[56:57], v[0:1]
	s_andn2_b64 s[12:13], s[12:13], exec
	s_and_b64 s[16:17], vcc, exec
	s_andn2_b64 s[10:11], s[10:11], exec
	s_or_b64 s[12:13], s[12:13], s[16:17]
	s_branch .LBB85_292
.LBB85_295:
	s_or_b64 exec, exec, s[6:7]
	s_and_saveexec_b64 s[6:7], s[8:9]
	s_xor_b64 s[6:7], exec, s[6:7]
	s_cbranch_execz .LBB85_297
; %bb.296:
	v_readlane_b32 s8, v57, 6
	v_readlane_b32 s6, v57, 0
	;; [unrolled: 1-line block ×4, first 2 shown]
	s_mov_b32 s10, s6
	s_mul_i32 s6, s6, s9
	s_mul_hi_u32 s7, s10, s8
	s_add_i32 s7, s7, s6
	s_mul_i32 s6, s10, s8
	v_readlane_b32 s12, v57, 14
	s_sub_u32 s6, s18, s6
	v_readlane_b32 s14, v57, 16
	v_readlane_b32 s15, v57, 17
	s_subb_u32 s7, 0, s7
	s_mul_i32 s8, s6, s15
	s_mul_hi_u32 s9, s6, s14
	v_readlane_b32 s13, v57, 15
	s_add_i32 s8, s9, s8
	s_mul_i32 s7, s7, s14
	s_add_i32 s7, s8, s7
	s_mul_i32 s8, s10, s13
	s_mul_hi_u32 s9, s10, s12
	s_add_i32 s9, s9, s8
	s_mul_i32 s8, s10, s12
	s_lshl_b64 s[8:9], s[8:9], 3
	v_readlane_b32 s10, v57, 10
	s_mul_i32 s6, s6, s14
	v_readlane_b32 s11, v57, 11
	s_add_u32 s8, s10, s8
	s_addc_u32 s9, s11, s9
	s_lshl_b64 s[6:7], s[6:7], 3
	s_add_u32 s6, s8, s6
	s_addc_u32 s7, s9, s7
	v_mov_b32_e32 v0, 0
	global_store_dwordx2 v0, v[2:3], s[6:7]
.LBB85_297:
	s_or_b64 exec, exec, s[4:5]
.LBB85_298:
	s_or_saveexec_b64 s[2:3], s[2:3]
	s_mov_b64 s[4:5], 0
	s_xor_b64 exec, exec, s[2:3]
	s_cbranch_execnz .LBB85_301
.LBB85_299:
	s_or_b64 exec, exec, s[2:3]
	s_and_b64 s[2:3], s[4:5], exec
	s_andn2_saveexec_b64 s[0:1], s[0:1]
	s_cbranch_execz .LBB85_284
.LBB85_300:
	s_or_b64 s[2:3], s[2:3], exec
	s_trap 2
	s_or_b64 exec, exec, s[0:1]
	s_and_saveexec_b64 s[0:1], s[2:3]
	s_cbranch_execnz .LBB85_285
	s_branch .LBB85_286
.LBB85_301:
	s_mov_b64 s[4:5], exec
	s_trap 2
	s_branch .LBB85_299
	.section	.rodata,"a",@progbits
	.p2align	6, 0x0
	.amdhsa_kernel _ZN2at6native12_GLOBAL__N_112gatherMedianIamLi2EEEvNS_4cuda6detail10TensorInfoIT_T0_EENS5_IlS7_EENS5_IKS6_S7_EES7_S7_S7_b
		.amdhsa_group_segment_fixed_size 5152
		.amdhsa_private_segment_fixed_size 0
		.amdhsa_kernarg_size 1536
		.amdhsa_user_sgpr_count 2
		.amdhsa_user_sgpr_dispatch_ptr 0
		.amdhsa_user_sgpr_queue_ptr 0
		.amdhsa_user_sgpr_kernarg_segment_ptr 1
		.amdhsa_user_sgpr_dispatch_id 0
		.amdhsa_user_sgpr_kernarg_preload_length 0
		.amdhsa_user_sgpr_kernarg_preload_offset 0
		.amdhsa_user_sgpr_private_segment_size 0
		.amdhsa_uses_dynamic_stack 0
		.amdhsa_enable_private_segment 0
		.amdhsa_system_sgpr_workgroup_id_x 1
		.amdhsa_system_sgpr_workgroup_id_y 1
		.amdhsa_system_sgpr_workgroup_id_z 1
		.amdhsa_system_sgpr_workgroup_info 0
		.amdhsa_system_vgpr_workitem_id 0
		.amdhsa_next_free_vgpr 58
		.amdhsa_next_free_sgpr 100
		.amdhsa_accum_offset 60
		.amdhsa_reserve_vcc 1
		.amdhsa_float_round_mode_32 0
		.amdhsa_float_round_mode_16_64 0
		.amdhsa_float_denorm_mode_32 3
		.amdhsa_float_denorm_mode_16_64 3
		.amdhsa_dx10_clamp 1
		.amdhsa_ieee_mode 1
		.amdhsa_fp16_overflow 0
		.amdhsa_tg_split 0
		.amdhsa_exception_fp_ieee_invalid_op 0
		.amdhsa_exception_fp_denorm_src 0
		.amdhsa_exception_fp_ieee_div_zero 0
		.amdhsa_exception_fp_ieee_overflow 0
		.amdhsa_exception_fp_ieee_underflow 0
		.amdhsa_exception_fp_ieee_inexact 0
		.amdhsa_exception_int_div_zero 0
	.end_amdhsa_kernel
	.section	.text._ZN2at6native12_GLOBAL__N_112gatherMedianIamLi2EEEvNS_4cuda6detail10TensorInfoIT_T0_EENS5_IlS7_EENS5_IKS6_S7_EES7_S7_S7_b,"axG",@progbits,_ZN2at6native12_GLOBAL__N_112gatherMedianIamLi2EEEvNS_4cuda6detail10TensorInfoIT_T0_EENS5_IlS7_EENS5_IKS6_S7_EES7_S7_S7_b,comdat
.Lfunc_end85:
	.size	_ZN2at6native12_GLOBAL__N_112gatherMedianIamLi2EEEvNS_4cuda6detail10TensorInfoIT_T0_EENS5_IlS7_EENS5_IKS6_S7_EES7_S7_S7_b, .Lfunc_end85-_ZN2at6native12_GLOBAL__N_112gatherMedianIamLi2EEEvNS_4cuda6detail10TensorInfoIT_T0_EENS5_IlS7_EENS5_IKS6_S7_EES7_S7_S7_b
                                        ; -- End function
	.set _ZN2at6native12_GLOBAL__N_112gatherMedianIamLi2EEEvNS_4cuda6detail10TensorInfoIT_T0_EENS5_IlS7_EENS5_IKS6_S7_EES7_S7_S7_b.num_vgpr, 58
	.set _ZN2at6native12_GLOBAL__N_112gatherMedianIamLi2EEEvNS_4cuda6detail10TensorInfoIT_T0_EENS5_IlS7_EENS5_IKS6_S7_EES7_S7_S7_b.num_agpr, 0
	.set _ZN2at6native12_GLOBAL__N_112gatherMedianIamLi2EEEvNS_4cuda6detail10TensorInfoIT_T0_EENS5_IlS7_EENS5_IKS6_S7_EES7_S7_S7_b.numbered_sgpr, 100
	.set _ZN2at6native12_GLOBAL__N_112gatherMedianIamLi2EEEvNS_4cuda6detail10TensorInfoIT_T0_EENS5_IlS7_EENS5_IKS6_S7_EES7_S7_S7_b.num_named_barrier, 0
	.set _ZN2at6native12_GLOBAL__N_112gatherMedianIamLi2EEEvNS_4cuda6detail10TensorInfoIT_T0_EENS5_IlS7_EENS5_IKS6_S7_EES7_S7_S7_b.private_seg_size, 0
	.set _ZN2at6native12_GLOBAL__N_112gatherMedianIamLi2EEEvNS_4cuda6detail10TensorInfoIT_T0_EENS5_IlS7_EENS5_IKS6_S7_EES7_S7_S7_b.uses_vcc, 1
	.set _ZN2at6native12_GLOBAL__N_112gatherMedianIamLi2EEEvNS_4cuda6detail10TensorInfoIT_T0_EENS5_IlS7_EENS5_IKS6_S7_EES7_S7_S7_b.uses_flat_scratch, 0
	.set _ZN2at6native12_GLOBAL__N_112gatherMedianIamLi2EEEvNS_4cuda6detail10TensorInfoIT_T0_EENS5_IlS7_EENS5_IKS6_S7_EES7_S7_S7_b.has_dyn_sized_stack, 0
	.set _ZN2at6native12_GLOBAL__N_112gatherMedianIamLi2EEEvNS_4cuda6detail10TensorInfoIT_T0_EENS5_IlS7_EENS5_IKS6_S7_EES7_S7_S7_b.has_recursion, 0
	.set _ZN2at6native12_GLOBAL__N_112gatherMedianIamLi2EEEvNS_4cuda6detail10TensorInfoIT_T0_EENS5_IlS7_EENS5_IKS6_S7_EES7_S7_S7_b.has_indirect_call, 0
	.section	.AMDGPU.csdata,"",@progbits
; Kernel info:
; codeLenInByte = 15644
; TotalNumSgprs: 106
; NumVgprs: 58
; NumAgprs: 0
; TotalNumVgprs: 58
; ScratchSize: 0
; MemoryBound: 0
; FloatMode: 240
; IeeeMode: 1
; LDSByteSize: 5152 bytes/workgroup (compile time only)
; SGPRBlocks: 13
; VGPRBlocks: 7
; NumSGPRsForWavesPerEU: 106
; NumVGPRsForWavesPerEU: 58
; AccumOffset: 60
; Occupancy: 7
; WaveLimiterHint : 1
; COMPUTE_PGM_RSRC2:SCRATCH_EN: 0
; COMPUTE_PGM_RSRC2:USER_SGPR: 2
; COMPUTE_PGM_RSRC2:TRAP_HANDLER: 0
; COMPUTE_PGM_RSRC2:TGID_X_EN: 1
; COMPUTE_PGM_RSRC2:TGID_Y_EN: 1
; COMPUTE_PGM_RSRC2:TGID_Z_EN: 1
; COMPUTE_PGM_RSRC2:TIDIG_COMP_CNT: 0
; COMPUTE_PGM_RSRC3_GFX90A:ACCUM_OFFSET: 14
; COMPUTE_PGM_RSRC3_GFX90A:TG_SPLIT: 0
	.section	.text._ZN2at6native12_GLOBAL__N_112gatherMedianIamLi3EEEvNS_4cuda6detail10TensorInfoIT_T0_EENS5_IlS7_EENS5_IKS6_S7_EES7_S7_S7_b,"axG",@progbits,_ZN2at6native12_GLOBAL__N_112gatherMedianIamLi3EEEvNS_4cuda6detail10TensorInfoIT_T0_EENS5_IlS7_EENS5_IKS6_S7_EES7_S7_S7_b,comdat
	.globl	_ZN2at6native12_GLOBAL__N_112gatherMedianIamLi3EEEvNS_4cuda6detail10TensorInfoIT_T0_EENS5_IlS7_EENS5_IKS6_S7_EES7_S7_S7_b ; -- Begin function _ZN2at6native12_GLOBAL__N_112gatherMedianIamLi3EEEvNS_4cuda6detail10TensorInfoIT_T0_EENS5_IlS7_EENS5_IKS6_S7_EES7_S7_S7_b
	.p2align	8
	.type	_ZN2at6native12_GLOBAL__N_112gatherMedianIamLi3EEEvNS_4cuda6detail10TensorInfoIT_T0_EENS5_IlS7_EENS5_IKS6_S7_EES7_S7_S7_b,@function
_ZN2at6native12_GLOBAL__N_112gatherMedianIamLi3EEEvNS_4cuda6detail10TensorInfoIT_T0_EENS5_IlS7_EENS5_IKS6_S7_EES7_S7_S7_b: ; @_ZN2at6native12_GLOBAL__N_112gatherMedianIamLi3EEEvNS_4cuda6detail10TensorInfoIT_T0_EENS5_IlS7_EENS5_IKS6_S7_EES7_S7_S7_b
; %bb.0:
	s_load_dwordx2 s[12:13], s[0:1], 0x500
	s_load_dwordx4 s[56:59], s[0:1], 0x4e0
	s_add_u32 s16, s0, 0x500
	s_addc_u32 s17, s1, 0
	s_mov_b32 s31, 0
	s_waitcnt lgkmcnt(0)
	s_mul_i32 s4, s13, s4
	s_add_i32 s3, s4, s3
	s_mul_i32 s3, s3, s12
	s_add_i32 s30, s3, s2
	v_mov_b64_e32 v[2:3], s[30:31]
	v_cmp_le_u64_e32 vcc, s[58:59], v[2:3]
	s_cbranch_vccnz .LBB86_288
; %bb.1:
	s_load_dwordx4 s[4:7], s[0:1], 0x10
	s_mov_b64 s[8:9], 0
                                        ; implicit-def: $vgpr57 : SGPR spill to VGPR lane
	v_writelane_b32 v57, s8, 0
	s_waitcnt lgkmcnt(0)
	v_mov_b64_e32 v[2:3], s[6:7]
	v_writelane_b32 v57, s9, 1
	v_writelane_b32 v57, s4, 2
	v_cmp_lt_u64_e32 vcc, s[30:31], v[2:3]
	s_and_b64 vcc, exec, vcc
	v_writelane_b32 v57, s5, 3
	s_mov_b64 s[8:9], 0
	v_writelane_b32 v57, s6, 4
	v_writelane_b32 v57, s7, 5
	s_cbranch_vccnz .LBB86_3
; %bb.2:
	v_cvt_f32_u32_e32 v1, s6
	s_sub_i32 s3, 0, s6
	s_load_dwordx4 s[8:11], s[0:1], 0x10
	v_rcp_iflag_f32_e32 v1, v1
	s_nop 0
	v_mul_f32_e32 v1, 0x4f7ffffe, v1
	v_cvt_u32_f32_e32 v1, v1
	s_nop 0
	v_readfirstlane_b32 s4, v1
	s_mul_i32 s3, s3, s4
	s_mul_hi_u32 s3, s4, s3
	s_add_i32 s4, s4, s3
	s_mul_hi_u32 s3, s30, s4
	s_waitcnt lgkmcnt(0)
	s_mul_i32 s5, s3, s10
	s_load_dwordx4 s[8:11], s[0:1], 0x10
	s_sub_i32 s5, s30, s5
	s_add_i32 s4, s3, 1
	s_waitcnt lgkmcnt(0)
	s_sub_i32 s6, s5, s10
	s_load_dwordx4 s[8:11], s[0:1], 0x10
	s_waitcnt lgkmcnt(0)
	s_cmp_ge_u32 s5, s10
	s_load_dwordx4 s[8:11], s[0:1], 0x10
	s_cselect_b32 s3, s4, s3
	s_cselect_b32 s5, s6, s5
	s_add_i32 s4, s3, 1
	s_waitcnt lgkmcnt(0)
	s_mov_b32 s9, 0
	s_cmp_ge_u32 s5, s10
	s_cselect_b32 s8, s4, s3
	s_load_dwordx4 s[4:7], s[0:1], 0x10
.LBB86_3:
	s_waitcnt lgkmcnt(0)
	s_mov_b64 s[6:7], s[8:9]
	s_load_dwordx4 s[8:11], s[0:1], 0x1b0
	v_writelane_b32 v57, s6, 6
	v_mov_b64_e32 v[2:3], s[4:5]
	s_nop 0
	v_writelane_b32 v57, s7, 7
	s_waitcnt lgkmcnt(0)
	v_writelane_b32 v57, s8, 8
	v_cmp_lt_u64_e32 vcc, s[6:7], v[2:3]
	s_nop 0
	v_writelane_b32 v57, s9, 9
	v_writelane_b32 v57, s10, 10
	;; [unrolled: 1-line block ×3, first 2 shown]
	s_cbranch_vccnz .LBB86_5
; %bb.4:
	s_load_dwordx4 s[4:7], s[0:1], 0x10
	s_waitcnt lgkmcnt(0)
	s_mov_b64 s[10:11], s[6:7]
	s_mov_b64 s[8:9], s[4:5]
	v_cvt_f32_u32_e32 v1, s8
	s_sub_i32 s3, 0, s8
	v_readlane_b32 s6, v57, 6
	v_readlane_b32 s7, v57, 7
	v_rcp_iflag_f32_e32 v1, v1
	s_nop 0
	v_mul_f32_e32 v1, 0x4f7ffffe, v1
	v_cvt_u32_f32_e32 v1, v1
	s_nop 0
	v_readfirstlane_b32 s4, v1
	s_mul_i32 s3, s3, s4
	s_mul_hi_u32 s3, s4, s3
	s_add_i32 s4, s4, s3
	s_mul_hi_u32 s3, s6, s4
	s_mul_i32 s5, s3, s8
	s_sub_i32 s5, s6, s5
	s_add_i32 s4, s3, 1
	s_sub_i32 s6, s5, s8
	s_cmp_ge_u32 s5, s8
	s_cselect_b32 s3, s4, s3
	s_cselect_b32 s5, s6, s5
	s_add_i32 s4, s3, 1
	s_cmp_ge_u32 s5, s8
	s_load_dwordx4 s[8:11], s[0:1], 0x1b0
	s_cselect_b32 s4, s4, s3
	v_writelane_b32 v57, s4, 0
	s_nop 1
	v_writelane_b32 v57, s5, 1
.LBB86_5:
	s_waitcnt lgkmcnt(0)
	v_mov_b64_e32 v[2:3], s[10:11]
	v_cmp_lt_u64_e32 vcc, s[30:31], v[2:3]
	s_mov_b64 s[4:5], 0
	v_writelane_b32 v57, s4, 12
	s_mov_b64 s[14:15], 0
	s_nop 0
	v_writelane_b32 v57, s5, 13
	s_cbranch_vccnz .LBB86_7
; %bb.6:
	v_cvt_f32_u32_e32 v1, s10
	s_sub_i32 s3, 0, s10
	s_mov_b32 s15, 0
	v_rcp_iflag_f32_e32 v1, v1
	s_nop 0
	v_mul_f32_e32 v1, 0x4f7ffffe, v1
	v_cvt_u32_f32_e32 v1, v1
	s_nop 0
	v_readfirstlane_b32 s4, v1
	s_mul_i32 s3, s3, s4
	s_mul_hi_u32 s3, s4, s3
	s_add_i32 s4, s4, s3
	s_mul_hi_u32 s3, s30, s4
	s_mul_i32 s5, s3, s10
	s_sub_i32 s5, s30, s5
	s_add_i32 s4, s3, 1
	s_sub_i32 s6, s5, s10
	s_cmp_ge_u32 s5, s10
	s_cselect_b32 s3, s4, s3
	s_cselect_b32 s5, s6, s5
	s_add_i32 s4, s3, 1
	s_cmp_ge_u32 s5, s10
	s_cselect_b32 s14, s4, s3
.LBB86_7:
	s_load_dwordx4 s[4:7], s[0:1], 0x350
	v_mov_b64_e32 v[2:3], s[8:9]
	v_cmp_lt_u64_e32 vcc, s[14:15], v[2:3]
	s_cbranch_vccnz .LBB86_9
; %bb.8:
	s_load_dwordx4 s[8:11], s[0:1], 0x1b0
	s_waitcnt lgkmcnt(0)
	s_mov_b64 s[22:23], s[10:11]
	s_mov_b64 s[20:21], s[8:9]
	v_cvt_f32_u32_e32 v1, s20
	s_sub_i32 s3, 0, s20
	v_rcp_iflag_f32_e32 v1, v1
	s_nop 0
	v_mul_f32_e32 v1, 0x4f7ffffe, v1
	v_cvt_u32_f32_e32 v1, v1
	s_nop 0
	v_readfirstlane_b32 s8, v1
	s_mul_i32 s3, s3, s8
	s_mul_hi_u32 s3, s8, s3
	s_add_i32 s8, s8, s3
	s_mul_hi_u32 s3, s14, s8
	s_mul_i32 s9, s3, s20
	s_sub_i32 s9, s14, s9
	s_add_i32 s8, s3, 1
	s_sub_i32 s10, s9, s20
	s_cmp_ge_u32 s9, s20
	s_cselect_b32 s3, s8, s3
	s_cselect_b32 s9, s10, s9
	s_add_i32 s8, s3, 1
	s_cmp_ge_u32 s9, s20
	s_cselect_b32 s8, s8, s3
	v_writelane_b32 v57, s8, 12
	s_nop 1
	v_writelane_b32 v57, s9, 13
.LBB86_9:
	s_load_dwordx2 s[84:85], s[0:1], 0x4f0
	s_waitcnt lgkmcnt(0)
	v_mov_b64_e32 v[2:3], s[6:7]
	v_cmp_lt_u64_e32 vcc, s[30:31], v[2:3]
	v_writelane_b32 v57, s14, 14
	s_mov_b64 s[20:21], 0
	s_mov_b64 s[18:19], 0
	v_writelane_b32 v57, s15, 15
	s_cbranch_vccnz .LBB86_11
; %bb.10:
	v_cvt_f32_u32_e32 v1, s6
	s_sub_i32 s3, 0, s6
	s_mov_b32 s19, 0
	v_rcp_iflag_f32_e32 v1, v1
	s_nop 0
	v_mul_f32_e32 v1, 0x4f7ffffe, v1
	v_cvt_u32_f32_e32 v1, v1
	s_nop 0
	v_readfirstlane_b32 s8, v1
	s_mul_i32 s3, s3, s8
	s_mul_hi_u32 s3, s8, s3
	s_add_i32 s8, s8, s3
	s_mul_hi_u32 s3, s30, s8
	s_mul_i32 s9, s3, s6
	s_sub_i32 s9, s30, s9
	s_add_i32 s8, s3, 1
	s_sub_i32 s10, s9, s6
	s_cmp_ge_u32 s9, s6
	s_cselect_b32 s3, s8, s3
	s_cselect_b32 s9, s10, s9
	s_add_i32 s8, s3, 1
	s_cmp_ge_u32 s9, s6
	s_cselect_b32 s18, s8, s3
.LBB86_11:
	s_load_dwordx2 s[24:25], s[0:1], 0x420
	s_load_dwordx4 s[8:11], s[0:1], 0x410
	v_mov_b64_e32 v[2:3], s[4:5]
	v_cmp_lt_u64_e32 vcc, s[18:19], v[2:3]
	s_cbranch_vccnz .LBB86_13
; %bb.12:
	v_cvt_f32_u32_e32 v1, s4
	s_sub_i32 s3, 0, s4
	v_rcp_iflag_f32_e32 v1, v1
	s_nop 0
	v_mul_f32_e32 v1, 0x4f7ffffe, v1
	v_cvt_u32_f32_e32 v1, v1
	s_nop 0
	v_readfirstlane_b32 s13, v1
	s_mul_i32 s3, s3, s13
	s_mul_hi_u32 s3, s13, s3
	s_add_i32 s13, s13, s3
	s_mul_hi_u32 s3, s18, s13
	s_mul_i32 s14, s3, s4
	s_sub_i32 s14, s18, s14
	s_add_i32 s13, s3, 1
	s_sub_i32 s15, s14, s4
	s_cmp_ge_u32 s14, s4
	s_cselect_b32 s3, s13, s3
	s_cselect_b32 s14, s15, s14
	s_add_i32 s13, s3, 1
	s_cmp_ge_u32 s14, s4
	s_cselect_b32 s20, s13, s3
.LBB86_13:
	s_load_dwordx2 s[14:15], s[0:1], 0x280
	s_load_dwordx4 s[36:39], s[0:1], 0x270
	s_load_dwordx2 s[26:27], s[0:1], 0x340
	s_waitcnt lgkmcnt(0)
	v_writelane_b32 v57, s14, 16
	s_nop 1
	v_writelane_b32 v57, s15, 17
	v_writelane_b32 v57, s36, 18
	s_load_dwordx2 s[14:15], s[0:1], 0xe0
	s_nop 0
	v_writelane_b32 v57, s37, 19
	v_writelane_b32 v57, s38, 20
	v_writelane_b32 v57, s39, 21
	s_load_dwordx4 s[36:39], s[0:1], 0xd0
	s_waitcnt lgkmcnt(0)
	v_writelane_b32 v57, s14, 22
	s_nop 1
	v_writelane_b32 v57, s15, 23
	v_writelane_b32 v57, s36, 24
	v_cmp_eq_u32_e64 s[14:15], 0, v0
	s_nop 0
	v_writelane_b32 v57, s37, 25
	v_writelane_b32 v57, s38, 26
	;; [unrolled: 1-line block ×3, first 2 shown]
	s_mov_b64 s[22:23], exec
	v_writelane_b32 v57, s14, 28
	s_nop 1
	v_writelane_b32 v57, s15, 29
	s_and_b64 s[14:15], s[22:23], s[14:15]
	s_mov_b64 exec, s[14:15]
; %bb.14:
	v_mov_b32_e32 v2, 0
	v_mov_b32_e32 v3, v2
	ds_write_b64 v2, v[2:3] offset:5136
; %bb.15:
	s_or_b64 exec, exec, s[22:23]
	s_load_dwordx2 s[14:15], s[0:1], 0x1a0
	v_mov_b32_e32 v3, 0
	s_waitcnt lgkmcnt(0)
	s_barrier
	v_writelane_b32 v57, s14, 30
	s_barrier
	ds_read_b64 v[4:5], v3 offset:5136
	v_writelane_b32 v57, s15, 31
	s_load_dwordx2 s[14:15], s[0:1], 0x0
	s_waitcnt lgkmcnt(0)
	v_readfirstlane_b32 s22, v4
	v_readfirstlane_b32 s23, v5
	v_writelane_b32 v57, s14, 32
	s_nop 1
	v_writelane_b32 v57, s15, 33
	s_mov_b64 s[28:29], exec
	v_readlane_b32 s14, v57, 28
	v_readlane_b32 s15, v57, 29
	s_and_b64 s[14:15], s[28:29], s[14:15]
	s_mov_b64 exec, s[14:15]
	s_cbranch_execz .LBB86_17
; %bb.16:
	v_mov_b32_e32 v4, 0
	v_mov_b32_e32 v6, s56
	;; [unrolled: 1-line block ×4, first 2 shown]
	ds_write_b32 v4, v4 offset:5144
	ds_write_b128 v4, v[4:7] offset:5120
.LBB86_17:
	s_or_b64 exec, exec, s[28:29]
	s_load_dword s3, s[0:1], 0x4f8
	v_cmp_lt_i64_e64 s[0:1], s[22:23], 1
	s_mul_i32 s7, s18, s7
	v_mov_b32_e32 v1, v3
	v_mbcnt_lo_u32_b32 v2, -1, 0
	s_waitcnt lgkmcnt(0)
	s_bitcmp1_b32 s3, 0
	s_cselect_b64 s[14:15], -1, 0
	s_not_b64 s[22:23], s[22:23]
	s_or_b64 s[0:1], s[14:15], s[0:1]
	s_add_u32 s14, s56, s22
	s_addc_u32 s15, s57, s23
	s_lshr_b64 s[14:15], s[14:15], 1
	s_add_u32 s3, s14, 1
	s_addc_u32 s13, s15, 0
	s_and_b64 s[0:1], s[0:1], exec
	s_mul_hi_u32 s0, s18, s6
	s_cselect_b32 s23, s13, s57
	s_cselect_b32 s22, s3, s56
	s_add_i32 s0, s0, s7
	s_mul_i32 s1, s18, s6
	s_mov_b32 s6, s30
	v_writelane_b32 v57, s6, 34
	s_sub_u32 s1, s30, s1
	s_subb_u32 s0, 0, s0
	v_writelane_b32 v57, s7, 35
	s_mul_i32 s3, s1, s25
	s_mul_hi_u32 s6, s1, s24
	s_add_i32 s3, s6, s3
	s_mul_i32 s0, s0, s24
	s_add_i32 s3, s3, s0
	s_mul_i32 s0, s20, s5
	s_mul_hi_u32 s5, s20, s4
	s_add_i32 s5, s5, s0
	s_mul_i32 s0, s20, s4
	s_sub_u32 s0, s18, s0
	s_subb_u32 s4, s19, s5
	s_mul_i32 s5, s0, s11
	s_mul_hi_u32 s6, s0, s10
	s_add_i32 s5, s6, s5
	s_mul_i32 s4, s4, s10
	s_add_i32 s5, s5, s4
	s_mul_i32 s4, s20, s9
	s_mul_hi_u32 s6, s20, s8
	s_add_i32 s6, s6, s4
	s_mul_i32 s4, s20, s8
	s_add_u32 s4, s26, s4
	s_mul_i32 s0, s0, s10
	s_addc_u32 s6, s27, s6
	s_add_u32 s0, s4, s0
	s_mul_i32 s1, s1, s24
	s_addc_u32 s4, s6, s5
	s_add_u32 s96, s0, s1
	v_cmp_gt_u64_e64 s[0:1], s[56:57], v[0:1]
	v_mbcnt_hi_u32_b32 v28, -1, v2
	v_cmp_gt_u32_e32 vcc, 64, v0
	v_writelane_b32 v57, s0, 36
	s_addc_u32 s97, s4, s3
	v_mov_b64_e32 v[4:5], 0xc00
	v_writelane_b32 v57, s1, 37
	v_cmp_gt_i32_e64 s[0:1], 4, v28
	s_and_b64 s[88:89], vcc, s[0:1]
	v_cmp_gt_u32_e64 s[0:1], 2, v0
	v_mov_b64_e32 v[12:13], s[96:97]
	s_nop 0
	v_writelane_b32 v57, s0, 38
	s_barrier
	s_nop 0
	v_writelane_b32 v57, s1, 39
	v_cmp_gt_u64_e64 s[0:1], s[56:57], v[4:5]
	v_mov_b32_e32 v7, -1
	v_not_b32_e32 v6, v0
	v_writelane_b32 v57, s0, 40
	s_mov_b32 s99, 0
	s_mov_b32 s65, s85
	v_writelane_b32 v57, s1, 41
	v_mad_u64_u32 v[14:15], s[0:1], s84, v0, v[12:13]
	v_mov_b32_e32 v2, v15
	v_mad_u64_u32 v[4:5], s[0:1], s85, v0, v[2:3]
	s_load_dword s0, s[16:17], 0xc
	v_lshlrev_b32_e32 v2, 2, v28
	v_and_b32_e32 v29, 0x100, v2
	v_lshrrev_b32_e32 v2, 1, v0
	v_and_b32_e32 v2, 0x1e0, v2
	s_waitcnt lgkmcnt(0)
	s_and_b32 s94, s0, 0xffff
	s_bfe_u32 s0, s0, 0xa0006
	v_mov_b32_e32 v15, v4
	v_lshlrev_b64 v[4:5], v28, -1
	s_cmp_gt_u32 s94, 63
	v_or_b32_e32 v30, 0xc00, v2
	v_add_u32_e32 v2, 2, v0
	v_not_b32_e32 v18, v4
	s_cselect_b64 s[6:7], -1, 0
	s_add_u32 s1, s94, -1
	v_mov_b32_e32 v4, s57
	v_cmp_gt_u64_e32 vcc, s[56:57], v[2:3]
	v_not_b32_e32 v19, v5
	v_writelane_b32 v57, s6, 42
	s_addc_u32 s3, 0, -1
	v_cndmask_b32_e32 v5, 0, v4, vcc
	v_mov_b32_e32 v4, s56
	v_writelane_b32 v57, s7, 43
	s_add_u32 s14, s1, s56
	v_cndmask_b32_e32 v4, v2, v4, vcc
	v_writelane_b32 v57, s1, 44
	s_addc_u32 s69, s3, s57
	v_lshl_add_u64 v[4:5], v[4:5], 0, v[6:7]
	v_writelane_b32 v57, s3, 45
	s_cmp_lt_u32 s2, s12
	v_cmp_lt_u64_e64 s[2:3], 3, v[4:5]
	s_cselect_b32 s1, 12, 18
	v_and_b32_e32 v20, -4, v4
	v_writelane_b32 v57, s2, 46
	v_mov_b32_e32 v21, v5
	s_add_u32 s70, s16, s1
	v_writelane_b32 v57, s3, 47
	v_cmp_ne_u64_e64 s[2:3], v[4:5], v[20:21]
	s_addc_u32 s71, s17, 0
	s_add_i32 s1, s0, -1
	v_writelane_b32 v57, s2, 48
	s_and_b32 s1, s1, 0xffff
	v_mov_b32_e32 v2, 0xc00
	v_writelane_b32 v57, s3, 49
	s_bfe_u32 s2, s94, 0x30006
	s_cmp_gt_u32 s1, 6
	s_cselect_b64 s[8:9], -1, 0
	v_writelane_b32 v57, s8, 50
	s_and_b32 s6, s0, 0x3f8
	s_cmp_lg_u32 s2, 0
	v_writelane_b32 v57, s9, 51
	v_writelane_b32 v57, s2, 52
	s_cselect_b64 s[0:1], -1, 0
	v_writelane_b32 v57, s0, 53
	v_cmp_eq_u32_e64 s[4:5], 0, v28
	v_lshlrev_b32_e32 v16, 2, v0
	v_writelane_b32 v57, s1, 54
	v_mov_b32_e32 v17, v3
	s_mov_b32 s95, s99
	v_lshl_add_u64 v[22:23], v[20:21], 0, v[0:1]
	s_mov_b32 s15, s84
	s_mov_b32 s67, s85
	;; [unrolled: 1-line block ×6, first 2 shown]
	v_lshl_or_b32 v32, v28, 3, v2
	s_mov_b64 s[12:13], 0
	v_mov_b64_e32 v[24:25], s[22:23]
	s_movk_i32 s76, 0x80
	s_mov_b32 s77, 0xc0c0004
	v_mov_b64_e32 v[40:41], s[56:57]
	v_mov_b32_e32 v33, 0x4f800000
	v_mov_b32_e32 v34, 8
	;; [unrolled: 1-line block ×3, first 2 shown]
	s_mov_b32 s87, 0
	v_mov_b32_e32 v31, 0
	v_mov_b32_e32 v35, 0
	v_writelane_b32 v57, s65, 55
                                        ; implicit-def: $sgpr90_sgpr91
                                        ; implicit-def: $sgpr72_sgpr73
                                        ; implicit-def: $sgpr10_sgpr11
                                        ; implicit-def: $sgpr82_sgpr83
                                        ; implicit-def: $sgpr58_sgpr59
                                        ; implicit-def: $sgpr74_sgpr75
	v_writelane_b32 v57, s66, 56
	s_branch .LBB86_21
.LBB86_18:                              ;   in Loop: Header=BB86_21 Depth=1
	s_or_b64 exec, exec, s[20:21]
	s_and_b64 s[20:21], s[18:19], exec
	s_andn2_b64 s[24:25], s[24:25], exec
	s_andn2_b64 s[0:1], s[0:1], exec
	s_orn2_b64 s[18:19], s[8:9], exec
.LBB86_19:                              ;   in Loop: Header=BB86_21 Depth=1
	s_or_b64 exec, exec, s[2:3]
	s_andn2_b64 s[2:3], s[74:75], exec
	s_and_b64 s[8:9], s[20:21], exec
	s_or_b64 s[74:75], s[2:3], s[8:9]
	s_andn2_b64 s[2:3], s[58:59], exec
	s_and_b64 s[8:9], s[24:25], exec
	s_or_b64 s[58:59], s[2:3], s[8:9]
	;; [unrolled: 3-line block ×3, first 2 shown]
	s_orn2_b64 s[0:1], s[18:19], exec
.LBB86_20:                              ;   in Loop: Header=BB86_21 Depth=1
	s_or_b64 exec, exec, s[16:17]
	s_and_b64 s[0:1], exec, s[0:1]
	s_or_b64 s[12:13], s[0:1], s[12:13]
	s_andn2_b64 s[0:1], s[10:11], exec
	s_and_b64 s[2:3], s[74:75], exec
	s_or_b64 s[10:11], s[0:1], s[2:3]
	s_andn2_b64 s[0:1], s[72:73], exec
	s_and_b64 s[2:3], s[58:59], exec
	;; [unrolled: 3-line block ×3, first 2 shown]
	s_or_b64 s[90:91], s[0:1], s[2:3]
	v_mov_b64_e32 v[24:25], v[8:9]
	s_andn2_b64 exec, exec, s[12:13]
	s_cbranch_execz .LBB86_284
.LBB86_21:                              ; =>This Loop Header: Depth=1
                                        ;     Child Loop BB86_26 Depth 2
                                        ;     Child Loop BB86_40 Depth 2
                                        ;     Child Loop BB86_44 Depth 2
                                        ;     Child Loop BB86_79 Depth 2
                                        ;     Child Loop BB86_83 Depth 2
                                        ;     Child Loop BB86_68 Depth 2
                                        ;     Child Loop BB86_73 Depth 2
                                        ;     Child Loop BB86_61 Depth 2
                                        ;     Child Loop BB86_90 Depth 2
                                        ;     Child Loop BB86_103 Depth 2
                                        ;     Child Loop BB86_117 Depth 2
                                        ;     Child Loop BB86_146 Depth 2
                                        ;     Child Loop BB86_165 Depth 2
                                        ;     Child Loop BB86_195 Depth 2
                                        ;     Child Loop BB86_211 Depth 2
                                        ;     Child Loop BB86_240 Depth 2
                                        ;     Child Loop BB86_256 Depth 2
	ds_read_b128 v[4:7], v3 offset:5120
	s_waitcnt lgkmcnt(0)
	v_readfirstlane_b32 s81, v5
	v_readfirstlane_b32 s80, v4
	s_cmp_lg_u64 s[80:81], 0
	s_cbranch_scc1 .LBB86_53
; %bb.22:                               ;   in Loop: Header=BB86_21 Depth=1
	v_readlane_b32 s0, v57, 40
	v_readlane_b32 s1, v57, 41
	s_and_b64 vcc, exec, s[0:1]
	s_cbranch_vccz .LBB86_34
; %bb.23:                               ;   in Loop: Header=BB86_21 Depth=1
	s_mov_b64 s[0:1], 0xc01
	v_cmp_gt_u64_e32 vcc, s[0:1], v[6:7]
	s_mov_b64 s[8:9], 0
	s_mov_b64 s[0:1], 0
	s_cbranch_vccz .LBB86_35
; %bb.24:                               ;   in Loop: Header=BB86_21 Depth=1
	global_load_ushort v2, v3, s[70:71]
	global_load_ubyte v6, v[14:15], off
	s_mov_b64 s[16:17], 0
	v_mov_b64_e32 v[4:5], v[0:1]
	s_waitcnt vmcnt(1)
	v_and_b32_e32 v2, 0xffff, v2
	s_branch .LBB86_26
.LBB86_25:                              ;   in Loop: Header=BB86_26 Depth=2
	s_or_b64 exec, exec, s[2:3]
	v_mov_b32_e32 v6, v7
	s_andn2_b64 exec, exec, s[16:17]
	s_cbranch_execz .LBB86_151
.LBB86_26:                              ;   Parent Loop BB86_21 Depth=1
                                        ; =>  This Inner Loop Header: Depth=2
	v_lshl_add_u64 v[4:5], v[4:5], 0, v[2:3]
	v_cmp_gt_u64_e64 s[0:1], s[56:57], v[4:5]
	v_cmp_le_u64_e32 vcc, s[56:57], v[4:5]
	s_waitcnt lgkmcnt(0)
	v_mov_b32_e32 v8, 0
	v_mov_b32_e32 v7, 0
	s_and_saveexec_b64 s[2:3], s[0:1]
	s_cbranch_execz .LBB86_28
; %bb.27:                               ;   in Loop: Header=BB86_26 Depth=2
	v_mad_u64_u32 v[10:11], s[0:1], v4, s84, v[12:13]
	v_mul_lo_u32 v7, v4, s85
	v_mul_lo_u32 v9, v5, s84
	v_add3_u32 v11, v9, v11, v7
	global_load_ubyte v7, v[10:11], off
.LBB86_28:                              ;   in Loop: Header=BB86_26 Depth=2
	s_or_b64 exec, exec, s[2:3]
	s_waitcnt vmcnt(0)
	v_add_u32_sdwa v9, sext(v6), s76 dst_sel:DWORD dst_unused:UNUSED_PAD src0_sel:BYTE_0 src1_sel:DWORD
	v_and_b32_e32 v9, v9, v35
	v_cmp_eq_u32_e64 s[0:1], v9, v31
	s_cmp_lg_u64 s[0:1], 0
	s_cselect_b64 s[2:3], -1, 0
	s_and_b64 s[2:3], s[4:5], s[2:3]
	s_and_saveexec_b64 s[18:19], s[2:3]
	s_cbranch_execz .LBB86_32
; %bb.29:                               ;   in Loop: Header=BB86_26 Depth=2
	s_mov_b64 s[22:23], exec
	v_mbcnt_lo_u32_b32 v8, s22, 0
	v_mbcnt_hi_u32_b32 v8, s23, v8
	s_bcnt1_i32_b64 s24, s[0:1]
	v_cmp_eq_u32_e64 s[2:3], 0, v8
                                        ; implicit-def: $vgpr9
	s_and_saveexec_b64 s[20:21], s[2:3]
; %bb.30:                               ;   in Loop: Header=BB86_26 Depth=2
	s_bcnt1_i32_b64 s2, s[22:23]
	s_mul_i32 s2, s24, s2
	v_mov_b32_e32 v9, s2
	ds_add_rtn_u32 v9, v3, v9 offset:5144
; %bb.31:                               ;   in Loop: Header=BB86_26 Depth=2
	s_or_b64 exec, exec, s[20:21]
	s_waitcnt lgkmcnt(0)
	v_readfirstlane_b32 s2, v9
	s_nop 1
	v_mov_b32_e32 v9, s2
	v_mad_u32_u24 v8, s24, v8, v9
.LBB86_32:                              ;   in Loop: Header=BB86_26 Depth=2
	s_or_b64 exec, exec, s[18:19]
	ds_bpermute_b32 v8, v29, v8
	s_and_b64 s[2:3], exec, vcc
	s_or_b64 s[16:17], s[2:3], s[16:17]
	s_and_saveexec_b64 s[2:3], s[0:1]
	s_cbranch_execz .LBB86_25
; %bb.33:                               ;   in Loop: Header=BB86_26 Depth=2
	v_and_b32_e32 v10, s0, v18
	v_and_b32_e32 v9, s1, v19
	v_bcnt_u32_b32 v10, v10, 0
	v_bcnt_u32_b32 v9, v9, v10
	s_waitcnt lgkmcnt(0)
	v_add_u32_e32 v8, v8, v9
	ds_write_b8 v8, v6
	s_branch .LBB86_25
.LBB86_34:                              ;   in Loop: Header=BB86_21 Depth=1
	s_mov_b64 s[8:9], -1
	s_mov_b64 s[0:1], 0
.LBB86_35:                              ;   in Loop: Header=BB86_21 Depth=1
	s_and_b64 vcc, exec, s[8:9]
	s_cbranch_vccz .LBB86_51
.LBB86_36:                              ;   in Loop: Header=BB86_21 Depth=1
	s_mov_b64 s[0:1], exec
	v_readlane_b32 s2, v57, 36
	v_readlane_b32 s3, v57, 37
	s_and_b64 s[2:3], s[0:1], s[2:3]
	s_mov_b64 exec, s[2:3]
	s_cbranch_execz .LBB86_48
; %bb.37:                               ;   in Loop: Header=BB86_21 Depth=1
	global_load_ushort v2, v3, s[70:71]
	global_load_ubyte v37, v[14:15], off
	v_mov_b32_e32 v6, v0
	s_waitcnt vmcnt(1)
	v_readfirstlane_b32 s8, v2
	v_add_u32_sdwa v2, v2, v0 dst_sel:DWORD dst_unused:UNUSED_PAD src0_sel:WORD_0 src1_sel:DWORD
	v_cmp_gt_u64_e32 vcc, s[56:57], v[2:3]
	s_and_saveexec_b64 s[2:3], vcc
	s_cbranch_execz .LBB86_47
; %bb.38:                               ;   in Loop: Header=BB86_21 Depth=1
	s_and_b32 s98, s8, 0xffff
	s_cmp_eq_u32 s98, 1
	v_readlane_b32 s16, v57, 46
	s_cselect_b64 s[8:9], -1, 0
	v_readlane_b32 s17, v57, 47
	s_and_b64 s[18:19], s[16:17], s[8:9]
	s_mov_b64 s[16:17], -1
	v_mov_b64_e32 v[8:9], v[0:1]
	v_mov_b64_e32 v[4:5], v[2:3]
                                        ; implicit-def: $vgpr6_vgpr7
	s_and_saveexec_b64 s[8:9], s[18:19]
	s_cbranch_execz .LBB86_42
; %bb.39:                               ;   in Loop: Header=BB86_21 Depth=1
	v_lshl_add_u64 v[8:9], v[2:3], 0, 3
	v_lshl_add_u64 v[6:7], v[2:3], 0, 2
	;; [unrolled: 1-line block ×3, first 2 shown]
	v_mov_b64_e32 v[10:11], v[8:9]
	s_waitcnt vmcnt(0)
	v_lshlrev_b32_e32 v39, 24, v37
	s_mov_b64 s[16:17], 0
	v_mov_b64_e32 v[26:27], v[20:21]
	v_mov_b32_e32 v38, v0
	v_mov_b64_e32 v[8:9], v[6:7]
	v_mov_b64_e32 v[6:7], v[4:5]
	;; [unrolled: 1-line block ×3, first 2 shown]
.LBB86_40:                              ;   Parent Loop BB86_21 Depth=1
                                        ; =>  This Inner Loop Header: Depth=2
	v_mov_b64_e32 v[42:43], s[96:97]
	v_mul_lo_u32 v55, v10, s66
	v_mul_lo_u32 v56, v11, s86
	v_mad_u64_u32 v[44:45], s[18:19], v4, s84, v[42:43]
	v_mad_u64_u32 v[46:47], s[18:19], v6, s15, v[42:43]
	;; [unrolled: 1-line block ×4, first 2 shown]
	v_mul_lo_u32 v37, v4, s85
	v_mul_lo_u32 v50, v5, s84
	;; [unrolled: 1-line block ×6, first 2 shown]
	v_add3_u32 v43, v56, v43, v55
	v_add3_u32 v45, v50, v45, v37
	;; [unrolled: 1-line block ×4, first 2 shown]
	global_load_ubyte v37, v[42:43], off
	s_nop 0
	global_load_ubyte v42, v[46:47], off
	global_load_ubyte v43, v[44:45], off
	s_nop 0
	global_load_ubyte v44, v[48:49], off
	s_mov_b32 s18, 0xc0c0007
	v_lshl_add_u64 v[26:27], v[26:27], 0, -4
	v_cmp_eq_u64_e32 vcc, 0, v[26:27]
	v_lshl_add_u64 v[10:11], v[10:11], 0, 4
	v_lshl_add_u64 v[8:9], v[8:9], 0, 4
	;; [unrolled: 1-line block ×4, first 2 shown]
	s_or_b64 s[16:17], vcc, s[16:17]
	s_waitcnt vmcnt(1)
	v_perm_b32 v45, v43, v42, s77
	s_waitcnt vmcnt(0)
	v_perm_b32 v46, v44, v37, s77
	v_perm_b32 v42, v42, v44, s77
	;; [unrolled: 1-line block ×3, first 2 shown]
	v_lshl_or_b32 v43, v46, 16, v45
	v_lshl_or_b32 v39, v42, 16, v39
	ds_write_b32 v38, v39
	v_add_u32_e32 v38, 4, v38
	v_mov_b32_e32 v39, v43
	s_andn2_b64 exec, exec, s[16:17]
	s_cbranch_execnz .LBB86_40
; %bb.41:                               ;   in Loop: Header=BB86_21 Depth=1
	s_or_b64 exec, exec, s[16:17]
	v_readlane_b32 s16, v57, 48
	v_lshl_add_u64 v[4:5], v[2:3], 0, v[20:21]
	v_readlane_b32 s17, v57, 49
	v_lshl_add_u64 v[6:7], v[4:5], 0, -1
	s_orn2_b64 s[16:17], s[16:17], exec
	v_mov_b64_e32 v[8:9], v[22:23]
.LBB86_42:                              ;   in Loop: Header=BB86_21 Depth=1
	s_or_b64 exec, exec, s[8:9]
	s_and_saveexec_b64 s[8:9], s[16:17]
	s_cbranch_execz .LBB86_46
; %bb.43:                               ;   in Loop: Header=BB86_21 Depth=1
	s_sub_u32 s16, 0, s98
	s_mov_b64 s[18:19], 0
	s_subb_u32 s17, 0, 0
.LBB86_44:                              ;   Parent Loop BB86_21 Depth=1
                                        ; =>  This Inner Loop Header: Depth=2
	v_mov_b64_e32 v[6:7], v[4:5]
	v_mov_b64_e32 v[4:5], s[96:97]
	v_mad_u64_u32 v[4:5], s[20:21], v6, s84, v[4:5]
	v_mul_lo_u32 v2, v6, s85
	v_mul_lo_u32 v9, v7, s84
	v_add3_u32 v5, v9, v5, v2
	global_load_ubyte v2, v[4:5], off
	v_lshl_add_u64 v[4:5], v[6:7], 0, s[98:99]
	v_cmp_le_u64_e32 vcc, s[56:57], v[4:5]
	s_waitcnt vmcnt(1)
	ds_write_b8 v8, v37
	v_mov_b64_e32 v[8:9], v[6:7]
	s_or_b64 s[18:19], vcc, s[18:19]
	s_waitcnt vmcnt(0)
	v_mov_b32_e32 v37, v2
	s_andn2_b64 exec, exec, s[18:19]
	s_cbranch_execnz .LBB86_44
; %bb.45:                               ;   in Loop: Header=BB86_21 Depth=1
	s_or_b64 exec, exec, s[18:19]
	v_lshl_add_u64 v[6:7], s[16:17], 0, v[4:5]
	v_mov_b32_e32 v37, v2
.LBB86_46:                              ;   in Loop: Header=BB86_21 Depth=1
	s_or_b64 exec, exec, s[8:9]
.LBB86_47:                              ;   in Loop: Header=BB86_21 Depth=1
	s_or_b64 exec, exec, s[2:3]
	s_waitcnt vmcnt(0)
	ds_write_b8 v6, v37
.LBB86_48:                              ;   in Loop: Header=BB86_21 Depth=1
	s_or_b64 exec, exec, s[0:1]
	s_waitcnt lgkmcnt(0)
	s_barrier
	s_mov_b64 s[0:1], exec
	v_readlane_b32 s2, v57, 28
	v_readlane_b32 s3, v57, 29
	s_and_b64 s[2:3], s[0:1], s[2:3]
	s_mov_b64 exec, s[2:3]
; %bb.49:                               ;   in Loop: Header=BB86_21 Depth=1
	ds_write_b64 v3, v[40:41] offset:5120
; %bb.50:                               ;   in Loop: Header=BB86_21 Depth=1
	s_or_b64 exec, exec, s[0:1]
	s_mov_b64 s[0:1], -1
	s_waitcnt lgkmcnt(0)
	s_barrier
.LBB86_51:                              ;   in Loop: Header=BB86_21 Depth=1
	s_mov_b64 s[80:81], 0
	s_and_b64 vcc, exec, s[0:1]
	s_cbranch_vccz .LBB86_53
; %bb.52:                               ;   in Loop: Header=BB86_21 Depth=1
	ds_read_b64 v[4:5], v3 offset:5120
	s_waitcnt lgkmcnt(0)
	v_readfirstlane_b32 s80, v4
.LBB86_53:                              ;   in Loop: Header=BB86_21 Depth=1
	s_cmp_lt_i32 s80, 1
	s_mov_b64 s[0:1], -1
                                        ; implicit-def: $vgpr10_vgpr11
                                        ; implicit-def: $vgpr6_vgpr7
	s_cbranch_scc1 .LBB86_63
; %bb.54:                               ;   in Loop: Header=BB86_21 Depth=1
	s_and_b64 vcc, exec, s[0:1]
	s_cbranch_vccnz .LBB86_77
.LBB86_55:                              ;   in Loop: Header=BB86_21 Depth=1
	s_lshl_b32 s2, s87, 6
	s_and_saveexec_b64 s[0:1], s[4:5]
	s_cbranch_execz .LBB86_57
.LBB86_56:                              ;   in Loop: Header=BB86_21 Depth=1
	v_lshl_add_u32 v2, s2, 3, v30
	ds_write_b128 v2, v[4:7]
	ds_write_b128 v2, v[8:11] offset:16
.LBB86_57:                              ;   in Loop: Header=BB86_21 Depth=1
	s_or_b64 exec, exec, s[0:1]
	s_waitcnt lgkmcnt(0)
	s_barrier
	s_and_saveexec_b64 s[0:1], s[88:89]
	s_cbranch_execz .LBB86_92
; %bb.58:                               ;   in Loop: Header=BB86_21 Depth=1
	v_readlane_b32 s8, v57, 42
	v_readlane_b32 s9, v57, 43
	s_andn2_b64 vcc, exec, s[8:9]
	v_mov_b64_e32 v[4:5], 0
	s_cbranch_vccnz .LBB86_91
; %bb.59:                               ;   in Loop: Header=BB86_21 Depth=1
	v_readlane_b32 s8, v57, 50
	v_readlane_b32 s9, v57, 51
	s_andn2_b64 vcc, exec, s[8:9]
	s_cbranch_vccnz .LBB86_87
; %bb.60:                               ;   in Loop: Header=BB86_21 Depth=1
	v_lshl_add_u32 v2, s87, 9, v32
	v_mov_b64_e32 v[4:5], 0
	s_mov_b32 s3, 0
.LBB86_61:                              ;   Parent Loop BB86_21 Depth=1
                                        ; =>  This Inner Loop Header: Depth=2
	ds_read2_b64 v[6:9], v2 offset1:4
	ds_read2_b64 v[42:45], v2 offset0:8 offset1:12
	ds_read2_b64 v[46:49], v2 offset0:16 offset1:20
	;; [unrolled: 1-line block ×3, first 2 shown]
	s_add_i32 s3, s3, 8
	s_waitcnt lgkmcnt(3)
	v_lshl_add_u64 v[4:5], v[6:7], 0, v[4:5]
	v_lshl_add_u64 v[4:5], v[8:9], 0, v[4:5]
	s_waitcnt lgkmcnt(2)
	v_lshl_add_u64 v[4:5], v[42:43], 0, v[4:5]
	v_lshl_add_u64 v[4:5], v[44:45], 0, v[4:5]
	s_waitcnt lgkmcnt(1)
	v_lshl_add_u64 v[4:5], v[46:47], 0, v[4:5]
	v_lshl_add_u64 v[4:5], v[48:49], 0, v[4:5]
	s_waitcnt lgkmcnt(0)
	v_lshl_add_u64 v[4:5], v[50:51], 0, v[4:5]
	v_add_u32_e32 v2, 0x100, v2
	s_cmp_eq_u32 s6, s3
	v_lshl_add_u64 v[4:5], v[52:53], 0, v[4:5]
	s_cbranch_scc0 .LBB86_61
; %bb.62:                               ;   in Loop: Header=BB86_21 Depth=1
	s_mov_b32 s3, s6
	s_branch .LBB86_88
.LBB86_63:                              ;   in Loop: Header=BB86_21 Depth=1
	global_load_ushort v2, v3, s[70:71]
	s_mov_b32 s0, s99
	s_waitcnt vmcnt(0)
	v_readfirstlane_b32 s1, v2
	s_and_b32 s1, 0xffff, s1
	s_lshl_b32 s98, s1, 2
	s_mov_b32 s1, s57
	s_cmp_lg_u64 s[0:1], 0
	s_cbranch_scc0 .LBB86_86
; %bb.64:                               ;   in Loop: Header=BB86_21 Depth=1
	v_cvt_f32_u32_e32 v4, s98
	s_sub_u32 s2, 0, s98
	s_subb_u32 s3, 0, 0
	v_fmac_f32_e32 v4, 0, v33
	v_rcp_f32_e32 v4, v4
	s_nop 0
	v_mul_f32_e32 v4, 0x5f7ffffc, v4
	v_mul_f32_e32 v5, 0x2f800000, v4
	v_trunc_f32_e32 v5, v5
	v_fmac_f32_e32 v4, 0xcf800000, v5
	v_cvt_u32_f32_e32 v5, v5
	v_cvt_u32_f32_e32 v4, v4
	v_readfirstlane_b32 s8, v5
	v_readfirstlane_b32 s0, v4
	s_mul_i32 s1, s2, s8
	s_mul_hi_u32 s16, s2, s0
	s_mul_i32 s9, s3, s0
	s_add_i32 s1, s16, s1
	s_mul_i32 s17, s2, s0
	s_add_i32 s1, s1, s9
	s_mul_hi_u32 s16, s0, s17
	s_mul_i32 s18, s0, s1
	s_mul_hi_u32 s9, s0, s1
	s_add_u32 s16, s16, s18
	s_addc_u32 s9, 0, s9
	s_mul_hi_u32 s19, s8, s17
	s_mul_i32 s17, s8, s17
	s_add_u32 s16, s16, s17
	s_mul_hi_u32 s18, s8, s1
	s_addc_u32 s9, s9, s19
	s_addc_u32 s16, s18, 0
	s_mul_i32 s1, s8, s1
	s_add_u32 s1, s9, s1
	s_addc_u32 s9, 0, s16
	s_add_u32 s16, s0, s1
	s_cselect_b64 s[0:1], -1, 0
	s_cmp_lg_u64 s[0:1], 0
	s_addc_u32 s8, s8, s9
	s_mul_i32 s0, s2, s8
	s_mul_hi_u32 s1, s2, s16
	s_add_i32 s0, s1, s0
	s_mul_i32 s3, s3, s16
	s_add_i32 s0, s0, s3
	s_mul_i32 s2, s2, s16
	s_mul_hi_u32 s3, s8, s2
	s_mul_i32 s9, s8, s2
	s_mul_i32 s18, s16, s0
	s_mul_hi_u32 s2, s16, s2
	s_mul_hi_u32 s17, s16, s0
	s_add_u32 s2, s2, s18
	s_addc_u32 s17, 0, s17
	s_add_u32 s2, s2, s9
	s_mul_hi_u32 s1, s8, s0
	s_addc_u32 s2, s17, s3
	s_addc_u32 s1, s1, 0
	s_mul_i32 s0, s8, s0
	s_add_u32 s0, s2, s0
	s_addc_u32 s2, 0, s1
	s_add_u32 s3, s16, s0
	s_cselect_b64 s[0:1], -1, 0
	s_cmp_lg_u64 s[0:1], 0
	s_addc_u32 s0, s8, s2
	s_mul_i32 s2, s56, s0
	s_mul_hi_u32 s8, s56, s3
	s_mul_hi_u32 s1, s56, s0
	s_add_u32 s2, s8, s2
	s_addc_u32 s1, 0, s1
	s_mul_hi_u32 s9, s57, s3
	s_mul_i32 s3, s57, s3
	s_add_u32 s2, s2, s3
	s_mul_hi_u32 s8, s57, s0
	s_addc_u32 s1, s1, s9
	s_addc_u32 s2, s8, 0
	s_mul_i32 s0, s57, s0
	s_add_u32 s0, s1, s0
	s_addc_u32 s1, 0, s2
	s_mul_i32 s1, s98, s1
	s_mul_hi_u32 s2, s98, s0
	s_add_i32 s2, s2, s1
	s_mul_i32 s0, s98, s0
	s_sub_u32 s3, s56, s0
	s_cselect_b64 s[0:1], -1, 0
	s_cmp_lg_u64 s[0:1], 0
	s_subb_u32 s2, s57, s2
	s_sub_u32 s8, s3, s98
	s_cselect_b64 s[0:1], -1, 0
	s_cmp_lg_u64 s[0:1], 0
	s_subb_u32 s9, s2, 0
	s_sub_u32 s16, s8, s98
	s_cselect_b64 s[0:1], -1, 0
	s_cmp_lg_u64 s[0:1], 0
	s_subb_u32 s0, s9, 0
	s_cmp_ge_u32 s8, s98
	s_cselect_b32 s1, -1, 0
	s_cmp_eq_u32 s9, 0
	s_cselect_b32 s1, s1, -1
	s_cmp_lg_u32 s1, 0
	s_cselect_b32 s0, s0, s9
	s_cselect_b32 s8, s16, s8
	s_cmp_ge_u32 s3, s98
	s_cselect_b32 s1, -1, 0
	s_cmp_eq_u32 s2, 0
	s_cselect_b32 s1, s1, -1
	s_cmp_lg_u32 s1, 0
	s_cselect_b32 s1, s0, s2
	s_cselect_b32 s0, s8, s3
	s_cbranch_execnz .LBB86_66
.LBB86_65:                              ;   in Loop: Header=BB86_21 Depth=1
	v_cvt_f32_u32_e32 v4, s98
	s_sub_i32 s0, 0, s98
	v_rcp_iflag_f32_e32 v4, v4
	s_nop 0
	v_mul_f32_e32 v4, 0x4f7ffffe, v4
	v_cvt_u32_f32_e32 v4, v4
	s_nop 0
	v_readfirstlane_b32 s1, v4
	s_mul_i32 s0, s0, s1
	s_mul_hi_u32 s0, s1, s0
	s_add_i32 s1, s1, s0
	s_mul_hi_u32 s0, s56, s1
	s_mul_i32 s0, s0, s98
	s_sub_i32 s0, s56, s0
	s_sub_i32 s1, s0, s98
	s_cmp_ge_u32 s0, s98
	s_cselect_b32 s0, s1, s0
	s_sub_i32 s1, s0, s98
	s_cmp_ge_u32 s0, s98
	s_cselect_b32 s0, s1, s0
	s_mov_b32 s1, s99
.LBB86_66:                              ;   in Loop: Header=BB86_21 Depth=1
	s_sub_u32 s54, s56, s0
	s_subb_u32 s55, s57, s1
	v_cmp_gt_u64_e32 vcc, s[54:55], v[16:17]
	v_mov_b64_e32 v[4:5], 0
	v_mov_b64_e32 v[6:7], 0
	;; [unrolled: 1-line block ×4, first 2 shown]
	s_and_saveexec_b64 s[30:31], vcc
	s_cbranch_execz .LBB86_70
; %bb.67:                               ;   in Loop: Header=BB86_21 Depth=1
	s_mov_b64 s[60:61], 0
	s_mov_b64 s[62:63], 0
	s_mov_b64 s[92:93], 0
	s_mov_b64 s[78:79], 0
	s_mov_b64 s[64:65], 0
	v_mov_b64_e32 v[26:27], v[16:17]
.LBB86_68:                              ;   Parent Loop BB86_21 Depth=1
                                        ; =>  This Inner Loop Header: Depth=2
	v_mov_b64_e32 v[4:5], s[96:97]
	v_mul_lo_u32 v6, v26, s85
	v_mul_lo_u32 v7, v27, s84
	v_mad_u64_u32 v[4:5], s[0:1], v26, s84, v[4:5]
	v_add3_u32 v5, v7, v5, v6
	v_lshl_add_u64 v[6:7], v[4:5], 0, s[84:85]
	global_load_sbyte v8, v[4:5], off
	global_load_sbyte v9, v[6:7], off
	v_lshl_add_u64 v[4:5], v[6:7], 0, s[84:85]
	global_load_sbyte v6, v[4:5], off
	v_lshl_add_u64 v[4:5], v[4:5], 0, s[84:85]
	;; [unrolled: 2-line block ×3, first 2 shown]
	v_cmp_le_u64_e32 vcc, s[54:55], v[26:27]
	s_waitcnt vmcnt(3)
	v_add_u32_e32 v5, 0x80, v8
	v_and_b32_e32 v8, v5, v35
	v_bfe_u32 v5, v5, s7, 2
	s_waitcnt vmcnt(2)
	v_add_u32_e32 v7, 0x80, v9
	s_waitcnt vmcnt(1)
	v_add_u32_e32 v6, 0x80, v6
	v_cmp_eq_u32_e64 s[0:1], v8, v31
	v_cmp_eq_u32_e64 s[2:3], 0, v5
	v_and_b32_e32 v8, v7, v35
	v_bfe_u32 v7, v7, s7, 2
	v_cmp_eq_u32_e64 s[34:35], 1, v5
	v_cmp_eq_u32_e64 s[36:37], 2, v5
	;; [unrolled: 1-line block ×3, first 2 shown]
	s_waitcnt vmcnt(0)
	v_add_u32_e32 v4, 0x80, v4
	v_and_b32_e32 v5, v6, v35
	v_bfe_u32 v6, v6, s7, 2
	s_and_b64 s[2:3], s[0:1], s[2:3]
	v_cmp_eq_u32_e64 s[16:17], v8, v31
	v_cmp_eq_u32_e64 s[26:27], 0, v7
	;; [unrolled: 1-line block ×5, first 2 shown]
	v_cndmask_b32_e64 v7, 0, 1, s[2:3]
	v_cmp_eq_u32_e64 s[22:23], v5, v31
	v_and_b32_e32 v5, v4, v35
	v_bfe_u32 v4, v4, s7, 2
	v_cmp_eq_u32_e64 s[2:3], 0, v6
	s_and_b64 s[8:9], s[16:17], s[26:27]
	v_cmp_eq_u32_e64 s[26:27], v5, v31
	v_cmp_eq_u32_e64 s[48:49], 0, v4
	s_and_b64 s[2:3], s[22:23], s[2:3]
	v_cmp_eq_u32_e64 s[42:43], 1, v6
	v_cmp_eq_u32_e64 s[44:45], 2, v6
	;; [unrolled: 1-line block ×3, first 2 shown]
	v_cndmask_b32_e64 v6, 0, 1, s[8:9]
	v_cmp_eq_u32_e64 s[50:51], 1, v4
	v_cmp_eq_u32_e64 s[52:53], 2, v4
	;; [unrolled: 1-line block ×3, first 2 shown]
	v_cndmask_b32_e64 v4, 0, 1, s[2:3]
	s_and_b64 s[8:9], s[26:27], s[48:49]
	v_cmp_ne_u32_e64 s[46:47], 0, v7
	v_cmp_ne_u32_e64 s[2:3], 0, v4
	v_cndmask_b32_e64 v4, 0, 1, s[8:9]
	s_bcnt1_i32_b64 s66, s[46:47]
	v_cmp_ne_u32_e64 s[46:47], 0, v6
	s_bcnt1_i32_b64 s8, s[2:3]
	v_cmp_ne_u32_e64 s[2:3], 0, v4
	s_bcnt1_i32_b64 s46, s[46:47]
	s_bcnt1_i32_b64 s2, s[2:3]
	s_add_u32 s3, s66, s64
	s_addc_u32 s9, 0, s65
	s_add_u32 s3, s3, s46
	s_addc_u32 s9, s9, 0
	s_add_u32 s3, s3, s8
	s_addc_u32 s8, s9, 0
	s_add_u32 s64, s3, s2
	s_addc_u32 s65, s8, 0
	s_and_b64 s[2:3], s[0:1], s[34:35]
	v_cndmask_b32_e64 v6, 0, 1, s[2:3]
	s_and_b64 s[2:3], s[16:17], s[38:39]
	v_cndmask_b32_e64 v7, 0, 1, s[2:3]
	s_and_b64 s[2:3], s[22:23], s[42:43]
	v_cndmask_b32_e64 v8, 0, 1, s[2:3]
	s_and_b64 s[2:3], s[26:27], s[50:51]
	v_cndmask_b32_e64 v9, 0, 1, s[2:3]
	v_cmp_ne_u32_e64 s[2:3], 0, v6
	v_cmp_ne_u32_e64 s[34:35], 0, v7
	v_cmp_ne_u32_e64 s[38:39], 0, v8
	v_cmp_ne_u32_e64 s[42:43], 0, v9
	s_bcnt1_i32_b64 s2, s[2:3]
	s_bcnt1_i32_b64 s3, s[34:35]
	s_bcnt1_i32_b64 s8, s[38:39]
	s_bcnt1_i32_b64 s9, s[42:43]
	s_add_u32 s2, s2, s78
	s_addc_u32 s34, 0, s79
	s_add_u32 s2, s2, s3
	s_addc_u32 s3, s34, 0
	s_add_u32 s2, s2, s8
	s_addc_u32 s3, s3, 0
	s_add_u32 s78, s2, s9
	s_addc_u32 s79, s3, 0
	s_and_b64 s[2:3], s[0:1], s[36:37]
	v_cndmask_b32_e64 v8, 0, 1, s[2:3]
	s_and_b64 s[2:3], s[16:17], s[40:41]
	v_cndmask_b32_e64 v9, 0, 1, s[2:3]
	s_and_b64 s[2:3], s[22:23], s[44:45]
	v_cndmask_b32_e64 v10, 0, 1, s[2:3]
	s_and_b64 s[2:3], s[26:27], s[52:53]
	v_cndmask_b32_e64 v11, 0, 1, s[2:3]
	v_cmp_ne_u32_e64 s[2:3], 0, v8
	v_cmp_ne_u32_e64 s[34:35], 0, v9
	v_cmp_ne_u32_e64 s[36:37], 0, v10
	v_cmp_ne_u32_e64 s[38:39], 0, v11
	s_bcnt1_i32_b64 s2, s[2:3]
	s_bcnt1_i32_b64 s3, s[34:35]
	;; [unrolled: 24-line block ×3, first 2 shown]
	s_bcnt1_i32_b64 s2, s[16:17]
	s_bcnt1_i32_b64 s3, s[18:19]
	s_add_u32 s0, s0, s62
	s_addc_u32 s8, 0, s63
	s_add_u32 s0, s0, s1
	s_addc_u32 s1, s8, 0
	;; [unrolled: 2-line block ×4, first 2 shown]
	v_mov_b64_e32 v[4:5], s[64:65]
	v_mov_b64_e32 v[6:7], s[78:79]
	;; [unrolled: 1-line block ×3, first 2 shown]
	s_or_b64 s[60:61], vcc, s[60:61]
	v_mov_b64_e32 v[10:11], s[62:63]
	s_andn2_b64 exec, exec, s[60:61]
	s_cbranch_execnz .LBB86_68
; %bb.69:                               ;   in Loop: Header=BB86_21 Depth=1
	s_or_b64 exec, exec, s[60:61]
	v_readlane_b32 s65, v57, 55
	v_readlane_b32 s66, v57, 56
.LBB86_70:                              ;   in Loop: Header=BB86_21 Depth=1
	s_or_b64 exec, exec, s[30:31]
	v_lshl_add_u64 v[26:27], s[54:55], 0, v[0:1]
	v_and_b32_e32 v2, 0xffff, v2
	v_cmp_gt_u64_e32 vcc, s[56:57], v[26:27]
	s_and_saveexec_b64 s[2:3], vcc
	s_cbranch_execz .LBB86_76
; %bb.71:                               ;   in Loop: Header=BB86_21 Depth=1
	v_mov_b64_e32 v[38:39], s[96:97]
	v_mad_u64_u32 v[38:39], s[0:1], v26, s84, v[38:39]
	v_mul_lo_u32 v37, v26, s85
	v_mul_lo_u32 v42, v27, s84
	v_add3_u32 v39, v42, v39, v37
	global_load_ubyte v38, v[38:39], off
	s_mov_b64 s[8:9], 0
	s_branch .LBB86_73
.LBB86_72:                              ;   in Loop: Header=BB86_73 Depth=2
	s_or_b64 exec, exec, s[16:17]
	s_waitcnt vmcnt(0)
	v_add_u32_sdwa v38, sext(v38), s76 dst_sel:DWORD dst_unused:UNUSED_PAD src0_sel:BYTE_0 src1_sel:DWORD
	s_and_b64 s[0:1], exec, vcc
	v_and_b32_e32 v39, v38, v35
	v_bfe_u32 v38, v38, s7, 2
	s_or_b64 s[8:9], s[0:1], s[8:9]
	v_cmp_eq_u32_e32 vcc, v39, v31
	v_cmp_eq_u32_e64 s[0:1], 0, v38
	s_and_b64 s[0:1], vcc, s[0:1]
	s_nop 0
	v_cndmask_b32_e64 v39, 0, 1, s[0:1]
	v_cmp_ne_u32_e64 s[0:1], 0, v39
	s_bcnt1_i32_b64 s98, s[0:1]
	v_cmp_eq_u32_e64 s[0:1], 1, v38
	s_and_b64 s[0:1], vcc, s[0:1]
	v_lshl_add_u64 v[4:5], s[98:99], 0, v[4:5]
	v_cndmask_b32_e64 v39, 0, 1, s[0:1]
	v_cmp_ne_u32_e64 s[0:1], 0, v39
	s_bcnt1_i32_b64 s98, s[0:1]
	v_cmp_eq_u32_e64 s[0:1], 2, v38
	s_and_b64 s[0:1], vcc, s[0:1]
	v_lshl_add_u64 v[6:7], s[98:99], 0, v[6:7]
	v_cndmask_b32_e64 v39, 0, 1, s[0:1]
	v_cmp_ne_u32_e64 s[0:1], 0, v39
	s_bcnt1_i32_b64 s98, s[0:1]
	v_cmp_eq_u32_e64 s[0:1], 3, v38
	s_and_b64 s[0:1], vcc, s[0:1]
	v_lshl_add_u64 v[8:9], s[98:99], 0, v[8:9]
	v_cndmask_b32_e64 v38, 0, 1, s[0:1]
	v_cmp_ne_u32_e32 vcc, 0, v38
	s_bcnt1_i32_b64 s98, vcc
	v_lshl_add_u64 v[10:11], s[98:99], 0, v[10:11]
	v_mov_b32_e32 v38, v37
	s_andn2_b64 exec, exec, s[8:9]
	s_cbranch_execz .LBB86_75
.LBB86_73:                              ;   Parent Loop BB86_21 Depth=1
                                        ; =>  This Inner Loop Header: Depth=2
	v_lshl_add_u64 v[26:27], v[26:27], 0, v[2:3]
	v_cmp_gt_u64_e64 s[0:1], s[56:57], v[26:27]
	v_cmp_le_u64_e32 vcc, s[56:57], v[26:27]
	v_mov_b32_e32 v37, 0
	s_and_saveexec_b64 s[16:17], s[0:1]
	s_cbranch_execz .LBB86_72
; %bb.74:                               ;   in Loop: Header=BB86_73 Depth=2
	v_mov_b64_e32 v[42:43], s[96:97]
	v_mad_u64_u32 v[42:43], s[0:1], v26, s84, v[42:43]
	v_mul_lo_u32 v37, v26, s85
	v_mul_lo_u32 v39, v27, s84
	v_add3_u32 v43, v39, v43, v37
	global_load_ubyte v37, v[42:43], off
	s_branch .LBB86_72
.LBB86_75:                              ;   in Loop: Header=BB86_21 Depth=1
	s_or_b64 exec, exec, s[8:9]
.LBB86_76:                              ;   in Loop: Header=BB86_21 Depth=1
	s_or_b64 exec, exec, s[2:3]
	s_branch .LBB86_55
.LBB86_77:                              ;   in Loop: Header=BB86_21 Depth=1
	global_load_ushort v2, v3, s[70:71]
	v_mov_b64_e32 v[8:9], 0
	s_waitcnt vmcnt(0)
	v_readfirstlane_b32 s0, v2
	s_and_b32 s68, 0xffff, s0
	s_lshl_b32 s98, s68, 2
	v_cvt_f32_u32_e32 v4, s98
	s_sub_i32 s0, 0, s98
	v_rcp_iflag_f32_e32 v6, v4
	v_mov_b64_e32 v[4:5], 0
	v_mul_f32_e32 v6, 0x4f7ffffe, v6
	v_cvt_u32_f32_e32 v10, v6
	v_mov_b64_e32 v[6:7], 0
	v_readfirstlane_b32 s1, v10
	s_mul_i32 s0, s0, s1
	s_mul_hi_u32 s0, s1, s0
	s_add_i32 s1, s1, s0
	s_mul_hi_u32 s0, s80, s1
	s_mul_i32 s1, s0, s98
	s_sub_i32 s1, s80, s1
	s_add_i32 s2, s0, 1
	s_sub_i32 s3, s1, s98
	s_cmp_ge_u32 s1, s98
	s_cselect_b32 s0, s2, s0
	s_cselect_b32 s1, s3, s1
	s_add_i32 s2, s0, 1
	s_cmp_ge_u32 s1, s98
	s_cselect_b32 s0, s2, s0
	s_mul_hi_u32 s31, s68, s0
	s_mul_i32 s30, s68, s0
	s_lshl_b64 s[60:61], s[30:31], 2
	v_cmp_gt_u64_e32 vcc, s[60:61], v[16:17]
	v_mov_b64_e32 v[10:11], 0
	s_and_saveexec_b64 s[62:63], vcc
	s_cbranch_execz .LBB86_81
; %bb.78:                               ;   in Loop: Header=BB86_21 Depth=1
	s_mov_b32 s81, s67
	s_mov_b64 s[64:65], 0
	v_mov_b32_e32 v37, v16
	s_mov_b64 s[66:67], 0
	s_mov_b64 s[78:79], 0
	s_mov_b64 s[92:93], 0
	s_mov_b64 s[8:9], 0
	v_mov_b64_e32 v[26:27], v[16:17]
.LBB86_79:                              ;   Parent Loop BB86_21 Depth=1
                                        ; =>  This Inner Loop Header: Depth=2
	ds_read_b32 v4, v37
	v_lshl_add_u64 v[26:27], v[26:27], 0, s[98:99]
	v_cmp_le_u64_e32 vcc, s[60:61], v[26:27]
	v_add_u32_e32 v37, s98, v37
	s_waitcnt lgkmcnt(0)
	v_add_u32_sdwa v5, sext(v4), s76 dst_sel:DWORD dst_unused:UNUSED_PAD src0_sel:BYTE_0 src1_sel:DWORD
	v_add_u32_sdwa v6, sext(v4), s76 dst_sel:DWORD dst_unused:UNUSED_PAD src0_sel:BYTE_1 src1_sel:DWORD
	v_and_b32_e32 v8, v5, v35
	v_bfe_u32 v5, v5, s7, 2
	v_add_u32_sdwa v7, sext(v4), s76 dst_sel:DWORD dst_unused:UNUSED_PAD src0_sel:BYTE_2 src1_sel:DWORD
	v_add_u32_sdwa v4, sext(v4), s76 dst_sel:DWORD dst_unused:UNUSED_PAD src0_sel:BYTE_3 src1_sel:DWORD
	v_and_b32_e32 v9, v6, v35
	v_bfe_u32 v6, v6, s7, 2
	v_cmp_eq_u32_e64 s[20:21], v8, v31
	v_cmp_eq_u32_e64 s[2:3], 0, v5
	v_and_b32_e32 v10, v7, v35
	v_and_b32_e32 v11, v4, v35
	v_bfe_u32 v7, v7, s7, 2
	v_bfe_u32 v4, v4, s7, 2
	v_cmp_eq_u32_e64 s[18:19], v9, v31
	v_cmp_eq_u32_e64 s[34:35], 0, v6
	s_and_b64 s[2:3], s[20:21], s[2:3]
	v_cmp_eq_u32_e64 s[16:17], v10, v31
	v_cmp_eq_u32_e64 s[36:37], 0, v7
	;; [unrolled: 1-line block ×6, first 2 shown]
	v_cndmask_b32_e64 v4, 0, 1, s[2:3]
	s_and_b64 s[2:3], s[18:19], s[34:35]
	v_cmp_eq_u32_e64 s[0:1], v11, v31
	v_cmp_eq_u32_e64 s[40:41], 1, v5
	v_cmp_eq_u32_e64 s[48:49], 2, v5
	v_cmp_eq_u32_e64 s[28:29], 3, v5
	v_cndmask_b32_e64 v5, 0, 1, s[2:3]
	s_and_b64 s[2:3], s[16:17], s[36:37]
	v_cmp_eq_u32_e64 s[42:43], 1, v6
	v_cmp_eq_u32_e64 s[50:51], 2, v6
	;; [unrolled: 1-line block ×3, first 2 shown]
	v_cndmask_b32_e64 v6, 0, 1, s[2:3]
	s_and_b64 s[2:3], s[0:1], s[38:39]
	v_cmp_eq_u32_e64 s[44:45], 1, v7
	v_cmp_eq_u32_e64 s[52:53], 2, v7
	v_cmp_eq_u32_e64 s[24:25], 3, v7
	v_cndmask_b32_e64 v7, 0, 1, s[2:3]
	v_cmp_ne_u32_e64 s[2:3], 0, v4
	v_cmp_ne_u32_e64 s[34:35], 0, v5
	;; [unrolled: 1-line block ×4, first 2 shown]
	s_bcnt1_i32_b64 s2, s[2:3]
	s_bcnt1_i32_b64 s3, s[34:35]
	;; [unrolled: 1-line block ×4, first 2 shown]
	s_add_u32 s2, s2, s8
	s_addc_u32 s8, 0, s9
	s_add_u32 s2, s2, s3
	s_addc_u32 s3, s8, 0
	;; [unrolled: 2-line block ×4, first 2 shown]
	s_and_b64 s[2:3], s[20:21], s[40:41]
	v_cndmask_b32_e64 v6, 0, 1, s[2:3]
	s_and_b64 s[2:3], s[18:19], s[42:43]
	v_cndmask_b32_e64 v7, 0, 1, s[2:3]
	;; [unrolled: 2-line block ×4, first 2 shown]
	v_cmp_ne_u32_e64 s[2:3], 0, v6
	v_cmp_ne_u32_e64 s[34:35], 0, v7
	;; [unrolled: 1-line block ×4, first 2 shown]
	s_bcnt1_i32_b64 s2, s[2:3]
	s_bcnt1_i32_b64 s3, s[34:35]
	;; [unrolled: 1-line block ×4, first 2 shown]
	s_add_u32 s2, s2, s92
	s_addc_u32 s35, 0, s93
	s_add_u32 s2, s2, s3
	s_addc_u32 s3, s35, 0
	;; [unrolled: 2-line block ×4, first 2 shown]
	s_and_b64 s[2:3], s[20:21], s[48:49]
	v_cndmask_b32_e64 v8, 0, 1, s[2:3]
	s_and_b64 s[2:3], s[18:19], s[50:51]
	v_cndmask_b32_e64 v9, 0, 1, s[2:3]
	;; [unrolled: 2-line block ×4, first 2 shown]
	v_cmp_ne_u32_e64 s[2:3], 0, v8
	v_cmp_ne_u32_e64 s[34:35], 0, v9
	;; [unrolled: 1-line block ×4, first 2 shown]
	s_bcnt1_i32_b64 s2, s[2:3]
	s_bcnt1_i32_b64 s3, s[34:35]
	;; [unrolled: 1-line block ×4, first 2 shown]
	s_add_u32 s2, s2, s78
	s_addc_u32 s35, 0, s79
	s_add_u32 s2, s2, s3
	s_addc_u32 s3, s35, 0
	;; [unrolled: 2-line block ×4, first 2 shown]
	s_and_b64 s[2:3], s[20:21], s[28:29]
	v_cndmask_b32_e64 v10, 0, 1, s[2:3]
	s_and_b64 s[2:3], s[18:19], s[26:27]
	v_cndmask_b32_e64 v11, 0, 1, s[2:3]
	s_and_b64 s[2:3], s[16:17], s[24:25]
	s_and_b64 s[0:1], s[0:1], s[22:23]
	v_cndmask_b32_e64 v38, 0, 1, s[2:3]
	v_cndmask_b32_e64 v39, 0, 1, s[0:1]
	v_cmp_ne_u32_e64 s[0:1], 0, v10
	v_cmp_ne_u32_e64 s[2:3], 0, v11
	;; [unrolled: 1-line block ×4, first 2 shown]
	s_bcnt1_i32_b64 s0, s[0:1]
	s_bcnt1_i32_b64 s1, s[2:3]
	;; [unrolled: 1-line block ×4, first 2 shown]
	s_add_u32 s0, s0, s66
	s_addc_u32 s16, 0, s67
	s_add_u32 s0, s0, s1
	s_addc_u32 s1, s16, 0
	;; [unrolled: 2-line block ×4, first 2 shown]
	v_mov_b64_e32 v[4:5], s[8:9]
	v_mov_b64_e32 v[6:7], s[92:93]
	;; [unrolled: 1-line block ×3, first 2 shown]
	s_or_b64 s[64:65], vcc, s[64:65]
	v_mov_b64_e32 v[10:11], s[66:67]
	s_andn2_b64 exec, exec, s[64:65]
	s_cbranch_execnz .LBB86_79
; %bb.80:                               ;   in Loop: Header=BB86_21 Depth=1
	s_or_b64 exec, exec, s[64:65]
	s_mov_b32 s67, s81
	v_readlane_b32 s65, v57, 55
	v_readlane_b32 s66, v57, 56
.LBB86_81:                              ;   in Loop: Header=BB86_21 Depth=1
	s_or_b64 exec, exec, s[62:63]
	s_and_b32 s8, s80, 0x7fffffff
	s_mov_b32 s9, s99
	v_lshl_add_u64 v[26:27], s[60:61], 0, v[0:1]
	v_and_b32_e32 v2, 0xffff, v2
	v_cmp_gt_u64_e32 vcc, s[8:9], v[26:27]
	s_and_saveexec_b64 s[22:23], vcc
	s_cbranch_execz .LBB86_85
; %bb.82:                               ;   in Loop: Header=BB86_21 Depth=1
	v_lshl_add_u32 v37, s30, 2, v0
	s_mov_b64 s[24:25], 0
.LBB86_83:                              ;   Parent Loop BB86_21 Depth=1
                                        ; =>  This Inner Loop Header: Depth=2
	ds_read_i8 v38, v37
	v_lshl_add_u64 v[26:27], v[26:27], 0, v[2:3]
	v_cmp_le_u64_e32 vcc, s[8:9], v[26:27]
	v_add_u32_e32 v37, s68, v37
	s_waitcnt lgkmcnt(0)
	v_add_u32_e32 v38, 0x80, v38
	v_and_b32_e32 v39, v38, v35
	v_bfe_u32 v38, v38, s7, 2
	v_cmp_eq_u32_e64 s[0:1], v39, v31
	v_cmp_eq_u32_e64 s[2:3], 0, v38
	;; [unrolled: 1-line block ×3, first 2 shown]
	s_and_b64 s[2:3], s[0:1], s[2:3]
	v_cmp_eq_u32_e64 s[18:19], 2, v38
	v_cmp_eq_u32_e64 s[20:21], 3, v38
	v_cndmask_b32_e64 v38, 0, 1, s[2:3]
	s_and_b64 s[2:3], s[0:1], s[16:17]
	v_cndmask_b32_e64 v39, 0, 1, s[2:3]
	s_and_b64 s[2:3], s[0:1], s[18:19]
	s_and_b64 s[0:1], s[0:1], s[20:21]
	v_cndmask_b32_e64 v43, 0, 1, s[0:1]
	v_cmp_ne_u32_e64 s[0:1], 0, v38
	v_cndmask_b32_e64 v42, 0, 1, s[2:3]
	v_cmp_ne_u32_e64 s[2:3], 0, v39
	s_bcnt1_i32_b64 s98, s[0:1]
	v_cmp_ne_u32_e64 s[16:17], 0, v42
	v_lshl_add_u64 v[4:5], s[98:99], 0, v[4:5]
	s_bcnt1_i32_b64 s98, s[2:3]
	v_cmp_ne_u32_e64 s[18:19], 0, v43
	v_lshl_add_u64 v[6:7], s[98:99], 0, v[6:7]
	s_bcnt1_i32_b64 s98, s[16:17]
	v_lshl_add_u64 v[8:9], s[98:99], 0, v[8:9]
	s_bcnt1_i32_b64 s98, s[18:19]
	s_or_b64 s[24:25], vcc, s[24:25]
	v_lshl_add_u64 v[10:11], s[98:99], 0, v[10:11]
	s_andn2_b64 exec, exec, s[24:25]
	s_cbranch_execnz .LBB86_83
; %bb.84:                               ;   in Loop: Header=BB86_21 Depth=1
	s_or_b64 exec, exec, s[24:25]
.LBB86_85:                              ;   in Loop: Header=BB86_21 Depth=1
	s_or_b64 exec, exec, s[22:23]
	s_lshl_b32 s2, s87, 6
	s_and_saveexec_b64 s[0:1], s[4:5]
	s_cbranch_execnz .LBB86_56
	s_branch .LBB86_57
.LBB86_86:                              ;   in Loop: Header=BB86_21 Depth=1
                                        ; implicit-def: $sgpr0_sgpr1
	s_branch .LBB86_65
.LBB86_87:                              ;   in Loop: Header=BB86_21 Depth=1
	s_mov_b32 s3, 0
	v_mov_b64_e32 v[4:5], 0
.LBB86_88:                              ;   in Loop: Header=BB86_21 Depth=1
	v_readlane_b32 s8, v57, 53
	v_readlane_b32 s9, v57, 54
	s_andn2_b64 vcc, exec, s[8:9]
	s_cbranch_vccnz .LBB86_91
; %bb.89:                               ;   in Loop: Header=BB86_21 Depth=1
	s_lshl_b32 s8, s87, 9
	s_lshl_b32 s3, s3, 5
	s_add_i32 s8, s8, s3
	v_add_u32_e32 v2, s8, v32
	v_readlane_b32 s3, v57, 52
.LBB86_90:                              ;   Parent Loop BB86_21 Depth=1
                                        ; =>  This Inner Loop Header: Depth=2
	ds_read_b64 v[6:7], v2
	s_add_i32 s3, s3, -1
	v_add_u32_e32 v2, 32, v2
	s_cmp_lg_u32 s3, 0
	s_waitcnt lgkmcnt(0)
	v_lshl_add_u64 v[4:5], v[6:7], 0, v[4:5]
	s_cbranch_scc1 .LBB86_90
.LBB86_91:                              ;   in Loop: Header=BB86_21 Depth=1
	v_add_lshl_u32 v2, s2, v28, 3
	ds_write_b64 v2, v[4:5] offset:3072
.LBB86_92:                              ;   in Loop: Header=BB86_21 Depth=1
	s_or_b64 exec, exec, s[0:1]
	s_lshl_b32 s0, s2, 3
	v_mov_b32_e32 v2, s0
	s_waitcnt lgkmcnt(0)
	s_barrier
	ds_read_b128 v[8:11], v2 offset:3088
	ds_read_b128 v[4:7], v2 offset:3072
	s_lshl_b32 s64, 3, s7
	v_cmp_eq_u64_e64 s[0:1], 1, v[24:25]
	s_not_b32 s54, s64
	s_waitcnt lgkmcnt(1)
	v_readfirstlane_b32 s22, v8
	s_waitcnt lgkmcnt(0)
	v_cmp_eq_u64_e32 vcc, 1, v[4:5]
	v_readfirstlane_b32 s23, v9
	v_readfirstlane_b32 s2, v10
	;; [unrolled: 1-line block ×3, first 2 shown]
	s_and_b64 s[18:19], vcc, s[0:1]
	s_mov_b64 s[0:1], -1
	s_mov_b64 s[8:9], -1
                                        ; implicit-def: $sgpr24_sgpr25
                                        ; implicit-def: $sgpr20_sgpr21
	s_and_saveexec_b64 s[16:17], s[18:19]
	s_cbranch_execz .LBB86_124
; %bb.93:                               ;   in Loop: Header=BB86_21 Depth=1
	ds_read_b64 v[8:9], v3 offset:5120
	s_waitcnt lgkmcnt(0)
	s_barrier
	v_readfirstlane_b32 s26, v8
	v_readfirstlane_b32 s27, v9
	s_mov_b64 s[8:9], exec
	v_readlane_b32 s20, v57, 38
	v_readlane_b32 s21, v57, 39
	s_and_b64 s[20:21], s[8:9], s[20:21]
	s_mov_b64 exec, s[20:21]
; %bb.94:                               ;   in Loop: Header=BB86_21 Depth=1
	ds_write_b8 v0, v3 offset:3072
; %bb.95:                               ;   in Loop: Header=BB86_21 Depth=1
	s_or_b64 exec, exec, s[8:9]
	v_and_b32_e32 v31, s54, v31
	v_or_b32_e32 v35, s64, v35
	s_mov_b64 s[20:21], -1
	s_mov_b64 s[24:25], 0
	s_cmp_eq_u64 s[26:27], 0
	s_mov_b64 s[8:9], 0
	s_mov_b64 s[28:29], -1
	s_waitcnt lgkmcnt(0)
	s_barrier
                                        ; implicit-def: $vgpr36
	s_cbranch_scc1 .LBB86_109
; %bb.96:                               ;   in Loop: Header=BB86_21 Depth=1
	v_readlane_b32 s8, v57, 44
	s_add_u32 s34, s26, s8
	v_readlane_b32 s8, v57, 45
	s_addc_u32 s9, s27, s8
	s_mov_b32 s8, s99
	s_cmp_lg_u64 s[8:9], 0
	s_cbranch_scc0 .LBB86_150
; %bb.97:                               ;   in Loop: Header=BB86_21 Depth=1
	v_cvt_f32_u32_e32 v2, s94
	s_sub_u32 s8, 0, s94
	s_subb_u32 s30, 0, 0
	v_fmac_f32_e32 v2, 0, v33
	v_rcp_f32_e32 v2, v2
	s_nop 0
	v_mul_f32_e32 v2, 0x5f7ffffc, v2
	v_mul_f32_e32 v8, 0x2f800000, v2
	v_trunc_f32_e32 v8, v8
	v_fmac_f32_e32 v2, 0xcf800000, v8
	v_cvt_u32_f32_e32 v8, v8
	v_cvt_u32_f32_e32 v2, v2
	v_readfirstlane_b32 s31, v8
	v_readfirstlane_b32 s28, v2
	s_mul_i32 s29, s8, s31
	s_mul_hi_u32 s36, s8, s28
	s_mul_i32 s35, s30, s28
	s_add_i32 s29, s36, s29
	s_mul_i32 s37, s8, s28
	s_add_i32 s29, s29, s35
	s_mul_hi_u32 s36, s28, s37
	s_mul_i32 s38, s28, s29
	s_mul_hi_u32 s35, s28, s29
	s_add_u32 s36, s36, s38
	s_addc_u32 s35, 0, s35
	s_mul_hi_u32 s39, s31, s37
	s_mul_i32 s37, s31, s37
	s_add_u32 s36, s36, s37
	s_mul_hi_u32 s38, s31, s29
	s_addc_u32 s35, s35, s39
	s_addc_u32 s36, s38, 0
	s_mul_i32 s29, s31, s29
	s_add_u32 s29, s35, s29
	s_addc_u32 s35, 0, s36
	s_add_u32 s36, s28, s29
	s_cselect_b64 s[28:29], -1, 0
	s_cmp_lg_u64 s[28:29], 0
	s_addc_u32 s31, s31, s35
	s_mul_i32 s28, s8, s31
	s_mul_hi_u32 s29, s8, s36
	s_add_i32 s28, s29, s28
	s_mul_i32 s30, s30, s36
	s_add_i32 s28, s28, s30
	s_mul_i32 s8, s8, s36
	s_mul_hi_u32 s30, s31, s8
	s_mul_i32 s35, s31, s8
	s_mul_i32 s38, s36, s28
	s_mul_hi_u32 s8, s36, s8
	s_mul_hi_u32 s37, s36, s28
	s_add_u32 s8, s8, s38
	s_addc_u32 s37, 0, s37
	s_add_u32 s8, s8, s35
	s_mul_hi_u32 s29, s31, s28
	s_addc_u32 s8, s37, s30
	s_addc_u32 s29, s29, 0
	s_mul_i32 s28, s31, s28
	s_add_u32 s8, s8, s28
	s_addc_u32 s30, 0, s29
	s_add_u32 s8, s36, s8
	s_cselect_b64 s[28:29], -1, 0
	s_cmp_lg_u64 s[28:29], 0
	s_addc_u32 s28, s31, s30
	s_mul_i32 s30, s34, s28
	s_mul_hi_u32 s31, s34, s8
	s_mul_hi_u32 s29, s34, s28
	s_add_u32 s30, s31, s30
	s_addc_u32 s29, 0, s29
	s_mul_hi_u32 s35, s9, s8
	s_mul_i32 s8, s9, s8
	s_add_u32 s8, s30, s8
	s_mul_hi_u32 s31, s9, s28
	s_addc_u32 s8, s29, s35
	s_addc_u32 s29, s31, 0
	s_mul_i32 s28, s9, s28
	s_add_u32 s8, s8, s28
	s_addc_u32 s28, 0, s29
	s_mul_i32 s28, s94, s28
	s_mul_hi_u32 s29, s94, s8
	s_add_i32 s30, s29, s28
	s_mul_i32 s8, s94, s8
	s_sub_u32 s8, s34, s8
	s_cselect_b64 s[28:29], -1, 0
	s_cmp_lg_u64 s[28:29], 0
	s_subb_u32 s30, s9, s30
	s_sub_u32 s31, s8, s94
	s_cselect_b64 s[28:29], -1, 0
	s_cmp_lg_u64 s[28:29], 0
	s_subb_u32 s35, s30, 0
	;; [unrolled: 4-line block ×3, first 2 shown]
	s_cmp_ge_u32 s31, s94
	s_cselect_b32 s29, -1, 0
	s_cmp_eq_u32 s35, 0
	s_cselect_b32 s29, s29, -1
	s_cmp_lg_u32 s29, 0
	s_cselect_b32 s28, s28, s35
	s_cselect_b32 s31, s36, s31
	s_cmp_ge_u32 s8, s94
	s_cselect_b32 s29, -1, 0
	s_cmp_eq_u32 s30, 0
	s_cselect_b32 s29, s29, -1
	s_cmp_lg_u32 s29, 0
	s_cselect_b32 s29, s28, s30
	s_cselect_b32 s28, s31, s8
	s_cbranch_execnz .LBB86_99
.LBB86_98:                              ;   in Loop: Header=BB86_21 Depth=1
	v_cvt_f32_u32_e32 v2, s94
	s_sub_i32 s8, 0, s94
	v_rcp_iflag_f32_e32 v2, v2
	s_nop 0
	v_mul_f32_e32 v2, 0x4f7ffffe, v2
	v_cvt_u32_f32_e32 v2, v2
	s_nop 0
	v_readfirstlane_b32 s28, v2
	s_mul_i32 s8, s8, s28
	s_mul_hi_u32 s8, s28, s8
	s_add_i32 s28, s28, s8
	s_mul_hi_u32 s8, s34, s28
	s_mul_i32 s8, s8, s94
	s_sub_i32 s8, s34, s8
	s_sub_i32 s28, s8, s94
	s_cmp_ge_u32 s8, s94
	s_cselect_b32 s8, s28, s8
	s_sub_i32 s28, s8, s94
	s_cmp_ge_u32 s8, s94
	s_cselect_b32 s98, s28, s8
	s_mov_b64 s[28:29], s[98:99]
.LBB86_99:                              ;   in Loop: Header=BB86_21 Depth=1
	s_sub_u32 s34, s34, s28
	s_subb_u32 s35, s9, s29
	v_cmp_gt_u64_e32 vcc, s[34:35], v[0:1]
	s_mov_b64 s[28:29], 0
	s_mov_b64 s[8:9], 0
                                        ; implicit-def: $vgpr36
	s_and_saveexec_b64 s[30:31], vcc
	s_cbranch_execz .LBB86_108
; %bb.100:                              ;   in Loop: Header=BB86_21 Depth=1
	v_mov_b32_e32 v2, v0
	v_mov_b64_e32 v[8:9], v[0:1]
                                        ; implicit-def: $sgpr36_sgpr37
	s_branch .LBB86_103
.LBB86_101:                             ;   in Loop: Header=BB86_103 Depth=2
	s_or_b64 exec, exec, s[38:39]
	s_waitcnt lgkmcnt(0)
	s_barrier
	ds_read_u16 v10, v3 offset:3072
	s_mov_b64 s[38:39], -1
	s_waitcnt lgkmcnt(0)
	s_barrier
	v_cmp_ne_u32_sdwa s[40:41], v10, v3 src0_sel:BYTE_0 src1_sel:DWORD
	s_and_b64 vcc, exec, s[40:41]
	s_mov_b64 s[40:41], -1
	s_cbranch_vccz .LBB86_106
.LBB86_102:                             ;   in Loop: Header=BB86_103 Depth=2
	s_and_b64 s[38:39], exec, s[38:39]
	s_or_b64 s[8:9], s[38:39], s[8:9]
	s_andn2_b64 s[36:37], s[36:37], exec
	s_and_b64 s[38:39], s[40:41], exec
	s_or_b64 s[36:37], s[36:37], s[38:39]
	s_andn2_b64 exec, exec, s[8:9]
	s_cbranch_execz .LBB86_107
.LBB86_103:                             ;   Parent Loop BB86_21 Depth=1
                                        ; =>  This Inner Loop Header: Depth=2
	v_cmp_gt_u64_e32 vcc, s[26:27], v[8:9]
	s_and_saveexec_b64 s[38:39], vcc
	s_cbranch_execz .LBB86_101
; %bb.104:                              ;   in Loop: Header=BB86_103 Depth=2
	ds_read_u8 v10, v2
	s_waitcnt lgkmcnt(0)
	v_add_u32_sdwa v11, sext(v10), s76 dst_sel:DWORD dst_unused:UNUSED_PAD src0_sel:BYTE_0 src1_sel:DWORD
	v_and_b32_e32 v11, v11, v35
	v_cmp_eq_u32_e32 vcc, v11, v31
	s_and_b64 exec, exec, vcc
	s_cbranch_execz .LBB86_101
; %bb.105:                              ;   in Loop: Header=BB86_103 Depth=2
	v_lshlrev_b16_e32 v10, 8, v10
	v_or_b32_e32 v10, 1, v10
	ds_write_b16 v3, v10 offset:3072
	s_branch .LBB86_101
.LBB86_106:                             ;   in Loop: Header=BB86_103 Depth=2
	v_lshl_add_u64 v[8:9], v[8:9], 0, s[94:95]
	v_cmp_le_u64_e32 vcc, s[34:35], v[8:9]
	v_add_u32_e32 v2, s94, v2
	s_mov_b64 s[40:41], 0
	s_orn2_b64 s[38:39], vcc, exec
	s_branch .LBB86_102
.LBB86_107:                             ;   in Loop: Header=BB86_21 Depth=1
	s_or_b64 exec, exec, s[8:9]
	v_lshrrev_b32_sdwa v36, v34, v10 dst_sel:DWORD dst_unused:UNUSED_PAD src0_sel:DWORD src1_sel:WORD_0
	s_and_b64 s[8:9], s[36:37], exec
.LBB86_108:                             ;   in Loop: Header=BB86_21 Depth=1
	s_or_b64 exec, exec, s[30:31]
.LBB86_109:                             ;   in Loop: Header=BB86_21 Depth=1
	s_and_b64 vcc, exec, s[28:29]
	s_cbranch_vccz .LBB86_123
; %bb.110:                              ;   in Loop: Header=BB86_21 Depth=1
	s_mov_b32 s68, s99
	s_cmp_lg_u64 s[68:69], 0
	s_cbranch_scc0 .LBB86_154
; %bb.111:                              ;   in Loop: Header=BB86_21 Depth=1
	v_cvt_f32_u32_e32 v2, s94
	s_sub_u32 s24, 0, s94
	s_subb_u32 s25, 0, 0
	v_fmac_f32_e32 v2, 0, v33
	v_rcp_f32_e32 v2, v2
	s_nop 0
	v_mul_f32_e32 v2, 0x5f7ffffc, v2
	v_mul_f32_e32 v8, 0x2f800000, v2
	v_trunc_f32_e32 v8, v8
	v_fmac_f32_e32 v2, 0xcf800000, v8
	v_cvt_u32_f32_e32 v8, v8
	v_cvt_u32_f32_e32 v2, v2
	v_readfirstlane_b32 s26, v8
	v_readfirstlane_b32 s20, v2
	s_mul_i32 s21, s24, s26
	s_mul_hi_u32 s28, s24, s20
	s_mul_i32 s27, s25, s20
	s_add_i32 s21, s28, s21
	s_mul_i32 s29, s24, s20
	s_add_i32 s21, s21, s27
	s_mul_hi_u32 s28, s20, s29
	s_mul_i32 s30, s20, s21
	s_mul_hi_u32 s27, s20, s21
	s_add_u32 s28, s28, s30
	s_addc_u32 s27, 0, s27
	s_mul_hi_u32 s31, s26, s29
	s_mul_i32 s29, s26, s29
	s_add_u32 s28, s28, s29
	s_mul_hi_u32 s30, s26, s21
	s_addc_u32 s27, s27, s31
	s_addc_u32 s28, s30, 0
	s_mul_i32 s21, s26, s21
	s_add_u32 s21, s27, s21
	s_addc_u32 s27, 0, s28
	s_add_u32 s28, s20, s21
	s_cselect_b64 s[20:21], -1, 0
	s_cmp_lg_u64 s[20:21], 0
	s_addc_u32 s26, s26, s27
	s_mul_i32 s20, s24, s26
	s_mul_hi_u32 s21, s24, s28
	s_add_i32 s20, s21, s20
	s_mul_i32 s25, s25, s28
	s_add_i32 s20, s20, s25
	s_mul_i32 s24, s24, s28
	s_mul_hi_u32 s25, s26, s24
	s_mul_i32 s27, s26, s24
	s_mul_i32 s30, s28, s20
	s_mul_hi_u32 s24, s28, s24
	s_mul_hi_u32 s29, s28, s20
	s_add_u32 s24, s24, s30
	s_addc_u32 s29, 0, s29
	s_add_u32 s24, s24, s27
	s_mul_hi_u32 s21, s26, s20
	s_addc_u32 s24, s29, s25
	s_addc_u32 s21, s21, 0
	s_mul_i32 s20, s26, s20
	s_add_u32 s20, s24, s20
	s_addc_u32 s24, 0, s21
	s_add_u32 s25, s28, s20
	s_cselect_b64 s[20:21], -1, 0
	s_cmp_lg_u64 s[20:21], 0
	s_addc_u32 s20, s26, s24
	s_mul_i32 s24, s14, s20
	s_mul_hi_u32 s26, s14, s25
	s_mul_hi_u32 s21, s14, s20
	s_add_u32 s24, s26, s24
	s_addc_u32 s21, 0, s21
	s_mul_hi_u32 s27, s69, s25
	s_mul_i32 s25, s69, s25
	s_add_u32 s24, s24, s25
	s_mul_hi_u32 s26, s69, s20
	s_addc_u32 s21, s21, s27
	s_addc_u32 s24, s26, 0
	s_mul_i32 s20, s69, s20
	s_add_u32 s20, s21, s20
	s_addc_u32 s21, 0, s24
	s_mul_i32 s21, s94, s21
	s_mul_hi_u32 s24, s94, s20
	s_add_i32 s24, s24, s21
	s_mul_i32 s20, s94, s20
	s_sub_u32 s25, s14, s20
	s_cselect_b64 s[20:21], -1, 0
	s_cmp_lg_u64 s[20:21], 0
	s_subb_u32 s24, s69, s24
	s_sub_u32 s26, s25, s94
	s_cselect_b64 s[20:21], -1, 0
	s_cmp_lg_u64 s[20:21], 0
	s_subb_u32 s27, s24, 0
	;; [unrolled: 4-line block ×3, first 2 shown]
	s_cmp_ge_u32 s26, s94
	s_cselect_b32 s21, -1, 0
	s_cmp_eq_u32 s27, 0
	s_cselect_b32 s21, s21, -1
	s_cmp_lg_u32 s21, 0
	s_cselect_b32 s20, s20, s27
	s_cselect_b32 s26, s28, s26
	s_cmp_ge_u32 s25, s94
	s_cselect_b32 s21, -1, 0
	s_cmp_eq_u32 s24, 0
	s_cselect_b32 s21, s21, -1
	s_cmp_lg_u32 s21, 0
	s_cselect_b32 s21, s20, s24
	s_cselect_b32 s20, s26, s25
	s_cbranch_execnz .LBB86_113
.LBB86_112:                             ;   in Loop: Header=BB86_21 Depth=1
	v_cvt_f32_u32_e32 v2, s94
	s_sub_i32 s20, 0, s94
	v_rcp_iflag_f32_e32 v2, v2
	s_nop 0
	v_mul_f32_e32 v2, 0x4f7ffffe, v2
	v_cvt_u32_f32_e32 v2, v2
	s_nop 0
	v_readfirstlane_b32 s21, v2
	s_mul_i32 s20, s20, s21
	s_mul_hi_u32 s20, s21, s20
	s_add_i32 s21, s21, s20
	s_mul_hi_u32 s20, s14, s21
	s_mul_i32 s20, s20, s94
	s_sub_i32 s20, s14, s20
	s_sub_i32 s21, s20, s94
	s_cmp_ge_u32 s20, s94
	s_cselect_b32 s20, s21, s20
	s_sub_i32 s21, s20, s94
	s_cmp_ge_u32 s20, s94
	s_cselect_b32 s98, s21, s20
	s_mov_b64 s[20:21], s[98:99]
.LBB86_113:                             ;   in Loop: Header=BB86_21 Depth=1
	s_sub_u32 s24, s14, s20
	s_subb_u32 s25, s69, s21
	v_cmp_gt_u64_e32 vcc, s[24:25], v[0:1]
                                        ; implicit-def: $vgpr36
	s_and_saveexec_b64 s[20:21], vcc
	s_cbranch_execz .LBB86_122
; %bb.114:                              ;   in Loop: Header=BB86_21 Depth=1
	s_mov_b64 s[26:27], 0
	v_mov_b64_e32 v[8:9], v[0:1]
                                        ; implicit-def: $sgpr28_sgpr29
	s_branch .LBB86_117
.LBB86_115:                             ;   in Loop: Header=BB86_117 Depth=2
	s_or_b64 exec, exec, s[30:31]
	s_waitcnt lgkmcnt(0)
	s_barrier
	ds_read_u16 v2, v3 offset:3072
	s_mov_b64 s[30:31], -1
	s_waitcnt lgkmcnt(0)
	s_barrier
	v_cmp_ne_u32_sdwa s[34:35], v2, v3 src0_sel:BYTE_0 src1_sel:DWORD
	s_and_b64 vcc, exec, s[34:35]
	s_mov_b64 s[34:35], -1
	s_cbranch_vccz .LBB86_120
.LBB86_116:                             ;   in Loop: Header=BB86_117 Depth=2
	s_and_b64 s[30:31], exec, s[30:31]
	s_or_b64 s[26:27], s[30:31], s[26:27]
	s_andn2_b64 s[28:29], s[28:29], exec
	s_and_b64 s[30:31], s[34:35], exec
	s_or_b64 s[28:29], s[28:29], s[30:31]
	s_andn2_b64 exec, exec, s[26:27]
	s_cbranch_execz .LBB86_121
.LBB86_117:                             ;   Parent Loop BB86_21 Depth=1
                                        ; =>  This Inner Loop Header: Depth=2
	v_cmp_gt_u64_e32 vcc, s[56:57], v[8:9]
	s_and_saveexec_b64 s[30:31], vcc
	s_cbranch_execz .LBB86_115
; %bb.118:                              ;   in Loop: Header=BB86_117 Depth=2
	v_mov_b64_e32 v[10:11], s[96:97]
	v_mad_u64_u32 v[10:11], s[34:35], v8, s84, v[10:11]
	v_mul_lo_u32 v2, v8, s85
	v_mul_lo_u32 v26, v9, s84
	v_add3_u32 v11, v26, v11, v2
	global_load_ubyte v2, v[10:11], off
	s_waitcnt vmcnt(0)
	v_add_u32_sdwa v10, sext(v2), s76 dst_sel:DWORD dst_unused:UNUSED_PAD src0_sel:BYTE_0 src1_sel:DWORD
	v_and_b32_e32 v10, v10, v35
	v_cmp_eq_u32_e32 vcc, v10, v31
	s_and_b64 exec, exec, vcc
	s_cbranch_execz .LBB86_115
; %bb.119:                              ;   in Loop: Header=BB86_117 Depth=2
	v_lshlrev_b16_e32 v2, 8, v2
	v_or_b32_e32 v2, 1, v2
	ds_write_b16 v3, v2 offset:3072
	s_branch .LBB86_115
.LBB86_120:                             ;   in Loop: Header=BB86_117 Depth=2
	v_lshl_add_u64 v[8:9], v[8:9], 0, s[94:95]
	v_cmp_le_u64_e32 vcc, s[24:25], v[8:9]
	s_mov_b64 s[34:35], 0
	s_orn2_b64 s[30:31], vcc, exec
	s_branch .LBB86_116
.LBB86_121:                             ;   in Loop: Header=BB86_21 Depth=1
	s_or_b64 exec, exec, s[26:27]
	s_andn2_b64 s[8:9], s[8:9], exec
	s_and_b64 s[24:25], s[28:29], exec
	v_lshrrev_b32_sdwa v36, v34, v2 dst_sel:DWORD dst_unused:UNUSED_PAD src0_sel:DWORD src1_sel:WORD_0
	s_or_b64 s[8:9], s[8:9], s[24:25]
.LBB86_122:                             ;   in Loop: Header=BB86_21 Depth=1
	s_or_b64 exec, exec, s[20:21]
	s_mov_b64 s[20:21], 0
	s_mov_b64 s[24:25], -1
.LBB86_123:                             ;   in Loop: Header=BB86_21 Depth=1
	s_orn2_b64 s[8:9], s[8:9], exec
.LBB86_124:                             ;   in Loop: Header=BB86_21 Depth=1
	s_or_b64 exec, exec, s[16:17]
	s_andn2_b64 s[16:17], s[58:59], exec
	s_and_b64 s[24:25], s[24:25], exec
	s_or_b64 s[58:59], s[16:17], s[24:25]
	s_andn2_b64 s[16:17], s[82:83], exec
	s_and_b64 s[20:21], s[20:21], exec
	s_andn2_b64 s[74:75], s[74:75], exec
	s_or_b64 s[82:83], s[16:17], s[20:21]
                                        ; implicit-def: $vgpr8_vgpr9
	s_and_saveexec_b64 s[16:17], s[8:9]
	s_cbranch_execz .LBB86_20
; %bb.125:                              ;   in Loop: Header=BB86_21 Depth=1
	s_xor_b64 s[8:9], s[18:19], -1
	v_mov_b32_e32 v2, 1
	s_mov_b64 s[20:21], 0
	v_mov_b64_e32 v[8:9], 1
	s_and_saveexec_b64 s[0:1], s[8:9]
	s_cbranch_execz .LBB86_134
; %bb.126:                              ;   in Loop: Header=BB86_21 Depth=1
	v_cmp_le_u64_e32 vcc, v[24:25], v[4:5]
	s_and_saveexec_b64 s[8:9], vcc
	s_xor_b64 s[8:9], exec, s[8:9]
	s_cbranch_execz .LBB86_131
; %bb.127:                              ;   in Loop: Header=BB86_21 Depth=1
	ds_read_b64 v[8:9], v3 offset:5120
	v_and_b32_e32 v31, s54, v31
	v_or_b32_e32 v35, s64, v35
	s_waitcnt lgkmcnt(0)
	v_cmp_ne_u64_e32 vcc, 0, v[8:9]
	s_cbranch_vccnz .LBB86_131
; %bb.128:                              ;   in Loop: Header=BB86_21 Depth=1
	s_mov_b64 s[18:19], exec
	v_readlane_b32 s20, v57, 28
	v_readlane_b32 s21, v57, 29
	s_and_b64 s[20:21], s[18:19], s[20:21]
	s_mov_b64 exec, s[20:21]
; %bb.129:                              ;   in Loop: Header=BB86_21 Depth=1
	ds_write_b64 v3, v[4:5] offset:5128
; %bb.130:                              ;   in Loop: Header=BB86_21 Depth=1
	s_or_b64 exec, exec, s[18:19]
	s_waitcnt lgkmcnt(0)
	s_barrier
.LBB86_131:                             ;   in Loop: Header=BB86_21 Depth=1
	s_or_saveexec_b64 s[8:9], s[8:9]
	s_mov_b64 s[18:19], 0
	v_mov_b32_e32 v2, 8
	s_xor_b64 exec, exec, s[8:9]
; %bb.132:                              ;   in Loop: Header=BB86_21 Depth=1
	v_sub_co_u32_e32 v24, vcc, v24, v4
	s_mov_b64 s[18:19], exec
	s_nop 0
	v_subb_co_u32_e32 v25, vcc, v25, v5, vcc
	v_mov_b32_e32 v2, 0
; %bb.133:                              ;   in Loop: Header=BB86_21 Depth=1
	s_or_b64 exec, exec, s[8:9]
	s_and_b64 s[20:21], s[18:19], exec
	v_mov_b64_e32 v[8:9], v[24:25]
.LBB86_134:                             ;   in Loop: Header=BB86_21 Depth=1
	s_or_b64 exec, exec, s[0:1]
	s_mov_b64 s[18:19], -1
	s_mov_b64 s[8:9], -1
                                        ; implicit-def: $sgpr0_sgpr1
                                        ; implicit-def: $sgpr24_sgpr25
	s_and_saveexec_b64 s[26:27], s[20:21]
	s_xor_b64 s[20:21], exec, s[26:27]
	s_cbranch_execz .LBB86_279
; %bb.135:                              ;   in Loop: Header=BB86_21 Depth=1
	v_cmp_eq_u64_e32 vcc, 1, v[6:7]
	v_cmp_eq_u64_e64 s[0:1], 1, v[8:9]
	s_and_b64 s[28:29], vcc, s[0:1]
                                        ; implicit-def: $sgpr24_sgpr25
                                        ; implicit-def: $sgpr0_sgpr1
	s_and_saveexec_b64 s[26:27], s[28:29]
	s_cbranch_execz .LBB86_172
; %bb.136:                              ;   in Loop: Header=BB86_21 Depth=1
	ds_read_b64 v[4:5], v3 offset:5120
	s_waitcnt lgkmcnt(0)
	s_barrier
	v_readfirstlane_b32 s30, v4
	v_readfirstlane_b32 s31, v5
	s_mov_b64 s[0:1], exec
	v_readlane_b32 s8, v57, 38
	v_readlane_b32 s9, v57, 39
	s_and_b64 s[8:9], s[0:1], s[8:9]
	s_mov_b64 exec, s[8:9]
; %bb.137:                              ;   in Loop: Header=BB86_21 Depth=1
	ds_write_b8 v0, v3 offset:3072
; %bb.138:                              ;   in Loop: Header=BB86_21 Depth=1
	s_or_b64 exec, exec, s[0:1]
	v_and_b32_e32 v4, s54, v31
	v_lshl_or_b32 v31, 1, s7, v4
	v_or_b32_e32 v35, s64, v35
	s_mov_b64 s[0:1], -1
	s_mov_b64 s[24:25], 0
	s_cmp_eq_u64 s[30:31], 0
	s_mov_b64 s[8:9], 0
	s_mov_b64 s[34:35], -1
	s_waitcnt lgkmcnt(0)
	s_barrier
                                        ; implicit-def: $vgpr36
	s_cbranch_scc1 .LBB86_157
; %bb.139:                              ;   in Loop: Header=BB86_21 Depth=1
	v_readlane_b32 s8, v57, 44
	s_add_u32 s38, s30, s8
	v_readlane_b32 s8, v57, 45
	s_addc_u32 s9, s31, s8
	s_mov_b32 s8, s99
	s_cmp_lg_u64 s[8:9], 0
	s_cbranch_scc0 .LBB86_199
; %bb.140:                              ;   in Loop: Header=BB86_21 Depth=1
	v_cvt_f32_u32_e32 v4, s94
	s_sub_u32 s8, 0, s94
	s_subb_u32 s36, 0, 0
	v_fmac_f32_e32 v4, 0, v33
	v_rcp_f32_e32 v4, v4
	s_nop 0
	v_mul_f32_e32 v4, 0x5f7ffffc, v4
	v_mul_f32_e32 v5, 0x2f800000, v4
	v_trunc_f32_e32 v5, v5
	v_fmac_f32_e32 v4, 0xcf800000, v5
	v_cvt_u32_f32_e32 v5, v5
	v_cvt_u32_f32_e32 v4, v4
	v_readfirstlane_b32 s37, v5
	v_readfirstlane_b32 s34, v4
	s_mul_i32 s35, s8, s37
	s_mul_hi_u32 s40, s8, s34
	s_mul_i32 s39, s36, s34
	s_add_i32 s35, s40, s35
	s_mul_i32 s41, s8, s34
	s_add_i32 s35, s35, s39
	s_mul_hi_u32 s40, s34, s41
	s_mul_i32 s42, s34, s35
	s_mul_hi_u32 s39, s34, s35
	s_add_u32 s40, s40, s42
	s_addc_u32 s39, 0, s39
	s_mul_hi_u32 s43, s37, s41
	s_mul_i32 s41, s37, s41
	s_add_u32 s40, s40, s41
	s_mul_hi_u32 s42, s37, s35
	s_addc_u32 s39, s39, s43
	s_addc_u32 s40, s42, 0
	s_mul_i32 s35, s37, s35
	s_add_u32 s35, s39, s35
	s_addc_u32 s39, 0, s40
	s_add_u32 s40, s34, s35
	s_cselect_b64 s[34:35], -1, 0
	s_cmp_lg_u64 s[34:35], 0
	s_addc_u32 s37, s37, s39
	s_mul_i32 s34, s8, s37
	s_mul_hi_u32 s35, s8, s40
	s_add_i32 s34, s35, s34
	s_mul_i32 s36, s36, s40
	s_add_i32 s34, s34, s36
	s_mul_i32 s8, s8, s40
	s_mul_hi_u32 s36, s37, s8
	s_mul_i32 s39, s37, s8
	s_mul_i32 s42, s40, s34
	s_mul_hi_u32 s8, s40, s8
	s_mul_hi_u32 s41, s40, s34
	s_add_u32 s8, s8, s42
	s_addc_u32 s41, 0, s41
	s_add_u32 s8, s8, s39
	s_mul_hi_u32 s35, s37, s34
	s_addc_u32 s8, s41, s36
	s_addc_u32 s35, s35, 0
	s_mul_i32 s34, s37, s34
	s_add_u32 s8, s8, s34
	s_addc_u32 s36, 0, s35
	s_add_u32 s8, s40, s8
	s_cselect_b64 s[34:35], -1, 0
	s_cmp_lg_u64 s[34:35], 0
	s_addc_u32 s34, s37, s36
	s_mul_i32 s36, s38, s34
	s_mul_hi_u32 s37, s38, s8
	s_mul_hi_u32 s35, s38, s34
	s_add_u32 s36, s37, s36
	s_addc_u32 s35, 0, s35
	s_mul_hi_u32 s39, s9, s8
	s_mul_i32 s8, s9, s8
	s_add_u32 s8, s36, s8
	s_mul_hi_u32 s37, s9, s34
	s_addc_u32 s8, s35, s39
	s_addc_u32 s35, s37, 0
	s_mul_i32 s34, s9, s34
	s_add_u32 s8, s8, s34
	s_addc_u32 s34, 0, s35
	s_mul_i32 s34, s94, s34
	s_mul_hi_u32 s35, s94, s8
	s_add_i32 s36, s35, s34
	s_mul_i32 s8, s94, s8
	s_sub_u32 s8, s38, s8
	s_cselect_b64 s[34:35], -1, 0
	s_cmp_lg_u64 s[34:35], 0
	s_subb_u32 s36, s9, s36
	s_sub_u32 s37, s8, s94
	s_cselect_b64 s[34:35], -1, 0
	s_cmp_lg_u64 s[34:35], 0
	s_subb_u32 s39, s36, 0
	;; [unrolled: 4-line block ×3, first 2 shown]
	s_cmp_ge_u32 s37, s94
	s_cselect_b32 s35, -1, 0
	s_cmp_eq_u32 s39, 0
	s_cselect_b32 s35, s35, -1
	s_cmp_lg_u32 s35, 0
	s_cselect_b32 s34, s34, s39
	s_cselect_b32 s37, s40, s37
	s_cmp_ge_u32 s8, s94
	s_cselect_b32 s35, -1, 0
	s_cmp_eq_u32 s36, 0
	s_cselect_b32 s35, s35, -1
	s_cmp_lg_u32 s35, 0
	s_cselect_b32 s35, s34, s36
	s_cselect_b32 s34, s37, s8
	s_cbranch_execnz .LBB86_142
.LBB86_141:                             ;   in Loop: Header=BB86_21 Depth=1
	v_cvt_f32_u32_e32 v4, s94
	s_sub_i32 s8, 0, s94
	v_rcp_iflag_f32_e32 v4, v4
	s_nop 0
	v_mul_f32_e32 v4, 0x4f7ffffe, v4
	v_cvt_u32_f32_e32 v4, v4
	s_nop 0
	v_readfirstlane_b32 s34, v4
	s_mul_i32 s8, s8, s34
	s_mul_hi_u32 s8, s34, s8
	s_add_i32 s34, s34, s8
	s_mul_hi_u32 s8, s38, s34
	s_mul_i32 s8, s8, s94
	s_sub_i32 s8, s38, s8
	s_sub_i32 s34, s8, s94
	s_cmp_ge_u32 s8, s94
	s_cselect_b32 s8, s34, s8
	s_sub_i32 s34, s8, s94
	s_cmp_ge_u32 s8, s94
	s_cselect_b32 s98, s34, s8
	s_mov_b64 s[34:35], s[98:99]
.LBB86_142:                             ;   in Loop: Header=BB86_21 Depth=1
	s_sub_u32 s38, s38, s34
	s_subb_u32 s39, s9, s35
	v_cmp_gt_u64_e32 vcc, s[38:39], v[0:1]
	s_mov_b64 s[34:35], 0
	s_mov_b64 s[8:9], 0
                                        ; implicit-def: $vgpr36
	s_and_saveexec_b64 s[36:37], vcc
	s_cbranch_execz .LBB86_156
; %bb.143:                              ;   in Loop: Header=BB86_21 Depth=1
	v_mov_b32_e32 v10, v0
	v_mov_b64_e32 v[4:5], v[0:1]
                                        ; implicit-def: $sgpr40_sgpr41
	s_branch .LBB86_146
.LBB86_144:                             ;   in Loop: Header=BB86_146 Depth=2
	s_or_b64 exec, exec, s[42:43]
	s_waitcnt lgkmcnt(0)
	s_barrier
	ds_read_u16 v11, v3 offset:3072
	s_mov_b64 s[42:43], -1
	s_waitcnt lgkmcnt(0)
	s_barrier
	v_cmp_ne_u32_sdwa s[44:45], v11, v3 src0_sel:BYTE_0 src1_sel:DWORD
	s_and_b64 vcc, exec, s[44:45]
	s_mov_b64 s[44:45], -1
	s_cbranch_vccz .LBB86_149
.LBB86_145:                             ;   in Loop: Header=BB86_146 Depth=2
	s_and_b64 s[42:43], exec, s[42:43]
	s_or_b64 s[8:9], s[42:43], s[8:9]
	s_andn2_b64 s[40:41], s[40:41], exec
	s_and_b64 s[42:43], s[44:45], exec
	s_or_b64 s[40:41], s[40:41], s[42:43]
	s_andn2_b64 exec, exec, s[8:9]
	s_cbranch_execz .LBB86_155
.LBB86_146:                             ;   Parent Loop BB86_21 Depth=1
                                        ; =>  This Inner Loop Header: Depth=2
	v_cmp_gt_u64_e32 vcc, s[30:31], v[4:5]
	s_and_saveexec_b64 s[42:43], vcc
	s_cbranch_execz .LBB86_144
; %bb.147:                              ;   in Loop: Header=BB86_146 Depth=2
	ds_read_u8 v11, v10
	s_waitcnt lgkmcnt(0)
	v_add_u32_sdwa v24, sext(v11), s76 dst_sel:DWORD dst_unused:UNUSED_PAD src0_sel:BYTE_0 src1_sel:DWORD
	v_and_b32_e32 v24, v24, v35
	v_cmp_eq_u32_e32 vcc, v24, v31
	s_and_b64 exec, exec, vcc
	s_cbranch_execz .LBB86_144
; %bb.148:                              ;   in Loop: Header=BB86_146 Depth=2
	v_lshlrev_b16_e32 v11, 8, v11
	v_or_b32_e32 v11, 1, v11
	ds_write_b16 v3, v11 offset:3072
	s_branch .LBB86_144
.LBB86_149:                             ;   in Loop: Header=BB86_146 Depth=2
	v_lshl_add_u64 v[4:5], v[4:5], 0, s[94:95]
	v_cmp_le_u64_e32 vcc, s[38:39], v[4:5]
	v_add_u32_e32 v10, s94, v10
	s_mov_b64 s[44:45], 0
	s_orn2_b64 s[42:43], vcc, exec
	s_branch .LBB86_145
.LBB86_150:                             ;   in Loop: Header=BB86_21 Depth=1
                                        ; implicit-def: $sgpr28_sgpr29
	s_branch .LBB86_98
.LBB86_151:                             ;   in Loop: Header=BB86_21 Depth=1
	s_or_b64 exec, exec, s[16:17]
	s_waitcnt lgkmcnt(0)
	s_barrier
	s_mov_b64 s[0:1], exec
	v_readlane_b32 s2, v57, 28
	v_readlane_b32 s3, v57, 29
	s_and_b64 s[2:3], s[0:1], s[2:3]
	s_mov_b64 exec, s[2:3]
	s_cbranch_execz .LBB86_153
; %bb.152:                              ;   in Loop: Header=BB86_21 Depth=1
	ds_read_b32 v4, v3 offset:5144
	s_waitcnt lgkmcnt(0)
	v_ashrrev_i32_e32 v5, 31, v4
	ds_write_b64 v3, v[4:5] offset:5120
.LBB86_153:                             ;   in Loop: Header=BB86_21 Depth=1
	s_or_b64 exec, exec, s[0:1]
	s_waitcnt lgkmcnt(0)
	s_barrier
	s_mov_b64 s[0:1], -1
	s_and_b64 vcc, exec, s[8:9]
	s_cbranch_vccnz .LBB86_36
	s_branch .LBB86_51
.LBB86_154:                             ;   in Loop: Header=BB86_21 Depth=1
                                        ; implicit-def: $sgpr20_sgpr21
	s_branch .LBB86_112
.LBB86_155:                             ;   in Loop: Header=BB86_21 Depth=1
	s_or_b64 exec, exec, s[8:9]
	v_lshrrev_b32_sdwa v36, v34, v11 dst_sel:DWORD dst_unused:UNUSED_PAD src0_sel:DWORD src1_sel:WORD_0
	s_and_b64 s[8:9], s[40:41], exec
.LBB86_156:                             ;   in Loop: Header=BB86_21 Depth=1
	s_or_b64 exec, exec, s[36:37]
.LBB86_157:                             ;   in Loop: Header=BB86_21 Depth=1
	s_and_b64 vcc, exec, s[34:35]
	s_cbranch_vccz .LBB86_171
; %bb.158:                              ;   in Loop: Header=BB86_21 Depth=1
	s_mov_b32 s68, s99
	s_cmp_lg_u64 s[68:69], 0
	s_cbranch_scc0 .LBB86_200
; %bb.159:                              ;   in Loop: Header=BB86_21 Depth=1
	v_cvt_f32_u32_e32 v4, s94
	s_sub_u32 s24, 0, s94
	s_subb_u32 s25, 0, 0
	v_fmac_f32_e32 v4, 0, v33
	v_rcp_f32_e32 v4, v4
	s_nop 0
	v_mul_f32_e32 v4, 0x5f7ffffc, v4
	v_mul_f32_e32 v5, 0x2f800000, v4
	v_trunc_f32_e32 v5, v5
	v_fmac_f32_e32 v4, 0xcf800000, v5
	v_cvt_u32_f32_e32 v5, v5
	v_cvt_u32_f32_e32 v4, v4
	v_readfirstlane_b32 s30, v5
	v_readfirstlane_b32 s0, v4
	s_mul_i32 s1, s24, s30
	s_mul_hi_u32 s34, s24, s0
	s_mul_i32 s31, s25, s0
	s_add_i32 s1, s34, s1
	s_mul_i32 s35, s24, s0
	s_add_i32 s1, s1, s31
	s_mul_hi_u32 s34, s0, s35
	s_mul_i32 s36, s0, s1
	s_mul_hi_u32 s31, s0, s1
	s_add_u32 s34, s34, s36
	s_addc_u32 s31, 0, s31
	s_mul_hi_u32 s37, s30, s35
	s_mul_i32 s35, s30, s35
	s_add_u32 s34, s34, s35
	s_mul_hi_u32 s36, s30, s1
	s_addc_u32 s31, s31, s37
	s_addc_u32 s34, s36, 0
	s_mul_i32 s1, s30, s1
	s_add_u32 s1, s31, s1
	s_addc_u32 s31, 0, s34
	s_add_u32 s34, s0, s1
	s_cselect_b64 s[0:1], -1, 0
	s_cmp_lg_u64 s[0:1], 0
	s_addc_u32 s30, s30, s31
	s_mul_i32 s0, s24, s30
	s_mul_hi_u32 s1, s24, s34
	s_add_i32 s0, s1, s0
	s_mul_i32 s25, s25, s34
	s_add_i32 s0, s0, s25
	s_mul_i32 s24, s24, s34
	s_mul_hi_u32 s25, s30, s24
	s_mul_i32 s31, s30, s24
	s_mul_i32 s36, s34, s0
	s_mul_hi_u32 s24, s34, s24
	s_mul_hi_u32 s35, s34, s0
	s_add_u32 s24, s24, s36
	s_addc_u32 s35, 0, s35
	s_add_u32 s24, s24, s31
	s_mul_hi_u32 s1, s30, s0
	s_addc_u32 s24, s35, s25
	s_addc_u32 s1, s1, 0
	s_mul_i32 s0, s30, s0
	s_add_u32 s0, s24, s0
	s_addc_u32 s24, 0, s1
	s_add_u32 s25, s34, s0
	s_cselect_b64 s[0:1], -1, 0
	s_cmp_lg_u64 s[0:1], 0
	s_addc_u32 s0, s30, s24
	s_mul_i32 s24, s14, s0
	s_mul_hi_u32 s30, s14, s25
	s_mul_hi_u32 s1, s14, s0
	s_add_u32 s24, s30, s24
	s_addc_u32 s1, 0, s1
	s_mul_hi_u32 s31, s69, s25
	s_mul_i32 s25, s69, s25
	s_add_u32 s24, s24, s25
	s_mul_hi_u32 s30, s69, s0
	s_addc_u32 s1, s1, s31
	s_addc_u32 s24, s30, 0
	s_mul_i32 s0, s69, s0
	s_add_u32 s0, s1, s0
	s_addc_u32 s1, 0, s24
	s_mul_i32 s1, s94, s1
	s_mul_hi_u32 s24, s94, s0
	s_add_i32 s24, s24, s1
	s_mul_i32 s0, s94, s0
	s_sub_u32 s25, s14, s0
	s_cselect_b64 s[0:1], -1, 0
	s_cmp_lg_u64 s[0:1], 0
	s_subb_u32 s24, s69, s24
	s_sub_u32 s30, s25, s94
	s_cselect_b64 s[0:1], -1, 0
	s_cmp_lg_u64 s[0:1], 0
	s_subb_u32 s31, s24, 0
	;; [unrolled: 4-line block ×3, first 2 shown]
	s_cmp_ge_u32 s30, s94
	s_cselect_b32 s1, -1, 0
	s_cmp_eq_u32 s31, 0
	s_cselect_b32 s1, s1, -1
	s_cmp_lg_u32 s1, 0
	s_cselect_b32 s0, s0, s31
	s_cselect_b32 s30, s34, s30
	s_cmp_ge_u32 s25, s94
	s_cselect_b32 s1, -1, 0
	s_cmp_eq_u32 s24, 0
	s_cselect_b32 s1, s1, -1
	s_cmp_lg_u32 s1, 0
	s_cselect_b32 s1, s0, s24
	s_cselect_b32 s0, s30, s25
	s_cbranch_execnz .LBB86_161
.LBB86_160:                             ;   in Loop: Header=BB86_21 Depth=1
	v_cvt_f32_u32_e32 v4, s94
	s_sub_i32 s0, 0, s94
	v_rcp_iflag_f32_e32 v4, v4
	s_nop 0
	v_mul_f32_e32 v4, 0x4f7ffffe, v4
	v_cvt_u32_f32_e32 v4, v4
	s_nop 0
	v_readfirstlane_b32 s1, v4
	s_mul_i32 s0, s0, s1
	s_mul_hi_u32 s0, s1, s0
	s_add_i32 s1, s1, s0
	s_mul_hi_u32 s0, s14, s1
	s_mul_i32 s0, s0, s94
	s_sub_i32 s0, s14, s0
	s_sub_i32 s1, s0, s94
	s_cmp_ge_u32 s0, s94
	s_cselect_b32 s0, s1, s0
	s_sub_i32 s1, s0, s94
	s_cmp_ge_u32 s0, s94
	s_cselect_b32 s98, s1, s0
	s_mov_b64 s[0:1], s[98:99]
.LBB86_161:                             ;   in Loop: Header=BB86_21 Depth=1
	s_sub_u32 s24, s14, s0
	s_subb_u32 s25, s69, s1
	v_cmp_gt_u64_e32 vcc, s[24:25], v[0:1]
                                        ; implicit-def: $vgpr36
	s_and_saveexec_b64 s[0:1], vcc
	s_cbranch_execz .LBB86_170
; %bb.162:                              ;   in Loop: Header=BB86_21 Depth=1
	s_mov_b64 s[30:31], 0
	v_mov_b64_e32 v[4:5], v[0:1]
                                        ; implicit-def: $sgpr34_sgpr35
	s_branch .LBB86_165
.LBB86_163:                             ;   in Loop: Header=BB86_165 Depth=2
	s_or_b64 exec, exec, s[36:37]
	s_waitcnt lgkmcnt(0)
	s_barrier
	ds_read_u16 v10, v3 offset:3072
	s_mov_b64 s[36:37], -1
	s_waitcnt lgkmcnt(0)
	s_barrier
	v_cmp_eq_u32_sdwa s[38:39], v10, v3 src0_sel:BYTE_0 src1_sel:DWORD
	s_and_b64 vcc, exec, s[38:39]
	s_mov_b64 s[38:39], -1
	s_cbranch_vccnz .LBB86_168
.LBB86_164:                             ;   in Loop: Header=BB86_165 Depth=2
	s_and_b64 s[36:37], exec, s[36:37]
	s_or_b64 s[30:31], s[36:37], s[30:31]
	s_andn2_b64 s[34:35], s[34:35], exec
	s_and_b64 s[36:37], s[38:39], exec
	s_or_b64 s[34:35], s[34:35], s[36:37]
	s_andn2_b64 exec, exec, s[30:31]
	s_cbranch_execz .LBB86_169
.LBB86_165:                             ;   Parent Loop BB86_21 Depth=1
                                        ; =>  This Inner Loop Header: Depth=2
	v_cmp_gt_u64_e32 vcc, s[56:57], v[4:5]
	s_and_saveexec_b64 s[36:37], vcc
	s_cbranch_execz .LBB86_163
; %bb.166:                              ;   in Loop: Header=BB86_165 Depth=2
	v_mov_b64_e32 v[10:11], s[96:97]
	v_mad_u64_u32 v[10:11], s[38:39], v4, s84, v[10:11]
	v_mul_lo_u32 v24, v4, s85
	v_mul_lo_u32 v25, v5, s84
	v_add3_u32 v11, v25, v11, v24
	global_load_ubyte v10, v[10:11], off
	s_waitcnt vmcnt(0)
	v_add_u32_sdwa v11, sext(v10), s76 dst_sel:DWORD dst_unused:UNUSED_PAD src0_sel:BYTE_0 src1_sel:DWORD
	v_and_b32_e32 v11, v11, v35
	v_cmp_eq_u32_e32 vcc, v11, v31
	s_and_b64 exec, exec, vcc
	s_cbranch_execz .LBB86_163
; %bb.167:                              ;   in Loop: Header=BB86_165 Depth=2
	v_lshlrev_b16_e32 v10, 8, v10
	v_or_b32_e32 v10, 1, v10
	ds_write_b16 v3, v10 offset:3072
	s_branch .LBB86_163
.LBB86_168:                             ;   in Loop: Header=BB86_165 Depth=2
	v_lshl_add_u64 v[4:5], v[4:5], 0, s[94:95]
	v_cmp_le_u64_e32 vcc, s[24:25], v[4:5]
	s_mov_b64 s[38:39], 0
	s_orn2_b64 s[36:37], vcc, exec
	s_branch .LBB86_164
.LBB86_169:                             ;   in Loop: Header=BB86_21 Depth=1
	s_or_b64 exec, exec, s[30:31]
	s_andn2_b64 s[8:9], s[8:9], exec
	s_and_b64 s[24:25], s[34:35], exec
	v_lshrrev_b32_sdwa v36, v34, v10 dst_sel:DWORD dst_unused:UNUSED_PAD src0_sel:DWORD src1_sel:WORD_0
	s_or_b64 s[8:9], s[8:9], s[24:25]
.LBB86_170:                             ;   in Loop: Header=BB86_21 Depth=1
	s_or_b64 exec, exec, s[0:1]
	s_mov_b64 s[0:1], 0
	s_mov_b64 s[24:25], -1
.LBB86_171:                             ;   in Loop: Header=BB86_21 Depth=1
	s_orn2_b64 s[8:9], s[8:9], exec
.LBB86_172:                             ;   in Loop: Header=BB86_21 Depth=1
	s_or_b64 exec, exec, s[26:27]
	s_mov_b64 s[30:31], 0
	s_and_saveexec_b64 s[26:27], s[8:9]
	s_cbranch_execz .LBB86_278
; %bb.173:                              ;   in Loop: Header=BB86_21 Depth=1
	s_xor_b64 s[28:29], s[28:29], -1
	v_mov_b32_e32 v2, 1
	v_mov_b64_e32 v[4:5], 1
	s_and_saveexec_b64 s[8:9], s[28:29]
	s_cbranch_execz .LBB86_183
; %bb.174:                              ;   in Loop: Header=BB86_21 Depth=1
	v_cmp_le_u64_e32 vcc, v[8:9], v[6:7]
	s_and_saveexec_b64 s[28:29], vcc
	s_xor_b64 s[28:29], exec, s[28:29]
	s_cbranch_execz .LBB86_180
; %bb.175:                              ;   in Loop: Header=BB86_21 Depth=1
	ds_read_b64 v[4:5], v3 offset:5120
	v_and_b32_e32 v2, s54, v31
	v_lshl_or_b32 v31, 1, s7, v2
	v_or_b32_e32 v35, s64, v35
	s_waitcnt lgkmcnt(0)
	v_cmp_ne_u64_e32 vcc, 0, v[4:5]
	s_cbranch_vccnz .LBB86_179
; %bb.176:                              ;   in Loop: Header=BB86_21 Depth=1
	s_mov_b64 s[30:31], exec
	v_readlane_b32 s34, v57, 28
	v_readlane_b32 s35, v57, 29
	s_and_b64 s[34:35], s[30:31], s[34:35]
	s_mov_b64 exec, s[34:35]
; %bb.177:                              ;   in Loop: Header=BB86_21 Depth=1
	ds_write_b64 v3, v[6:7] offset:5128
; %bb.178:                              ;   in Loop: Header=BB86_21 Depth=1
	s_or_b64 exec, exec, s[30:31]
	s_waitcnt lgkmcnt(0)
	s_barrier
.LBB86_179:                             ;   in Loop: Header=BB86_21 Depth=1
                                        ; implicit-def: $vgpr4_vgpr5_vgpr6_vgpr7
.LBB86_180:                             ;   in Loop: Header=BB86_21 Depth=1
	s_or_saveexec_b64 s[28:29], s[28:29]
	s_mov_b64 s[30:31], 0
	v_mov_b32_e32 v2, 8
	s_xor_b64 exec, exec, s[28:29]
; %bb.181:                              ;   in Loop: Header=BB86_21 Depth=1
	v_sub_co_u32_e32 v8, vcc, v8, v6
	s_mov_b64 s[30:31], exec
	s_nop 0
	v_subb_co_u32_e32 v9, vcc, v9, v7, vcc
	v_mov_b32_e32 v2, 0
; %bb.182:                              ;   in Loop: Header=BB86_21 Depth=1
	s_or_b64 exec, exec, s[28:29]
	s_and_b64 s[30:31], s[30:31], exec
	v_mov_b64_e32 v[4:5], v[8:9]
.LBB86_183:                             ;   in Loop: Header=BB86_21 Depth=1
	s_or_b64 exec, exec, s[8:9]
	s_mov_b64 s[8:9], -1
                                        ; implicit-def: $sgpr34_sgpr35
                                        ; implicit-def: $sgpr36_sgpr37
	s_and_saveexec_b64 s[28:29], s[30:31]
	s_cbranch_execz .LBB86_277
; %bb.184:                              ;   in Loop: Header=BB86_21 Depth=1
	s_cmp_eq_u64 s[22:23], 1
	s_cselect_b64 s[8:9], -1, 0
	v_cmp_eq_u64_e32 vcc, 1, v[4:5]
	s_and_b64 s[40:41], s[8:9], vcc
	s_mov_b64 s[8:9], -1
                                        ; implicit-def: $sgpr36_sgpr37
                                        ; implicit-def: $sgpr34_sgpr35
	s_and_saveexec_b64 s[38:39], s[40:41]
	s_cbranch_execz .LBB86_218
; %bb.185:                              ;   in Loop: Header=BB86_21 Depth=1
	ds_read_b64 v[6:7], v3 offset:5120
	s_waitcnt lgkmcnt(0)
	s_barrier
	v_readfirstlane_b32 s30, v6
	v_readfirstlane_b32 s31, v7
	s_mov_b64 s[8:9], exec
	v_readlane_b32 s34, v57, 38
	v_readlane_b32 s35, v57, 39
	s_and_b64 s[34:35], s[8:9], s[34:35]
	s_mov_b64 exec, s[34:35]
; %bb.186:                              ;   in Loop: Header=BB86_21 Depth=1
	ds_write_b8 v0, v3 offset:3072
; %bb.187:                              ;   in Loop: Header=BB86_21 Depth=1
	s_or_b64 exec, exec, s[8:9]
	v_and_b32_e32 v6, s54, v31
	v_lshl_or_b32 v31, 2, s7, v6
	v_or_b32_e32 v35, s64, v35
	s_mov_b64 s[34:35], -1
	s_mov_b64 s[36:37], 0
	s_cmp_eq_u64 s[30:31], 0
	s_mov_b64 s[8:9], 0
	s_mov_b64 s[42:43], -1
	s_waitcnt lgkmcnt(0)
	s_barrier
                                        ; implicit-def: $vgpr36
	s_cbranch_scc1 .LBB86_203
; %bb.188:                              ;   in Loop: Header=BB86_21 Depth=1
	v_readlane_b32 s8, v57, 44
	s_add_u32 s46, s30, s8
	v_readlane_b32 s8, v57, 45
	s_addc_u32 s9, s31, s8
	s_mov_b32 s8, s99
	s_cmp_lg_u64 s[8:9], 0
	s_cbranch_scc0 .LBB86_244
; %bb.189:                              ;   in Loop: Header=BB86_21 Depth=1
	v_cvt_f32_u32_e32 v6, s94
	s_sub_u32 s8, 0, s94
	s_subb_u32 s44, 0, 0
	v_fmac_f32_e32 v6, 0, v33
	v_rcp_f32_e32 v6, v6
	s_nop 0
	v_mul_f32_e32 v6, 0x5f7ffffc, v6
	v_mul_f32_e32 v7, 0x2f800000, v6
	v_trunc_f32_e32 v7, v7
	v_fmac_f32_e32 v6, 0xcf800000, v7
	v_cvt_u32_f32_e32 v7, v7
	v_cvt_u32_f32_e32 v6, v6
	v_readfirstlane_b32 s45, v7
	v_readfirstlane_b32 s42, v6
	s_mul_i32 s43, s8, s45
	s_mul_hi_u32 s48, s8, s42
	s_mul_i32 s47, s44, s42
	s_add_i32 s43, s48, s43
	s_mul_i32 s49, s8, s42
	s_add_i32 s43, s43, s47
	s_mul_hi_u32 s48, s42, s49
	s_mul_i32 s50, s42, s43
	s_mul_hi_u32 s47, s42, s43
	s_add_u32 s48, s48, s50
	s_addc_u32 s47, 0, s47
	s_mul_hi_u32 s51, s45, s49
	s_mul_i32 s49, s45, s49
	s_add_u32 s48, s48, s49
	s_mul_hi_u32 s50, s45, s43
	s_addc_u32 s47, s47, s51
	s_addc_u32 s48, s50, 0
	s_mul_i32 s43, s45, s43
	s_add_u32 s43, s47, s43
	s_addc_u32 s47, 0, s48
	s_add_u32 s48, s42, s43
	s_cselect_b64 s[42:43], -1, 0
	s_cmp_lg_u64 s[42:43], 0
	s_addc_u32 s45, s45, s47
	s_mul_i32 s42, s8, s45
	s_mul_hi_u32 s43, s8, s48
	s_add_i32 s42, s43, s42
	s_mul_i32 s44, s44, s48
	s_add_i32 s42, s42, s44
	s_mul_i32 s8, s8, s48
	s_mul_hi_u32 s44, s45, s8
	s_mul_i32 s47, s45, s8
	s_mul_i32 s50, s48, s42
	s_mul_hi_u32 s8, s48, s8
	s_mul_hi_u32 s49, s48, s42
	s_add_u32 s8, s8, s50
	s_addc_u32 s49, 0, s49
	s_add_u32 s8, s8, s47
	s_mul_hi_u32 s43, s45, s42
	s_addc_u32 s8, s49, s44
	s_addc_u32 s43, s43, 0
	s_mul_i32 s42, s45, s42
	s_add_u32 s8, s8, s42
	s_addc_u32 s44, 0, s43
	s_add_u32 s8, s48, s8
	s_cselect_b64 s[42:43], -1, 0
	s_cmp_lg_u64 s[42:43], 0
	s_addc_u32 s42, s45, s44
	s_mul_i32 s44, s46, s42
	s_mul_hi_u32 s45, s46, s8
	s_mul_hi_u32 s43, s46, s42
	s_add_u32 s44, s45, s44
	s_addc_u32 s43, 0, s43
	s_mul_hi_u32 s47, s9, s8
	s_mul_i32 s8, s9, s8
	s_add_u32 s8, s44, s8
	s_mul_hi_u32 s45, s9, s42
	s_addc_u32 s8, s43, s47
	s_addc_u32 s43, s45, 0
	s_mul_i32 s42, s9, s42
	s_add_u32 s8, s8, s42
	s_addc_u32 s42, 0, s43
	s_mul_i32 s42, s94, s42
	s_mul_hi_u32 s43, s94, s8
	s_add_i32 s44, s43, s42
	s_mul_i32 s8, s94, s8
	s_sub_u32 s8, s46, s8
	s_cselect_b64 s[42:43], -1, 0
	s_cmp_lg_u64 s[42:43], 0
	s_subb_u32 s44, s9, s44
	s_sub_u32 s45, s8, s94
	s_cselect_b64 s[42:43], -1, 0
	s_cmp_lg_u64 s[42:43], 0
	s_subb_u32 s47, s44, 0
	;; [unrolled: 4-line block ×3, first 2 shown]
	s_cmp_ge_u32 s45, s94
	s_cselect_b32 s43, -1, 0
	s_cmp_eq_u32 s47, 0
	s_cselect_b32 s43, s43, -1
	s_cmp_lg_u32 s43, 0
	s_cselect_b32 s42, s42, s47
	s_cselect_b32 s45, s48, s45
	s_cmp_ge_u32 s8, s94
	s_cselect_b32 s43, -1, 0
	s_cmp_eq_u32 s44, 0
	s_cselect_b32 s43, s43, -1
	s_cmp_lg_u32 s43, 0
	s_cselect_b32 s43, s42, s44
	s_cselect_b32 s42, s45, s8
	s_cbranch_execnz .LBB86_191
.LBB86_190:                             ;   in Loop: Header=BB86_21 Depth=1
	v_cvt_f32_u32_e32 v6, s94
	s_sub_i32 s8, 0, s94
	v_rcp_iflag_f32_e32 v6, v6
	s_nop 0
	v_mul_f32_e32 v6, 0x4f7ffffe, v6
	v_cvt_u32_f32_e32 v6, v6
	s_nop 0
	v_readfirstlane_b32 s42, v6
	s_mul_i32 s8, s8, s42
	s_mul_hi_u32 s8, s42, s8
	s_add_i32 s42, s42, s8
	s_mul_hi_u32 s8, s46, s42
	s_mul_i32 s8, s8, s94
	s_sub_i32 s8, s46, s8
	s_sub_i32 s42, s8, s94
	s_cmp_ge_u32 s8, s94
	s_cselect_b32 s8, s42, s8
	s_sub_i32 s42, s8, s94
	s_cmp_ge_u32 s8, s94
	s_cselect_b32 s98, s42, s8
	s_mov_b64 s[42:43], s[98:99]
.LBB86_191:                             ;   in Loop: Header=BB86_21 Depth=1
	s_sub_u32 s46, s46, s42
	s_subb_u32 s47, s9, s43
	v_cmp_gt_u64_e32 vcc, s[46:47], v[0:1]
	s_mov_b64 s[42:43], 0
	s_mov_b64 s[8:9], 0
                                        ; implicit-def: $vgpr36
	s_and_saveexec_b64 s[44:45], vcc
	s_cbranch_execz .LBB86_202
; %bb.192:                              ;   in Loop: Header=BB86_21 Depth=1
	v_mov_b32_e32 v8, v0
	v_mov_b64_e32 v[6:7], v[0:1]
                                        ; implicit-def: $sgpr48_sgpr49
	s_branch .LBB86_195
.LBB86_193:                             ;   in Loop: Header=BB86_195 Depth=2
	s_or_b64 exec, exec, s[50:51]
	s_waitcnt lgkmcnt(0)
	s_barrier
	ds_read_u16 v9, v3 offset:3072
	s_mov_b64 s[50:51], -1
	s_waitcnt lgkmcnt(0)
	s_barrier
	v_cmp_ne_u32_sdwa s[52:53], v9, v3 src0_sel:BYTE_0 src1_sel:DWORD
	s_and_b64 vcc, exec, s[52:53]
	s_mov_b64 s[52:53], -1
	s_cbranch_vccz .LBB86_198
.LBB86_194:                             ;   in Loop: Header=BB86_195 Depth=2
	s_and_b64 s[50:51], exec, s[50:51]
	s_or_b64 s[8:9], s[50:51], s[8:9]
	s_andn2_b64 s[48:49], s[48:49], exec
	s_and_b64 s[50:51], s[52:53], exec
	s_or_b64 s[48:49], s[48:49], s[50:51]
	s_andn2_b64 exec, exec, s[8:9]
	s_cbranch_execz .LBB86_201
.LBB86_195:                             ;   Parent Loop BB86_21 Depth=1
                                        ; =>  This Inner Loop Header: Depth=2
	v_cmp_gt_u64_e32 vcc, s[30:31], v[6:7]
	s_and_saveexec_b64 s[50:51], vcc
	s_cbranch_execz .LBB86_193
; %bb.196:                              ;   in Loop: Header=BB86_195 Depth=2
	ds_read_u8 v9, v8
	s_waitcnt lgkmcnt(0)
	v_add_u32_sdwa v10, sext(v9), s76 dst_sel:DWORD dst_unused:UNUSED_PAD src0_sel:BYTE_0 src1_sel:DWORD
	v_and_b32_e32 v10, v10, v35
	v_cmp_eq_u32_e32 vcc, v10, v31
	s_and_b64 exec, exec, vcc
	s_cbranch_execz .LBB86_193
; %bb.197:                              ;   in Loop: Header=BB86_195 Depth=2
	v_lshlrev_b16_e32 v9, 8, v9
	v_or_b32_e32 v9, 1, v9
	ds_write_b16 v3, v9 offset:3072
	s_branch .LBB86_193
.LBB86_198:                             ;   in Loop: Header=BB86_195 Depth=2
	v_lshl_add_u64 v[6:7], v[6:7], 0, s[94:95]
	v_cmp_le_u64_e32 vcc, s[46:47], v[6:7]
	v_add_u32_e32 v8, s94, v8
	s_mov_b64 s[52:53], 0
	s_orn2_b64 s[50:51], vcc, exec
	s_branch .LBB86_194
.LBB86_199:                             ;   in Loop: Header=BB86_21 Depth=1
                                        ; implicit-def: $sgpr34_sgpr35
	s_branch .LBB86_141
.LBB86_200:                             ;   in Loop: Header=BB86_21 Depth=1
                                        ; implicit-def: $sgpr0_sgpr1
	s_branch .LBB86_160
.LBB86_201:                             ;   in Loop: Header=BB86_21 Depth=1
	s_or_b64 exec, exec, s[8:9]
	v_lshrrev_b32_sdwa v36, v34, v9 dst_sel:DWORD dst_unused:UNUSED_PAD src0_sel:DWORD src1_sel:WORD_0
	s_and_b64 s[8:9], s[48:49], exec
.LBB86_202:                             ;   in Loop: Header=BB86_21 Depth=1
	s_or_b64 exec, exec, s[44:45]
.LBB86_203:                             ;   in Loop: Header=BB86_21 Depth=1
	s_and_b64 vcc, exec, s[42:43]
	s_cbranch_vccz .LBB86_217
; %bb.204:                              ;   in Loop: Header=BB86_21 Depth=1
	s_mov_b32 s68, s99
	s_cmp_lg_u64 s[68:69], 0
	s_cbranch_scc0 .LBB86_245
; %bb.205:                              ;   in Loop: Header=BB86_21 Depth=1
	v_cvt_f32_u32_e32 v6, s94
	s_sub_u32 s34, 0, s94
	s_subb_u32 s35, 0, 0
	v_fmac_f32_e32 v6, 0, v33
	v_rcp_f32_e32 v6, v6
	s_nop 0
	v_mul_f32_e32 v6, 0x5f7ffffc, v6
	v_mul_f32_e32 v7, 0x2f800000, v6
	v_trunc_f32_e32 v7, v7
	v_fmac_f32_e32 v6, 0xcf800000, v7
	v_cvt_u32_f32_e32 v7, v7
	v_cvt_u32_f32_e32 v6, v6
	v_readfirstlane_b32 s36, v7
	v_readfirstlane_b32 s30, v6
	s_mul_i32 s31, s34, s36
	s_mul_hi_u32 s42, s34, s30
	s_mul_i32 s37, s35, s30
	s_add_i32 s31, s42, s31
	s_mul_i32 s43, s34, s30
	s_add_i32 s31, s31, s37
	s_mul_hi_u32 s42, s30, s43
	s_mul_i32 s44, s30, s31
	s_mul_hi_u32 s37, s30, s31
	s_add_u32 s42, s42, s44
	s_addc_u32 s37, 0, s37
	s_mul_hi_u32 s45, s36, s43
	s_mul_i32 s43, s36, s43
	s_add_u32 s42, s42, s43
	s_mul_hi_u32 s44, s36, s31
	s_addc_u32 s37, s37, s45
	s_addc_u32 s42, s44, 0
	s_mul_i32 s31, s36, s31
	s_add_u32 s31, s37, s31
	s_addc_u32 s37, 0, s42
	s_add_u32 s42, s30, s31
	s_cselect_b64 s[30:31], -1, 0
	s_cmp_lg_u64 s[30:31], 0
	s_addc_u32 s36, s36, s37
	s_mul_i32 s30, s34, s36
	s_mul_hi_u32 s31, s34, s42
	s_add_i32 s30, s31, s30
	s_mul_i32 s35, s35, s42
	s_add_i32 s30, s30, s35
	s_mul_i32 s34, s34, s42
	s_mul_hi_u32 s35, s36, s34
	s_mul_i32 s37, s36, s34
	s_mul_i32 s44, s42, s30
	s_mul_hi_u32 s34, s42, s34
	s_mul_hi_u32 s43, s42, s30
	s_add_u32 s34, s34, s44
	s_addc_u32 s43, 0, s43
	s_add_u32 s34, s34, s37
	s_mul_hi_u32 s31, s36, s30
	s_addc_u32 s34, s43, s35
	s_addc_u32 s31, s31, 0
	s_mul_i32 s30, s36, s30
	s_add_u32 s30, s34, s30
	s_addc_u32 s34, 0, s31
	s_add_u32 s35, s42, s30
	s_cselect_b64 s[30:31], -1, 0
	s_cmp_lg_u64 s[30:31], 0
	s_addc_u32 s30, s36, s34
	s_mul_i32 s34, s14, s30
	s_mul_hi_u32 s36, s14, s35
	s_mul_hi_u32 s31, s14, s30
	s_add_u32 s34, s36, s34
	s_addc_u32 s31, 0, s31
	s_mul_hi_u32 s37, s69, s35
	s_mul_i32 s35, s69, s35
	s_add_u32 s34, s34, s35
	s_mul_hi_u32 s36, s69, s30
	s_addc_u32 s31, s31, s37
	s_addc_u32 s34, s36, 0
	s_mul_i32 s30, s69, s30
	s_add_u32 s30, s31, s30
	s_addc_u32 s31, 0, s34
	s_mul_i32 s31, s94, s31
	s_mul_hi_u32 s34, s94, s30
	s_add_i32 s34, s34, s31
	s_mul_i32 s30, s94, s30
	s_sub_u32 s35, s14, s30
	s_cselect_b64 s[30:31], -1, 0
	s_cmp_lg_u64 s[30:31], 0
	s_subb_u32 s34, s69, s34
	s_sub_u32 s36, s35, s94
	s_cselect_b64 s[30:31], -1, 0
	s_cmp_lg_u64 s[30:31], 0
	s_subb_u32 s37, s34, 0
	;; [unrolled: 4-line block ×3, first 2 shown]
	s_cmp_ge_u32 s36, s94
	s_cselect_b32 s31, -1, 0
	s_cmp_eq_u32 s37, 0
	s_cselect_b32 s31, s31, -1
	s_cmp_lg_u32 s31, 0
	s_cselect_b32 s30, s30, s37
	s_cselect_b32 s36, s42, s36
	s_cmp_ge_u32 s35, s94
	s_cselect_b32 s31, -1, 0
	s_cmp_eq_u32 s34, 0
	s_cselect_b32 s31, s31, -1
	s_cmp_lg_u32 s31, 0
	s_cselect_b32 s31, s30, s34
	s_cselect_b32 s30, s36, s35
	s_cbranch_execnz .LBB86_207
.LBB86_206:                             ;   in Loop: Header=BB86_21 Depth=1
	v_cvt_f32_u32_e32 v6, s94
	s_sub_i32 s30, 0, s94
	v_rcp_iflag_f32_e32 v6, v6
	s_nop 0
	v_mul_f32_e32 v6, 0x4f7ffffe, v6
	v_cvt_u32_f32_e32 v6, v6
	s_nop 0
	v_readfirstlane_b32 s31, v6
	s_mul_i32 s30, s30, s31
	s_mul_hi_u32 s30, s31, s30
	s_add_i32 s31, s31, s30
	s_mul_hi_u32 s30, s14, s31
	s_mul_i32 s30, s30, s94
	s_sub_i32 s30, s14, s30
	s_sub_i32 s31, s30, s94
	s_cmp_ge_u32 s30, s94
	s_cselect_b32 s30, s31, s30
	s_sub_i32 s31, s30, s94
	s_cmp_ge_u32 s30, s94
	s_cselect_b32 s98, s31, s30
	s_mov_b64 s[30:31], s[98:99]
.LBB86_207:                             ;   in Loop: Header=BB86_21 Depth=1
	s_sub_u32 s34, s14, s30
	s_subb_u32 s35, s69, s31
	v_cmp_gt_u64_e32 vcc, s[34:35], v[0:1]
                                        ; implicit-def: $vgpr36
	s_and_saveexec_b64 s[30:31], vcc
	s_cbranch_execz .LBB86_216
; %bb.208:                              ;   in Loop: Header=BB86_21 Depth=1
	s_mov_b64 s[36:37], 0
	v_mov_b64_e32 v[6:7], v[0:1]
                                        ; implicit-def: $sgpr42_sgpr43
	s_branch .LBB86_211
.LBB86_209:                             ;   in Loop: Header=BB86_211 Depth=2
	s_or_b64 exec, exec, s[44:45]
	s_waitcnt lgkmcnt(0)
	s_barrier
	ds_read_u16 v8, v3 offset:3072
	s_mov_b64 s[44:45], -1
	s_waitcnt lgkmcnt(0)
	s_barrier
	v_cmp_eq_u32_sdwa s[46:47], v8, v3 src0_sel:BYTE_0 src1_sel:DWORD
	s_and_b64 vcc, exec, s[46:47]
	s_mov_b64 s[46:47], -1
	s_cbranch_vccnz .LBB86_214
.LBB86_210:                             ;   in Loop: Header=BB86_211 Depth=2
	s_and_b64 s[44:45], exec, s[44:45]
	s_or_b64 s[36:37], s[44:45], s[36:37]
	s_andn2_b64 s[42:43], s[42:43], exec
	s_and_b64 s[44:45], s[46:47], exec
	s_or_b64 s[42:43], s[42:43], s[44:45]
	s_andn2_b64 exec, exec, s[36:37]
	s_cbranch_execz .LBB86_215
.LBB86_211:                             ;   Parent Loop BB86_21 Depth=1
                                        ; =>  This Inner Loop Header: Depth=2
	v_cmp_gt_u64_e32 vcc, s[56:57], v[6:7]
	s_and_saveexec_b64 s[44:45], vcc
	s_cbranch_execz .LBB86_209
; %bb.212:                              ;   in Loop: Header=BB86_211 Depth=2
	v_mov_b64_e32 v[8:9], s[96:97]
	v_mad_u64_u32 v[8:9], s[46:47], v6, s84, v[8:9]
	v_mul_lo_u32 v10, v6, s85
	v_mul_lo_u32 v11, v7, s84
	v_add3_u32 v9, v11, v9, v10
	global_load_ubyte v8, v[8:9], off
	s_waitcnt vmcnt(0)
	v_add_u32_sdwa v9, sext(v8), s76 dst_sel:DWORD dst_unused:UNUSED_PAD src0_sel:BYTE_0 src1_sel:DWORD
	v_and_b32_e32 v9, v9, v35
	v_cmp_eq_u32_e32 vcc, v9, v31
	s_and_b64 exec, exec, vcc
	s_cbranch_execz .LBB86_209
; %bb.213:                              ;   in Loop: Header=BB86_211 Depth=2
	v_lshlrev_b16_e32 v8, 8, v8
	v_or_b32_e32 v8, 1, v8
	ds_write_b16 v3, v8 offset:3072
	s_branch .LBB86_209
.LBB86_214:                             ;   in Loop: Header=BB86_211 Depth=2
	v_lshl_add_u64 v[6:7], v[6:7], 0, s[94:95]
	v_cmp_le_u64_e32 vcc, s[34:35], v[6:7]
	s_mov_b64 s[46:47], 0
	s_orn2_b64 s[44:45], vcc, exec
	s_branch .LBB86_210
.LBB86_215:                             ;   in Loop: Header=BB86_21 Depth=1
	s_or_b64 exec, exec, s[36:37]
	s_andn2_b64 s[8:9], s[8:9], exec
	s_and_b64 s[34:35], s[42:43], exec
	v_lshrrev_b32_sdwa v36, v34, v8 dst_sel:DWORD dst_unused:UNUSED_PAD src0_sel:DWORD src1_sel:WORD_0
	s_or_b64 s[8:9], s[8:9], s[34:35]
.LBB86_216:                             ;   in Loop: Header=BB86_21 Depth=1
	s_or_b64 exec, exec, s[30:31]
	s_mov_b64 s[34:35], 0
	s_mov_b64 s[36:37], -1
.LBB86_217:                             ;   in Loop: Header=BB86_21 Depth=1
	s_orn2_b64 s[8:9], s[8:9], exec
.LBB86_218:                             ;   in Loop: Header=BB86_21 Depth=1
	s_or_b64 exec, exec, s[38:39]
	s_mov_b64 s[30:31], 0
	s_and_saveexec_b64 s[38:39], s[8:9]
	s_cbranch_execz .LBB86_276
; %bb.219:                              ;   in Loop: Header=BB86_21 Depth=1
	s_xor_b64 s[40:41], s[40:41], -1
	v_mov_b32_e32 v2, 1
	v_mov_b64_e32 v[6:7], 1
	s_and_saveexec_b64 s[8:9], s[40:41]
	s_cbranch_execz .LBB86_228
; %bb.220:                              ;   in Loop: Header=BB86_21 Depth=1
	v_cmp_ge_u64_e32 vcc, s[22:23], v[4:5]
	s_and_saveexec_b64 s[30:31], vcc
	s_xor_b64 s[30:31], exec, s[30:31]
	s_cbranch_execz .LBB86_225
; %bb.221:                              ;   in Loop: Header=BB86_21 Depth=1
	ds_read_b64 v[6:7], v3 offset:5120
	v_and_b32_e32 v2, s54, v31
	v_lshl_or_b32 v31, 2, s7, v2
	v_or_b32_e32 v35, s64, v35
	s_waitcnt lgkmcnt(0)
	v_cmp_ne_u64_e32 vcc, 0, v[6:7]
	s_cbranch_vccnz .LBB86_225
; %bb.222:                              ;   in Loop: Header=BB86_21 Depth=1
	s_mov_b64 s[40:41], exec
	v_readlane_b32 s42, v57, 28
	v_readlane_b32 s43, v57, 29
	s_and_b64 s[42:43], s[40:41], s[42:43]
	s_mov_b64 exec, s[42:43]
; %bb.223:                              ;   in Loop: Header=BB86_21 Depth=1
	v_mov_b64_e32 v[6:7], s[22:23]
	ds_write_b64 v3, v[6:7] offset:5128
; %bb.224:                              ;   in Loop: Header=BB86_21 Depth=1
	s_or_b64 exec, exec, s[40:41]
	s_waitcnt lgkmcnt(0)
	s_barrier
.LBB86_225:                             ;   in Loop: Header=BB86_21 Depth=1
	s_or_saveexec_b64 s[30:31], s[30:31]
	s_mov_b64 s[40:41], 0
	v_mov_b32_e32 v2, 8
	s_xor_b64 exec, exec, s[30:31]
; %bb.226:                              ;   in Loop: Header=BB86_21 Depth=1
	v_mov_b32_e32 v2, s23
	v_subrev_co_u32_e32 v4, vcc, s22, v4
	s_mov_b64 s[40:41], exec
	s_nop 0
	v_subb_co_u32_e32 v5, vcc, v5, v2, vcc
	v_mov_b32_e32 v2, 0
; %bb.227:                              ;   in Loop: Header=BB86_21 Depth=1
	s_or_b64 exec, exec, s[30:31]
	s_and_b64 s[30:31], s[40:41], exec
	v_mov_b64_e32 v[6:7], v[4:5]
.LBB86_228:                             ;   in Loop: Header=BB86_21 Depth=1
	s_or_b64 exec, exec, s[8:9]
	s_mov_b64 s[8:9], -1
                                        ; implicit-def: $sgpr46_sgpr47
                                        ; implicit-def: $sgpr44_sgpr45
	s_and_saveexec_b64 s[22:23], s[30:31]
	s_cbranch_execz .LBB86_275
; %bb.229:                              ;   in Loop: Header=BB86_21 Depth=1
	s_cmp_eq_u64 s[2:3], 1
	s_cselect_b64 s[8:9], -1, 0
	v_cmp_eq_u64_e32 vcc, 1, v[6:7]
	s_and_b64 s[40:41], s[8:9], vcc
	s_mov_b64 s[30:31], -1
                                        ; implicit-def: $sgpr46_sgpr47
                                        ; implicit-def: $sgpr44_sgpr45
	s_and_saveexec_b64 s[42:43], s[40:41]
	s_cbranch_execz .LBB86_263
; %bb.230:                              ;   in Loop: Header=BB86_21 Depth=1
	ds_read_b64 v[4:5], v3 offset:5120
	s_waitcnt lgkmcnt(0)
	s_barrier
	v_readfirstlane_b32 s30, v4
	v_readfirstlane_b32 s31, v5
	s_mov_b64 s[8:9], exec
	v_readlane_b32 s44, v57, 38
	v_readlane_b32 s45, v57, 39
	s_and_b64 s[44:45], s[8:9], s[44:45]
	s_mov_b64 exec, s[44:45]
; %bb.231:                              ;   in Loop: Header=BB86_21 Depth=1
	ds_write_b8 v0, v3 offset:3072
; %bb.232:                              ;   in Loop: Header=BB86_21 Depth=1
	s_or_b64 exec, exec, s[8:9]
	v_or_b32_e32 v31, s64, v31
	v_or_b32_e32 v35, s64, v35
	s_mov_b64 s[44:45], -1
	s_mov_b64 s[46:47], 0
	s_cmp_eq_u64 s[30:31], 0
	s_mov_b64 s[8:9], 0
	s_mov_b64 s[48:49], -1
	s_waitcnt lgkmcnt(0)
	s_barrier
                                        ; implicit-def: $vgpr36
	s_cbranch_scc1 .LBB86_248
; %bb.233:                              ;   in Loop: Header=BB86_21 Depth=1
	v_readlane_b32 s8, v57, 44
	s_add_u32 s52, s30, s8
	v_readlane_b32 s8, v57, 45
	s_addc_u32 s9, s31, s8
	s_mov_b32 s8, s99
	s_cmp_lg_u64 s[8:9], 0
	s_cbranch_scc0 .LBB86_282
; %bb.234:                              ;   in Loop: Header=BB86_21 Depth=1
	v_cvt_f32_u32_e32 v4, s94
	s_sub_u32 s8, 0, s94
	s_subb_u32 s50, 0, 0
	v_fmac_f32_e32 v4, 0, v33
	v_rcp_f32_e32 v4, v4
	s_nop 0
	v_mul_f32_e32 v4, 0x5f7ffffc, v4
	v_mul_f32_e32 v5, 0x2f800000, v4
	v_trunc_f32_e32 v5, v5
	v_fmac_f32_e32 v4, 0xcf800000, v5
	v_cvt_u32_f32_e32 v5, v5
	v_cvt_u32_f32_e32 v4, v4
	v_readfirstlane_b32 s51, v5
	v_readfirstlane_b32 s48, v4
	s_mul_i32 s49, s8, s51
	s_mul_hi_u32 s54, s8, s48
	s_mul_i32 s53, s50, s48
	s_add_i32 s49, s54, s49
	s_mul_i32 s55, s8, s48
	s_add_i32 s49, s49, s53
	s_mul_hi_u32 s54, s48, s55
	s_mul_i32 s60, s48, s49
	s_mul_hi_u32 s53, s48, s49
	s_add_u32 s54, s54, s60
	s_addc_u32 s53, 0, s53
	s_mul_hi_u32 s61, s51, s55
	s_mul_i32 s55, s51, s55
	s_add_u32 s54, s54, s55
	s_mul_hi_u32 s60, s51, s49
	s_addc_u32 s53, s53, s61
	s_addc_u32 s54, s60, 0
	s_mul_i32 s49, s51, s49
	s_add_u32 s49, s53, s49
	s_addc_u32 s53, 0, s54
	s_add_u32 s54, s48, s49
	s_cselect_b64 s[48:49], -1, 0
	s_cmp_lg_u64 s[48:49], 0
	s_addc_u32 s51, s51, s53
	s_mul_i32 s48, s8, s51
	s_mul_hi_u32 s49, s8, s54
	s_add_i32 s48, s49, s48
	s_mul_i32 s50, s50, s54
	s_add_i32 s48, s48, s50
	s_mul_i32 s8, s8, s54
	s_mul_hi_u32 s50, s51, s8
	s_mul_i32 s53, s51, s8
	s_mul_i32 s60, s54, s48
	s_mul_hi_u32 s8, s54, s8
	s_mul_hi_u32 s55, s54, s48
	s_add_u32 s8, s8, s60
	s_addc_u32 s55, 0, s55
	s_add_u32 s8, s8, s53
	s_mul_hi_u32 s49, s51, s48
	s_addc_u32 s8, s55, s50
	s_addc_u32 s49, s49, 0
	s_mul_i32 s48, s51, s48
	s_add_u32 s8, s8, s48
	s_addc_u32 s50, 0, s49
	s_add_u32 s8, s54, s8
	s_cselect_b64 s[48:49], -1, 0
	s_cmp_lg_u64 s[48:49], 0
	s_addc_u32 s48, s51, s50
	s_mul_i32 s50, s52, s48
	s_mul_hi_u32 s51, s52, s8
	s_mul_hi_u32 s49, s52, s48
	s_add_u32 s50, s51, s50
	s_addc_u32 s49, 0, s49
	s_mul_hi_u32 s53, s9, s8
	s_mul_i32 s8, s9, s8
	s_add_u32 s8, s50, s8
	s_mul_hi_u32 s51, s9, s48
	s_addc_u32 s8, s49, s53
	s_addc_u32 s49, s51, 0
	s_mul_i32 s48, s9, s48
	s_add_u32 s8, s8, s48
	s_addc_u32 s48, 0, s49
	s_mul_i32 s48, s94, s48
	s_mul_hi_u32 s49, s94, s8
	s_add_i32 s50, s49, s48
	s_mul_i32 s8, s94, s8
	s_sub_u32 s8, s52, s8
	s_cselect_b64 s[48:49], -1, 0
	s_cmp_lg_u64 s[48:49], 0
	s_subb_u32 s50, s9, s50
	s_sub_u32 s51, s8, s94
	s_cselect_b64 s[48:49], -1, 0
	s_cmp_lg_u64 s[48:49], 0
	s_subb_u32 s53, s50, 0
	;; [unrolled: 4-line block ×3, first 2 shown]
	s_cmp_ge_u32 s51, s94
	s_cselect_b32 s49, -1, 0
	s_cmp_eq_u32 s53, 0
	s_cselect_b32 s49, s49, -1
	s_cmp_lg_u32 s49, 0
	s_cselect_b32 s48, s48, s53
	s_cselect_b32 s51, s54, s51
	s_cmp_ge_u32 s8, s94
	s_cselect_b32 s49, -1, 0
	s_cmp_eq_u32 s50, 0
	s_cselect_b32 s49, s49, -1
	s_cmp_lg_u32 s49, 0
	s_cselect_b32 s49, s48, s50
	s_cselect_b32 s48, s51, s8
	s_cbranch_execnz .LBB86_236
.LBB86_235:                             ;   in Loop: Header=BB86_21 Depth=1
	v_cvt_f32_u32_e32 v4, s94
	s_sub_i32 s8, 0, s94
	v_rcp_iflag_f32_e32 v4, v4
	s_nop 0
	v_mul_f32_e32 v4, 0x4f7ffffe, v4
	v_cvt_u32_f32_e32 v4, v4
	s_nop 0
	v_readfirstlane_b32 s48, v4
	s_mul_i32 s8, s8, s48
	s_mul_hi_u32 s8, s48, s8
	s_add_i32 s48, s48, s8
	s_mul_hi_u32 s8, s52, s48
	s_mul_i32 s8, s8, s94
	s_sub_i32 s8, s52, s8
	s_sub_i32 s48, s8, s94
	s_cmp_ge_u32 s8, s94
	s_cselect_b32 s8, s48, s8
	s_sub_i32 s48, s8, s94
	s_cmp_ge_u32 s8, s94
	s_cselect_b32 s98, s48, s8
	s_mov_b64 s[48:49], s[98:99]
.LBB86_236:                             ;   in Loop: Header=BB86_21 Depth=1
	s_sub_u32 s52, s52, s48
	s_subb_u32 s53, s9, s49
	v_cmp_gt_u64_e32 vcc, s[52:53], v[0:1]
	s_mov_b64 s[48:49], 0
	s_mov_b64 s[8:9], 0
                                        ; implicit-def: $vgpr36
	s_and_saveexec_b64 s[50:51], vcc
	s_cbranch_execz .LBB86_247
; %bb.237:                              ;   in Loop: Header=BB86_21 Depth=1
	v_mov_b32_e32 v8, v0
	v_mov_b64_e32 v[4:5], v[0:1]
                                        ; implicit-def: $sgpr54_sgpr55
	s_branch .LBB86_240
.LBB86_238:                             ;   in Loop: Header=BB86_240 Depth=2
	s_or_b64 exec, exec, s[60:61]
	s_waitcnt lgkmcnt(0)
	s_barrier
	ds_read_u16 v9, v3 offset:3072
	s_mov_b64 s[60:61], -1
	s_waitcnt lgkmcnt(0)
	s_barrier
	v_cmp_ne_u32_sdwa s[62:63], v9, v3 src0_sel:BYTE_0 src1_sel:DWORD
	s_and_b64 vcc, exec, s[62:63]
	s_mov_b64 s[62:63], -1
	s_cbranch_vccz .LBB86_243
.LBB86_239:                             ;   in Loop: Header=BB86_240 Depth=2
	s_and_b64 s[60:61], exec, s[60:61]
	s_or_b64 s[8:9], s[60:61], s[8:9]
	s_andn2_b64 s[54:55], s[54:55], exec
	s_and_b64 s[60:61], s[62:63], exec
	s_or_b64 s[54:55], s[54:55], s[60:61]
	s_andn2_b64 exec, exec, s[8:9]
	s_cbranch_execz .LBB86_246
.LBB86_240:                             ;   Parent Loop BB86_21 Depth=1
                                        ; =>  This Inner Loop Header: Depth=2
	v_cmp_gt_u64_e32 vcc, s[30:31], v[4:5]
	s_and_saveexec_b64 s[60:61], vcc
	s_cbranch_execz .LBB86_238
; %bb.241:                              ;   in Loop: Header=BB86_240 Depth=2
	ds_read_u8 v9, v8
	s_waitcnt lgkmcnt(0)
	v_add_u32_sdwa v10, sext(v9), s76 dst_sel:DWORD dst_unused:UNUSED_PAD src0_sel:BYTE_0 src1_sel:DWORD
	v_and_b32_e32 v10, v10, v35
	v_cmp_eq_u32_e32 vcc, v10, v31
	s_and_b64 exec, exec, vcc
	s_cbranch_execz .LBB86_238
; %bb.242:                              ;   in Loop: Header=BB86_240 Depth=2
	v_lshlrev_b16_e32 v9, 8, v9
	v_or_b32_e32 v9, 1, v9
	ds_write_b16 v3, v9 offset:3072
	s_branch .LBB86_238
.LBB86_243:                             ;   in Loop: Header=BB86_240 Depth=2
	v_lshl_add_u64 v[4:5], v[4:5], 0, s[94:95]
	v_cmp_le_u64_e32 vcc, s[52:53], v[4:5]
	v_add_u32_e32 v8, s94, v8
	s_mov_b64 s[62:63], 0
	s_orn2_b64 s[60:61], vcc, exec
	s_branch .LBB86_239
.LBB86_244:                             ;   in Loop: Header=BB86_21 Depth=1
                                        ; implicit-def: $sgpr42_sgpr43
	s_branch .LBB86_190
.LBB86_245:                             ;   in Loop: Header=BB86_21 Depth=1
                                        ; implicit-def: $sgpr30_sgpr31
	s_branch .LBB86_206
.LBB86_246:                             ;   in Loop: Header=BB86_21 Depth=1
	s_or_b64 exec, exec, s[8:9]
	v_lshrrev_b32_sdwa v36, v34, v9 dst_sel:DWORD dst_unused:UNUSED_PAD src0_sel:DWORD src1_sel:WORD_0
	s_and_b64 s[8:9], s[54:55], exec
.LBB86_247:                             ;   in Loop: Header=BB86_21 Depth=1
	s_or_b64 exec, exec, s[50:51]
.LBB86_248:                             ;   in Loop: Header=BB86_21 Depth=1
	s_and_b64 vcc, exec, s[48:49]
	s_cbranch_vccz .LBB86_262
; %bb.249:                              ;   in Loop: Header=BB86_21 Depth=1
	s_mov_b32 s68, s99
	s_cmp_lg_u64 s[68:69], 0
	s_cbranch_scc0 .LBB86_283
; %bb.250:                              ;   in Loop: Header=BB86_21 Depth=1
	v_cvt_f32_u32_e32 v4, s94
	s_sub_u32 s44, 0, s94
	s_subb_u32 s45, 0, 0
	v_fmac_f32_e32 v4, 0, v33
	v_rcp_f32_e32 v4, v4
	s_nop 0
	v_mul_f32_e32 v4, 0x5f7ffffc, v4
	v_mul_f32_e32 v5, 0x2f800000, v4
	v_trunc_f32_e32 v5, v5
	v_fmac_f32_e32 v4, 0xcf800000, v5
	v_cvt_u32_f32_e32 v5, v5
	v_cvt_u32_f32_e32 v4, v4
	v_readfirstlane_b32 s46, v5
	v_readfirstlane_b32 s30, v4
	s_mul_i32 s31, s44, s46
	s_mul_hi_u32 s48, s44, s30
	s_mul_i32 s47, s45, s30
	s_add_i32 s31, s48, s31
	s_mul_i32 s49, s44, s30
	s_add_i32 s31, s31, s47
	s_mul_hi_u32 s48, s30, s49
	s_mul_i32 s50, s30, s31
	s_mul_hi_u32 s47, s30, s31
	s_add_u32 s48, s48, s50
	s_addc_u32 s47, 0, s47
	s_mul_hi_u32 s51, s46, s49
	s_mul_i32 s49, s46, s49
	s_add_u32 s48, s48, s49
	s_mul_hi_u32 s50, s46, s31
	s_addc_u32 s47, s47, s51
	s_addc_u32 s48, s50, 0
	s_mul_i32 s31, s46, s31
	s_add_u32 s31, s47, s31
	s_addc_u32 s47, 0, s48
	s_add_u32 s48, s30, s31
	s_cselect_b64 s[30:31], -1, 0
	s_cmp_lg_u64 s[30:31], 0
	s_addc_u32 s46, s46, s47
	s_mul_i32 s30, s44, s46
	s_mul_hi_u32 s31, s44, s48
	s_add_i32 s30, s31, s30
	s_mul_i32 s45, s45, s48
	s_add_i32 s30, s30, s45
	s_mul_i32 s44, s44, s48
	s_mul_hi_u32 s45, s46, s44
	s_mul_i32 s47, s46, s44
	s_mul_i32 s50, s48, s30
	s_mul_hi_u32 s44, s48, s44
	s_mul_hi_u32 s49, s48, s30
	s_add_u32 s44, s44, s50
	s_addc_u32 s49, 0, s49
	s_add_u32 s44, s44, s47
	s_mul_hi_u32 s31, s46, s30
	s_addc_u32 s44, s49, s45
	s_addc_u32 s31, s31, 0
	s_mul_i32 s30, s46, s30
	s_add_u32 s30, s44, s30
	s_addc_u32 s44, 0, s31
	s_add_u32 s45, s48, s30
	s_cselect_b64 s[30:31], -1, 0
	s_cmp_lg_u64 s[30:31], 0
	s_addc_u32 s30, s46, s44
	s_mul_i32 s44, s14, s30
	s_mul_hi_u32 s46, s14, s45
	s_mul_hi_u32 s31, s14, s30
	s_add_u32 s44, s46, s44
	s_addc_u32 s31, 0, s31
	s_mul_hi_u32 s47, s69, s45
	s_mul_i32 s45, s69, s45
	s_add_u32 s44, s44, s45
	s_mul_hi_u32 s46, s69, s30
	s_addc_u32 s31, s31, s47
	s_addc_u32 s44, s46, 0
	s_mul_i32 s30, s69, s30
	s_add_u32 s30, s31, s30
	s_addc_u32 s31, 0, s44
	s_mul_i32 s31, s94, s31
	s_mul_hi_u32 s44, s94, s30
	s_add_i32 s44, s44, s31
	s_mul_i32 s30, s94, s30
	s_sub_u32 s45, s14, s30
	s_cselect_b64 s[30:31], -1, 0
	s_cmp_lg_u64 s[30:31], 0
	s_subb_u32 s44, s69, s44
	s_sub_u32 s46, s45, s94
	s_cselect_b64 s[30:31], -1, 0
	s_cmp_lg_u64 s[30:31], 0
	s_subb_u32 s47, s44, 0
	;; [unrolled: 4-line block ×3, first 2 shown]
	s_cmp_ge_u32 s46, s94
	s_cselect_b32 s31, -1, 0
	s_cmp_eq_u32 s47, 0
	s_cselect_b32 s31, s31, -1
	s_cmp_lg_u32 s31, 0
	s_cselect_b32 s30, s30, s47
	s_cselect_b32 s46, s48, s46
	s_cmp_ge_u32 s45, s94
	s_cselect_b32 s31, -1, 0
	s_cmp_eq_u32 s44, 0
	s_cselect_b32 s31, s31, -1
	s_cmp_lg_u32 s31, 0
	s_cselect_b32 s31, s30, s44
	s_cselect_b32 s30, s46, s45
	s_cbranch_execnz .LBB86_252
.LBB86_251:                             ;   in Loop: Header=BB86_21 Depth=1
	v_cvt_f32_u32_e32 v4, s94
	s_sub_i32 s30, 0, s94
	v_rcp_iflag_f32_e32 v4, v4
	s_nop 0
	v_mul_f32_e32 v4, 0x4f7ffffe, v4
	v_cvt_u32_f32_e32 v4, v4
	s_nop 0
	v_readfirstlane_b32 s31, v4
	s_mul_i32 s30, s30, s31
	s_mul_hi_u32 s30, s31, s30
	s_add_i32 s31, s31, s30
	s_mul_hi_u32 s30, s14, s31
	s_mul_i32 s30, s30, s94
	s_sub_i32 s30, s14, s30
	s_sub_i32 s31, s30, s94
	s_cmp_ge_u32 s30, s94
	s_cselect_b32 s30, s31, s30
	s_sub_i32 s31, s30, s94
	s_cmp_ge_u32 s30, s94
	s_cselect_b32 s98, s31, s30
	s_mov_b64 s[30:31], s[98:99]
.LBB86_252:                             ;   in Loop: Header=BB86_21 Depth=1
	s_sub_u32 s44, s14, s30
	s_subb_u32 s45, s69, s31
	v_cmp_gt_u64_e32 vcc, s[44:45], v[0:1]
                                        ; implicit-def: $vgpr36
	s_and_saveexec_b64 s[30:31], vcc
	s_cbranch_execz .LBB86_261
; %bb.253:                              ;   in Loop: Header=BB86_21 Depth=1
	s_mov_b64 s[46:47], 0
	v_mov_b64_e32 v[4:5], v[0:1]
                                        ; implicit-def: $sgpr48_sgpr49
	s_branch .LBB86_256
.LBB86_254:                             ;   in Loop: Header=BB86_256 Depth=2
	s_or_b64 exec, exec, s[50:51]
	s_waitcnt lgkmcnt(0)
	s_barrier
	ds_read_u16 v8, v3 offset:3072
	s_mov_b64 s[50:51], -1
	s_waitcnt lgkmcnt(0)
	s_barrier
	v_cmp_eq_u32_sdwa s[52:53], v8, v3 src0_sel:BYTE_0 src1_sel:DWORD
	s_and_b64 vcc, exec, s[52:53]
	s_mov_b64 s[52:53], -1
	s_cbranch_vccnz .LBB86_259
.LBB86_255:                             ;   in Loop: Header=BB86_256 Depth=2
	s_and_b64 s[50:51], exec, s[50:51]
	s_or_b64 s[46:47], s[50:51], s[46:47]
	s_andn2_b64 s[48:49], s[48:49], exec
	s_and_b64 s[50:51], s[52:53], exec
	s_or_b64 s[48:49], s[48:49], s[50:51]
	s_andn2_b64 exec, exec, s[46:47]
	s_cbranch_execz .LBB86_260
.LBB86_256:                             ;   Parent Loop BB86_21 Depth=1
                                        ; =>  This Inner Loop Header: Depth=2
	v_cmp_gt_u64_e32 vcc, s[56:57], v[4:5]
	s_and_saveexec_b64 s[50:51], vcc
	s_cbranch_execz .LBB86_254
; %bb.257:                              ;   in Loop: Header=BB86_256 Depth=2
	v_mov_b64_e32 v[8:9], s[96:97]
	v_mad_u64_u32 v[8:9], s[52:53], v4, s84, v[8:9]
	v_mul_lo_u32 v10, v4, s85
	v_mul_lo_u32 v11, v5, s84
	v_add3_u32 v9, v11, v9, v10
	global_load_ubyte v8, v[8:9], off
	s_waitcnt vmcnt(0)
	v_add_u32_sdwa v9, sext(v8), s76 dst_sel:DWORD dst_unused:UNUSED_PAD src0_sel:BYTE_0 src1_sel:DWORD
	v_and_b32_e32 v9, v9, v35
	v_cmp_eq_u32_e32 vcc, v9, v31
	s_and_b64 exec, exec, vcc
	s_cbranch_execz .LBB86_254
; %bb.258:                              ;   in Loop: Header=BB86_256 Depth=2
	v_lshlrev_b16_e32 v8, 8, v8
	v_or_b32_e32 v8, 1, v8
	ds_write_b16 v3, v8 offset:3072
	s_branch .LBB86_254
.LBB86_259:                             ;   in Loop: Header=BB86_256 Depth=2
	v_lshl_add_u64 v[4:5], v[4:5], 0, s[94:95]
	v_cmp_le_u64_e32 vcc, s[44:45], v[4:5]
	s_mov_b64 s[52:53], 0
	s_orn2_b64 s[50:51], vcc, exec
	s_branch .LBB86_255
.LBB86_260:                             ;   in Loop: Header=BB86_21 Depth=1
	s_or_b64 exec, exec, s[46:47]
	s_andn2_b64 s[8:9], s[8:9], exec
	s_and_b64 s[44:45], s[48:49], exec
	v_lshrrev_b32_sdwa v36, v34, v8 dst_sel:DWORD dst_unused:UNUSED_PAD src0_sel:DWORD src1_sel:WORD_0
	s_or_b64 s[8:9], s[8:9], s[44:45]
.LBB86_261:                             ;   in Loop: Header=BB86_21 Depth=1
	s_or_b64 exec, exec, s[30:31]
	s_mov_b64 s[44:45], 0
	s_mov_b64 s[46:47], -1
.LBB86_262:                             ;   in Loop: Header=BB86_21 Depth=1
	s_orn2_b64 s[30:31], s[8:9], exec
.LBB86_263:                             ;   in Loop: Header=BB86_21 Depth=1
	s_or_b64 exec, exec, s[42:43]
	s_mov_b64 s[42:43], 0
	s_and_saveexec_b64 s[8:9], s[30:31]
	s_cbranch_execz .LBB86_274
; %bb.264:                              ;   in Loop: Header=BB86_21 Depth=1
	s_xor_b64 s[40:41], s[40:41], -1
	v_mov_b64_e32 v[4:5], 1
	v_mov_b32_e32 v2, 1
	s_and_saveexec_b64 s[30:31], s[40:41]
	s_cbranch_execz .LBB86_273
; %bb.265:                              ;   in Loop: Header=BB86_21 Depth=1
	v_cmp_ge_u64_e32 vcc, s[2:3], v[6:7]
	s_and_saveexec_b64 s[40:41], vcc
	s_xor_b64 s[40:41], exec, s[40:41]
	s_cbranch_execz .LBB86_270
; %bb.266:                              ;   in Loop: Header=BB86_21 Depth=1
	ds_read_b64 v[4:5], v3 offset:5120
	v_or_b32_e32 v31, s64, v31
	v_or_b32_e32 v35, s64, v35
	s_waitcnt lgkmcnt(0)
	v_cmp_ne_u64_e32 vcc, 0, v[4:5]
	s_cbranch_vccnz .LBB86_270
; %bb.267:                              ;   in Loop: Header=BB86_21 Depth=1
	s_mov_b64 s[42:43], exec
	v_readlane_b32 s48, v57, 28
	v_readlane_b32 s49, v57, 29
	s_and_b64 s[48:49], s[42:43], s[48:49]
	s_mov_b64 exec, s[48:49]
; %bb.268:                              ;   in Loop: Header=BB86_21 Depth=1
	v_mov_b64_e32 v[4:5], s[2:3]
	ds_write_b64 v3, v[4:5] offset:5128
; %bb.269:                              ;   in Loop: Header=BB86_21 Depth=1
	s_or_b64 exec, exec, s[42:43]
	s_waitcnt lgkmcnt(0)
	s_barrier
.LBB86_270:                             ;   in Loop: Header=BB86_21 Depth=1
	s_andn2_saveexec_b64 s[40:41], s[40:41]
; %bb.271:                              ;   in Loop: Header=BB86_21 Depth=1
	v_mov_b32_e32 v2, s3
	v_subrev_co_u32_e32 v6, vcc, s2, v6
	s_nop 1
	v_subb_co_u32_e32 v7, vcc, v7, v2, vcc
; %bb.272:                              ;   in Loop: Header=BB86_21 Depth=1
	s_or_b64 exec, exec, s[40:41]
	v_mov_b32_e32 v2, 8
	v_mov_b64_e32 v[4:5], v[6:7]
.LBB86_273:                             ;   in Loop: Header=BB86_21 Depth=1
	s_or_b64 exec, exec, s[30:31]
	s_mov_b64 s[42:43], exec
	v_mov_b64_e32 v[6:7], v[4:5]
.LBB86_274:                             ;   in Loop: Header=BB86_21 Depth=1
	s_or_b64 exec, exec, s[8:9]
	s_orn2_b64 s[8:9], s[42:43], exec
.LBB86_275:                             ;   in Loop: Header=BB86_21 Depth=1
	s_or_b64 exec, exec, s[22:23]
	s_andn2_b64 s[2:3], s[36:37], exec
	s_and_b64 s[22:23], s[46:47], exec
	s_or_b64 s[36:37], s[2:3], s[22:23]
	s_andn2_b64 s[2:3], s[34:35], exec
	s_and_b64 s[22:23], s[44:45], exec
	s_or_b64 s[34:35], s[2:3], s[22:23]
	s_and_b64 s[30:31], s[8:9], exec
	v_mov_b64_e32 v[4:5], v[6:7]
.LBB86_276:                             ;   in Loop: Header=BB86_21 Depth=1
	s_or_b64 exec, exec, s[38:39]
	s_orn2_b64 s[8:9], s[30:31], exec
.LBB86_277:                             ;   in Loop: Header=BB86_21 Depth=1
	s_or_b64 exec, exec, s[28:29]
	s_andn2_b64 s[2:3], s[24:25], exec
	s_and_b64 s[22:23], s[36:37], exec
	s_or_b64 s[24:25], s[2:3], s[22:23]
	s_andn2_b64 s[0:1], s[0:1], exec
	s_and_b64 s[2:3], s[34:35], exec
	s_or_b64 s[0:1], s[0:1], s[2:3]
	s_and_b64 s[30:31], s[8:9], exec
	v_mov_b64_e32 v[8:9], v[4:5]
.LBB86_278:                             ;   in Loop: Header=BB86_21 Depth=1
	s_or_b64 exec, exec, s[26:27]
	s_orn2_b64 s[8:9], s[30:31], exec
.LBB86_279:                             ;   in Loop: Header=BB86_21 Depth=1
	s_or_b64 exec, exec, s[20:21]
	s_mov_b64 s[20:21], 0
	s_and_saveexec_b64 s[2:3], s[8:9]
	s_xor_b64 s[2:3], exec, s[2:3]
	s_cbranch_execz .LBB86_19
; %bb.280:                              ;   in Loop: Header=BB86_21 Depth=1
	v_and_b32_e32 v2, 7, v2
	v_cmp_eq_u32_e32 vcc, 0, v2
	s_mov_b64 s[8:9], -1
	s_mov_b64 s[18:19], -1
	s_and_saveexec_b64 s[20:21], vcc
	s_cbranch_execz .LBB86_18
; %bb.281:                              ;   in Loop: Header=BB86_21 Depth=1
	s_xor_b32 s87, s87, 1
	s_add_i32 s22, s7, -2
	s_cmp_eq_u32 s7, 0
	s_cselect_b64 s[8:9], -1, 0
	s_xor_b64 s[18:19], exec, -1
	s_orn2_b64 s[8:9], s[8:9], exec
	s_mov_b32 s7, s22
	s_branch .LBB86_18
.LBB86_282:                             ;   in Loop: Header=BB86_21 Depth=1
                                        ; implicit-def: $sgpr48_sgpr49
	s_branch .LBB86_235
.LBB86_283:                             ;   in Loop: Header=BB86_21 Depth=1
                                        ; implicit-def: $sgpr30_sgpr31
	s_branch .LBB86_251
.LBB86_284:
	s_or_b64 exec, exec, s[12:13]
	s_xor_b64 s[6:7], s[72:73], -1
	s_xor_b64 s[0:1], s[90:91], -1
	;; [unrolled: 1-line block ×3, first 2 shown]
	s_mov_b64 s[2:3], 0
	s_and_saveexec_b64 s[8:9], s[0:1]
	s_xor_b64 s[0:1], exec, s[8:9]
	s_cbranch_execnz .LBB86_289
; %bb.285:
	s_andn2_saveexec_b64 s[0:1], s[0:1]
	s_cbranch_execnz .LBB86_302
.LBB86_286:
	s_or_b64 exec, exec, s[0:1]
	s_and_saveexec_b64 s[0:1], s[2:3]
.LBB86_287:
	; divergent unreachable
.LBB86_288:
	s_endpgm
.LBB86_289:
	s_and_saveexec_b64 s[2:3], s[6:7]
	s_xor_b64 s[2:3], exec, s[2:3]
	s_cbranch_execz .LBB86_300
; %bb.290:
	s_and_saveexec_b64 s[6:7], s[4:5]
	s_xor_b64 s[4:5], exec, s[6:7]
; %bb.291:
	v_xor_b32_e32 v36, 0xffffff80, v31
; %bb.292:
	s_or_b64 exec, exec, s[4:5]
	v_readlane_b32 s8, v57, 2
	v_readlane_b32 s4, v57, 0
	;; [unrolled: 1-line block ×4, first 2 shown]
	s_mov_b32 s14, s4
	s_mul_i32 s4, s4, s9
	s_mul_hi_u32 s5, s14, s8
	s_add_i32 s5, s5, s4
	s_mul_i32 s4, s14, s8
	v_readlane_b32 s12, v57, 6
	v_readlane_b32 s16, v57, 24
	;; [unrolled: 1-line block ×3, first 2 shown]
	s_sub_u32 s4, s12, s4
	v_readlane_b32 s18, v57, 26
	v_readlane_b32 s19, v57, 27
	s_subb_u32 s5, s13, s5
	s_mul_i32 s6, s4, s19
	s_mul_hi_u32 s7, s4, s18
	v_readlane_b32 s10, v57, 4
	v_readlane_b32 s11, v57, 5
	;; [unrolled: 1-line block ×3, first 2 shown]
	s_add_i32 s6, s7, s6
	s_mul_i32 s5, s5, s18
	s_add_i32 s6, s6, s5
	s_mul_i32 s5, s14, s17
	s_mul_hi_u32 s7, s14, s16
	s_mul_i32 s8, s12, s11
	s_mul_hi_u32 s9, s12, s10
	s_mul_i32 s4, s4, s18
	s_add_i32 s7, s7, s5
	s_add_i32 s9, s9, s8
	s_mul_i32 s8, s12, s10
	v_readlane_b32 s18, v57, 34
	v_readlane_b32 s12, v57, 22
	s_sub_u32 s8, s18, s8
	v_readlane_b32 s13, v57, 23
	s_subb_u32 s9, 0, s9
	s_mul_i32 s10, s8, s13
	s_mul_hi_u32 s11, s8, s12
	s_add_i32 s10, s11, s10
	s_mul_i32 s9, s9, s12
	s_mul_i32 s5, s14, s16
	s_add_i32 s10, s10, s9
	s_mul_i32 s8, s8, s12
	v_readlane_b32 s12, v57, 32
	v_readlane_b32 s13, v57, 33
	s_add_u32 s5, s12, s5
	s_addc_u32 s7, s13, s7
	s_add_u32 s4, s5, s4
	s_addc_u32 s5, s7, s6
	;; [unrolled: 2-line block ×3, first 2 shown]
	v_mov_b32_e32 v2, 0
	v_readlane_b32 s19, v57, 35
	global_store_byte v2, v36, s[4:5]
	s_mov_b64 s[4:5], exec
	v_readlane_b32 s6, v57, 36
	v_readlane_b32 s7, v57, 37
	s_and_b64 s[6:7], s[4:5], s[6:7]
	s_mov_b64 exec, s[6:7]
	s_cbranch_execz .LBB86_299
; %bb.293:
	s_mov_b64 s[6:7], 0
	v_mov_b64_e32 v[4:5], s[96:97]
                                        ; implicit-def: $sgpr8_sgpr9
                                        ; implicit-def: $sgpr12_sgpr13
                                        ; implicit-def: $sgpr10_sgpr11
	s_branch .LBB86_295
.LBB86_294:                             ;   in Loop: Header=BB86_295 Depth=1
	s_or_b64 exec, exec, s[14:15]
	s_and_b64 s[14:15], exec, s[12:13]
	s_or_b64 s[6:7], s[14:15], s[6:7]
	s_andn2_b64 s[8:9], s[8:9], exec
	s_and_b64 s[14:15], s[10:11], exec
	s_or_b64 s[8:9], s[8:9], s[14:15]
	s_andn2_b64 exec, exec, s[6:7]
	s_cbranch_execz .LBB86_297
.LBB86_295:                             ; =>This Inner Loop Header: Depth=1
	v_mov_b64_e32 v[2:3], v[0:1]
	v_mad_u64_u32 v[0:1], s[14:15], v2, s84, v[4:5]
	v_mul_lo_u32 v6, v2, s85
	v_mul_lo_u32 v7, v3, s84
	v_add3_u32 v1, v7, v1, v6
	global_load_ubyte v0, v[0:1], off
	s_or_b64 s[10:11], s[10:11], exec
	s_or_b64 s[12:13], s[12:13], exec
	s_waitcnt vmcnt(0)
	v_cmp_ne_u16_sdwa s[16:17], v0, v36 src0_sel:DWORD src1_sel:BYTE_0
                                        ; implicit-def: $vgpr0_vgpr1
	s_and_saveexec_b64 s[14:15], s[16:17]
	s_cbranch_execz .LBB86_294
; %bb.296:                              ;   in Loop: Header=BB86_295 Depth=1
	v_lshl_add_u64 v[0:1], v[2:3], 0, s[94:95]
	v_cmp_le_u64_e32 vcc, s[56:57], v[0:1]
	s_andn2_b64 s[12:13], s[12:13], exec
	s_and_b64 s[16:17], vcc, exec
	s_andn2_b64 s[10:11], s[10:11], exec
	s_or_b64 s[12:13], s[12:13], s[16:17]
	s_branch .LBB86_294
.LBB86_297:
	s_or_b64 exec, exec, s[6:7]
	s_and_saveexec_b64 s[6:7], s[8:9]
	s_xor_b64 s[6:7], exec, s[6:7]
	s_cbranch_execz .LBB86_299
; %bb.298:
	v_readlane_b32 s12, v57, 8
	v_readlane_b32 s6, v57, 12
	;; [unrolled: 1-line block ×4, first 2 shown]
	s_mov_b32 s10, s6
	s_mul_i32 s6, s6, s13
	s_mul_hi_u32 s7, s10, s12
	s_add_i32 s7, s7, s6
	s_mul_i32 s6, s10, s12
	v_readlane_b32 s12, v57, 14
	v_readlane_b32 s20, v57, 18
	;; [unrolled: 1-line block ×3, first 2 shown]
	s_sub_u32 s6, s12, s6
	v_readlane_b32 s22, v57, 20
	v_readlane_b32 s23, v57, 21
	s_subb_u32 s7, s13, s7
	s_mul_i32 s8, s6, s23
	s_mul_hi_u32 s9, s6, s22
	v_readlane_b32 s21, v57, 19
	s_add_i32 s8, s9, s8
	s_mul_i32 s7, s7, s22
	v_readlane_b32 s14, v57, 10
	v_readlane_b32 s15, v57, 11
	s_add_i32 s7, s8, s7
	s_mul_i32 s8, s10, s21
	s_mul_hi_u32 s9, s10, s20
	s_add_i32 s9, s9, s8
	s_mul_i32 s8, s10, s20
	s_mul_i32 s10, s12, s15
	s_mul_hi_u32 s11, s12, s14
	s_add_i32 s11, s11, s10
	s_mul_i32 s10, s12, s14
	v_readlane_b32 s14, v57, 16
	s_sub_u32 s10, s18, s10
	v_readlane_b32 s15, v57, 17
	s_subb_u32 s11, 0, s11
	s_mul_i32 s12, s10, s15
	s_mul_hi_u32 s13, s10, s14
	s_add_i32 s12, s13, s12
	s_mul_i32 s11, s11, s14
	s_add_i32 s11, s12, s11
	s_lshl_b64 s[8:9], s[8:9], 3
	v_readlane_b32 s12, v57, 30
	s_mul_i32 s6, s6, s22
	v_readlane_b32 s13, v57, 31
	s_add_u32 s8, s12, s8
	s_addc_u32 s9, s13, s9
	s_lshl_b64 s[6:7], s[6:7], 3
	s_mul_i32 s10, s10, s14
	s_add_u32 s8, s8, s6
	s_addc_u32 s9, s9, s7
	s_lshl_b64 s[6:7], s[10:11], 3
	s_add_u32 s6, s8, s6
	s_addc_u32 s7, s9, s7
	v_mov_b32_e32 v0, 0
	global_store_dwordx2 v0, v[2:3], s[6:7]
.LBB86_299:
	s_or_b64 exec, exec, s[4:5]
.LBB86_300:
	s_or_saveexec_b64 s[2:3], s[2:3]
	s_mov_b64 s[4:5], 0
	s_xor_b64 exec, exec, s[2:3]
	s_cbranch_execnz .LBB86_303
.LBB86_301:
	s_or_b64 exec, exec, s[2:3]
	s_and_b64 s[2:3], s[4:5], exec
	s_andn2_saveexec_b64 s[0:1], s[0:1]
	s_cbranch_execz .LBB86_286
.LBB86_302:
	s_or_b64 s[2:3], s[2:3], exec
	s_trap 2
	s_or_b64 exec, exec, s[0:1]
	s_and_saveexec_b64 s[0:1], s[2:3]
	s_cbranch_execnz .LBB86_287
	s_branch .LBB86_288
.LBB86_303:
	s_mov_b64 s[4:5], exec
	s_trap 2
	s_branch .LBB86_301
	.section	.rodata,"a",@progbits
	.p2align	6, 0x0
	.amdhsa_kernel _ZN2at6native12_GLOBAL__N_112gatherMedianIamLi3EEEvNS_4cuda6detail10TensorInfoIT_T0_EENS5_IlS7_EENS5_IKS6_S7_EES7_S7_S7_b
		.amdhsa_group_segment_fixed_size 5152
		.amdhsa_private_segment_fixed_size 0
		.amdhsa_kernarg_size 1536
		.amdhsa_user_sgpr_count 2
		.amdhsa_user_sgpr_dispatch_ptr 0
		.amdhsa_user_sgpr_queue_ptr 0
		.amdhsa_user_sgpr_kernarg_segment_ptr 1
		.amdhsa_user_sgpr_dispatch_id 0
		.amdhsa_user_sgpr_kernarg_preload_length 0
		.amdhsa_user_sgpr_kernarg_preload_offset 0
		.amdhsa_user_sgpr_private_segment_size 0
		.amdhsa_uses_dynamic_stack 0
		.amdhsa_enable_private_segment 0
		.amdhsa_system_sgpr_workgroup_id_x 1
		.amdhsa_system_sgpr_workgroup_id_y 1
		.amdhsa_system_sgpr_workgroup_id_z 1
		.amdhsa_system_sgpr_workgroup_info 0
		.amdhsa_system_vgpr_workitem_id 0
		.amdhsa_next_free_vgpr 58
		.amdhsa_next_free_sgpr 100
		.amdhsa_accum_offset 60
		.amdhsa_reserve_vcc 1
		.amdhsa_float_round_mode_32 0
		.amdhsa_float_round_mode_16_64 0
		.amdhsa_float_denorm_mode_32 3
		.amdhsa_float_denorm_mode_16_64 3
		.amdhsa_dx10_clamp 1
		.amdhsa_ieee_mode 1
		.amdhsa_fp16_overflow 0
		.amdhsa_tg_split 0
		.amdhsa_exception_fp_ieee_invalid_op 0
		.amdhsa_exception_fp_denorm_src 0
		.amdhsa_exception_fp_ieee_div_zero 0
		.amdhsa_exception_fp_ieee_overflow 0
		.amdhsa_exception_fp_ieee_underflow 0
		.amdhsa_exception_fp_ieee_inexact 0
		.amdhsa_exception_int_div_zero 0
	.end_amdhsa_kernel
	.section	.text._ZN2at6native12_GLOBAL__N_112gatherMedianIamLi3EEEvNS_4cuda6detail10TensorInfoIT_T0_EENS5_IlS7_EENS5_IKS6_S7_EES7_S7_S7_b,"axG",@progbits,_ZN2at6native12_GLOBAL__N_112gatherMedianIamLi3EEEvNS_4cuda6detail10TensorInfoIT_T0_EENS5_IlS7_EENS5_IKS6_S7_EES7_S7_S7_b,comdat
.Lfunc_end86:
	.size	_ZN2at6native12_GLOBAL__N_112gatherMedianIamLi3EEEvNS_4cuda6detail10TensorInfoIT_T0_EENS5_IlS7_EENS5_IKS6_S7_EES7_S7_S7_b, .Lfunc_end86-_ZN2at6native12_GLOBAL__N_112gatherMedianIamLi3EEEvNS_4cuda6detail10TensorInfoIT_T0_EENS5_IlS7_EENS5_IKS6_S7_EES7_S7_S7_b
                                        ; -- End function
	.set _ZN2at6native12_GLOBAL__N_112gatherMedianIamLi3EEEvNS_4cuda6detail10TensorInfoIT_T0_EENS5_IlS7_EENS5_IKS6_S7_EES7_S7_S7_b.num_vgpr, 58
	.set _ZN2at6native12_GLOBAL__N_112gatherMedianIamLi3EEEvNS_4cuda6detail10TensorInfoIT_T0_EENS5_IlS7_EENS5_IKS6_S7_EES7_S7_S7_b.num_agpr, 0
	.set _ZN2at6native12_GLOBAL__N_112gatherMedianIamLi3EEEvNS_4cuda6detail10TensorInfoIT_T0_EENS5_IlS7_EENS5_IKS6_S7_EES7_S7_S7_b.numbered_sgpr, 100
	.set _ZN2at6native12_GLOBAL__N_112gatherMedianIamLi3EEEvNS_4cuda6detail10TensorInfoIT_T0_EENS5_IlS7_EENS5_IKS6_S7_EES7_S7_S7_b.num_named_barrier, 0
	.set _ZN2at6native12_GLOBAL__N_112gatherMedianIamLi3EEEvNS_4cuda6detail10TensorInfoIT_T0_EENS5_IlS7_EENS5_IKS6_S7_EES7_S7_S7_b.private_seg_size, 0
	.set _ZN2at6native12_GLOBAL__N_112gatherMedianIamLi3EEEvNS_4cuda6detail10TensorInfoIT_T0_EENS5_IlS7_EENS5_IKS6_S7_EES7_S7_S7_b.uses_vcc, 1
	.set _ZN2at6native12_GLOBAL__N_112gatherMedianIamLi3EEEvNS_4cuda6detail10TensorInfoIT_T0_EENS5_IlS7_EENS5_IKS6_S7_EES7_S7_S7_b.uses_flat_scratch, 0
	.set _ZN2at6native12_GLOBAL__N_112gatherMedianIamLi3EEEvNS_4cuda6detail10TensorInfoIT_T0_EENS5_IlS7_EENS5_IKS6_S7_EES7_S7_S7_b.has_dyn_sized_stack, 0
	.set _ZN2at6native12_GLOBAL__N_112gatherMedianIamLi3EEEvNS_4cuda6detail10TensorInfoIT_T0_EENS5_IlS7_EENS5_IKS6_S7_EES7_S7_S7_b.has_recursion, 0
	.set _ZN2at6native12_GLOBAL__N_112gatherMedianIamLi3EEEvNS_4cuda6detail10TensorInfoIT_T0_EENS5_IlS7_EENS5_IKS6_S7_EES7_S7_S7_b.has_indirect_call, 0
	.section	.AMDGPU.csdata,"",@progbits
; Kernel info:
; codeLenInByte = 16520
; TotalNumSgprs: 106
; NumVgprs: 58
; NumAgprs: 0
; TotalNumVgprs: 58
; ScratchSize: 0
; MemoryBound: 0
; FloatMode: 240
; IeeeMode: 1
; LDSByteSize: 5152 bytes/workgroup (compile time only)
; SGPRBlocks: 13
; VGPRBlocks: 7
; NumSGPRsForWavesPerEU: 106
; NumVGPRsForWavesPerEU: 58
; AccumOffset: 60
; Occupancy: 7
; WaveLimiterHint : 1
; COMPUTE_PGM_RSRC2:SCRATCH_EN: 0
; COMPUTE_PGM_RSRC2:USER_SGPR: 2
; COMPUTE_PGM_RSRC2:TRAP_HANDLER: 0
; COMPUTE_PGM_RSRC2:TGID_X_EN: 1
; COMPUTE_PGM_RSRC2:TGID_Y_EN: 1
; COMPUTE_PGM_RSRC2:TGID_Z_EN: 1
; COMPUTE_PGM_RSRC2:TIDIG_COMP_CNT: 0
; COMPUTE_PGM_RSRC3_GFX90A:ACCUM_OFFSET: 14
; COMPUTE_PGM_RSRC3_GFX90A:TG_SPLIT: 0
	.section	.text._ZN2at6native12_GLOBAL__N_112gatherMedianIamLin1EEEvNS_4cuda6detail10TensorInfoIT_T0_EENS5_IlS7_EENS5_IKS6_S7_EES7_S7_S7_b,"axG",@progbits,_ZN2at6native12_GLOBAL__N_112gatherMedianIamLin1EEEvNS_4cuda6detail10TensorInfoIT_T0_EENS5_IlS7_EENS5_IKS6_S7_EES7_S7_S7_b,comdat
	.globl	_ZN2at6native12_GLOBAL__N_112gatherMedianIamLin1EEEvNS_4cuda6detail10TensorInfoIT_T0_EENS5_IlS7_EENS5_IKS6_S7_EES7_S7_S7_b ; -- Begin function _ZN2at6native12_GLOBAL__N_112gatherMedianIamLin1EEEvNS_4cuda6detail10TensorInfoIT_T0_EENS5_IlS7_EENS5_IKS6_S7_EES7_S7_S7_b
	.p2align	8
	.type	_ZN2at6native12_GLOBAL__N_112gatherMedianIamLin1EEEvNS_4cuda6detail10TensorInfoIT_T0_EENS5_IlS7_EENS5_IKS6_S7_EES7_S7_S7_b,@function
_ZN2at6native12_GLOBAL__N_112gatherMedianIamLin1EEEvNS_4cuda6detail10TensorInfoIT_T0_EENS5_IlS7_EENS5_IKS6_S7_EES7_S7_S7_b: ; @_ZN2at6native12_GLOBAL__N_112gatherMedianIamLin1EEEvNS_4cuda6detail10TensorInfoIT_T0_EENS5_IlS7_EENS5_IKS6_S7_EES7_S7_S7_b
; %bb.0:
	s_load_dwordx2 s[10:11], s[0:1], 0x500
	s_load_dwordx4 s[56:59], s[0:1], 0x4e0
	s_add_u32 s12, s0, 0x500
	s_addc_u32 s13, s1, 0
	s_mov_b32 s5, 0
	s_waitcnt lgkmcnt(0)
	s_mul_i32 s4, s11, s4
	s_add_i32 s3, s4, s3
	s_mul_i32 s3, s3, s10
	s_add_i32 s4, s3, s2
	v_mov_b64_e32 v[2:3], s[4:5]
	v_cmp_le_u64_e32 vcc, s[58:59], v[2:3]
	s_cbranch_vccnz .LBB87_305
; %bb.1:
	s_load_dword s6, s[0:1], 0x198
	s_load_dwordx2 s[60:61], s[0:1], 0x4f0
	s_mov_b64 s[58:59], 0
	s_mov_b64 s[64:65], s[4:5]
	s_waitcnt lgkmcnt(0)
	s_cmp_lt_i32 s6, 2
	s_cbranch_scc1 .LBB87_9
; %bb.2:
	s_add_i32 s3, s6, 1
	s_add_i32 s8, s6, -1
	s_mov_b32 s6, 0
	s_mov_b32 s9, s6
	s_lshl_b64 s[8:9], s[8:9], 3
	s_add_u32 s7, s0, s8
	s_addc_u32 s9, s1, s9
	s_add_u32 s8, s7, 8
	s_addc_u32 s9, s9, 0
	s_mov_b64 s[14:15], s[4:5]
.LBB87_3:                               ; =>This Inner Loop Header: Depth=1
	s_load_dwordx2 s[16:17], s[8:9], 0x0
	s_waitcnt lgkmcnt(0)
	s_or_b64 s[18:19], s[14:15], s[16:17]
	s_mov_b32 s7, s19
	s_cmp_lg_u64 s[6:7], 0
	s_cbranch_scc0 .LBB87_8
; %bb.4:                                ;   in Loop: Header=BB87_3 Depth=1
	v_cvt_f32_u32_e32 v1, s16
	v_cvt_f32_u32_e32 v2, s17
	s_sub_u32 s7, 0, s16
	s_subb_u32 s11, 0, s17
	v_fmac_f32_e32 v1, 0x4f800000, v2
	v_rcp_f32_e32 v1, v1
	s_nop 0
	v_mul_f32_e32 v1, 0x5f7ffffc, v1
	v_mul_f32_e32 v2, 0x2f800000, v1
	v_trunc_f32_e32 v2, v2
	v_fmac_f32_e32 v1, 0xcf800000, v2
	v_cvt_u32_f32_e32 v2, v2
	v_cvt_u32_f32_e32 v1, v1
	v_readfirstlane_b32 s20, v2
	v_readfirstlane_b32 s18, v1
	s_mul_i32 s19, s7, s20
	s_mul_hi_u32 s22, s7, s18
	s_mul_i32 s21, s11, s18
	s_add_i32 s19, s22, s19
	s_mul_i32 s23, s7, s18
	s_add_i32 s19, s19, s21
	s_mul_i32 s22, s18, s19
	s_mul_hi_u32 s24, s18, s23
	s_mul_hi_u32 s21, s18, s19
	s_add_u32 s22, s24, s22
	s_addc_u32 s21, 0, s21
	s_mul_hi_u32 s25, s20, s23
	s_mul_i32 s23, s20, s23
	s_add_u32 s22, s22, s23
	s_mul_hi_u32 s24, s20, s19
	s_addc_u32 s21, s21, s25
	s_addc_u32 s22, s24, 0
	s_mul_i32 s19, s20, s19
	s_add_u32 s19, s21, s19
	s_addc_u32 s21, 0, s22
	s_add_u32 s22, s18, s19
	s_cselect_b64 s[18:19], -1, 0
	s_cmp_lg_u64 s[18:19], 0
	s_addc_u32 s20, s20, s21
	s_mul_i32 s18, s7, s20
	s_mul_hi_u32 s19, s7, s22
	s_add_i32 s18, s19, s18
	s_mul_i32 s11, s11, s22
	s_add_i32 s18, s18, s11
	s_mul_i32 s7, s7, s22
	s_mul_hi_u32 s19, s20, s7
	s_mul_i32 s21, s20, s7
	s_mul_i32 s24, s22, s18
	s_mul_hi_u32 s7, s22, s7
	s_mul_hi_u32 s23, s22, s18
	s_add_u32 s7, s7, s24
	s_addc_u32 s23, 0, s23
	s_add_u32 s7, s7, s21
	s_mul_hi_u32 s11, s20, s18
	s_addc_u32 s7, s23, s19
	s_addc_u32 s11, s11, 0
	s_mul_i32 s18, s20, s18
	s_add_u32 s7, s7, s18
	s_addc_u32 s11, 0, s11
	s_add_u32 s7, s22, s7
	s_cselect_b64 s[18:19], -1, 0
	s_cmp_lg_u64 s[18:19], 0
	s_addc_u32 s11, s20, s11
	s_mul_i32 s19, s14, s11
	s_mul_hi_u32 s20, s14, s7
	s_mul_hi_u32 s18, s14, s11
	s_add_u32 s19, s20, s19
	s_addc_u32 s18, 0, s18
	s_mul_hi_u32 s21, s15, s7
	s_mul_i32 s7, s15, s7
	s_add_u32 s7, s19, s7
	s_mul_hi_u32 s20, s15, s11
	s_addc_u32 s7, s18, s21
	s_addc_u32 s18, s20, 0
	s_mul_i32 s11, s15, s11
	s_add_u32 s7, s7, s11
	s_addc_u32 s11, 0, s18
	s_mul_i32 s18, s16, s11
	s_mul_hi_u32 s19, s16, s7
	s_add_i32 s18, s19, s18
	s_mul_i32 s19, s17, s7
	s_add_i32 s22, s18, s19
	s_sub_i32 s20, s15, s22
	s_mul_i32 s18, s16, s7
	s_sub_u32 s23, s14, s18
	s_cselect_b64 s[18:19], -1, 0
	s_cmp_lg_u64 s[18:19], 0
	s_subb_u32 s24, s20, s17
	s_sub_u32 s25, s23, s16
	s_cselect_b64 s[20:21], -1, 0
	s_cmp_lg_u64 s[20:21], 0
	s_subb_u32 s20, s24, 0
	s_cmp_ge_u32 s20, s17
	s_cselect_b32 s21, -1, 0
	s_cmp_ge_u32 s25, s16
	s_cselect_b32 s24, -1, 0
	s_cmp_eq_u32 s20, s17
	s_cselect_b32 s20, s24, s21
	s_add_u32 s21, s7, 1
	s_addc_u32 s24, s11, 0
	s_add_u32 s25, s7, 2
	s_addc_u32 s26, s11, 0
	s_cmp_lg_u32 s20, 0
	s_cselect_b32 s20, s25, s21
	s_cselect_b32 s21, s26, s24
	s_cmp_lg_u64 s[18:19], 0
	s_subb_u32 s18, s15, s22
	s_cmp_ge_u32 s18, s17
	s_cselect_b32 s19, -1, 0
	s_cmp_ge_u32 s23, s16
	s_cselect_b32 s22, -1, 0
	s_cmp_eq_u32 s18, s17
	s_cselect_b32 s18, s22, s19
	s_cmp_lg_u32 s18, 0
	s_cselect_b32 s65, s21, s11
	s_cselect_b32 s64, s20, s7
	s_cbranch_execnz .LBB87_6
.LBB87_5:                               ;   in Loop: Header=BB87_3 Depth=1
	v_cvt_f32_u32_e32 v1, s16
	s_sub_i32 s7, 0, s16
	s_mov_b32 s65, s6
	v_rcp_iflag_f32_e32 v1, v1
	s_nop 0
	v_mul_f32_e32 v1, 0x4f7ffffe, v1
	v_cvt_u32_f32_e32 v1, v1
	s_nop 0
	v_readfirstlane_b32 s11, v1
	s_mul_i32 s7, s7, s11
	s_mul_hi_u32 s7, s11, s7
	s_add_i32 s11, s11, s7
	s_mul_hi_u32 s7, s14, s11
	s_mul_i32 s18, s7, s16
	s_sub_i32 s18, s14, s18
	s_add_i32 s11, s7, 1
	s_sub_i32 s19, s18, s16
	s_cmp_ge_u32 s18, s16
	s_cselect_b32 s7, s11, s7
	s_cselect_b32 s18, s19, s18
	s_add_i32 s11, s7, 1
	s_cmp_ge_u32 s18, s16
	s_cselect_b32 s64, s11, s7
.LBB87_6:                               ;   in Loop: Header=BB87_3 Depth=1
	s_mul_i32 s7, s64, s17
	s_mul_hi_u32 s11, s64, s16
	s_load_dwordx2 s[18:19], s[8:9], 0xc8
	s_add_i32 s7, s11, s7
	s_mul_i32 s11, s65, s16
	s_add_i32 s7, s7, s11
	s_mul_i32 s11, s64, s16
	s_sub_u32 s11, s14, s11
	s_subb_u32 s7, s15, s7
	s_waitcnt lgkmcnt(0)
	s_mul_i32 s7, s18, s7
	s_mul_hi_u32 s14, s18, s11
	s_add_i32 s7, s14, s7
	s_mul_i32 s14, s19, s11
	s_add_i32 s7, s7, s14
	s_mul_i32 s11, s18, s11
	s_add_u32 s58, s11, s58
	s_addc_u32 s59, s7, s59
	s_add_i32 s3, s3, -1
	s_add_u32 s8, s8, -8
	s_addc_u32 s9, s9, -1
	s_cmp_gt_u32 s3, 2
	s_cbranch_scc0 .LBB87_9
; %bb.7:                                ;   in Loop: Header=BB87_3 Depth=1
	s_mov_b64 s[14:15], s[64:65]
	s_branch .LBB87_3
.LBB87_8:                               ;   in Loop: Header=BB87_3 Depth=1
                                        ; implicit-def: $sgpr64_sgpr65
	s_branch .LBB87_5
.LBB87_9:
	s_load_dword s8, s[0:1], 0x338
	s_load_dwordx2 s[6:7], s[0:1], 0xd0
                                        ; implicit-def: $vgpr65 : SGPR spill to VGPR lane
	s_mov_b64 s[62:63], 0
	s_mov_b64 s[68:69], s[4:5]
	s_waitcnt lgkmcnt(0)
	v_writelane_b32 v65, s6, 0
	s_nop 1
	v_writelane_b32 v65, s7, 1
	s_add_u32 s6, s0, 0x1a0
	s_addc_u32 s7, s1, 0
	s_cmp_lt_i32 s8, 2
	s_cbranch_scc1 .LBB87_17
; %bb.10:
	s_add_i32 s3, s8, 1
	s_add_i32 s14, s8, -1
	s_mov_b32 s8, 0
	s_mov_b32 s15, s8
	s_lshl_b64 s[14:15], s[14:15], 3
	s_add_u32 s9, s6, s14
	s_addc_u32 s11, s7, s15
	s_add_u32 s14, s9, 8
	s_addc_u32 s15, s11, 0
	s_mov_b64 s[16:17], s[4:5]
.LBB87_11:                              ; =>This Inner Loop Header: Depth=1
	s_load_dwordx2 s[18:19], s[14:15], 0x0
	s_waitcnt lgkmcnt(0)
	s_or_b64 s[20:21], s[16:17], s[18:19]
	s_mov_b32 s9, s21
	s_cmp_lg_u64 s[8:9], 0
	s_cbranch_scc0 .LBB87_16
; %bb.12:                               ;   in Loop: Header=BB87_11 Depth=1
	v_cvt_f32_u32_e32 v1, s18
	v_cvt_f32_u32_e32 v2, s19
	s_sub_u32 s9, 0, s18
	s_subb_u32 s11, 0, s19
	v_fmac_f32_e32 v1, 0x4f800000, v2
	v_rcp_f32_e32 v1, v1
	s_nop 0
	v_mul_f32_e32 v1, 0x5f7ffffc, v1
	v_mul_f32_e32 v2, 0x2f800000, v1
	v_trunc_f32_e32 v2, v2
	v_fmac_f32_e32 v1, 0xcf800000, v2
	v_cvt_u32_f32_e32 v2, v2
	v_cvt_u32_f32_e32 v1, v1
	v_readfirstlane_b32 s22, v2
	v_readfirstlane_b32 s20, v1
	s_mul_i32 s21, s9, s22
	s_mul_hi_u32 s24, s9, s20
	s_mul_i32 s23, s11, s20
	s_add_i32 s21, s24, s21
	s_mul_i32 s25, s9, s20
	s_add_i32 s21, s21, s23
	s_mul_i32 s24, s20, s21
	s_mul_hi_u32 s26, s20, s25
	s_mul_hi_u32 s23, s20, s21
	s_add_u32 s24, s26, s24
	s_addc_u32 s23, 0, s23
	s_mul_hi_u32 s27, s22, s25
	s_mul_i32 s25, s22, s25
	s_add_u32 s24, s24, s25
	s_mul_hi_u32 s26, s22, s21
	s_addc_u32 s23, s23, s27
	s_addc_u32 s24, s26, 0
	s_mul_i32 s21, s22, s21
	s_add_u32 s21, s23, s21
	s_addc_u32 s23, 0, s24
	s_add_u32 s24, s20, s21
	s_cselect_b64 s[20:21], -1, 0
	s_cmp_lg_u64 s[20:21], 0
	s_addc_u32 s22, s22, s23
	s_mul_i32 s20, s9, s22
	s_mul_hi_u32 s21, s9, s24
	s_add_i32 s20, s21, s20
	s_mul_i32 s11, s11, s24
	s_add_i32 s20, s20, s11
	s_mul_i32 s9, s9, s24
	s_mul_hi_u32 s21, s22, s9
	s_mul_i32 s23, s22, s9
	s_mul_i32 s26, s24, s20
	s_mul_hi_u32 s9, s24, s9
	s_mul_hi_u32 s25, s24, s20
	s_add_u32 s9, s9, s26
	s_addc_u32 s25, 0, s25
	s_add_u32 s9, s9, s23
	s_mul_hi_u32 s11, s22, s20
	s_addc_u32 s9, s25, s21
	s_addc_u32 s11, s11, 0
	s_mul_i32 s20, s22, s20
	s_add_u32 s9, s9, s20
	s_addc_u32 s11, 0, s11
	s_add_u32 s9, s24, s9
	s_cselect_b64 s[20:21], -1, 0
	s_cmp_lg_u64 s[20:21], 0
	s_addc_u32 s11, s22, s11
	s_mul_i32 s21, s16, s11
	s_mul_hi_u32 s22, s16, s9
	s_mul_hi_u32 s20, s16, s11
	s_add_u32 s21, s22, s21
	s_addc_u32 s20, 0, s20
	s_mul_hi_u32 s23, s17, s9
	s_mul_i32 s9, s17, s9
	s_add_u32 s9, s21, s9
	s_mul_hi_u32 s22, s17, s11
	s_addc_u32 s9, s20, s23
	s_addc_u32 s20, s22, 0
	s_mul_i32 s11, s17, s11
	s_add_u32 s9, s9, s11
	s_addc_u32 s11, 0, s20
	s_mul_i32 s20, s18, s11
	s_mul_hi_u32 s21, s18, s9
	s_add_i32 s20, s21, s20
	s_mul_i32 s21, s19, s9
	s_add_i32 s24, s20, s21
	s_sub_i32 s22, s17, s24
	s_mul_i32 s20, s18, s9
	s_sub_u32 s25, s16, s20
	s_cselect_b64 s[20:21], -1, 0
	s_cmp_lg_u64 s[20:21], 0
	s_subb_u32 s26, s22, s19
	s_sub_u32 s27, s25, s18
	s_cselect_b64 s[22:23], -1, 0
	s_cmp_lg_u64 s[22:23], 0
	s_subb_u32 s22, s26, 0
	s_cmp_ge_u32 s22, s19
	s_cselect_b32 s23, -1, 0
	s_cmp_ge_u32 s27, s18
	s_cselect_b32 s26, -1, 0
	s_cmp_eq_u32 s22, s19
	s_cselect_b32 s22, s26, s23
	s_add_u32 s23, s9, 1
	s_addc_u32 s26, s11, 0
	s_add_u32 s27, s9, 2
	s_addc_u32 s28, s11, 0
	s_cmp_lg_u32 s22, 0
	s_cselect_b32 s22, s27, s23
	s_cselect_b32 s23, s28, s26
	s_cmp_lg_u64 s[20:21], 0
	s_subb_u32 s20, s17, s24
	s_cmp_ge_u32 s20, s19
	s_cselect_b32 s21, -1, 0
	s_cmp_ge_u32 s25, s18
	s_cselect_b32 s24, -1, 0
	s_cmp_eq_u32 s20, s19
	s_cselect_b32 s20, s24, s21
	s_cmp_lg_u32 s20, 0
	s_cselect_b32 s69, s23, s11
	s_cselect_b32 s68, s22, s9
	s_cbranch_execnz .LBB87_14
.LBB87_13:                              ;   in Loop: Header=BB87_11 Depth=1
	v_cvt_f32_u32_e32 v1, s18
	s_sub_i32 s9, 0, s18
	s_mov_b32 s69, s8
	v_rcp_iflag_f32_e32 v1, v1
	s_nop 0
	v_mul_f32_e32 v1, 0x4f7ffffe, v1
	v_cvt_u32_f32_e32 v1, v1
	s_nop 0
	v_readfirstlane_b32 s11, v1
	s_mul_i32 s9, s9, s11
	s_mul_hi_u32 s9, s11, s9
	s_add_i32 s11, s11, s9
	s_mul_hi_u32 s9, s16, s11
	s_mul_i32 s20, s9, s18
	s_sub_i32 s20, s16, s20
	s_add_i32 s11, s9, 1
	s_sub_i32 s21, s20, s18
	s_cmp_ge_u32 s20, s18
	s_cselect_b32 s9, s11, s9
	s_cselect_b32 s20, s21, s20
	s_add_i32 s11, s9, 1
	s_cmp_ge_u32 s20, s18
	s_cselect_b32 s68, s11, s9
.LBB87_14:                              ;   in Loop: Header=BB87_11 Depth=1
	s_mul_i32 s9, s68, s19
	s_mul_hi_u32 s11, s68, s18
	s_load_dwordx2 s[20:21], s[14:15], 0xc8
	s_add_i32 s9, s11, s9
	s_mul_i32 s11, s69, s18
	s_add_i32 s9, s9, s11
	s_mul_i32 s11, s68, s18
	s_sub_u32 s11, s16, s11
	s_subb_u32 s9, s17, s9
	s_waitcnt lgkmcnt(0)
	s_mul_i32 s9, s20, s9
	s_mul_hi_u32 s16, s20, s11
	s_add_i32 s9, s16, s9
	s_mul_i32 s16, s21, s11
	s_add_i32 s9, s9, s16
	s_mul_i32 s11, s20, s11
	s_add_u32 s62, s11, s62
	s_addc_u32 s63, s9, s63
	s_add_i32 s3, s3, -1
	s_add_u32 s14, s14, -8
	s_addc_u32 s15, s15, -1
	s_cmp_gt_u32 s3, 2
	s_cbranch_scc0 .LBB87_17
; %bb.15:                               ;   in Loop: Header=BB87_11 Depth=1
	s_mov_b64 s[16:17], s[68:69]
	s_branch .LBB87_11
.LBB87_16:                              ;   in Loop: Header=BB87_11 Depth=1
                                        ; implicit-def: $sgpr68_sgpr69
	s_branch .LBB87_13
.LBB87_17:
	s_load_dword s9, s[0:1], 0x4d8
	s_load_dwordx2 s[14:15], s[6:7], 0xd0
                                        ; kill: killed $sgpr6 killed $sgpr7
	s_add_u32 s7, s0, 0x340
	s_addc_u32 s8, s1, 0
	s_mov_b64 s[16:17], 0
	s_waitcnt lgkmcnt(0)
	s_cmp_lt_i32 s9, 2
	v_writelane_b32 v65, s14, 2
	s_nop 1
	v_writelane_b32 v65, s15, 3
	s_cbranch_scc1 .LBB87_25
; %bb.18:
	s_mov_b32 s6, 0
	s_add_i32 s14, s9, -1
	s_mov_b32 s15, s6
	s_add_i32 s3, s9, 1
	s_lshl_b64 s[14:15], s[14:15], 3
	s_add_u32 s7, s7, s14
	s_addc_u32 s9, s8, s15
	s_add_u32 s8, s7, 8
	s_addc_u32 s9, s9, 0
.LBB87_19:                              ; =>This Inner Loop Header: Depth=1
	s_load_dwordx2 s[14:15], s[8:9], 0x0
	s_waitcnt lgkmcnt(0)
	s_or_b64 s[18:19], s[4:5], s[14:15]
	s_mov_b32 s7, s19
	s_cmp_lg_u64 s[6:7], 0
	s_cbranch_scc0 .LBB87_24
; %bb.20:                               ;   in Loop: Header=BB87_19 Depth=1
	v_cvt_f32_u32_e32 v1, s14
	v_cvt_f32_u32_e32 v2, s15
	s_sub_u32 s7, 0, s14
	s_subb_u32 s11, 0, s15
	v_fmac_f32_e32 v1, 0x4f800000, v2
	v_rcp_f32_e32 v1, v1
	s_nop 0
	v_mul_f32_e32 v1, 0x5f7ffffc, v1
	v_mul_f32_e32 v2, 0x2f800000, v1
	v_trunc_f32_e32 v2, v2
	v_fmac_f32_e32 v1, 0xcf800000, v2
	v_cvt_u32_f32_e32 v2, v2
	v_cvt_u32_f32_e32 v1, v1
	v_readfirstlane_b32 s20, v2
	v_readfirstlane_b32 s18, v1
	s_mul_i32 s19, s7, s20
	s_mul_hi_u32 s22, s7, s18
	s_mul_i32 s21, s11, s18
	s_add_i32 s19, s22, s19
	s_mul_i32 s23, s7, s18
	s_add_i32 s19, s19, s21
	s_mul_i32 s22, s18, s19
	s_mul_hi_u32 s24, s18, s23
	s_mul_hi_u32 s21, s18, s19
	s_add_u32 s22, s24, s22
	s_addc_u32 s21, 0, s21
	s_mul_hi_u32 s25, s20, s23
	s_mul_i32 s23, s20, s23
	s_add_u32 s22, s22, s23
	s_mul_hi_u32 s24, s20, s19
	s_addc_u32 s21, s21, s25
	s_addc_u32 s22, s24, 0
	s_mul_i32 s19, s20, s19
	s_add_u32 s19, s21, s19
	s_addc_u32 s21, 0, s22
	s_add_u32 s22, s18, s19
	s_cselect_b64 s[18:19], -1, 0
	s_cmp_lg_u64 s[18:19], 0
	s_addc_u32 s20, s20, s21
	s_mul_i32 s18, s7, s20
	s_mul_hi_u32 s19, s7, s22
	s_add_i32 s18, s19, s18
	s_mul_i32 s11, s11, s22
	s_add_i32 s18, s18, s11
	s_mul_i32 s7, s7, s22
	s_mul_hi_u32 s19, s20, s7
	s_mul_i32 s21, s20, s7
	s_mul_i32 s24, s22, s18
	s_mul_hi_u32 s7, s22, s7
	s_mul_hi_u32 s23, s22, s18
	s_add_u32 s7, s7, s24
	s_addc_u32 s23, 0, s23
	s_add_u32 s7, s7, s21
	s_mul_hi_u32 s11, s20, s18
	s_addc_u32 s7, s23, s19
	s_addc_u32 s11, s11, 0
	s_mul_i32 s18, s20, s18
	s_add_u32 s7, s7, s18
	s_addc_u32 s11, 0, s11
	s_add_u32 s7, s22, s7
	s_cselect_b64 s[18:19], -1, 0
	s_cmp_lg_u64 s[18:19], 0
	s_addc_u32 s11, s20, s11
	s_mul_i32 s19, s4, s11
	s_mul_hi_u32 s20, s4, s7
	s_mul_hi_u32 s18, s4, s11
	s_add_u32 s19, s20, s19
	s_addc_u32 s18, 0, s18
	s_mul_hi_u32 s21, s5, s7
	s_mul_i32 s7, s5, s7
	s_add_u32 s7, s19, s7
	s_mul_hi_u32 s20, s5, s11
	s_addc_u32 s7, s18, s21
	s_addc_u32 s18, s20, 0
	s_mul_i32 s11, s5, s11
	s_add_u32 s7, s7, s11
	s_addc_u32 s11, 0, s18
	s_mul_i32 s18, s14, s11
	s_mul_hi_u32 s19, s14, s7
	s_add_i32 s18, s19, s18
	s_mul_i32 s19, s15, s7
	s_add_i32 s22, s18, s19
	s_sub_i32 s20, s5, s22
	s_mul_i32 s18, s14, s7
	s_sub_u32 s23, s4, s18
	s_cselect_b64 s[18:19], -1, 0
	s_cmp_lg_u64 s[18:19], 0
	s_subb_u32 s24, s20, s15
	s_sub_u32 s25, s23, s14
	s_cselect_b64 s[20:21], -1, 0
	s_cmp_lg_u64 s[20:21], 0
	s_subb_u32 s20, s24, 0
	s_cmp_ge_u32 s20, s15
	s_cselect_b32 s21, -1, 0
	s_cmp_ge_u32 s25, s14
	s_cselect_b32 s24, -1, 0
	s_cmp_eq_u32 s20, s15
	s_cselect_b32 s20, s24, s21
	s_add_u32 s21, s7, 1
	s_addc_u32 s24, s11, 0
	s_add_u32 s25, s7, 2
	s_addc_u32 s26, s11, 0
	s_cmp_lg_u32 s20, 0
	s_cselect_b32 s20, s25, s21
	s_cselect_b32 s21, s26, s24
	s_cmp_lg_u64 s[18:19], 0
	s_subb_u32 s18, s5, s22
	s_cmp_ge_u32 s18, s15
	s_cselect_b32 s19, -1, 0
	s_cmp_ge_u32 s23, s14
	s_cselect_b32 s22, -1, 0
	s_cmp_eq_u32 s18, s15
	s_cselect_b32 s18, s22, s19
	s_cmp_lg_u32 s18, 0
	s_cselect_b32 s19, s21, s11
	s_cselect_b32 s18, s20, s7
	s_cbranch_execnz .LBB87_22
.LBB87_21:                              ;   in Loop: Header=BB87_19 Depth=1
	v_cvt_f32_u32_e32 v1, s14
	s_sub_i32 s7, 0, s14
	v_rcp_iflag_f32_e32 v1, v1
	s_nop 0
	v_mul_f32_e32 v1, 0x4f7ffffe, v1
	v_cvt_u32_f32_e32 v1, v1
	s_nop 0
	v_readfirstlane_b32 s11, v1
	s_mul_i32 s7, s7, s11
	s_mul_hi_u32 s7, s11, s7
	s_add_i32 s11, s11, s7
	s_mul_hi_u32 s7, s4, s11
	s_mul_i32 s18, s7, s14
	s_sub_i32 s18, s4, s18
	s_add_i32 s11, s7, 1
	s_sub_i32 s19, s18, s14
	s_cmp_ge_u32 s18, s14
	s_cselect_b32 s7, s11, s7
	s_cselect_b32 s18, s19, s18
	s_add_i32 s11, s7, 1
	s_cmp_ge_u32 s18, s14
	s_cselect_b32 s18, s11, s7
	s_mov_b32 s19, s6
.LBB87_22:                              ;   in Loop: Header=BB87_19 Depth=1
	s_mul_i32 s7, s18, s15
	s_mul_hi_u32 s11, s18, s14
	s_load_dwordx2 s[20:21], s[8:9], 0xc8
	s_add_i32 s7, s11, s7
	s_mul_i32 s11, s19, s14
	s_add_i32 s7, s7, s11
	s_mul_i32 s11, s18, s14
	s_sub_u32 s4, s4, s11
	s_subb_u32 s5, s5, s7
	s_waitcnt lgkmcnt(0)
	s_mul_i32 s5, s20, s5
	s_mul_hi_u32 s7, s20, s4
	s_add_i32 s5, s7, s5
	s_mul_i32 s7, s21, s4
	s_add_i32 s5, s5, s7
	s_mul_i32 s4, s20, s4
	s_add_u32 s16, s4, s16
	s_addc_u32 s17, s5, s17
	s_add_i32 s3, s3, -1
	s_add_u32 s8, s8, -8
	s_addc_u32 s9, s9, -1
	s_cmp_gt_u32 s3, 2
	s_cbranch_scc0 .LBB87_26
; %bb.23:                               ;   in Loop: Header=BB87_19 Depth=1
	s_mov_b64 s[4:5], s[18:19]
	s_branch .LBB87_19
.LBB87_24:                              ;   in Loop: Header=BB87_19 Depth=1
                                        ; implicit-def: $sgpr18_sgpr19
	s_branch .LBB87_21
.LBB87_25:
	s_mov_b64 s[18:19], s[4:5]
.LBB87_26:
	s_load_dwordx2 s[4:5], s[0:1], 0x410
	s_load_dwordx2 s[6:7], s[0:1], 0x340
	v_cmp_eq_u32_e64 s[14:15], 0, v0
	s_mov_b64 s[8:9], exec
	s_nop 0
	v_writelane_b32 v65, s14, 4
	s_nop 1
	v_writelane_b32 v65, s15, 5
	s_and_b64 s[14:15], s[8:9], s[14:15]
	s_mov_b64 exec, s[14:15]
; %bb.27:
	v_mov_b32_e32 v2, 0
	v_mov_b32_e32 v3, v2
	ds_write_b64 v2, v[2:3] offset:5136
; %bb.28:
	s_or_b64 exec, exec, s[8:9]
	s_load_dwordx2 s[8:9], s[0:1], 0x0
	v_mov_b32_e32 v3, 0
	s_waitcnt lgkmcnt(0)
	s_barrier
	v_writelane_b32 v65, s8, 6
	s_barrier
	s_nop 0
	v_writelane_b32 v65, s9, 7
	s_load_dwordx2 s[8:9], s[0:1], 0x1a0
	s_waitcnt lgkmcnt(0)
	ds_read_b64 v[4:5], v3 offset:5136
	v_writelane_b32 v65, s8, 8
	s_nop 1
	v_writelane_b32 v65, s9, 9
	s_waitcnt lgkmcnt(0)
	v_readfirstlane_b32 s8, v4
	v_readfirstlane_b32 s9, v5
	s_mov_b64 s[14:15], exec
	v_readlane_b32 s20, v65, 4
	v_readlane_b32 s21, v65, 5
	s_and_b64 s[20:21], s[14:15], s[20:21]
	s_mov_b64 exec, s[20:21]
	s_cbranch_execz .LBB87_30
; %bb.29:
	v_mov_b32_e32 v4, 0
	v_mov_b32_e32 v6, s56
	;; [unrolled: 1-line block ×4, first 2 shown]
	ds_write_b32 v4, v4 offset:5144
	ds_write_b128 v4, v[4:7] offset:5120
.LBB87_30:
	s_or_b64 exec, exec, s[14:15]
	s_load_dword s3, s[0:1], 0x4f8
	v_cmp_lt_i64_e64 s[0:1], s[8:9], 1
	s_mul_i32 s11, s4, s19
	v_mov_b32_e32 v1, v3
	v_mbcnt_lo_u32_b32 v2, -1, 0
	s_waitcnt lgkmcnt(0)
	s_bitcmp1_b32 s3, 0
	s_cselect_b64 s[14:15], -1, 0
	s_not_b64 s[8:9], s[8:9]
	s_or_b64 s[0:1], s[14:15], s[0:1]
	s_add_u32 s8, s56, s8
	s_addc_u32 s9, s57, s9
	s_lshr_b64 s[8:9], s[8:9], 1
	s_add_u32 s3, s8, 1
	s_addc_u32 s8, s9, 0
	s_and_b64 s[0:1], s[0:1], exec
	s_mul_hi_u32 s0, s4, s18
	s_cselect_b32 s9, s8, s57
	s_cselect_b32 s8, s3, s56
	s_add_i32 s0, s0, s11
	s_mul_i32 s1, s5, s18
	s_add_i32 s3, s0, s1
	s_mul_i32 s11, s4, s18
	s_add_u32 s0, s6, s11
	s_addc_u32 s1, s7, s3
	s_add_u32 s78, s0, s16
	s_addc_u32 s79, s1, s17
	v_cmp_gt_u64_e64 s[0:1], s[56:57], v[0:1]
	v_mbcnt_hi_u32_b32 v40, -1, v2
	v_cmp_gt_u32_e32 vcc, 64, v0
	v_writelane_b32 v65, s0, 10
	v_mov_b64_e32 v[4:5], 0xc00
	v_mov_b64_e32 v[6:7], s[78:79]
	v_writelane_b32 v65, s1, 11
	v_cmp_gt_i32_e64 s[0:1], 4, v40
	s_and_b64 s[84:85], vcc, s[0:1]
	v_cmp_gt_u32_e64 s[0:1], 2, v0
	s_barrier
	s_nop 0
	v_writelane_b32 v65, s0, 12
	v_lshlrev_b32_e32 v2, 2, v40
	s_nop 0
	v_writelane_b32 v65, s1, 13
	v_cmp_gt_u64_e64 s[0:1], s[56:57], v[4:5]
	v_and_b32_e32 v41, 0x100, v2
	v_lshrrev_b32_e32 v2, 1, v0
	v_writelane_b32 v65, s0, 14
	v_and_b32_e32 v2, 0x1e0, v2
	v_or_b32_e32 v42, 0xc00, v2
	v_writelane_b32 v65, s1, 15
	v_mad_u64_u32 v[4:5], s[0:1], s60, v0, 0
	v_mad_u64_u32 v[12:13], s[0:1], s60, v0, v[6:7]
	s_load_dword s0, s[12:13], 0xc
	v_lshlrev_b64 v[6:7], v40, -1
	v_add_u32_e32 v2, 2, v0
	v_not_b32_e32 v18, v6
	v_mov_b32_e32 v6, s57
	s_waitcnt lgkmcnt(0)
	s_and_b32 s76, s0, 0xffff
	s_bfe_u32 s0, s0, 0xa0006
	s_cmp_gt_u32 s76, 63
	s_cselect_b64 s[14:15], -1, 0
	v_writelane_b32 v65, s14, 16
	s_add_u32 s1, s76, -1
	v_cmp_gt_u64_e32 vcc, s[56:57], v[2:3]
	v_writelane_b32 v65, s15, 17
	s_addc_u32 s14, 0, -1
	v_writelane_b32 v65, s1, 18
	s_add_u32 s1, s1, s56
	s_addc_u32 s89, s14, s57
	v_not_b32_e32 v19, v7
	s_cmp_lt_u32 s2, s10
	v_cndmask_b32_e32 v7, 0, v6, vcc
	v_mov_b32_e32 v6, s56
	v_writelane_b32 v65, s1, 19
	s_cselect_b32 s1, 12, 18
	v_cndmask_b32_e32 v6, v2, v6, vcc
	v_mov_b32_e32 v9, -1
	v_not_b32_e32 v8, v0
	s_add_u32 s54, s12, s1
	v_lshl_add_u64 v[6:7], v[6:7], 0, v[8:9]
	v_writelane_b32 v65, s14, 20
	s_addc_u32 s55, s13, 0
	v_cmp_lt_u64_e64 s[12:13], 3, v[6:7]
	v_and_b32_e32 v20, -4, v6
	v_mov_b32_e32 v21, v7
	v_writelane_b32 v65, s12, 21
	s_add_i32 s1, s0, -1
	s_bfe_u32 s2, s76, 0x30006
	v_writelane_b32 v65, s13, 22
	v_cmp_ne_u64_e64 s[12:13], v[6:7], v[20:21]
	s_and_b32 s1, s1, 0xffff
	s_cmp_gt_u32 s1, 6
	v_writelane_b32 v65, s12, 23
	v_lshlrev_b32_e32 v14, 2, v0
	v_or_b32_e32 v6, 3, v14
	v_writelane_b32 v65, s13, 24
	s_cselect_b64 s[12:13], -1, 0
	v_writelane_b32 v65, s12, 25
	s_and_b32 s90, s0, 0x3f8
	s_cmp_lg_u32 s2, 0
	v_writelane_b32 v65, s13, 26
	v_writelane_b32 v65, s2, 27
	s_cselect_b64 s[0:1], -1, 0
	v_writelane_b32 v65, s0, 28
	v_mul_lo_u32 v10, s61, v0
	v_add_u32_e32 v5, v5, v10
	v_writelane_b32 v65, s1, 29
	s_add_u32 s0, s16, s11
	s_addc_u32 s1, s17, s3
	s_add_u32 s2, s6, s0
	s_addc_u32 s3, s7, s1
	v_mad_u64_u32 v[24:25], s[0:1], s60, v6, 0
	v_mov_b32_e32 v2, v25
	v_mad_u64_u32 v[6:7], s[0:1], s61, v6, v[2:3]
	s_lshl_b64 s[0:1], s[60:61], 2
	v_mov_b32_e32 v25, v6
	v_writelane_b32 v65, s0, 30
	v_or_b32_e32 v6, 2, v14
	v_lshlrev_b64 v[30:31], 2, v[4:5]
	v_writelane_b32 v65, s1, 31
	v_mad_u64_u32 v[26:27], s[0:1], s60, v6, 0
	v_mov_b32_e32 v2, v27
	v_mad_u64_u32 v[6:7], s[0:1], s61, v6, v[2:3]
	v_mov_b32_e32 v27, v6
	v_mov_b64_e32 v[6:7], s[60:61]
	v_mad_u64_u32 v[28:29], s[0:1], s60, v14, v[6:7]
	v_mov_b32_e32 v2, v29
	v_writelane_b32 v65, s2, 32
	v_mad_u64_u32 v[6:7], s[0:1], s61, v14, v[2:3]
	s_nop 0
	v_mov_b64_e32 v[4:5], s[2:3]
	v_mad_u64_u32 v[16:17], s[0:1], s60, v0, v[4:5]
	s_mul_i32 s0, s61, s76
	s_mul_hi_u32 s1, s60, s76
	v_writelane_b32 v65, s3, 33
	s_add_i32 s99, s1, s0
	s_mov_b32 s0, 0
	s_mul_i32 s98, s60, s76
	v_writelane_b32 v65, s0, 34
	v_writelane_b32 v65, s98, 35
	s_mov_b32 s87, s60
	s_mov_b32 s50, s61
	v_writelane_b32 v65, s99, 36
	v_writelane_b32 v65, s54, 37
	s_mov_b32 s51, s60
	s_mov_b32 s88, s61
	v_writelane_b32 v65, s55, 38
	v_writelane_b32 v65, s87, 39
	;; [unrolled: 1-line block ×4, first 2 shown]
	s_mov_b32 s81, 0
	s_mov_b32 s92, s60
	v_mov_b32_e32 v2, 0xc00
	v_writelane_b32 v65, s88, 42
	v_cmp_eq_u32_e64 s[4:5], 0, v40
	v_add_u32_e32 v13, v10, v13
	v_mov_b32_e32 v15, v3
	s_mov_b32 s77, s81
	v_lshl_add_u64 v[22:23], v[20:21], 0, v[0:1]
	s_mov_b32 s93, s61
	s_mov_b32 s91, 6
	v_mov_b32_e32 v29, v6
	v_lshl_or_b32 v43, v40, 3, v2
	v_add_u32_e32 v17, v10, v17
	s_mov_b64 s[72:73], 0
	v_mov_b64_e32 v[32:33], s[8:9]
	s_movk_i32 s33, 0x80
	v_mov_b64_e32 v[50:51], s[56:57]
	v_mov_b32_e32 v45, 0x4f800000
	v_mov_b32_e32 v46, 8
	v_mov_b32_e32 v48, 0
	v_mov_b32_e32 v44, 0
	v_mov_b32_e32 v47, 0
	v_writelane_b32 v65, s92, 43
                                        ; implicit-def: $sgpr70_sgpr71
                                        ; implicit-def: $sgpr12_sgpr13
                                        ; implicit-def: $sgpr74_sgpr75
                                        ; implicit-def: $sgpr10_sgpr11
                                        ; implicit-def: $sgpr30_sgpr31
                                        ; implicit-def: $sgpr66_sgpr67
	v_writelane_b32 v65, s93, 44
	s_branch .LBB87_34
.LBB87_31:                              ;   in Loop: Header=BB87_34 Depth=1
	s_or_b64 exec, exec, s[14:15]
	s_and_b64 s[8:9], s[8:9], exec
	s_andn2_b64 s[24:25], s[24:25], exec
	s_andn2_b64 s[0:1], s[0:1], exec
	s_orn2_b64 s[18:19], s[6:7], exec
.LBB87_32:                              ;   in Loop: Header=BB87_34 Depth=1
	s_or_b64 exec, exec, s[2:3]
	s_andn2_b64 s[2:3], s[66:67], exec
	s_and_b64 s[6:7], s[8:9], exec
	s_or_b64 s[66:67], s[2:3], s[6:7]
	s_andn2_b64 s[2:3], s[30:31], exec
	s_and_b64 s[6:7], s[24:25], exec
	s_or_b64 s[30:31], s[2:3], s[6:7]
	;; [unrolled: 3-line block ×3, first 2 shown]
	s_orn2_b64 s[0:1], s[18:19], exec
.LBB87_33:                              ;   in Loop: Header=BB87_34 Depth=1
	s_or_b64 exec, exec, s[16:17]
	s_and_b64 s[0:1], exec, s[0:1]
	s_or_b64 s[72:73], s[0:1], s[72:73]
	s_andn2_b64 s[0:1], s[74:75], exec
	s_and_b64 s[2:3], s[66:67], exec
	s_or_b64 s[74:75], s[0:1], s[2:3]
	s_andn2_b64 s[0:1], s[12:13], exec
	s_and_b64 s[2:3], s[30:31], exec
	;; [unrolled: 3-line block ×3, first 2 shown]
	s_or_b64 s[70:71], s[0:1], s[2:3]
	v_mov_b64_e32 v[32:33], v[8:9]
	s_andn2_b64 exec, exec, s[72:73]
	s_cbranch_execz .LBB87_301
.LBB87_34:                              ; =>This Loop Header: Depth=1
                                        ;     Child Loop BB87_39 Depth 2
                                        ;     Child Loop BB87_53 Depth 2
	;; [unrolled: 1-line block ×17, first 2 shown]
	ds_read_b128 v[4:7], v3 offset:5120
	s_waitcnt lgkmcnt(0)
	v_readfirstlane_b32 s97, v5
	v_readfirstlane_b32 s96, v4
	s_cmp_lg_u64 s[96:97], 0
	s_cbranch_scc1 .LBB87_66
; %bb.35:                               ;   in Loop: Header=BB87_34 Depth=1
	v_readlane_b32 s0, v65, 14
	v_readlane_b32 s1, v65, 15
	s_and_b64 vcc, exec, s[0:1]
	s_cbranch_vccz .LBB87_47
; %bb.36:                               ;   in Loop: Header=BB87_34 Depth=1
	s_mov_b64 s[0:1], 0xc01
	v_cmp_gt_u64_e32 vcc, s[0:1], v[6:7]
	s_mov_b64 s[6:7], 0
	s_mov_b64 s[0:1], 0
	s_mov_b32 s23, 0xc0c0004
	s_cbranch_vccz .LBB87_48
; %bb.37:                               ;   in Loop: Header=BB87_34 Depth=1
	global_load_ushort v6, v3, s[54:55]
	global_load_ubyte v8, v[12:13], off
	v_readlane_b32 s0, v65, 32
	v_readlane_b32 s1, v65, 33
	s_mov_b64 s[8:9], 0
	s_waitcnt vmcnt(1)
	v_and_b32_e32 v2, 0xffff, v6
	v_mov_b64_e32 v[4:5], s[0:1]
	v_readfirstlane_b32 s0, v6
	v_lshl_add_u64 v[6:7], v[0:1], 0, v[2:3]
	s_and_b32 s2, 0xffff, s0
	v_mad_u64_u32 v[4:5], s[0:1], s60, v6, v[4:5]
	v_mul_lo_u32 v7, s60, v7
	v_mul_lo_u32 v9, s61, v6
	s_mul_i32 s0, s61, s2
	s_mul_hi_u32 s1, s60, s2
	s_mul_i32 s14, s60, s2
	v_add3_u32 v5, v9, v5, v7
	s_add_i32 s15, s1, s0
	v_mov_b64_e32 v[6:7], v[0:1]
	s_branch .LBB87_39
.LBB87_38:                              ;   in Loop: Header=BB87_39 Depth=2
	s_or_b64 exec, exec, s[2:3]
	v_lshl_add_u64 v[4:5], v[4:5], 0, s[14:15]
	v_mov_b32_e32 v8, v9
	s_andn2_b64 exec, exec, s[8:9]
	s_cbranch_execz .LBB87_126
.LBB87_39:                              ;   Parent Loop BB87_34 Depth=1
                                        ; =>  This Inner Loop Header: Depth=2
	v_lshl_add_u64 v[6:7], v[6:7], 0, v[2:3]
	v_cmp_gt_u64_e64 s[0:1], s[56:57], v[6:7]
	v_cmp_le_u64_e32 vcc, s[56:57], v[6:7]
	s_waitcnt lgkmcnt(0)
	v_mov_b32_e32 v10, 0
	v_mov_b32_e32 v9, 0
	s_and_saveexec_b64 s[2:3], s[0:1]
	s_cbranch_execz .LBB87_41
; %bb.40:                               ;   in Loop: Header=BB87_39 Depth=2
	global_load_ubyte v9, v[4:5], off
.LBB87_41:                              ;   in Loop: Header=BB87_39 Depth=2
	s_or_b64 exec, exec, s[2:3]
	s_waitcnt vmcnt(0)
	v_add_u32_sdwa v11, sext(v8), s33 dst_sel:DWORD dst_unused:UNUSED_PAD src0_sel:BYTE_0 src1_sel:DWORD
	v_and_b32_e32 v11, v11, v47
	v_cmp_eq_u32_e64 s[0:1], v11, v44
	s_cmp_lg_u64 s[0:1], 0
	s_cselect_b64 s[2:3], -1, 0
	s_and_b64 s[2:3], s[4:5], s[2:3]
	s_and_saveexec_b64 s[16:17], s[2:3]
	s_cbranch_execz .LBB87_45
; %bb.42:                               ;   in Loop: Header=BB87_39 Depth=2
	s_mov_b64 s[20:21], exec
	v_mbcnt_lo_u32_b32 v10, s20, 0
	v_mbcnt_hi_u32_b32 v10, s21, v10
	s_bcnt1_i32_b64 s22, s[0:1]
	v_cmp_eq_u32_e64 s[2:3], 0, v10
                                        ; implicit-def: $vgpr11
	s_and_saveexec_b64 s[18:19], s[2:3]
; %bb.43:                               ;   in Loop: Header=BB87_39 Depth=2
	s_bcnt1_i32_b64 s2, s[20:21]
	s_mul_i32 s2, s22, s2
	v_mov_b32_e32 v11, s2
	ds_add_rtn_u32 v11, v3, v11 offset:5144
; %bb.44:                               ;   in Loop: Header=BB87_39 Depth=2
	s_or_b64 exec, exec, s[18:19]
	s_waitcnt lgkmcnt(0)
	v_readfirstlane_b32 s2, v11
	s_nop 1
	v_mov_b32_e32 v11, s2
	v_mad_u32_u24 v10, s22, v10, v11
.LBB87_45:                              ;   in Loop: Header=BB87_39 Depth=2
	s_or_b64 exec, exec, s[16:17]
	ds_bpermute_b32 v10, v41, v10
	s_and_b64 s[2:3], exec, vcc
	s_or_b64 s[8:9], s[2:3], s[8:9]
	s_and_saveexec_b64 s[2:3], s[0:1]
	s_cbranch_execz .LBB87_38
; %bb.46:                               ;   in Loop: Header=BB87_39 Depth=2
	v_and_b32_e32 v34, s0, v18
	v_and_b32_e32 v11, s1, v19
	v_bcnt_u32_b32 v34, v34, 0
	v_bcnt_u32_b32 v11, v11, v34
	s_waitcnt lgkmcnt(0)
	v_add_u32_e32 v10, v10, v11
	ds_write_b8 v10, v8
	s_branch .LBB87_38
.LBB87_47:                              ;   in Loop: Header=BB87_34 Depth=1
	s_mov_b64 s[6:7], -1
	s_mov_b64 s[0:1], 0
	s_mov_b32 s23, 0xc0c0004
.LBB87_48:                              ;   in Loop: Header=BB87_34 Depth=1
	s_and_b64 vcc, exec, s[6:7]
	s_cbranch_vccz .LBB87_64
.LBB87_49:                              ;   in Loop: Header=BB87_34 Depth=1
	s_mov_b64 s[0:1], exec
	v_readlane_b32 s2, v65, 10
	v_readlane_b32 s3, v65, 11
	s_and_b64 s[2:3], s[0:1], s[2:3]
	s_mov_b64 exec, s[2:3]
	s_cbranch_execz .LBB87_61
; %bb.50:                               ;   in Loop: Header=BB87_34 Depth=1
	global_load_ushort v2, v3, s[54:55]
	global_load_ubyte v36, v[12:13], off
	v_mov_b32_e32 v8, v0
	s_waitcnt vmcnt(1)
	v_readfirstlane_b32 s6, v2
	v_add_u32_sdwa v2, v2, v0 dst_sel:DWORD dst_unused:UNUSED_PAD src0_sel:WORD_0 src1_sel:DWORD
	v_cmp_gt_u64_e32 vcc, s[56:57], v[2:3]
	s_and_saveexec_b64 s[2:3], vcc
	s_cbranch_execz .LBB87_60
; %bb.51:                               ;   in Loop: Header=BB87_34 Depth=1
	s_and_b32 s80, s6, 0xffff
	s_cmp_eq_u32 s80, 1
	v_readlane_b32 s8, v65, 21
	s_cselect_b64 s[6:7], -1, 0
	v_readlane_b32 s9, v65, 22
	s_and_b64 s[14:15], s[8:9], s[6:7]
	s_mov_b64 s[8:9], -1
	v_mov_b64_e32 v[6:7], v[0:1]
	v_mov_b64_e32 v[4:5], v[2:3]
                                        ; implicit-def: $vgpr8_vgpr9
	s_and_saveexec_b64 s[6:7], s[14:15]
	s_cbranch_execz .LBB87_55
; %bb.52:                               ;   in Loop: Header=BB87_34 Depth=1
	v_lshl_add_u64 v[8:9], v[2:3], 0, 3
	v_lshl_add_u64 v[6:7], v[2:3], 0, 2
	;; [unrolled: 1-line block ×3, first 2 shown]
	v_mov_b64_e32 v[10:11], v[8:9]
	s_waitcnt vmcnt(0)
	v_lshlrev_b32_e32 v38, 24, v36
	s_mov_b64 s[8:9], 0
	v_mov_b64_e32 v[34:35], v[20:21]
	v_mov_b32_e32 v37, v0
	v_mov_b64_e32 v[8:9], v[6:7]
	v_mov_b64_e32 v[6:7], v[4:5]
	;; [unrolled: 1-line block ×3, first 2 shown]
.LBB87_53:                              ;   Parent Loop BB87_34 Depth=1
                                        ; =>  This Inner Loop Header: Depth=2
	v_mov_b64_e32 v[52:53], s[78:79]
	v_mul_lo_u32 v63, v10, s93
	v_mul_lo_u32 v64, v11, s92
	v_mad_u64_u32 v[54:55], s[14:15], v4, s60, v[52:53]
	v_mad_u64_u32 v[56:57], s[14:15], v6, s87, v[52:53]
	;; [unrolled: 1-line block ×4, first 2 shown]
	v_mul_lo_u32 v36, v4, s61
	v_mul_lo_u32 v39, v5, s60
	;; [unrolled: 1-line block ×6, first 2 shown]
	v_add3_u32 v53, v64, v53, v63
	v_add3_u32 v55, v39, v55, v36
	;; [unrolled: 1-line block ×4, first 2 shown]
	global_load_ubyte v36, v[52:53], off
	global_load_ubyte v39, v[56:57], off
	global_load_ubyte v49, v[54:55], off
	s_nop 0
	global_load_ubyte v52, v[58:59], off
	s_mov_b32 s14, 0xc0c0007
	v_lshl_add_u64 v[34:35], v[34:35], 0, -4
	v_cmp_eq_u64_e32 vcc, 0, v[34:35]
	v_lshl_add_u64 v[10:11], v[10:11], 0, 4
	v_lshl_add_u64 v[8:9], v[8:9], 0, 4
	;; [unrolled: 1-line block ×4, first 2 shown]
	s_or_b64 s[8:9], vcc, s[8:9]
	s_waitcnt vmcnt(1)
	v_perm_b32 v53, v49, v39, s23
	s_waitcnt vmcnt(0)
	v_perm_b32 v54, v52, v36, s23
	v_perm_b32 v39, v39, v52, s23
	;; [unrolled: 1-line block ×3, first 2 shown]
	v_lshl_or_b32 v49, v54, 16, v53
	v_lshl_or_b32 v38, v39, 16, v38
	ds_write_b32 v37, v38
	v_add_u32_e32 v37, 4, v37
	v_mov_b32_e32 v38, v49
	s_andn2_b64 exec, exec, s[8:9]
	s_cbranch_execnz .LBB87_53
; %bb.54:                               ;   in Loop: Header=BB87_34 Depth=1
	s_or_b64 exec, exec, s[8:9]
	v_readlane_b32 s8, v65, 23
	v_lshl_add_u64 v[4:5], v[2:3], 0, v[20:21]
	v_readlane_b32 s9, v65, 24
	v_lshl_add_u64 v[8:9], v[4:5], 0, -1
	s_orn2_b64 s[8:9], s[8:9], exec
	v_mov_b64_e32 v[6:7], v[22:23]
.LBB87_55:                              ;   in Loop: Header=BB87_34 Depth=1
	s_or_b64 exec, exec, s[6:7]
	s_and_saveexec_b64 s[6:7], s[8:9]
	s_cbranch_execz .LBB87_59
; %bb.56:                               ;   in Loop: Header=BB87_34 Depth=1
	v_readlane_b32 s16, v65, 32
	v_readlane_b32 s17, v65, 33
	s_sub_u32 s8, 0, s80
	v_mul_lo_u32 v2, s60, v5
	v_mov_b64_e32 v[8:9], s[16:17]
	v_mad_u64_u32 v[8:9], s[16:17], s60, v4, v[8:9]
	v_mul_lo_u32 v7, s61, v4
	s_mul_i32 s16, s61, s80
	s_mul_hi_u32 s17, s60, s80
	s_mov_b64 s[14:15], 0
	s_subb_u32 s9, 0, 0
	v_add3_u32 v9, v7, v9, v2
	s_add_i32 s17, s17, s16
	s_mul_i32 s16, s60, s80
.LBB87_57:                              ;   Parent Loop BB87_34 Depth=1
                                        ; =>  This Inner Loop Header: Depth=2
	global_load_ubyte v2, v[8:9], off
	v_mov_b64_e32 v[10:11], v[4:5]
	v_lshl_add_u64 v[4:5], v[10:11], 0, s[80:81]
	v_cmp_le_u64_e32 vcc, s[56:57], v[4:5]
	s_waitcnt vmcnt(1)
	ds_write_b8 v6, v36
	v_lshl_add_u64 v[8:9], v[8:9], 0, s[16:17]
	v_mov_b64_e32 v[6:7], v[10:11]
	s_or_b64 s[14:15], vcc, s[14:15]
	s_waitcnt vmcnt(0)
	v_mov_b32_e32 v36, v2
	s_andn2_b64 exec, exec, s[14:15]
	s_cbranch_execnz .LBB87_57
; %bb.58:                               ;   in Loop: Header=BB87_34 Depth=1
	s_or_b64 exec, exec, s[14:15]
	v_lshl_add_u64 v[8:9], s[8:9], 0, v[4:5]
	v_mov_b32_e32 v36, v2
.LBB87_59:                              ;   in Loop: Header=BB87_34 Depth=1
	s_or_b64 exec, exec, s[6:7]
.LBB87_60:                              ;   in Loop: Header=BB87_34 Depth=1
	s_or_b64 exec, exec, s[2:3]
	s_waitcnt vmcnt(0)
	ds_write_b8 v8, v36
.LBB87_61:                              ;   in Loop: Header=BB87_34 Depth=1
	s_or_b64 exec, exec, s[0:1]
	s_waitcnt lgkmcnt(0)
	s_barrier
	s_mov_b64 s[0:1], exec
	v_readlane_b32 s2, v65, 4
	v_readlane_b32 s3, v65, 5
	s_and_b64 s[2:3], s[0:1], s[2:3]
	s_mov_b64 exec, s[2:3]
; %bb.62:                               ;   in Loop: Header=BB87_34 Depth=1
	ds_write_b64 v3, v[50:51] offset:5120
; %bb.63:                               ;   in Loop: Header=BB87_34 Depth=1
	s_or_b64 exec, exec, s[0:1]
	s_waitcnt lgkmcnt(0)
	s_barrier
	s_mov_b64 s[0:1], -1
.LBB87_64:                              ;   in Loop: Header=BB87_34 Depth=1
	s_mov_b64 s[96:97], 0
	s_and_b64 vcc, exec, s[0:1]
	s_cbranch_vccz .LBB87_66
; %bb.65:                               ;   in Loop: Header=BB87_34 Depth=1
	ds_read_b64 v[4:5], v3 offset:5120
	s_waitcnt lgkmcnt(0)
	v_readfirstlane_b32 s96, v4
.LBB87_66:                              ;   in Loop: Header=BB87_34 Depth=1
	s_cmp_lt_i32 s96, 1
	s_mov_b64 s[0:1], -1
                                        ; implicit-def: $vgpr10_vgpr11
                                        ; implicit-def: $vgpr6_vgpr7
	s_cbranch_scc0 .LBB87_81
; %bb.67:                               ;   in Loop: Header=BB87_34 Depth=1
	global_load_ushort v2, v3, s[54:55]
	s_mov_b32 s0, s81
	s_waitcnt vmcnt(0)
	v_readfirstlane_b32 s1, v2
	s_and_b32 s1, 0xffff, s1
	s_lshl_b32 s80, s1, 2
	s_mov_b32 s1, s57
	s_cmp_lg_u64 s[0:1], 0
	s_cbranch_scc0 .LBB87_99
; %bb.68:                               ;   in Loop: Header=BB87_34 Depth=1
	v_cvt_f32_u32_e32 v4, s80
	s_sub_u32 s2, 0, s80
	s_subb_u32 s3, 0, 0
	v_fmac_f32_e32 v4, 0, v45
	v_rcp_f32_e32 v4, v4
	s_nop 0
	v_mul_f32_e32 v4, 0x5f7ffffc, v4
	v_mul_f32_e32 v5, 0x2f800000, v4
	v_trunc_f32_e32 v5, v5
	v_fmac_f32_e32 v4, 0xcf800000, v5
	v_cvt_u32_f32_e32 v5, v5
	v_cvt_u32_f32_e32 v4, v4
	v_readfirstlane_b32 s6, v5
	v_readfirstlane_b32 s0, v4
	s_mul_i32 s1, s2, s6
	s_mul_hi_u32 s8, s2, s0
	s_mul_i32 s7, s3, s0
	s_add_i32 s1, s8, s1
	s_mul_i32 s9, s2, s0
	s_add_i32 s1, s1, s7
	s_mul_hi_u32 s8, s0, s9
	s_mul_i32 s14, s0, s1
	s_mul_hi_u32 s7, s0, s1
	s_add_u32 s8, s8, s14
	s_addc_u32 s7, 0, s7
	s_mul_hi_u32 s15, s6, s9
	s_mul_i32 s9, s6, s9
	s_add_u32 s8, s8, s9
	s_mul_hi_u32 s14, s6, s1
	s_addc_u32 s7, s7, s15
	s_addc_u32 s8, s14, 0
	s_mul_i32 s1, s6, s1
	s_add_u32 s1, s7, s1
	s_addc_u32 s7, 0, s8
	s_add_u32 s8, s0, s1
	s_cselect_b64 s[0:1], -1, 0
	s_cmp_lg_u64 s[0:1], 0
	s_addc_u32 s6, s6, s7
	s_mul_i32 s0, s2, s6
	s_mul_hi_u32 s1, s2, s8
	s_add_i32 s0, s1, s0
	s_mul_i32 s3, s3, s8
	s_add_i32 s0, s0, s3
	s_mul_i32 s2, s2, s8
	s_mul_hi_u32 s3, s6, s2
	s_mul_i32 s7, s6, s2
	s_mul_i32 s14, s8, s0
	s_mul_hi_u32 s2, s8, s2
	s_mul_hi_u32 s9, s8, s0
	s_add_u32 s2, s2, s14
	s_addc_u32 s9, 0, s9
	s_add_u32 s2, s2, s7
	s_mul_hi_u32 s1, s6, s0
	s_addc_u32 s2, s9, s3
	s_addc_u32 s1, s1, 0
	s_mul_i32 s0, s6, s0
	s_add_u32 s0, s2, s0
	s_addc_u32 s2, 0, s1
	s_add_u32 s3, s8, s0
	s_cselect_b64 s[0:1], -1, 0
	s_cmp_lg_u64 s[0:1], 0
	s_addc_u32 s0, s6, s2
	s_mul_i32 s2, s56, s0
	s_mul_hi_u32 s6, s56, s3
	s_mul_hi_u32 s1, s56, s0
	s_add_u32 s2, s6, s2
	s_addc_u32 s1, 0, s1
	s_mul_hi_u32 s7, s57, s3
	s_mul_i32 s3, s57, s3
	s_add_u32 s2, s2, s3
	s_mul_hi_u32 s6, s57, s0
	s_addc_u32 s1, s1, s7
	s_addc_u32 s2, s6, 0
	s_mul_i32 s0, s57, s0
	s_add_u32 s0, s1, s0
	s_addc_u32 s1, 0, s2
	s_mul_i32 s1, s80, s1
	s_mul_hi_u32 s2, s80, s0
	s_add_i32 s2, s2, s1
	s_mul_i32 s0, s80, s0
	s_sub_u32 s3, s56, s0
	s_cselect_b64 s[0:1], -1, 0
	s_cmp_lg_u64 s[0:1], 0
	s_subb_u32 s2, s57, s2
	s_sub_u32 s6, s3, s80
	s_cselect_b64 s[0:1], -1, 0
	s_cmp_lg_u64 s[0:1], 0
	s_subb_u32 s7, s2, 0
	;; [unrolled: 4-line block ×3, first 2 shown]
	s_cmp_ge_u32 s6, s80
	s_cselect_b32 s1, -1, 0
	s_cmp_eq_u32 s7, 0
	s_cselect_b32 s1, s1, -1
	s_cmp_lg_u32 s1, 0
	s_cselect_b32 s0, s0, s7
	s_cselect_b32 s6, s8, s6
	s_cmp_ge_u32 s3, s80
	s_cselect_b32 s1, -1, 0
	s_cmp_eq_u32 s2, 0
	s_cselect_b32 s1, s1, -1
	s_cmp_lg_u32 s1, 0
	s_cselect_b32 s1, s0, s2
	s_cselect_b32 s0, s6, s3
	s_cbranch_execnz .LBB87_70
.LBB87_69:                              ;   in Loop: Header=BB87_34 Depth=1
	v_cvt_f32_u32_e32 v4, s80
	s_sub_i32 s0, 0, s80
	v_rcp_iflag_f32_e32 v4, v4
	s_nop 0
	v_mul_f32_e32 v4, 0x4f7ffffe, v4
	v_cvt_u32_f32_e32 v4, v4
	s_nop 0
	v_readfirstlane_b32 s1, v4
	s_mul_i32 s0, s0, s1
	s_mul_hi_u32 s0, s1, s0
	s_add_i32 s1, s1, s0
	s_mul_hi_u32 s0, s56, s1
	s_mul_i32 s0, s0, s80
	s_sub_i32 s0, s56, s0
	s_sub_i32 s1, s0, s80
	s_cmp_ge_u32 s0, s80
	s_cselect_b32 s0, s1, s0
	s_sub_i32 s1, s0, s80
	s_cmp_ge_u32 s0, s80
	s_cselect_b32 s0, s1, s0
	s_mov_b32 s1, s81
.LBB87_70:                              ;   in Loop: Header=BB87_34 Depth=1
	s_sub_u32 s92, s56, s0
	s_subb_u32 s93, s57, s1
	v_and_b32_e32 v2, 0xffff, v2
	v_cmp_gt_u64_e32 vcc, s[92:93], v[14:15]
	v_mov_b64_e32 v[4:5], 0
	v_mov_b64_e32 v[6:7], 0
	;; [unrolled: 1-line block ×4, first 2 shown]
	s_and_saveexec_b64 s[94:95], vcc
	s_cbranch_execz .LBB87_74
; %bb.71:                               ;   in Loop: Header=BB87_34 Depth=1
	v_readlane_b32 s0, v65, 30
	v_readlane_b32 s1, v65, 31
	s_mov_b64 s[8:9], 0
	v_mul_hi_u32 v5, s0, v2
	v_mul_lo_u32 v4, s1, v2
	v_add_u32_e32 v35, v5, v4
	v_mul_lo_u32 v34, s0, v2
	v_mov_b64_e32 v[36:37], s[78:79]
	s_mov_b64 s[14:15], 0
	s_mov_b64 s[86:87], 0
	;; [unrolled: 1-line block ×4, first 2 shown]
	v_mov_b64_e32 v[38:39], v[14:15]
.LBB87_72:                              ;   Parent Loop BB87_34 Depth=1
                                        ; =>  This Inner Loop Header: Depth=2
	v_lshl_add_u64 v[4:5], v[36:37], 0, v[30:31]
	v_lshl_add_u64 v[6:7], v[36:37], 0, v[28:29]
	;; [unrolled: 1-line block ×4, first 2 shown]
	global_load_sbyte v4, v[4:5], off
	s_nop 0
	global_load_sbyte v5, v[6:7], off
	s_nop 0
	global_load_sbyte v6, v[8:9], off
	global_load_sbyte v7, v[10:11], off
	v_lshl_add_u64 v[38:39], v[38:39], 0, s[80:81]
	v_cmp_le_u64_e32 vcc, s[92:93], v[38:39]
	v_lshl_add_u64 v[36:37], v[36:37], 0, v[34:35]
	s_waitcnt vmcnt(3)
	v_add_u32_e32 v4, 0x80, v4
	s_waitcnt vmcnt(2)
	v_add_u32_e32 v5, 0x80, v5
	v_and_b32_e32 v8, v4, v47
	v_bfe_u32 v4, v4, s91, 2
	s_waitcnt vmcnt(1)
	v_add_u32_e32 v6, 0x80, v6
	v_and_b32_e32 v9, v5, v47
	v_bfe_u32 v5, v5, s91, 2
	v_cmp_eq_u32_e64 s[20:21], v8, v44
	v_cmp_eq_u32_e64 s[2:3], 0, v4
	s_waitcnt vmcnt(0)
	v_add_u32_e32 v7, 0x80, v7
	v_and_b32_e32 v10, v6, v47
	v_bfe_u32 v6, v6, s91, 2
	v_cmp_eq_u32_e64 s[18:19], v9, v44
	v_cmp_eq_u32_e64 s[34:35], 0, v5
	s_and_b64 s[2:3], s[20:21], s[2:3]
	v_and_b32_e32 v11, v7, v47
	v_bfe_u32 v7, v7, s91, 2
	v_cmp_eq_u32_e64 s[16:17], v10, v44
	v_cmp_eq_u32_e64 s[36:37], 0, v6
	;; [unrolled: 1-line block ×5, first 2 shown]
	v_cndmask_b32_e64 v4, 0, 1, s[2:3]
	s_and_b64 s[2:3], s[18:19], s[34:35]
	v_cmp_eq_u32_e64 s[0:1], v11, v44
	v_cmp_eq_u32_e64 s[38:39], 0, v7
	;; [unrolled: 1-line block ×5, first 2 shown]
	v_cndmask_b32_e64 v5, 0, 1, s[2:3]
	s_and_b64 s[2:3], s[16:17], s[36:37]
	v_cmp_eq_u32_e64 s[44:45], 1, v6
	v_cmp_eq_u32_e64 s[52:53], 2, v6
	;; [unrolled: 1-line block ×3, first 2 shown]
	v_cndmask_b32_e64 v6, 0, 1, s[2:3]
	s_and_b64 s[2:3], s[0:1], s[38:39]
	v_cmp_eq_u32_e64 s[46:47], 1, v7
	v_cmp_eq_u32_e64 s[54:55], 2, v7
	;; [unrolled: 1-line block ×3, first 2 shown]
	v_cndmask_b32_e64 v7, 0, 1, s[2:3]
	v_cmp_ne_u32_e64 s[2:3], 0, v4
	v_cmp_ne_u32_e64 s[34:35], 0, v5
	;; [unrolled: 1-line block ×4, first 2 shown]
	s_bcnt1_i32_b64 s2, s[2:3]
	s_bcnt1_i32_b64 s3, s[34:35]
	;; [unrolled: 1-line block ×4, first 2 shown]
	s_add_u32 s2, s2, s98
	s_addc_u32 s36, 0, s99
	s_add_u32 s2, s2, s3
	s_addc_u32 s3, s36, 0
	;; [unrolled: 2-line block ×4, first 2 shown]
	s_and_b64 s[2:3], s[20:21], s[40:41]
	v_cndmask_b32_e64 v6, 0, 1, s[2:3]
	s_and_b64 s[2:3], s[18:19], s[42:43]
	v_cndmask_b32_e64 v7, 0, 1, s[2:3]
	;; [unrolled: 2-line block ×4, first 2 shown]
	v_cmp_ne_u32_e64 s[2:3], 0, v6
	v_cmp_ne_u32_e64 s[34:35], 0, v7
	;; [unrolled: 1-line block ×4, first 2 shown]
	s_bcnt1_i32_b64 s2, s[2:3]
	s_bcnt1_i32_b64 s3, s[34:35]
	;; [unrolled: 1-line block ×4, first 2 shown]
	s_add_u32 s2, s2, s6
	s_addc_u32 s6, 0, s7
	s_add_u32 s2, s2, s3
	s_addc_u32 s3, s6, 0
	;; [unrolled: 2-line block ×4, first 2 shown]
	s_and_b64 s[2:3], s[20:21], s[48:49]
	v_cndmask_b32_e64 v8, 0, 1, s[2:3]
	s_and_b64 s[2:3], s[18:19], s[50:51]
	v_cndmask_b32_e64 v9, 0, 1, s[2:3]
	;; [unrolled: 2-line block ×4, first 2 shown]
	v_cmp_ne_u32_e64 s[2:3], 0, v8
	v_cmp_ne_u32_e64 s[34:35], 0, v9
	;; [unrolled: 1-line block ×4, first 2 shown]
	s_bcnt1_i32_b64 s2, s[2:3]
	s_bcnt1_i32_b64 s3, s[34:35]
	;; [unrolled: 1-line block ×4, first 2 shown]
	s_add_u32 s2, s2, s86
	s_addc_u32 s36, 0, s87
	s_add_u32 s2, s2, s3
	s_addc_u32 s3, s36, 0
	;; [unrolled: 2-line block ×4, first 2 shown]
	s_and_b64 s[2:3], s[20:21], s[28:29]
	v_cndmask_b32_e64 v10, 0, 1, s[2:3]
	s_and_b64 s[2:3], s[18:19], s[26:27]
	v_cndmask_b32_e64 v11, 0, 1, s[2:3]
	s_and_b64 s[2:3], s[16:17], s[24:25]
	s_and_b64 s[0:1], s[0:1], s[22:23]
	v_cndmask_b32_e64 v49, 0, 1, s[2:3]
	v_cndmask_b32_e64 v52, 0, 1, s[0:1]
	v_cmp_ne_u32_e64 s[0:1], 0, v10
	v_cmp_ne_u32_e64 s[2:3], 0, v11
	;; [unrolled: 1-line block ×4, first 2 shown]
	s_bcnt1_i32_b64 s0, s[0:1]
	s_bcnt1_i32_b64 s1, s[2:3]
	;; [unrolled: 1-line block ×4, first 2 shown]
	s_add_u32 s0, s0, s14
	s_addc_u32 s14, 0, s15
	s_add_u32 s0, s0, s1
	s_addc_u32 s1, s14, 0
	;; [unrolled: 2-line block ×4, first 2 shown]
	v_mov_b64_e32 v[4:5], s[98:99]
	v_mov_b64_e32 v[6:7], s[6:7]
	;; [unrolled: 1-line block ×3, first 2 shown]
	s_or_b64 s[8:9], vcc, s[8:9]
	v_mov_b64_e32 v[10:11], s[14:15]
	s_andn2_b64 exec, exec, s[8:9]
	s_cbranch_execnz .LBB87_72
; %bb.73:                               ;   in Loop: Header=BB87_34 Depth=1
	s_or_b64 exec, exec, s[8:9]
	v_readlane_b32 s98, v65, 35
	v_readlane_b32 s54, v65, 37
	;; [unrolled: 1-line block ×7, first 2 shown]
.LBB87_74:                              ;   in Loop: Header=BB87_34 Depth=1
	s_or_b64 exec, exec, s[94:95]
	v_lshl_add_u64 v[34:35], s[92:93], 0, v[0:1]
	v_cmp_gt_u64_e32 vcc, s[56:57], v[34:35]
	s_and_saveexec_b64 s[2:3], vcc
	v_readlane_b32 s92, v65, 43
	v_readlane_b32 s93, v65, 44
	s_cbranch_execz .LBB87_80
; %bb.75:                               ;   in Loop: Header=BB87_34 Depth=1
	v_mov_b64_e32 v[36:37], s[78:79]
	v_mad_u64_u32 v[36:37], s[0:1], v34, s60, v[36:37]
	v_mul_lo_u32 v38, v34, s61
	v_mul_lo_u32 v39, v35, s60
	v_add3_u32 v37, v39, v37, v38
	global_load_ubyte v37, v[36:37], off
	s_mov_b64 s[6:7], 0
	s_branch .LBB87_77
.LBB87_76:                              ;   in Loop: Header=BB87_77 Depth=2
	s_or_b64 exec, exec, s[8:9]
	s_waitcnt vmcnt(0)
	v_add_u32_sdwa v37, sext(v37), s33 dst_sel:DWORD dst_unused:UNUSED_PAD src0_sel:BYTE_0 src1_sel:DWORD
	s_and_b64 s[0:1], exec, vcc
	v_and_b32_e32 v38, v37, v47
	v_bfe_u32 v37, v37, s91, 2
	s_or_b64 s[6:7], s[0:1], s[6:7]
	v_cmp_eq_u32_e32 vcc, v38, v44
	v_cmp_eq_u32_e64 s[0:1], 0, v37
	s_and_b64 s[0:1], vcc, s[0:1]
	s_nop 0
	v_cndmask_b32_e64 v38, 0, 1, s[0:1]
	v_cmp_ne_u32_e64 s[0:1], 0, v38
	s_bcnt1_i32_b64 s80, s[0:1]
	v_cmp_eq_u32_e64 s[0:1], 1, v37
	s_and_b64 s[0:1], vcc, s[0:1]
	v_lshl_add_u64 v[4:5], s[80:81], 0, v[4:5]
	v_cndmask_b32_e64 v38, 0, 1, s[0:1]
	v_cmp_ne_u32_e64 s[0:1], 0, v38
	s_bcnt1_i32_b64 s80, s[0:1]
	v_cmp_eq_u32_e64 s[0:1], 2, v37
	s_and_b64 s[0:1], vcc, s[0:1]
	v_lshl_add_u64 v[6:7], s[80:81], 0, v[6:7]
	;; [unrolled: 6-line block ×3, first 2 shown]
	v_cndmask_b32_e64 v37, 0, 1, s[0:1]
	v_cmp_ne_u32_e32 vcc, 0, v37
	s_bcnt1_i32_b64 s80, vcc
	v_lshl_add_u64 v[10:11], s[80:81], 0, v[10:11]
	v_mov_b32_e32 v37, v36
	s_andn2_b64 exec, exec, s[6:7]
	s_cbranch_execz .LBB87_79
.LBB87_77:                              ;   Parent Loop BB87_34 Depth=1
                                        ; =>  This Inner Loop Header: Depth=2
	v_lshl_add_u64 v[34:35], v[34:35], 0, v[2:3]
	v_cmp_gt_u64_e64 s[0:1], s[56:57], v[34:35]
	v_cmp_le_u64_e32 vcc, s[56:57], v[34:35]
	v_mov_b32_e32 v36, 0
	s_and_saveexec_b64 s[8:9], s[0:1]
	s_cbranch_execz .LBB87_76
; %bb.78:                               ;   in Loop: Header=BB87_77 Depth=2
	v_mov_b64_e32 v[38:39], s[78:79]
	v_mad_u64_u32 v[38:39], s[0:1], v34, s60, v[38:39]
	v_mul_lo_u32 v36, v34, s61
	v_mul_lo_u32 v49, v35, s60
	v_add3_u32 v39, v49, v39, v36
	global_load_ubyte v36, v[38:39], off
	s_branch .LBB87_76
.LBB87_79:                              ;   in Loop: Header=BB87_34 Depth=1
	s_or_b64 exec, exec, s[6:7]
.LBB87_80:                              ;   in Loop: Header=BB87_34 Depth=1
	s_or_b64 exec, exec, s[2:3]
	s_mov_b64 s[0:1], 0
.LBB87_81:                              ;   in Loop: Header=BB87_34 Depth=1
	s_and_b64 vcc, exec, s[0:1]
	s_cbranch_vccz .LBB87_91
; %bb.82:                               ;   in Loop: Header=BB87_34 Depth=1
	global_load_ushort v2, v3, s[54:55]
	v_mov_b64_e32 v[8:9], 0
	s_waitcnt vmcnt(0)
	v_readfirstlane_b32 s0, v2
	s_and_b32 s88, 0xffff, s0
	s_lshl_b32 s80, s88, 2
	v_cvt_f32_u32_e32 v4, s80
	s_sub_i32 s0, 0, s80
	v_rcp_iflag_f32_e32 v6, v4
	v_mov_b64_e32 v[4:5], 0
	v_mul_f32_e32 v6, 0x4f7ffffe, v6
	v_cvt_u32_f32_e32 v10, v6
	v_mov_b64_e32 v[6:7], 0
	v_readfirstlane_b32 s1, v10
	s_mul_i32 s0, s0, s1
	s_mul_hi_u32 s0, s1, s0
	s_add_i32 s1, s1, s0
	s_mul_hi_u32 s0, s96, s1
	s_mul_i32 s1, s0, s80
	s_sub_i32 s1, s96, s1
	s_add_i32 s2, s0, 1
	s_sub_i32 s3, s1, s80
	s_cmp_ge_u32 s1, s80
	s_cselect_b32 s0, s2, s0
	s_cselect_b32 s1, s3, s1
	s_add_i32 s2, s0, 1
	s_cmp_ge_u32 s1, s80
	s_cselect_b32 s0, s2, s0
	s_mul_hi_u32 s93, s88, s0
	s_mul_i32 s92, s88, s0
	s_lshl_b64 s[94:95], s[92:93], 2
	v_cmp_gt_u64_e32 vcc, s[94:95], v[14:15]
	v_mov_b64_e32 v[10:11], 0
	s_and_saveexec_b64 s[8:9], vcc
	s_cbranch_execz .LBB87_86
; %bb.83:                               ;   in Loop: Header=BB87_34 Depth=1
	s_mov_b64 s[14:15], 0
	v_mov_b32_e32 v36, v14
	s_mov_b64 s[6:7], 0
	s_mov_b64 s[86:87], 0
	;; [unrolled: 1-line block ×4, first 2 shown]
	v_mov_b64_e32 v[34:35], v[14:15]
.LBB87_84:                              ;   Parent Loop BB87_34 Depth=1
                                        ; =>  This Inner Loop Header: Depth=2
	ds_read_b32 v4, v36
	v_lshl_add_u64 v[34:35], v[34:35], 0, s[80:81]
	v_cmp_le_u64_e32 vcc, s[94:95], v[34:35]
	v_add_u32_e32 v36, s80, v36
	s_waitcnt lgkmcnt(0)
	v_add_u32_sdwa v5, sext(v4), s33 dst_sel:DWORD dst_unused:UNUSED_PAD src0_sel:BYTE_0 src1_sel:DWORD
	v_add_u32_sdwa v6, sext(v4), s33 dst_sel:DWORD dst_unused:UNUSED_PAD src0_sel:BYTE_1 src1_sel:DWORD
	v_and_b32_e32 v8, v5, v47
	v_bfe_u32 v5, v5, s91, 2
	v_add_u32_sdwa v7, sext(v4), s33 dst_sel:DWORD dst_unused:UNUSED_PAD src0_sel:BYTE_2 src1_sel:DWORD
	v_add_u32_sdwa v4, sext(v4), s33 dst_sel:DWORD dst_unused:UNUSED_PAD src0_sel:BYTE_3 src1_sel:DWORD
	v_and_b32_e32 v9, v6, v47
	v_bfe_u32 v6, v6, s91, 2
	v_cmp_eq_u32_e64 s[20:21], v8, v44
	v_cmp_eq_u32_e64 s[2:3], 0, v5
	v_and_b32_e32 v10, v7, v47
	v_and_b32_e32 v11, v4, v47
	v_bfe_u32 v7, v7, s91, 2
	v_bfe_u32 v4, v4, s91, 2
	v_cmp_eq_u32_e64 s[18:19], v9, v44
	v_cmp_eq_u32_e64 s[34:35], 0, v6
	s_and_b64 s[2:3], s[20:21], s[2:3]
	v_cmp_eq_u32_e64 s[16:17], v10, v44
	v_cmp_eq_u32_e64 s[36:37], 0, v7
	;; [unrolled: 1-line block ×6, first 2 shown]
	v_cndmask_b32_e64 v4, 0, 1, s[2:3]
	s_and_b64 s[2:3], s[18:19], s[34:35]
	v_cmp_eq_u32_e64 s[0:1], v11, v44
	v_cmp_eq_u32_e64 s[40:41], 1, v5
	;; [unrolled: 1-line block ×4, first 2 shown]
	v_cndmask_b32_e64 v5, 0, 1, s[2:3]
	s_and_b64 s[2:3], s[16:17], s[36:37]
	v_cmp_eq_u32_e64 s[42:43], 1, v6
	v_cmp_eq_u32_e64 s[50:51], 2, v6
	v_cmp_eq_u32_e64 s[26:27], 3, v6
	v_cndmask_b32_e64 v6, 0, 1, s[2:3]
	s_and_b64 s[2:3], s[0:1], s[38:39]
	v_cmp_eq_u32_e64 s[44:45], 1, v7
	v_cmp_eq_u32_e64 s[52:53], 2, v7
	;; [unrolled: 1-line block ×3, first 2 shown]
	v_cndmask_b32_e64 v7, 0, 1, s[2:3]
	v_cmp_ne_u32_e64 s[2:3], 0, v4
	v_cmp_ne_u32_e64 s[34:35], 0, v5
	v_cmp_ne_u32_e64 s[36:37], 0, v6
	v_cmp_ne_u32_e64 s[38:39], 0, v7
	s_bcnt1_i32_b64 s2, s[2:3]
	s_bcnt1_i32_b64 s3, s[34:35]
	;; [unrolled: 1-line block ×4, first 2 shown]
	s_add_u32 s2, s2, s82
	s_addc_u32 s36, 0, s83
	s_add_u32 s2, s2, s3
	s_addc_u32 s3, s36, 0
	;; [unrolled: 2-line block ×4, first 2 shown]
	s_and_b64 s[2:3], s[20:21], s[40:41]
	v_cndmask_b32_e64 v6, 0, 1, s[2:3]
	s_and_b64 s[2:3], s[18:19], s[42:43]
	v_cndmask_b32_e64 v7, 0, 1, s[2:3]
	;; [unrolled: 2-line block ×4, first 2 shown]
	v_cmp_ne_u32_e64 s[2:3], 0, v6
	v_cmp_ne_u32_e64 s[34:35], 0, v7
	;; [unrolled: 1-line block ×4, first 2 shown]
	s_bcnt1_i32_b64 s2, s[2:3]
	s_bcnt1_i32_b64 s3, s[34:35]
	;; [unrolled: 1-line block ×4, first 2 shown]
	s_add_u32 s2, s2, s98
	s_addc_u32 s36, 0, s99
	s_add_u32 s2, s2, s3
	s_addc_u32 s3, s36, 0
	s_add_u32 s2, s2, s34
	s_addc_u32 s3, s3, 0
	s_add_u32 s98, s2, s35
	s_addc_u32 s99, s3, 0
	s_and_b64 s[2:3], s[20:21], s[48:49]
	v_cndmask_b32_e64 v8, 0, 1, s[2:3]
	s_and_b64 s[2:3], s[18:19], s[50:51]
	v_cndmask_b32_e64 v9, 0, 1, s[2:3]
	;; [unrolled: 2-line block ×4, first 2 shown]
	v_cmp_ne_u32_e64 s[2:3], 0, v8
	v_cmp_ne_u32_e64 s[34:35], 0, v9
	;; [unrolled: 1-line block ×4, first 2 shown]
	s_bcnt1_i32_b64 s2, s[2:3]
	s_bcnt1_i32_b64 s3, s[34:35]
	;; [unrolled: 1-line block ×4, first 2 shown]
	s_add_u32 s2, s2, s86
	s_addc_u32 s36, 0, s87
	s_add_u32 s2, s2, s3
	s_addc_u32 s3, s36, 0
	s_add_u32 s2, s2, s34
	s_addc_u32 s3, s3, 0
	s_add_u32 s86, s2, s35
	s_addc_u32 s87, s3, 0
	s_and_b64 s[2:3], s[20:21], s[28:29]
	v_cndmask_b32_e64 v10, 0, 1, s[2:3]
	s_and_b64 s[2:3], s[18:19], s[26:27]
	v_cndmask_b32_e64 v11, 0, 1, s[2:3]
	s_and_b64 s[2:3], s[16:17], s[24:25]
	s_and_b64 s[0:1], s[0:1], s[22:23]
	v_cndmask_b32_e64 v37, 0, 1, s[2:3]
	v_cndmask_b32_e64 v38, 0, 1, s[0:1]
	v_cmp_ne_u32_e64 s[0:1], 0, v10
	v_cmp_ne_u32_e64 s[2:3], 0, v11
	v_cmp_ne_u32_e64 s[16:17], 0, v37
	v_cmp_ne_u32_e64 s[18:19], 0, v38
	s_bcnt1_i32_b64 s0, s[0:1]
	s_bcnt1_i32_b64 s1, s[2:3]
	;; [unrolled: 1-line block ×4, first 2 shown]
	s_add_u32 s0, s0, s6
	s_addc_u32 s6, 0, s7
	s_add_u32 s0, s0, s1
	s_addc_u32 s1, s6, 0
	;; [unrolled: 2-line block ×4, first 2 shown]
	v_mov_b64_e32 v[4:5], s[82:83]
	v_mov_b64_e32 v[6:7], s[98:99]
	;; [unrolled: 1-line block ×3, first 2 shown]
	s_or_b64 s[14:15], vcc, s[14:15]
	v_mov_b64_e32 v[10:11], s[6:7]
	s_andn2_b64 exec, exec, s[14:15]
	s_cbranch_execnz .LBB87_84
; %bb.85:                               ;   in Loop: Header=BB87_34 Depth=1
	s_or_b64 exec, exec, s[14:15]
	v_readlane_b32 s98, v65, 35
	v_readlane_b32 s54, v65, 37
	;; [unrolled: 1-line block ×7, first 2 shown]
.LBB87_86:                              ;   in Loop: Header=BB87_34 Depth=1
	s_or_b64 exec, exec, s[8:9]
	s_and_b32 s6, s96, 0x7fffffff
	s_mov_b32 s7, s81
	v_lshl_add_u64 v[34:35], s[94:95], 0, v[0:1]
	v_and_b32_e32 v2, 0xffff, v2
	v_cmp_gt_u64_e32 vcc, s[6:7], v[34:35]
	s_and_saveexec_b64 s[8:9], vcc
	v_readlane_b32 s93, v65, 44
	s_cbranch_execz .LBB87_90
; %bb.87:                               ;   in Loop: Header=BB87_34 Depth=1
	v_lshl_add_u32 v36, s92, 2, v0
	s_mov_b64 s[14:15], 0
.LBB87_88:                              ;   Parent Loop BB87_34 Depth=1
                                        ; =>  This Inner Loop Header: Depth=2
	ds_read_i8 v37, v36
	v_lshl_add_u64 v[34:35], v[34:35], 0, v[2:3]
	v_cmp_le_u64_e32 vcc, s[6:7], v[34:35]
	v_add_u32_e32 v36, s88, v36
	s_waitcnt lgkmcnt(0)
	v_add_u32_e32 v37, 0x80, v37
	v_and_b32_e32 v38, v37, v47
	v_bfe_u32 v37, v37, s91, 2
	v_cmp_eq_u32_e64 s[0:1], v38, v44
	v_cmp_eq_u32_e64 s[2:3], 0, v37
	;; [unrolled: 1-line block ×3, first 2 shown]
	s_and_b64 s[2:3], s[0:1], s[2:3]
	v_cmp_eq_u32_e64 s[18:19], 2, v37
	v_cmp_eq_u32_e64 s[20:21], 3, v37
	v_cndmask_b32_e64 v37, 0, 1, s[2:3]
	s_and_b64 s[2:3], s[0:1], s[16:17]
	v_cndmask_b32_e64 v38, 0, 1, s[2:3]
	s_and_b64 s[2:3], s[0:1], s[18:19]
	s_and_b64 s[0:1], s[0:1], s[20:21]
	v_cndmask_b32_e64 v49, 0, 1, s[0:1]
	v_cmp_ne_u32_e64 s[0:1], 0, v37
	v_cndmask_b32_e64 v39, 0, 1, s[2:3]
	v_cmp_ne_u32_e64 s[2:3], 0, v38
	s_bcnt1_i32_b64 s80, s[0:1]
	v_cmp_ne_u32_e64 s[16:17], 0, v39
	v_lshl_add_u64 v[4:5], s[80:81], 0, v[4:5]
	s_bcnt1_i32_b64 s80, s[2:3]
	v_cmp_ne_u32_e64 s[18:19], 0, v49
	v_lshl_add_u64 v[6:7], s[80:81], 0, v[6:7]
	s_bcnt1_i32_b64 s80, s[16:17]
	v_lshl_add_u64 v[8:9], s[80:81], 0, v[8:9]
	s_bcnt1_i32_b64 s80, s[18:19]
	s_or_b64 s[14:15], vcc, s[14:15]
	v_lshl_add_u64 v[10:11], s[80:81], 0, v[10:11]
	s_andn2_b64 exec, exec, s[14:15]
	s_cbranch_execnz .LBB87_88
; %bb.89:                               ;   in Loop: Header=BB87_34 Depth=1
	s_or_b64 exec, exec, s[14:15]
.LBB87_90:                              ;   in Loop: Header=BB87_34 Depth=1
	s_or_b64 exec, exec, s[8:9]
	v_readlane_b32 s88, v65, 42
	v_readlane_b32 s92, v65, 43
.LBB87_91:                              ;   in Loop: Header=BB87_34 Depth=1
	v_readlane_b32 s0, v65, 34
	s_lshl_b32 s2, s0, 6
	s_and_saveexec_b64 s[0:1], s[4:5]
	s_cbranch_execz .LBB87_93
; %bb.92:                               ;   in Loop: Header=BB87_34 Depth=1
	v_lshl_add_u32 v2, s2, 3, v42
	ds_write_b128 v2, v[4:7]
	ds_write_b128 v2, v[8:11] offset:16
.LBB87_93:                              ;   in Loop: Header=BB87_34 Depth=1
	s_or_b64 exec, exec, s[0:1]
	s_waitcnt lgkmcnt(0)
	s_barrier
	s_and_saveexec_b64 s[0:1], s[84:85]
	s_cbranch_execz .LBB87_105
; %bb.94:                               ;   in Loop: Header=BB87_34 Depth=1
	v_readlane_b32 s6, v65, 16
	v_readlane_b32 s7, v65, 17
	s_andn2_b64 vcc, exec, s[6:7]
	v_mov_b64_e32 v[4:5], 0
	s_cbranch_vccnz .LBB87_104
; %bb.95:                               ;   in Loop: Header=BB87_34 Depth=1
	v_readlane_b32 s6, v65, 25
	v_readlane_b32 s7, v65, 26
	s_andn2_b64 vcc, exec, s[6:7]
	s_cbranch_vccnz .LBB87_100
; %bb.96:                               ;   in Loop: Header=BB87_34 Depth=1
	v_readlane_b32 s3, v65, 34
	v_mov_b64_e32 v[4:5], 0
	s_nop 0
	v_lshl_add_u32 v2, s3, 9, v43
	s_mov_b32 s3, 0
.LBB87_97:                              ;   Parent Loop BB87_34 Depth=1
                                        ; =>  This Inner Loop Header: Depth=2
	ds_read2_b64 v[6:9], v2 offset1:4
	ds_read2_b64 v[34:37], v2 offset0:8 offset1:12
	ds_read2_b64 v[52:55], v2 offset0:16 offset1:20
	;; [unrolled: 1-line block ×3, first 2 shown]
	s_add_i32 s3, s3, 8
	s_waitcnt lgkmcnt(3)
	v_lshl_add_u64 v[4:5], v[6:7], 0, v[4:5]
	v_lshl_add_u64 v[4:5], v[8:9], 0, v[4:5]
	s_waitcnt lgkmcnt(2)
	v_lshl_add_u64 v[4:5], v[34:35], 0, v[4:5]
	v_lshl_add_u64 v[4:5], v[36:37], 0, v[4:5]
	;; [unrolled: 3-line block ×3, first 2 shown]
	s_waitcnt lgkmcnt(0)
	v_lshl_add_u64 v[4:5], v[56:57], 0, v[4:5]
	v_add_u32_e32 v2, 0x100, v2
	s_cmp_eq_u32 s90, s3
	v_lshl_add_u64 v[4:5], v[58:59], 0, v[4:5]
	s_cbranch_scc0 .LBB87_97
; %bb.98:                               ;   in Loop: Header=BB87_34 Depth=1
	s_mov_b32 s3, s90
	s_branch .LBB87_101
.LBB87_99:                              ;   in Loop: Header=BB87_34 Depth=1
                                        ; implicit-def: $sgpr0_sgpr1
	s_branch .LBB87_69
.LBB87_100:                             ;   in Loop: Header=BB87_34 Depth=1
	s_mov_b32 s3, 0
	v_mov_b64_e32 v[4:5], 0
.LBB87_101:                             ;   in Loop: Header=BB87_34 Depth=1
	v_readlane_b32 s6, v65, 28
	v_readlane_b32 s7, v65, 29
	s_andn2_b64 vcc, exec, s[6:7]
	s_cbranch_vccnz .LBB87_104
; %bb.102:                              ;   in Loop: Header=BB87_34 Depth=1
	v_readlane_b32 s6, v65, 34
	s_lshl_b32 s6, s6, 9
	s_lshl_b32 s3, s3, 5
	s_add_i32 s6, s6, s3
	v_add_u32_e32 v2, s6, v43
	v_readlane_b32 s3, v65, 27
.LBB87_103:                             ;   Parent Loop BB87_34 Depth=1
                                        ; =>  This Inner Loop Header: Depth=2
	ds_read_b64 v[6:7], v2
	s_add_i32 s3, s3, -1
	v_add_u32_e32 v2, 32, v2
	s_cmp_lg_u32 s3, 0
	s_waitcnt lgkmcnt(0)
	v_lshl_add_u64 v[4:5], v[6:7], 0, v[4:5]
	s_cbranch_scc1 .LBB87_103
.LBB87_104:                             ;   in Loop: Header=BB87_34 Depth=1
	v_add_lshl_u32 v2, s2, v40, 3
	ds_write_b64 v2, v[4:5] offset:3072
.LBB87_105:                             ;   in Loop: Header=BB87_34 Depth=1
	s_or_b64 exec, exec, s[0:1]
	s_lshl_b32 s0, s2, 3
	v_mov_b32_e32 v2, s0
	s_waitcnt lgkmcnt(0)
	s_barrier
	ds_read_b128 v[8:11], v2 offset:3088
	ds_read_b128 v[4:7], v2 offset:3072
	s_lshl_b32 s86, 3, s91
	v_cmp_eq_u64_e64 s[0:1], 1, v[32:33]
	s_not_b32 s52, s86
	s_waitcnt lgkmcnt(1)
	v_readfirstlane_b32 s22, v8
	s_waitcnt lgkmcnt(0)
	v_cmp_eq_u64_e32 vcc, 1, v[4:5]
	v_readfirstlane_b32 s23, v9
	v_readfirstlane_b32 s2, v10
	;; [unrolled: 1-line block ×3, first 2 shown]
	s_and_b64 s[18:19], vcc, s[0:1]
	s_mov_b64 s[0:1], -1
	s_mov_b64 s[6:7], -1
                                        ; implicit-def: $sgpr14_sgpr15
                                        ; implicit-def: $sgpr8_sgpr9
	s_and_saveexec_b64 s[16:17], s[18:19]
	s_cbranch_execz .LBB87_143
; %bb.106:                              ;   in Loop: Header=BB87_34 Depth=1
	ds_read_b64 v[8:9], v3 offset:5120
	s_waitcnt lgkmcnt(0)
	s_barrier
	v_readfirstlane_b32 s20, v8
	v_readfirstlane_b32 s21, v9
	s_mov_b64 s[6:7], exec
	v_readlane_b32 s8, v65, 12
	v_readlane_b32 s9, v65, 13
	s_and_b64 s[8:9], s[6:7], s[8:9]
	s_mov_b64 exec, s[8:9]
; %bb.107:                              ;   in Loop: Header=BB87_34 Depth=1
	ds_write_b8 v0, v3 offset:3072
; %bb.108:                              ;   in Loop: Header=BB87_34 Depth=1
	s_or_b64 exec, exec, s[6:7]
	v_and_b32_e32 v44, s52, v44
	v_or_b32_e32 v47, s86, v47
	s_mov_b64 s[8:9], -1
	s_mov_b64 s[14:15], 0
	s_cmp_eq_u64 s[20:21], 0
	s_mov_b64 s[6:7], 0
	s_mov_b64 s[24:25], -1
	s_waitcnt lgkmcnt(0)
	s_barrier
                                        ; implicit-def: $vgpr48
	s_cbranch_scc1 .LBB87_122
; %bb.109:                              ;   in Loop: Header=BB87_34 Depth=1
	v_readlane_b32 s6, v65, 18
	s_add_u32 s28, s20, s6
	v_readlane_b32 s6, v65, 20
	s_addc_u32 s7, s21, s6
	s_mov_b32 s6, s81
	s_cmp_lg_u64 s[6:7], 0
	s_cbranch_scc0 .LBB87_125
; %bb.110:                              ;   in Loop: Header=BB87_34 Depth=1
	v_cvt_f32_u32_e32 v2, s76
	s_sub_u32 s6, 0, s76
	s_subb_u32 s26, 0, 0
	v_fmac_f32_e32 v2, 0, v45
	v_rcp_f32_e32 v2, v2
	s_nop 0
	v_mul_f32_e32 v2, 0x5f7ffffc, v2
	v_mul_f32_e32 v8, 0x2f800000, v2
	v_trunc_f32_e32 v8, v8
	v_fmac_f32_e32 v2, 0xcf800000, v8
	v_cvt_u32_f32_e32 v8, v8
	v_cvt_u32_f32_e32 v2, v2
	v_readfirstlane_b32 s27, v8
	v_readfirstlane_b32 s24, v2
	s_mul_i32 s25, s6, s27
	s_mul_hi_u32 s34, s6, s24
	s_mul_i32 s29, s26, s24
	s_add_i32 s25, s34, s25
	s_mul_i32 s35, s6, s24
	s_add_i32 s25, s25, s29
	s_mul_hi_u32 s34, s24, s35
	s_mul_i32 s36, s24, s25
	s_mul_hi_u32 s29, s24, s25
	s_add_u32 s34, s34, s36
	s_addc_u32 s29, 0, s29
	s_mul_hi_u32 s37, s27, s35
	s_mul_i32 s35, s27, s35
	s_add_u32 s34, s34, s35
	s_mul_hi_u32 s36, s27, s25
	s_addc_u32 s29, s29, s37
	s_addc_u32 s34, s36, 0
	s_mul_i32 s25, s27, s25
	s_add_u32 s25, s29, s25
	s_addc_u32 s29, 0, s34
	s_add_u32 s34, s24, s25
	s_cselect_b64 s[24:25], -1, 0
	s_cmp_lg_u64 s[24:25], 0
	s_addc_u32 s27, s27, s29
	s_mul_i32 s24, s6, s27
	s_mul_hi_u32 s25, s6, s34
	s_add_i32 s24, s25, s24
	s_mul_i32 s26, s26, s34
	s_add_i32 s24, s24, s26
	s_mul_i32 s6, s6, s34
	s_mul_hi_u32 s26, s27, s6
	s_mul_i32 s29, s27, s6
	s_mul_i32 s36, s34, s24
	s_mul_hi_u32 s6, s34, s6
	s_mul_hi_u32 s35, s34, s24
	s_add_u32 s6, s6, s36
	s_addc_u32 s35, 0, s35
	s_add_u32 s6, s6, s29
	s_mul_hi_u32 s25, s27, s24
	s_addc_u32 s6, s35, s26
	s_addc_u32 s25, s25, 0
	s_mul_i32 s24, s27, s24
	s_add_u32 s6, s6, s24
	s_addc_u32 s26, 0, s25
	s_add_u32 s6, s34, s6
	s_cselect_b64 s[24:25], -1, 0
	s_cmp_lg_u64 s[24:25], 0
	s_addc_u32 s24, s27, s26
	s_mul_i32 s26, s28, s24
	s_mul_hi_u32 s27, s28, s6
	s_mul_hi_u32 s25, s28, s24
	s_add_u32 s26, s27, s26
	s_addc_u32 s25, 0, s25
	s_mul_hi_u32 s29, s7, s6
	s_mul_i32 s6, s7, s6
	s_add_u32 s6, s26, s6
	s_mul_hi_u32 s27, s7, s24
	s_addc_u32 s6, s25, s29
	s_addc_u32 s25, s27, 0
	s_mul_i32 s24, s7, s24
	s_add_u32 s6, s6, s24
	s_addc_u32 s24, 0, s25
	s_mul_i32 s24, s76, s24
	s_mul_hi_u32 s25, s76, s6
	s_add_i32 s26, s25, s24
	s_mul_i32 s6, s76, s6
	s_sub_u32 s6, s28, s6
	s_cselect_b64 s[24:25], -1, 0
	s_cmp_lg_u64 s[24:25], 0
	s_subb_u32 s26, s7, s26
	s_sub_u32 s27, s6, s76
	s_cselect_b64 s[24:25], -1, 0
	s_cmp_lg_u64 s[24:25], 0
	s_subb_u32 s29, s26, 0
	;; [unrolled: 4-line block ×3, first 2 shown]
	s_cmp_ge_u32 s27, s76
	s_cselect_b32 s25, -1, 0
	s_cmp_eq_u32 s29, 0
	s_cselect_b32 s25, s25, -1
	s_cmp_lg_u32 s25, 0
	s_cselect_b32 s24, s24, s29
	s_cselect_b32 s27, s34, s27
	s_cmp_ge_u32 s6, s76
	s_cselect_b32 s25, -1, 0
	s_cmp_eq_u32 s26, 0
	s_cselect_b32 s25, s25, -1
	s_cmp_lg_u32 s25, 0
	s_cselect_b32 s25, s24, s26
	s_cselect_b32 s24, s27, s6
	s_cbranch_execnz .LBB87_112
.LBB87_111:                             ;   in Loop: Header=BB87_34 Depth=1
	v_cvt_f32_u32_e32 v2, s76
	s_sub_i32 s6, 0, s76
	v_rcp_iflag_f32_e32 v2, v2
	s_nop 0
	v_mul_f32_e32 v2, 0x4f7ffffe, v2
	v_cvt_u32_f32_e32 v2, v2
	s_nop 0
	v_readfirstlane_b32 s24, v2
	s_mul_i32 s6, s6, s24
	s_mul_hi_u32 s6, s24, s6
	s_add_i32 s24, s24, s6
	s_mul_hi_u32 s6, s28, s24
	s_mul_i32 s6, s6, s76
	s_sub_i32 s6, s28, s6
	s_sub_i32 s24, s6, s76
	s_cmp_ge_u32 s6, s76
	s_cselect_b32 s6, s24, s6
	s_sub_i32 s24, s6, s76
	s_cmp_ge_u32 s6, s76
	s_cselect_b32 s80, s24, s6
	s_mov_b64 s[24:25], s[80:81]
.LBB87_112:                             ;   in Loop: Header=BB87_34 Depth=1
	s_sub_u32 s28, s28, s24
	s_subb_u32 s29, s7, s25
	v_cmp_gt_u64_e32 vcc, s[28:29], v[0:1]
	s_mov_b64 s[24:25], 0
	s_mov_b64 s[6:7], 0
                                        ; implicit-def: $vgpr48
	s_and_saveexec_b64 s[26:27], vcc
	s_cbranch_execz .LBB87_121
; %bb.113:                              ;   in Loop: Header=BB87_34 Depth=1
	v_mov_b32_e32 v2, v0
	v_mov_b64_e32 v[8:9], v[0:1]
                                        ; implicit-def: $sgpr34_sgpr35
	s_branch .LBB87_116
.LBB87_114:                             ;   in Loop: Header=BB87_116 Depth=2
	s_or_b64 exec, exec, s[36:37]
	s_waitcnt lgkmcnt(0)
	s_barrier
	ds_read_u16 v10, v3 offset:3072
	s_mov_b64 s[36:37], -1
	s_waitcnt lgkmcnt(0)
	s_barrier
	v_cmp_ne_u32_sdwa s[38:39], v10, v3 src0_sel:BYTE_0 src1_sel:DWORD
	s_and_b64 vcc, exec, s[38:39]
	s_mov_b64 s[38:39], -1
	s_cbranch_vccz .LBB87_119
.LBB87_115:                             ;   in Loop: Header=BB87_116 Depth=2
	s_and_b64 s[36:37], exec, s[36:37]
	s_or_b64 s[6:7], s[36:37], s[6:7]
	s_andn2_b64 s[34:35], s[34:35], exec
	s_and_b64 s[36:37], s[38:39], exec
	s_or_b64 s[34:35], s[34:35], s[36:37]
	s_andn2_b64 exec, exec, s[6:7]
	s_cbranch_execz .LBB87_120
.LBB87_116:                             ;   Parent Loop BB87_34 Depth=1
                                        ; =>  This Inner Loop Header: Depth=2
	v_cmp_gt_u64_e32 vcc, s[20:21], v[8:9]
	s_and_saveexec_b64 s[36:37], vcc
	s_cbranch_execz .LBB87_114
; %bb.117:                              ;   in Loop: Header=BB87_116 Depth=2
	ds_read_u8 v10, v2
	s_waitcnt lgkmcnt(0)
	v_add_u32_sdwa v11, sext(v10), s33 dst_sel:DWORD dst_unused:UNUSED_PAD src0_sel:BYTE_0 src1_sel:DWORD
	v_and_b32_e32 v11, v11, v47
	v_cmp_eq_u32_e32 vcc, v11, v44
	s_and_b64 exec, exec, vcc
	s_cbranch_execz .LBB87_114
; %bb.118:                              ;   in Loop: Header=BB87_116 Depth=2
	v_lshlrev_b16_e32 v10, 8, v10
	v_or_b32_e32 v10, 1, v10
	ds_write_b16 v3, v10 offset:3072
	s_branch .LBB87_114
.LBB87_119:                             ;   in Loop: Header=BB87_116 Depth=2
	v_lshl_add_u64 v[8:9], v[8:9], 0, s[76:77]
	v_cmp_le_u64_e32 vcc, s[28:29], v[8:9]
	v_add_u32_e32 v2, s76, v2
	s_mov_b64 s[38:39], 0
	s_orn2_b64 s[36:37], vcc, exec
	s_branch .LBB87_115
.LBB87_120:                             ;   in Loop: Header=BB87_34 Depth=1
	s_or_b64 exec, exec, s[6:7]
	v_lshrrev_b32_sdwa v48, v46, v10 dst_sel:DWORD dst_unused:UNUSED_PAD src0_sel:DWORD src1_sel:WORD_0
	s_and_b64 s[6:7], s[34:35], exec
.LBB87_121:                             ;   in Loop: Header=BB87_34 Depth=1
	s_or_b64 exec, exec, s[26:27]
.LBB87_122:                             ;   in Loop: Header=BB87_34 Depth=1
	s_and_b64 vcc, exec, s[24:25]
	s_cbranch_vccz .LBB87_142
; %bb.123:                              ;   in Loop: Header=BB87_34 Depth=1
	s_mov_b32 s88, s81
	s_cmp_lg_u64 s[88:89], 0
	s_cbranch_scc0 .LBB87_129
; %bb.124:                              ;   in Loop: Header=BB87_34 Depth=1
	v_cvt_f32_u32_e32 v2, s76
	s_sub_u32 s14, 0, s76
	s_subb_u32 s15, 0, 0
	v_fmac_f32_e32 v2, 0, v45
	v_rcp_f32_e32 v2, v2
	s_nop 0
	v_mul_f32_e32 v2, 0x5f7ffffc, v2
	v_mul_f32_e32 v8, 0x2f800000, v2
	v_trunc_f32_e32 v8, v8
	v_fmac_f32_e32 v2, 0xcf800000, v8
	v_cvt_u32_f32_e32 v8, v8
	v_cvt_u32_f32_e32 v2, v2
	v_readfirstlane_b32 s20, v8
	v_readfirstlane_b32 s8, v2
	s_mul_i32 s9, s14, s20
	s_mul_hi_u32 s24, s14, s8
	s_mul_i32 s21, s15, s8
	s_add_i32 s9, s24, s9
	s_mul_i32 s25, s14, s8
	s_add_i32 s9, s9, s21
	s_mul_hi_u32 s24, s8, s25
	s_mul_i32 s26, s8, s9
	s_mul_hi_u32 s21, s8, s9
	s_add_u32 s24, s24, s26
	s_addc_u32 s21, 0, s21
	s_mul_hi_u32 s27, s20, s25
	s_mul_i32 s25, s20, s25
	s_add_u32 s24, s24, s25
	s_mul_hi_u32 s26, s20, s9
	s_addc_u32 s21, s21, s27
	s_addc_u32 s24, s26, 0
	s_mul_i32 s9, s20, s9
	s_add_u32 s9, s21, s9
	s_addc_u32 s21, 0, s24
	s_add_u32 s24, s8, s9
	s_cselect_b64 s[8:9], -1, 0
	s_cmp_lg_u64 s[8:9], 0
	s_addc_u32 s20, s20, s21
	s_mul_i32 s8, s14, s20
	s_mul_hi_u32 s9, s14, s24
	s_add_i32 s8, s9, s8
	s_mul_i32 s15, s15, s24
	s_add_i32 s8, s8, s15
	s_mul_i32 s14, s14, s24
	s_mul_hi_u32 s15, s20, s14
	s_mul_i32 s21, s20, s14
	s_mul_i32 s26, s24, s8
	s_mul_hi_u32 s14, s24, s14
	s_mul_hi_u32 s25, s24, s8
	s_add_u32 s14, s14, s26
	s_addc_u32 s25, 0, s25
	s_add_u32 s14, s14, s21
	s_mul_hi_u32 s9, s20, s8
	s_addc_u32 s14, s25, s15
	s_addc_u32 s9, s9, 0
	s_mul_i32 s8, s20, s8
	s_add_u32 s8, s14, s8
	s_addc_u32 s14, 0, s9
	s_add_u32 s15, s24, s8
	s_cselect_b64 s[8:9], -1, 0
	s_cmp_lg_u64 s[8:9], 0
	s_addc_u32 s8, s20, s14
	v_readlane_b32 s24, v65, 19
	s_mul_i32 s14, s24, s8
	s_mul_hi_u32 s20, s24, s15
	s_mul_hi_u32 s9, s24, s8
	s_add_u32 s14, s20, s14
	s_addc_u32 s9, 0, s9
	s_mul_hi_u32 s21, s89, s15
	s_mul_i32 s15, s89, s15
	s_add_u32 s14, s14, s15
	s_mul_hi_u32 s20, s89, s8
	s_addc_u32 s9, s9, s21
	s_addc_u32 s14, s20, 0
	s_mul_i32 s8, s89, s8
	s_add_u32 s8, s9, s8
	s_addc_u32 s9, 0, s14
	s_mul_i32 s9, s76, s9
	s_mul_hi_u32 s14, s76, s8
	s_add_i32 s14, s14, s9
	s_mul_i32 s8, s76, s8
	s_sub_u32 s15, s24, s8
	s_cselect_b64 s[8:9], -1, 0
	s_cmp_lg_u64 s[8:9], 0
	s_subb_u32 s14, s89, s14
	s_sub_u32 s20, s15, s76
	s_cselect_b64 s[8:9], -1, 0
	s_cmp_lg_u64 s[8:9], 0
	s_subb_u32 s21, s14, 0
	s_sub_u32 s24, s20, s76
	s_cselect_b64 s[8:9], -1, 0
	s_cmp_lg_u64 s[8:9], 0
	s_subb_u32 s8, s21, 0
	s_cmp_ge_u32 s20, s76
	s_cselect_b32 s9, -1, 0
	s_cmp_eq_u32 s21, 0
	s_cselect_b32 s9, s9, -1
	s_cmp_lg_u32 s9, 0
	s_cselect_b32 s8, s8, s21
	s_cselect_b32 s20, s24, s20
	s_cmp_ge_u32 s15, s76
	s_cselect_b32 s9, -1, 0
	s_cmp_eq_u32 s14, 0
	s_cselect_b32 s9, s9, -1
	s_cmp_lg_u32 s9, 0
	s_cselect_b32 s9, s8, s14
	s_cselect_b32 s8, s20, s15
	s_mov_b64 s[14:15], 0
	s_branch .LBB87_130
.LBB87_125:                             ;   in Loop: Header=BB87_34 Depth=1
                                        ; implicit-def: $sgpr24_sgpr25
	s_branch .LBB87_111
.LBB87_126:                             ;   in Loop: Header=BB87_34 Depth=1
	s_or_b64 exec, exec, s[8:9]
	s_waitcnt lgkmcnt(0)
	s_barrier
	s_mov_b64 s[0:1], exec
	v_readlane_b32 s2, v65, 4
	v_readlane_b32 s3, v65, 5
	s_and_b64 s[2:3], s[0:1], s[2:3]
	s_mov_b64 exec, s[2:3]
	s_cbranch_execz .LBB87_128
; %bb.127:                              ;   in Loop: Header=BB87_34 Depth=1
	ds_read_b32 v4, v3 offset:5144
	s_waitcnt lgkmcnt(0)
	v_ashrrev_i32_e32 v5, 31, v4
	ds_write_b64 v3, v[4:5] offset:5120
.LBB87_128:                             ;   in Loop: Header=BB87_34 Depth=1
	s_or_b64 exec, exec, s[0:1]
	s_waitcnt lgkmcnt(0)
	s_barrier
	s_mov_b64 s[0:1], -1
	s_and_b64 vcc, exec, s[6:7]
	s_cbranch_vccnz .LBB87_49
	s_branch .LBB87_64
.LBB87_129:                             ;   in Loop: Header=BB87_34 Depth=1
	s_mov_b64 s[14:15], -1
                                        ; implicit-def: $sgpr8_sgpr9
.LBB87_130:                             ;   in Loop: Header=BB87_34 Depth=1
	s_andn2_b64 vcc, exec, s[14:15]
	v_readlane_b32 s88, v65, 42
	s_cbranch_vccnz .LBB87_132
; %bb.131:                              ;   in Loop: Header=BB87_34 Depth=1
	v_cvt_f32_u32_e32 v2, s76
	s_sub_i32 s8, 0, s76
	v_readlane_b32 s14, v65, 19
	v_rcp_iflag_f32_e32 v2, v2
	s_nop 0
	v_mul_f32_e32 v2, 0x4f7ffffe, v2
	v_cvt_u32_f32_e32 v2, v2
	s_nop 0
	v_readfirstlane_b32 s9, v2
	s_mul_i32 s8, s8, s9
	s_mul_hi_u32 s8, s9, s8
	s_add_i32 s9, s9, s8
	s_mul_hi_u32 s8, s14, s9
	s_mul_i32 s8, s8, s76
	s_sub_i32 s8, s14, s8
	s_sub_i32 s9, s8, s76
	s_cmp_ge_u32 s8, s76
	s_cselect_b32 s8, s9, s8
	s_sub_i32 s9, s8, s76
	s_cmp_ge_u32 s8, s76
	s_cselect_b32 s80, s9, s8
	s_mov_b64 s[8:9], s[80:81]
.LBB87_132:                             ;   in Loop: Header=BB87_34 Depth=1
	v_readlane_b32 s14, v65, 19
	s_sub_u32 s14, s14, s8
	s_subb_u32 s15, s89, s9
	v_cmp_gt_u64_e32 vcc, s[14:15], v[0:1]
                                        ; implicit-def: $vgpr48
	s_and_saveexec_b64 s[8:9], vcc
	s_cbranch_execz .LBB87_141
; %bb.133:                              ;   in Loop: Header=BB87_34 Depth=1
	s_mov_b64 s[20:21], 0
	v_mov_b64_e32 v[8:9], v[16:17]
	v_mov_b64_e32 v[10:11], v[0:1]
                                        ; implicit-def: $sgpr24_sgpr25
	s_branch .LBB87_136
.LBB87_134:                             ;   in Loop: Header=BB87_136 Depth=2
	s_or_b64 exec, exec, s[26:27]
	s_waitcnt lgkmcnt(0)
	s_barrier
	ds_read_u16 v2, v3 offset:3072
	s_mov_b64 s[26:27], -1
	s_waitcnt lgkmcnt(0)
	s_barrier
	v_cmp_ne_u32_sdwa s[28:29], v2, v3 src0_sel:BYTE_0 src1_sel:DWORD
	s_and_b64 vcc, exec, s[28:29]
	s_mov_b64 s[28:29], -1
	s_cbranch_vccz .LBB87_139
.LBB87_135:                             ;   in Loop: Header=BB87_136 Depth=2
	s_and_b64 s[26:27], exec, s[26:27]
	s_or_b64 s[20:21], s[26:27], s[20:21]
	s_andn2_b64 s[24:25], s[24:25], exec
	s_and_b64 s[26:27], s[28:29], exec
	s_or_b64 s[24:25], s[24:25], s[26:27]
	s_andn2_b64 exec, exec, s[20:21]
	s_cbranch_execz .LBB87_140
.LBB87_136:                             ;   Parent Loop BB87_34 Depth=1
                                        ; =>  This Inner Loop Header: Depth=2
	v_cmp_gt_u64_e32 vcc, s[56:57], v[10:11]
	s_and_saveexec_b64 s[26:27], vcc
	s_cbranch_execz .LBB87_134
; %bb.137:                              ;   in Loop: Header=BB87_136 Depth=2
	global_load_ubyte v2, v[8:9], off
	s_waitcnt vmcnt(0)
	v_add_u32_sdwa v34, sext(v2), s33 dst_sel:DWORD dst_unused:UNUSED_PAD src0_sel:BYTE_0 src1_sel:DWORD
	v_and_b32_e32 v34, v34, v47
	v_cmp_eq_u32_e32 vcc, v34, v44
	s_and_b64 exec, exec, vcc
	s_cbranch_execz .LBB87_134
; %bb.138:                              ;   in Loop: Header=BB87_136 Depth=2
	v_lshlrev_b16_e32 v2, 8, v2
	v_or_b32_e32 v2, 1, v2
	ds_write_b16 v3, v2 offset:3072
	s_branch .LBB87_134
.LBB87_139:                             ;   in Loop: Header=BB87_136 Depth=2
	v_lshl_add_u64 v[10:11], v[10:11], 0, s[76:77]
	v_cmp_le_u64_e32 vcc, s[14:15], v[10:11]
	v_lshl_add_u64 v[8:9], v[8:9], 0, s[98:99]
	s_mov_b64 s[28:29], 0
	s_orn2_b64 s[26:27], vcc, exec
	s_branch .LBB87_135
.LBB87_140:                             ;   in Loop: Header=BB87_34 Depth=1
	s_or_b64 exec, exec, s[20:21]
	s_andn2_b64 s[6:7], s[6:7], exec
	s_and_b64 s[14:15], s[24:25], exec
	v_lshrrev_b32_sdwa v48, v46, v2 dst_sel:DWORD dst_unused:UNUSED_PAD src0_sel:DWORD src1_sel:WORD_0
	s_or_b64 s[6:7], s[6:7], s[14:15]
.LBB87_141:                             ;   in Loop: Header=BB87_34 Depth=1
	s_or_b64 exec, exec, s[8:9]
	s_mov_b64 s[8:9], 0
	s_mov_b64 s[14:15], -1
.LBB87_142:                             ;   in Loop: Header=BB87_34 Depth=1
	s_orn2_b64 s[6:7], s[6:7], exec
.LBB87_143:                             ;   in Loop: Header=BB87_34 Depth=1
	s_or_b64 exec, exec, s[16:17]
	s_andn2_b64 s[16:17], s[30:31], exec
	s_and_b64 s[14:15], s[14:15], exec
	s_andn2_b64 s[10:11], s[10:11], exec
	s_and_b64 s[8:9], s[8:9], exec
	s_andn2_b64 s[66:67], s[66:67], exec
	s_or_b64 s[30:31], s[16:17], s[14:15]
	s_or_b64 s[10:11], s[10:11], s[8:9]
                                        ; implicit-def: $vgpr8_vgpr9
	s_and_saveexec_b64 s[16:17], s[6:7]
	s_cbranch_execz .LBB87_33
; %bb.144:                              ;   in Loop: Header=BB87_34 Depth=1
	s_xor_b64 s[6:7], s[18:19], -1
	v_mov_b32_e32 v2, 1
	s_mov_b64 s[8:9], 0
	v_mov_b64_e32 v[8:9], 1
	s_and_saveexec_b64 s[0:1], s[6:7]
	s_cbranch_execz .LBB87_153
; %bb.145:                              ;   in Loop: Header=BB87_34 Depth=1
	v_cmp_le_u64_e32 vcc, v[32:33], v[4:5]
	s_and_saveexec_b64 s[6:7], vcc
	s_xor_b64 s[6:7], exec, s[6:7]
	s_cbranch_execz .LBB87_150
; %bb.146:                              ;   in Loop: Header=BB87_34 Depth=1
	ds_read_b64 v[8:9], v3 offset:5120
	v_and_b32_e32 v44, s52, v44
	v_or_b32_e32 v47, s86, v47
	s_waitcnt lgkmcnt(0)
	v_cmp_ne_u64_e32 vcc, 0, v[8:9]
	s_cbranch_vccnz .LBB87_150
; %bb.147:                              ;   in Loop: Header=BB87_34 Depth=1
	s_mov_b64 s[8:9], exec
	v_readlane_b32 s14, v65, 4
	v_readlane_b32 s15, v65, 5
	s_and_b64 s[14:15], s[8:9], s[14:15]
	s_mov_b64 exec, s[14:15]
; %bb.148:                              ;   in Loop: Header=BB87_34 Depth=1
	ds_write_b64 v3, v[4:5] offset:5128
; %bb.149:                              ;   in Loop: Header=BB87_34 Depth=1
	s_or_b64 exec, exec, s[8:9]
	s_waitcnt lgkmcnt(0)
	s_barrier
.LBB87_150:                             ;   in Loop: Header=BB87_34 Depth=1
	s_or_saveexec_b64 s[6:7], s[6:7]
	s_mov_b64 s[8:9], 0
	v_mov_b32_e32 v2, 8
	s_xor_b64 exec, exec, s[6:7]
; %bb.151:                              ;   in Loop: Header=BB87_34 Depth=1
	v_sub_co_u32_e32 v32, vcc, v32, v4
	s_mov_b64 s[8:9], exec
	s_nop 0
	v_subb_co_u32_e32 v33, vcc, v33, v5, vcc
	v_mov_b32_e32 v2, 0
; %bb.152:                              ;   in Loop: Header=BB87_34 Depth=1
	s_or_b64 exec, exec, s[6:7]
	s_and_b64 s[8:9], s[8:9], exec
	v_mov_b64_e32 v[8:9], v[32:33]
.LBB87_153:                             ;   in Loop: Header=BB87_34 Depth=1
	s_or_b64 exec, exec, s[0:1]
	s_mov_b64 s[18:19], -1
	s_mov_b64 s[6:7], -1
                                        ; implicit-def: $sgpr0_sgpr1
                                        ; implicit-def: $sgpr24_sgpr25
	s_and_saveexec_b64 s[14:15], s[8:9]
	s_xor_b64 s[20:21], exec, s[14:15]
	s_cbranch_execz .LBB87_298
; %bb.154:                              ;   in Loop: Header=BB87_34 Depth=1
	v_cmp_eq_u64_e32 vcc, 1, v[6:7]
	v_cmp_eq_u64_e64 s[0:1], 1, v[8:9]
	s_and_b64 s[28:29], vcc, s[0:1]
                                        ; implicit-def: $sgpr24_sgpr25
                                        ; implicit-def: $sgpr0_sgpr1
	s_and_saveexec_b64 s[26:27], s[28:29]
	s_cbranch_execz .LBB87_189
; %bb.155:                              ;   in Loop: Header=BB87_34 Depth=1
	ds_read_b64 v[4:5], v3 offset:5120
	s_waitcnt lgkmcnt(0)
	s_barrier
	v_readfirstlane_b32 s8, v4
	v_readfirstlane_b32 s9, v5
	s_mov_b64 s[0:1], exec
	v_readlane_b32 s6, v65, 12
	v_readlane_b32 s7, v65, 13
	s_and_b64 s[6:7], s[0:1], s[6:7]
	s_mov_b64 exec, s[6:7]
; %bb.156:                              ;   in Loop: Header=BB87_34 Depth=1
	ds_write_b8 v0, v3 offset:3072
; %bb.157:                              ;   in Loop: Header=BB87_34 Depth=1
	s_or_b64 exec, exec, s[0:1]
	v_and_b32_e32 v4, s52, v44
	v_lshl_or_b32 v44, 1, s91, v4
	v_or_b32_e32 v47, s86, v47
	s_mov_b64 s[0:1], -1
	s_mov_b64 s[24:25], 0
	s_cmp_eq_u64 s[8:9], 0
	s_mov_b64 s[6:7], 0
	s_mov_b64 s[14:15], -1
	s_waitcnt lgkmcnt(0)
	s_barrier
                                        ; implicit-def: $vgpr48
	s_cbranch_scc1 .LBB87_171
; %bb.158:                              ;   in Loop: Header=BB87_34 Depth=1
	v_readlane_b32 s6, v65, 18
	s_add_u32 s36, s8, s6
	v_readlane_b32 s6, v65, 20
	s_addc_u32 s7, s9, s6
	s_mov_b32 s6, s81
	s_cmp_lg_u64 s[6:7], 0
	s_cbranch_scc0 .LBB87_174
; %bb.159:                              ;   in Loop: Header=BB87_34 Depth=1
	v_cvt_f32_u32_e32 v4, s76
	s_sub_u32 s6, 0, s76
	s_subb_u32 s34, 0, 0
	v_fmac_f32_e32 v4, 0, v45
	v_rcp_f32_e32 v4, v4
	s_nop 0
	v_mul_f32_e32 v4, 0x5f7ffffc, v4
	v_mul_f32_e32 v5, 0x2f800000, v4
	v_trunc_f32_e32 v5, v5
	v_fmac_f32_e32 v4, 0xcf800000, v5
	v_cvt_u32_f32_e32 v5, v5
	v_cvt_u32_f32_e32 v4, v4
	v_readfirstlane_b32 s35, v5
	v_readfirstlane_b32 s14, v4
	s_mul_i32 s15, s6, s35
	s_mul_hi_u32 s38, s6, s14
	s_mul_i32 s37, s34, s14
	s_add_i32 s15, s38, s15
	s_mul_i32 s39, s6, s14
	s_add_i32 s15, s15, s37
	s_mul_hi_u32 s38, s14, s39
	s_mul_i32 s40, s14, s15
	s_mul_hi_u32 s37, s14, s15
	s_add_u32 s38, s38, s40
	s_addc_u32 s37, 0, s37
	s_mul_hi_u32 s41, s35, s39
	s_mul_i32 s39, s35, s39
	s_add_u32 s38, s38, s39
	s_mul_hi_u32 s40, s35, s15
	s_addc_u32 s37, s37, s41
	s_addc_u32 s38, s40, 0
	s_mul_i32 s15, s35, s15
	s_add_u32 s15, s37, s15
	s_addc_u32 s37, 0, s38
	s_add_u32 s38, s14, s15
	s_cselect_b64 s[14:15], -1, 0
	s_cmp_lg_u64 s[14:15], 0
	s_addc_u32 s35, s35, s37
	s_mul_i32 s14, s6, s35
	s_mul_hi_u32 s15, s6, s38
	s_add_i32 s14, s15, s14
	s_mul_i32 s34, s34, s38
	s_add_i32 s14, s14, s34
	s_mul_i32 s6, s6, s38
	s_mul_hi_u32 s34, s35, s6
	s_mul_i32 s37, s35, s6
	s_mul_i32 s40, s38, s14
	s_mul_hi_u32 s6, s38, s6
	s_mul_hi_u32 s39, s38, s14
	s_add_u32 s6, s6, s40
	s_addc_u32 s39, 0, s39
	s_add_u32 s6, s6, s37
	s_mul_hi_u32 s15, s35, s14
	s_addc_u32 s6, s39, s34
	s_addc_u32 s15, s15, 0
	s_mul_i32 s14, s35, s14
	s_add_u32 s6, s6, s14
	s_addc_u32 s34, 0, s15
	s_add_u32 s6, s38, s6
	s_cselect_b64 s[14:15], -1, 0
	s_cmp_lg_u64 s[14:15], 0
	s_addc_u32 s14, s35, s34
	s_mul_i32 s34, s36, s14
	s_mul_hi_u32 s35, s36, s6
	s_mul_hi_u32 s15, s36, s14
	s_add_u32 s34, s35, s34
	s_addc_u32 s15, 0, s15
	s_mul_hi_u32 s37, s7, s6
	s_mul_i32 s6, s7, s6
	s_add_u32 s6, s34, s6
	s_mul_hi_u32 s35, s7, s14
	s_addc_u32 s6, s15, s37
	s_addc_u32 s15, s35, 0
	s_mul_i32 s14, s7, s14
	s_add_u32 s6, s6, s14
	s_addc_u32 s14, 0, s15
	s_mul_i32 s14, s76, s14
	s_mul_hi_u32 s15, s76, s6
	s_add_i32 s34, s15, s14
	s_mul_i32 s6, s76, s6
	s_sub_u32 s6, s36, s6
	s_cselect_b64 s[14:15], -1, 0
	s_cmp_lg_u64 s[14:15], 0
	s_subb_u32 s34, s7, s34
	s_sub_u32 s35, s6, s76
	s_cselect_b64 s[14:15], -1, 0
	s_cmp_lg_u64 s[14:15], 0
	s_subb_u32 s37, s34, 0
	;; [unrolled: 4-line block ×3, first 2 shown]
	s_cmp_ge_u32 s35, s76
	s_cselect_b32 s15, -1, 0
	s_cmp_eq_u32 s37, 0
	s_cselect_b32 s15, s15, -1
	s_cmp_lg_u32 s15, 0
	s_cselect_b32 s14, s14, s37
	s_cselect_b32 s35, s38, s35
	s_cmp_ge_u32 s6, s76
	s_cselect_b32 s15, -1, 0
	s_cmp_eq_u32 s34, 0
	s_cselect_b32 s15, s15, -1
	s_cmp_lg_u32 s15, 0
	s_cselect_b32 s15, s14, s34
	s_cselect_b32 s14, s35, s6
	s_cbranch_execnz .LBB87_161
.LBB87_160:                             ;   in Loop: Header=BB87_34 Depth=1
	v_cvt_f32_u32_e32 v4, s76
	s_sub_i32 s6, 0, s76
	v_rcp_iflag_f32_e32 v4, v4
	s_nop 0
	v_mul_f32_e32 v4, 0x4f7ffffe, v4
	v_cvt_u32_f32_e32 v4, v4
	s_nop 0
	v_readfirstlane_b32 s14, v4
	s_mul_i32 s6, s6, s14
	s_mul_hi_u32 s6, s14, s6
	s_add_i32 s14, s14, s6
	s_mul_hi_u32 s6, s36, s14
	s_mul_i32 s6, s6, s76
	s_sub_i32 s6, s36, s6
	s_sub_i32 s14, s6, s76
	s_cmp_ge_u32 s6, s76
	s_cselect_b32 s6, s14, s6
	s_sub_i32 s14, s6, s76
	s_cmp_ge_u32 s6, s76
	s_cselect_b32 s80, s14, s6
	s_mov_b64 s[14:15], s[80:81]
.LBB87_161:                             ;   in Loop: Header=BB87_34 Depth=1
	s_sub_u32 s36, s36, s14
	s_subb_u32 s37, s7, s15
	v_cmp_gt_u64_e32 vcc, s[36:37], v[0:1]
	s_mov_b64 s[14:15], 0
	s_mov_b64 s[6:7], 0
                                        ; implicit-def: $vgpr48
	s_and_saveexec_b64 s[34:35], vcc
	s_cbranch_execz .LBB87_170
; %bb.162:                              ;   in Loop: Header=BB87_34 Depth=1
	v_mov_b32_e32 v10, v0
	v_mov_b64_e32 v[4:5], v[0:1]
                                        ; implicit-def: $sgpr38_sgpr39
	s_branch .LBB87_165
.LBB87_163:                             ;   in Loop: Header=BB87_165 Depth=2
	s_or_b64 exec, exec, s[40:41]
	s_waitcnt lgkmcnt(0)
	s_barrier
	ds_read_u16 v11, v3 offset:3072
	s_mov_b64 s[40:41], -1
	s_waitcnt lgkmcnt(0)
	s_barrier
	v_cmp_ne_u32_sdwa s[42:43], v11, v3 src0_sel:BYTE_0 src1_sel:DWORD
	s_and_b64 vcc, exec, s[42:43]
	s_mov_b64 s[42:43], -1
	s_cbranch_vccz .LBB87_168
.LBB87_164:                             ;   in Loop: Header=BB87_165 Depth=2
	s_and_b64 s[40:41], exec, s[40:41]
	s_or_b64 s[6:7], s[40:41], s[6:7]
	s_andn2_b64 s[38:39], s[38:39], exec
	s_and_b64 s[40:41], s[42:43], exec
	s_or_b64 s[38:39], s[38:39], s[40:41]
	s_andn2_b64 exec, exec, s[6:7]
	s_cbranch_execz .LBB87_169
.LBB87_165:                             ;   Parent Loop BB87_34 Depth=1
                                        ; =>  This Inner Loop Header: Depth=2
	v_cmp_gt_u64_e32 vcc, s[8:9], v[4:5]
	s_and_saveexec_b64 s[40:41], vcc
	s_cbranch_execz .LBB87_163
; %bb.166:                              ;   in Loop: Header=BB87_165 Depth=2
	ds_read_u8 v11, v10
	s_waitcnt lgkmcnt(0)
	v_add_u32_sdwa v32, sext(v11), s33 dst_sel:DWORD dst_unused:UNUSED_PAD src0_sel:BYTE_0 src1_sel:DWORD
	v_and_b32_e32 v32, v32, v47
	v_cmp_eq_u32_e32 vcc, v32, v44
	s_and_b64 exec, exec, vcc
	s_cbranch_execz .LBB87_163
; %bb.167:                              ;   in Loop: Header=BB87_165 Depth=2
	v_lshlrev_b16_e32 v11, 8, v11
	v_or_b32_e32 v11, 1, v11
	ds_write_b16 v3, v11 offset:3072
	s_branch .LBB87_163
.LBB87_168:                             ;   in Loop: Header=BB87_165 Depth=2
	v_lshl_add_u64 v[4:5], v[4:5], 0, s[76:77]
	v_cmp_le_u64_e32 vcc, s[36:37], v[4:5]
	v_add_u32_e32 v10, s76, v10
	s_mov_b64 s[42:43], 0
	s_orn2_b64 s[40:41], vcc, exec
	s_branch .LBB87_164
.LBB87_169:                             ;   in Loop: Header=BB87_34 Depth=1
	s_or_b64 exec, exec, s[6:7]
	v_lshrrev_b32_sdwa v48, v46, v11 dst_sel:DWORD dst_unused:UNUSED_PAD src0_sel:DWORD src1_sel:WORD_0
	s_and_b64 s[6:7], s[38:39], exec
.LBB87_170:                             ;   in Loop: Header=BB87_34 Depth=1
	s_or_b64 exec, exec, s[34:35]
.LBB87_171:                             ;   in Loop: Header=BB87_34 Depth=1
	s_and_b64 vcc, exec, s[14:15]
	s_cbranch_vccz .LBB87_188
; %bb.172:                              ;   in Loop: Header=BB87_34 Depth=1
	s_mov_b32 s88, s81
	s_cmp_lg_u64 s[88:89], 0
	s_cbranch_scc0 .LBB87_175
; %bb.173:                              ;   in Loop: Header=BB87_34 Depth=1
	v_cvt_f32_u32_e32 v4, s76
	s_sub_u32 s8, 0, s76
	s_subb_u32 s9, 0, 0
	v_fmac_f32_e32 v4, 0, v45
	v_rcp_f32_e32 v4, v4
	s_nop 0
	v_mul_f32_e32 v4, 0x5f7ffffc, v4
	v_mul_f32_e32 v5, 0x2f800000, v4
	v_trunc_f32_e32 v5, v5
	v_fmac_f32_e32 v4, 0xcf800000, v5
	v_cvt_u32_f32_e32 v5, v5
	v_cvt_u32_f32_e32 v4, v4
	v_readfirstlane_b32 s14, v5
	v_readfirstlane_b32 s0, v4
	s_mul_i32 s1, s8, s14
	s_mul_hi_u32 s24, s8, s0
	s_mul_i32 s15, s9, s0
	s_add_i32 s1, s24, s1
	s_mul_i32 s25, s8, s0
	s_add_i32 s1, s1, s15
	s_mul_hi_u32 s24, s0, s25
	s_mul_i32 s34, s0, s1
	s_mul_hi_u32 s15, s0, s1
	s_add_u32 s24, s24, s34
	s_addc_u32 s15, 0, s15
	s_mul_hi_u32 s35, s14, s25
	s_mul_i32 s25, s14, s25
	s_add_u32 s24, s24, s25
	s_mul_hi_u32 s34, s14, s1
	s_addc_u32 s15, s15, s35
	s_addc_u32 s24, s34, 0
	s_mul_i32 s1, s14, s1
	s_add_u32 s1, s15, s1
	s_addc_u32 s15, 0, s24
	s_add_u32 s24, s0, s1
	s_cselect_b64 s[0:1], -1, 0
	s_cmp_lg_u64 s[0:1], 0
	s_addc_u32 s14, s14, s15
	s_mul_i32 s0, s8, s14
	s_mul_hi_u32 s1, s8, s24
	s_add_i32 s0, s1, s0
	s_mul_i32 s9, s9, s24
	s_add_i32 s0, s0, s9
	s_mul_i32 s8, s8, s24
	s_mul_hi_u32 s9, s14, s8
	s_mul_i32 s15, s14, s8
	s_mul_i32 s34, s24, s0
	s_mul_hi_u32 s8, s24, s8
	s_mul_hi_u32 s25, s24, s0
	s_add_u32 s8, s8, s34
	s_addc_u32 s25, 0, s25
	s_add_u32 s8, s8, s15
	s_mul_hi_u32 s1, s14, s0
	s_addc_u32 s8, s25, s9
	s_addc_u32 s1, s1, 0
	s_mul_i32 s0, s14, s0
	s_add_u32 s0, s8, s0
	s_addc_u32 s8, 0, s1
	s_add_u32 s9, s24, s0
	s_cselect_b64 s[0:1], -1, 0
	s_cmp_lg_u64 s[0:1], 0
	s_addc_u32 s0, s14, s8
	v_readlane_b32 s24, v65, 19
	s_mul_i32 s8, s24, s0
	s_mul_hi_u32 s14, s24, s9
	s_mul_hi_u32 s1, s24, s0
	s_add_u32 s8, s14, s8
	s_addc_u32 s1, 0, s1
	s_mul_hi_u32 s15, s89, s9
	s_mul_i32 s9, s89, s9
	s_add_u32 s8, s8, s9
	s_mul_hi_u32 s14, s89, s0
	s_addc_u32 s1, s1, s15
	s_addc_u32 s8, s14, 0
	s_mul_i32 s0, s89, s0
	s_add_u32 s0, s1, s0
	s_addc_u32 s1, 0, s8
	s_mul_i32 s1, s76, s1
	s_mul_hi_u32 s8, s76, s0
	s_add_i32 s8, s8, s1
	s_mul_i32 s0, s76, s0
	s_sub_u32 s9, s24, s0
	s_cselect_b64 s[0:1], -1, 0
	s_cmp_lg_u64 s[0:1], 0
	s_subb_u32 s8, s89, s8
	s_sub_u32 s14, s9, s76
	s_cselect_b64 s[0:1], -1, 0
	s_cmp_lg_u64 s[0:1], 0
	s_subb_u32 s15, s8, 0
	;; [unrolled: 4-line block ×3, first 2 shown]
	s_cmp_ge_u32 s14, s76
	s_cselect_b32 s1, -1, 0
	s_cmp_eq_u32 s15, 0
	s_cselect_b32 s1, s1, -1
	s_cmp_lg_u32 s1, 0
	s_cselect_b32 s0, s0, s15
	s_cselect_b32 s14, s24, s14
	s_cmp_ge_u32 s9, s76
	s_cselect_b32 s1, -1, 0
	s_cmp_eq_u32 s8, 0
	s_cselect_b32 s1, s1, -1
	s_cmp_lg_u32 s1, 0
	s_cselect_b32 s1, s0, s8
	s_cselect_b32 s0, s14, s9
	s_mov_b64 s[8:9], 0
	s_branch .LBB87_176
.LBB87_174:                             ;   in Loop: Header=BB87_34 Depth=1
                                        ; implicit-def: $sgpr14_sgpr15
	s_branch .LBB87_160
.LBB87_175:                             ;   in Loop: Header=BB87_34 Depth=1
	s_mov_b64 s[8:9], -1
                                        ; implicit-def: $sgpr0_sgpr1
.LBB87_176:                             ;   in Loop: Header=BB87_34 Depth=1
	s_andn2_b64 vcc, exec, s[8:9]
	v_readlane_b32 s88, v65, 42
	s_cbranch_vccnz .LBB87_178
; %bb.177:                              ;   in Loop: Header=BB87_34 Depth=1
	v_cvt_f32_u32_e32 v4, s76
	s_sub_i32 s0, 0, s76
	v_readlane_b32 s8, v65, 19
	v_rcp_iflag_f32_e32 v4, v4
	s_nop 0
	v_mul_f32_e32 v4, 0x4f7ffffe, v4
	v_cvt_u32_f32_e32 v4, v4
	s_nop 0
	v_readfirstlane_b32 s1, v4
	s_mul_i32 s0, s0, s1
	s_mul_hi_u32 s0, s1, s0
	s_add_i32 s1, s1, s0
	s_mul_hi_u32 s0, s8, s1
	s_mul_i32 s0, s0, s76
	s_sub_i32 s0, s8, s0
	s_sub_i32 s1, s0, s76
	s_cmp_ge_u32 s0, s76
	s_cselect_b32 s0, s1, s0
	s_sub_i32 s1, s0, s76
	s_cmp_ge_u32 s0, s76
	s_cselect_b32 s80, s1, s0
	s_mov_b64 s[0:1], s[80:81]
.LBB87_178:                             ;   in Loop: Header=BB87_34 Depth=1
	v_readlane_b32 s8, v65, 19
	s_sub_u32 s8, s8, s0
	s_subb_u32 s9, s89, s1
	v_cmp_gt_u64_e32 vcc, s[8:9], v[0:1]
                                        ; implicit-def: $vgpr48
	s_and_saveexec_b64 s[0:1], vcc
	s_cbranch_execz .LBB87_187
; %bb.179:                              ;   in Loop: Header=BB87_34 Depth=1
	s_mov_b64 s[14:15], 0
	v_mov_b64_e32 v[4:5], v[16:17]
	v_mov_b64_e32 v[10:11], v[0:1]
                                        ; implicit-def: $sgpr24_sgpr25
	s_branch .LBB87_182
.LBB87_180:                             ;   in Loop: Header=BB87_182 Depth=2
	s_or_b64 exec, exec, s[34:35]
	s_waitcnt lgkmcnt(0)
	s_barrier
	ds_read_u16 v32, v3 offset:3072
	s_mov_b64 s[34:35], -1
	s_waitcnt lgkmcnt(0)
	s_barrier
	v_cmp_eq_u32_sdwa s[36:37], v32, v3 src0_sel:BYTE_0 src1_sel:DWORD
	s_and_b64 vcc, exec, s[36:37]
	s_mov_b64 s[36:37], -1
	s_cbranch_vccnz .LBB87_185
.LBB87_181:                             ;   in Loop: Header=BB87_182 Depth=2
	s_and_b64 s[34:35], exec, s[34:35]
	s_or_b64 s[14:15], s[34:35], s[14:15]
	s_andn2_b64 s[24:25], s[24:25], exec
	s_and_b64 s[34:35], s[36:37], exec
	s_or_b64 s[24:25], s[24:25], s[34:35]
	s_andn2_b64 exec, exec, s[14:15]
	s_cbranch_execz .LBB87_186
.LBB87_182:                             ;   Parent Loop BB87_34 Depth=1
                                        ; =>  This Inner Loop Header: Depth=2
	v_cmp_gt_u64_e32 vcc, s[56:57], v[10:11]
	s_and_saveexec_b64 s[34:35], vcc
	s_cbranch_execz .LBB87_180
; %bb.183:                              ;   in Loop: Header=BB87_182 Depth=2
	global_load_ubyte v32, v[4:5], off
	s_waitcnt vmcnt(0)
	v_add_u32_sdwa v33, sext(v32), s33 dst_sel:DWORD dst_unused:UNUSED_PAD src0_sel:BYTE_0 src1_sel:DWORD
	v_and_b32_e32 v33, v33, v47
	v_cmp_eq_u32_e32 vcc, v33, v44
	s_and_b64 exec, exec, vcc
	s_cbranch_execz .LBB87_180
; %bb.184:                              ;   in Loop: Header=BB87_182 Depth=2
	v_lshlrev_b16_e32 v32, 8, v32
	v_or_b32_e32 v32, 1, v32
	ds_write_b16 v3, v32 offset:3072
	s_branch .LBB87_180
.LBB87_185:                             ;   in Loop: Header=BB87_182 Depth=2
	v_lshl_add_u64 v[10:11], v[10:11], 0, s[76:77]
	v_cmp_le_u64_e32 vcc, s[8:9], v[10:11]
	v_lshl_add_u64 v[4:5], v[4:5], 0, s[98:99]
	s_mov_b64 s[36:37], 0
	s_orn2_b64 s[34:35], vcc, exec
	s_branch .LBB87_181
.LBB87_186:                             ;   in Loop: Header=BB87_34 Depth=1
	s_or_b64 exec, exec, s[14:15]
	s_andn2_b64 s[6:7], s[6:7], exec
	s_and_b64 s[8:9], s[24:25], exec
	v_lshrrev_b32_sdwa v48, v46, v32 dst_sel:DWORD dst_unused:UNUSED_PAD src0_sel:DWORD src1_sel:WORD_0
	s_or_b64 s[6:7], s[6:7], s[8:9]
.LBB87_187:                             ;   in Loop: Header=BB87_34 Depth=1
	s_or_b64 exec, exec, s[0:1]
	s_mov_b64 s[0:1], 0
	s_mov_b64 s[24:25], -1
.LBB87_188:                             ;   in Loop: Header=BB87_34 Depth=1
	s_orn2_b64 s[6:7], s[6:7], exec
.LBB87_189:                             ;   in Loop: Header=BB87_34 Depth=1
	s_or_b64 exec, exec, s[26:27]
	s_mov_b64 s[8:9], 0
	s_and_saveexec_b64 s[26:27], s[6:7]
	s_cbranch_execz .LBB87_297
; %bb.190:                              ;   in Loop: Header=BB87_34 Depth=1
	s_xor_b64 s[14:15], s[28:29], -1
	v_mov_b32_e32 v2, 1
	v_mov_b64_e32 v[4:5], 1
	s_and_saveexec_b64 s[6:7], s[14:15]
	s_cbranch_execz .LBB87_200
; %bb.191:                              ;   in Loop: Header=BB87_34 Depth=1
	v_cmp_le_u64_e32 vcc, v[8:9], v[6:7]
	s_and_saveexec_b64 s[8:9], vcc
	s_xor_b64 s[8:9], exec, s[8:9]
	s_cbranch_execz .LBB87_197
; %bb.192:                              ;   in Loop: Header=BB87_34 Depth=1
	ds_read_b64 v[4:5], v3 offset:5120
	v_and_b32_e32 v2, s52, v44
	v_lshl_or_b32 v44, 1, s91, v2
	v_or_b32_e32 v47, s86, v47
	s_waitcnt lgkmcnt(0)
	v_cmp_ne_u64_e32 vcc, 0, v[4:5]
	s_cbranch_vccnz .LBB87_196
; %bb.193:                              ;   in Loop: Header=BB87_34 Depth=1
	s_mov_b64 s[14:15], exec
	v_readlane_b32 s28, v65, 4
	v_readlane_b32 s29, v65, 5
	s_and_b64 s[28:29], s[14:15], s[28:29]
	s_mov_b64 exec, s[28:29]
; %bb.194:                              ;   in Loop: Header=BB87_34 Depth=1
	ds_write_b64 v3, v[6:7] offset:5128
; %bb.195:                              ;   in Loop: Header=BB87_34 Depth=1
	s_or_b64 exec, exec, s[14:15]
	s_waitcnt lgkmcnt(0)
	s_barrier
.LBB87_196:                             ;   in Loop: Header=BB87_34 Depth=1
                                        ; implicit-def: $vgpr4_vgpr5_vgpr6_vgpr7
.LBB87_197:                             ;   in Loop: Header=BB87_34 Depth=1
	s_or_saveexec_b64 s[8:9], s[8:9]
	s_mov_b64 s[14:15], 0
	v_mov_b32_e32 v2, 8
	s_xor_b64 exec, exec, s[8:9]
; %bb.198:                              ;   in Loop: Header=BB87_34 Depth=1
	v_sub_co_u32_e32 v8, vcc, v8, v6
	s_mov_b64 s[14:15], exec
	s_nop 0
	v_subb_co_u32_e32 v9, vcc, v9, v7, vcc
	v_mov_b32_e32 v2, 0
; %bb.199:                              ;   in Loop: Header=BB87_34 Depth=1
	s_or_b64 exec, exec, s[8:9]
	s_and_b64 s[8:9], s[14:15], exec
	v_mov_b64_e32 v[4:5], v[8:9]
.LBB87_200:                             ;   in Loop: Header=BB87_34 Depth=1
	s_or_b64 exec, exec, s[6:7]
	s_mov_b64 s[6:7], -1
                                        ; implicit-def: $sgpr34_sgpr35
                                        ; implicit-def: $sgpr36_sgpr37
	s_and_saveexec_b64 s[28:29], s[8:9]
	s_cbranch_execz .LBB87_296
; %bb.201:                              ;   in Loop: Header=BB87_34 Depth=1
	s_cmp_eq_u64 s[22:23], 1
	s_cselect_b64 s[6:7], -1, 0
	v_cmp_eq_u64_e32 vcc, 1, v[4:5]
	s_and_b64 s[40:41], s[6:7], vcc
	s_mov_b64 s[6:7], -1
                                        ; implicit-def: $sgpr36_sgpr37
                                        ; implicit-def: $sgpr34_sgpr35
	s_and_saveexec_b64 s[38:39], s[40:41]
	s_cbranch_execz .LBB87_236
; %bb.202:                              ;   in Loop: Header=BB87_34 Depth=1
	ds_read_b64 v[6:7], v3 offset:5120
	s_waitcnt lgkmcnt(0)
	s_barrier
	v_readfirstlane_b32 s8, v6
	v_readfirstlane_b32 s9, v7
	s_mov_b64 s[6:7], exec
	v_readlane_b32 s14, v65, 12
	v_readlane_b32 s15, v65, 13
	s_and_b64 s[14:15], s[6:7], s[14:15]
	s_mov_b64 exec, s[14:15]
; %bb.203:                              ;   in Loop: Header=BB87_34 Depth=1
	ds_write_b8 v0, v3 offset:3072
; %bb.204:                              ;   in Loop: Header=BB87_34 Depth=1
	s_or_b64 exec, exec, s[6:7]
	v_and_b32_e32 v6, s52, v44
	v_lshl_or_b32 v44, 2, s91, v6
	v_or_b32_e32 v47, s86, v47
	s_mov_b64 s[34:35], -1
	s_mov_b64 s[36:37], 0
	s_cmp_eq_u64 s[8:9], 0
	s_mov_b64 s[6:7], 0
	s_mov_b64 s[14:15], -1
	s_waitcnt lgkmcnt(0)
	s_barrier
                                        ; implicit-def: $vgpr48
	s_cbranch_scc1 .LBB87_218
; %bb.205:                              ;   in Loop: Header=BB87_34 Depth=1
	v_readlane_b32 s6, v65, 18
	s_add_u32 s44, s8, s6
	v_readlane_b32 s6, v65, 20
	s_addc_u32 s7, s9, s6
	s_mov_b32 s6, s81
	s_cmp_lg_u64 s[6:7], 0
	s_cbranch_scc0 .LBB87_221
; %bb.206:                              ;   in Loop: Header=BB87_34 Depth=1
	v_cvt_f32_u32_e32 v6, s76
	s_sub_u32 s6, 0, s76
	s_subb_u32 s42, 0, 0
	v_fmac_f32_e32 v6, 0, v45
	v_rcp_f32_e32 v6, v6
	s_nop 0
	v_mul_f32_e32 v6, 0x5f7ffffc, v6
	v_mul_f32_e32 v7, 0x2f800000, v6
	v_trunc_f32_e32 v7, v7
	v_fmac_f32_e32 v6, 0xcf800000, v7
	v_cvt_u32_f32_e32 v7, v7
	v_cvt_u32_f32_e32 v6, v6
	v_readfirstlane_b32 s43, v7
	v_readfirstlane_b32 s14, v6
	s_mul_i32 s15, s6, s43
	s_mul_hi_u32 s46, s6, s14
	s_mul_i32 s45, s42, s14
	s_add_i32 s15, s46, s15
	s_mul_i32 s47, s6, s14
	s_add_i32 s15, s15, s45
	s_mul_hi_u32 s46, s14, s47
	s_mul_i32 s48, s14, s15
	s_mul_hi_u32 s45, s14, s15
	s_add_u32 s46, s46, s48
	s_addc_u32 s45, 0, s45
	s_mul_hi_u32 s49, s43, s47
	s_mul_i32 s47, s43, s47
	s_add_u32 s46, s46, s47
	s_mul_hi_u32 s48, s43, s15
	s_addc_u32 s45, s45, s49
	s_addc_u32 s46, s48, 0
	s_mul_i32 s15, s43, s15
	s_add_u32 s15, s45, s15
	s_addc_u32 s45, 0, s46
	s_add_u32 s46, s14, s15
	s_cselect_b64 s[14:15], -1, 0
	s_cmp_lg_u64 s[14:15], 0
	s_addc_u32 s43, s43, s45
	s_mul_i32 s14, s6, s43
	s_mul_hi_u32 s15, s6, s46
	s_add_i32 s14, s15, s14
	s_mul_i32 s42, s42, s46
	s_add_i32 s14, s14, s42
	s_mul_i32 s6, s6, s46
	s_mul_hi_u32 s42, s43, s6
	s_mul_i32 s45, s43, s6
	s_mul_i32 s48, s46, s14
	s_mul_hi_u32 s6, s46, s6
	s_mul_hi_u32 s47, s46, s14
	s_add_u32 s6, s6, s48
	s_addc_u32 s47, 0, s47
	s_add_u32 s6, s6, s45
	s_mul_hi_u32 s15, s43, s14
	s_addc_u32 s6, s47, s42
	s_addc_u32 s15, s15, 0
	s_mul_i32 s14, s43, s14
	s_add_u32 s6, s6, s14
	s_addc_u32 s42, 0, s15
	s_add_u32 s6, s46, s6
	s_cselect_b64 s[14:15], -1, 0
	s_cmp_lg_u64 s[14:15], 0
	s_addc_u32 s14, s43, s42
	s_mul_i32 s42, s44, s14
	s_mul_hi_u32 s43, s44, s6
	s_mul_hi_u32 s15, s44, s14
	s_add_u32 s42, s43, s42
	s_addc_u32 s15, 0, s15
	s_mul_hi_u32 s45, s7, s6
	s_mul_i32 s6, s7, s6
	s_add_u32 s6, s42, s6
	s_mul_hi_u32 s43, s7, s14
	s_addc_u32 s6, s15, s45
	s_addc_u32 s15, s43, 0
	s_mul_i32 s14, s7, s14
	s_add_u32 s6, s6, s14
	s_addc_u32 s14, 0, s15
	s_mul_i32 s14, s76, s14
	s_mul_hi_u32 s15, s76, s6
	s_add_i32 s42, s15, s14
	s_mul_i32 s6, s76, s6
	s_sub_u32 s6, s44, s6
	s_cselect_b64 s[14:15], -1, 0
	s_cmp_lg_u64 s[14:15], 0
	s_subb_u32 s42, s7, s42
	s_sub_u32 s43, s6, s76
	s_cselect_b64 s[14:15], -1, 0
	s_cmp_lg_u64 s[14:15], 0
	s_subb_u32 s45, s42, 0
	;; [unrolled: 4-line block ×3, first 2 shown]
	s_cmp_ge_u32 s43, s76
	s_cselect_b32 s15, -1, 0
	s_cmp_eq_u32 s45, 0
	s_cselect_b32 s15, s15, -1
	s_cmp_lg_u32 s15, 0
	s_cselect_b32 s14, s14, s45
	s_cselect_b32 s43, s46, s43
	s_cmp_ge_u32 s6, s76
	s_cselect_b32 s15, -1, 0
	s_cmp_eq_u32 s42, 0
	s_cselect_b32 s15, s15, -1
	s_cmp_lg_u32 s15, 0
	s_cselect_b32 s15, s14, s42
	s_cselect_b32 s14, s43, s6
	s_cbranch_execnz .LBB87_208
.LBB87_207:                             ;   in Loop: Header=BB87_34 Depth=1
	v_cvt_f32_u32_e32 v6, s76
	s_sub_i32 s6, 0, s76
	v_rcp_iflag_f32_e32 v6, v6
	s_nop 0
	v_mul_f32_e32 v6, 0x4f7ffffe, v6
	v_cvt_u32_f32_e32 v6, v6
	s_nop 0
	v_readfirstlane_b32 s14, v6
	s_mul_i32 s6, s6, s14
	s_mul_hi_u32 s6, s14, s6
	s_add_i32 s14, s14, s6
	s_mul_hi_u32 s6, s44, s14
	s_mul_i32 s6, s6, s76
	s_sub_i32 s6, s44, s6
	s_sub_i32 s14, s6, s76
	s_cmp_ge_u32 s6, s76
	s_cselect_b32 s6, s14, s6
	s_sub_i32 s14, s6, s76
	s_cmp_ge_u32 s6, s76
	s_cselect_b32 s80, s14, s6
	s_mov_b64 s[14:15], s[80:81]
.LBB87_208:                             ;   in Loop: Header=BB87_34 Depth=1
	s_sub_u32 s44, s44, s14
	s_subb_u32 s45, s7, s15
	v_cmp_gt_u64_e32 vcc, s[44:45], v[0:1]
	s_mov_b64 s[14:15], 0
	s_mov_b64 s[6:7], 0
                                        ; implicit-def: $vgpr48
	s_and_saveexec_b64 s[42:43], vcc
	s_cbranch_execz .LBB87_217
; %bb.209:                              ;   in Loop: Header=BB87_34 Depth=1
	v_mov_b32_e32 v8, v0
	v_mov_b64_e32 v[6:7], v[0:1]
                                        ; implicit-def: $sgpr46_sgpr47
	s_branch .LBB87_212
.LBB87_210:                             ;   in Loop: Header=BB87_212 Depth=2
	s_or_b64 exec, exec, s[48:49]
	s_waitcnt lgkmcnt(0)
	s_barrier
	ds_read_u16 v9, v3 offset:3072
	s_mov_b64 s[48:49], -1
	s_waitcnt lgkmcnt(0)
	s_barrier
	v_cmp_ne_u32_sdwa s[50:51], v9, v3 src0_sel:BYTE_0 src1_sel:DWORD
	s_and_b64 vcc, exec, s[50:51]
	s_mov_b64 s[50:51], -1
	s_cbranch_vccz .LBB87_215
.LBB87_211:                             ;   in Loop: Header=BB87_212 Depth=2
	s_and_b64 s[48:49], exec, s[48:49]
	s_or_b64 s[6:7], s[48:49], s[6:7]
	s_andn2_b64 s[46:47], s[46:47], exec
	s_and_b64 s[48:49], s[50:51], exec
	s_or_b64 s[46:47], s[46:47], s[48:49]
	s_andn2_b64 exec, exec, s[6:7]
	s_cbranch_execz .LBB87_216
.LBB87_212:                             ;   Parent Loop BB87_34 Depth=1
                                        ; =>  This Inner Loop Header: Depth=2
	v_cmp_gt_u64_e32 vcc, s[8:9], v[6:7]
	s_and_saveexec_b64 s[48:49], vcc
	s_cbranch_execz .LBB87_210
; %bb.213:                              ;   in Loop: Header=BB87_212 Depth=2
	ds_read_u8 v9, v8
	s_waitcnt lgkmcnt(0)
	v_add_u32_sdwa v10, sext(v9), s33 dst_sel:DWORD dst_unused:UNUSED_PAD src0_sel:BYTE_0 src1_sel:DWORD
	v_and_b32_e32 v10, v10, v47
	v_cmp_eq_u32_e32 vcc, v10, v44
	s_and_b64 exec, exec, vcc
	s_cbranch_execz .LBB87_210
; %bb.214:                              ;   in Loop: Header=BB87_212 Depth=2
	v_lshlrev_b16_e32 v9, 8, v9
	v_or_b32_e32 v9, 1, v9
	ds_write_b16 v3, v9 offset:3072
	s_branch .LBB87_210
.LBB87_215:                             ;   in Loop: Header=BB87_212 Depth=2
	v_lshl_add_u64 v[6:7], v[6:7], 0, s[76:77]
	v_cmp_le_u64_e32 vcc, s[44:45], v[6:7]
	v_add_u32_e32 v8, s76, v8
	s_mov_b64 s[50:51], 0
	s_orn2_b64 s[48:49], vcc, exec
	s_branch .LBB87_211
.LBB87_216:                             ;   in Loop: Header=BB87_34 Depth=1
	s_or_b64 exec, exec, s[6:7]
	v_lshrrev_b32_sdwa v48, v46, v9 dst_sel:DWORD dst_unused:UNUSED_PAD src0_sel:DWORD src1_sel:WORD_0
	s_and_b64 s[6:7], s[46:47], exec
	v_readlane_b32 s50, v65, 40
	v_readlane_b32 s51, v65, 41
.LBB87_217:                             ;   in Loop: Header=BB87_34 Depth=1
	s_or_b64 exec, exec, s[42:43]
.LBB87_218:                             ;   in Loop: Header=BB87_34 Depth=1
	s_and_b64 vcc, exec, s[14:15]
	s_cbranch_vccz .LBB87_235
; %bb.219:                              ;   in Loop: Header=BB87_34 Depth=1
	s_mov_b32 s88, s81
	s_cmp_lg_u64 s[88:89], 0
	s_cbranch_scc0 .LBB87_222
; %bb.220:                              ;   in Loop: Header=BB87_34 Depth=1
	v_cvt_f32_u32_e32 v6, s76
	s_sub_u32 s14, 0, s76
	s_subb_u32 s15, 0, 0
	v_fmac_f32_e32 v6, 0, v45
	v_rcp_f32_e32 v6, v6
	s_nop 0
	v_mul_f32_e32 v6, 0x5f7ffffc, v6
	v_mul_f32_e32 v7, 0x2f800000, v6
	v_trunc_f32_e32 v7, v7
	v_fmac_f32_e32 v6, 0xcf800000, v7
	v_cvt_u32_f32_e32 v7, v7
	v_cvt_u32_f32_e32 v6, v6
	v_readfirstlane_b32 s34, v7
	v_readfirstlane_b32 s8, v6
	s_mul_i32 s9, s14, s34
	s_mul_hi_u32 s36, s14, s8
	s_mul_i32 s35, s15, s8
	s_add_i32 s9, s36, s9
	s_mul_i32 s37, s14, s8
	s_add_i32 s9, s9, s35
	s_mul_hi_u32 s36, s8, s37
	s_mul_i32 s42, s8, s9
	s_mul_hi_u32 s35, s8, s9
	s_add_u32 s36, s36, s42
	s_addc_u32 s35, 0, s35
	s_mul_hi_u32 s43, s34, s37
	s_mul_i32 s37, s34, s37
	s_add_u32 s36, s36, s37
	s_mul_hi_u32 s42, s34, s9
	s_addc_u32 s35, s35, s43
	s_addc_u32 s36, s42, 0
	s_mul_i32 s9, s34, s9
	s_add_u32 s9, s35, s9
	s_addc_u32 s35, 0, s36
	s_add_u32 s36, s8, s9
	s_cselect_b64 s[8:9], -1, 0
	s_cmp_lg_u64 s[8:9], 0
	s_addc_u32 s34, s34, s35
	s_mul_i32 s8, s14, s34
	s_mul_hi_u32 s9, s14, s36
	s_add_i32 s8, s9, s8
	s_mul_i32 s15, s15, s36
	s_add_i32 s8, s8, s15
	s_mul_i32 s14, s14, s36
	s_mul_hi_u32 s15, s34, s14
	s_mul_i32 s35, s34, s14
	s_mul_i32 s42, s36, s8
	s_mul_hi_u32 s14, s36, s14
	s_mul_hi_u32 s37, s36, s8
	s_add_u32 s14, s14, s42
	s_addc_u32 s37, 0, s37
	s_add_u32 s14, s14, s35
	s_mul_hi_u32 s9, s34, s8
	s_addc_u32 s14, s37, s15
	s_addc_u32 s9, s9, 0
	s_mul_i32 s8, s34, s8
	s_add_u32 s8, s14, s8
	s_addc_u32 s14, 0, s9
	s_add_u32 s15, s36, s8
	s_cselect_b64 s[8:9], -1, 0
	s_cmp_lg_u64 s[8:9], 0
	s_addc_u32 s8, s34, s14
	v_readlane_b32 s36, v65, 19
	s_mul_i32 s14, s36, s8
	s_mul_hi_u32 s34, s36, s15
	s_mul_hi_u32 s9, s36, s8
	s_add_u32 s14, s34, s14
	s_addc_u32 s9, 0, s9
	s_mul_hi_u32 s35, s89, s15
	s_mul_i32 s15, s89, s15
	s_add_u32 s14, s14, s15
	s_mul_hi_u32 s34, s89, s8
	s_addc_u32 s9, s9, s35
	s_addc_u32 s14, s34, 0
	s_mul_i32 s8, s89, s8
	s_add_u32 s8, s9, s8
	s_addc_u32 s9, 0, s14
	s_mul_i32 s9, s76, s9
	s_mul_hi_u32 s14, s76, s8
	s_add_i32 s14, s14, s9
	s_mul_i32 s8, s76, s8
	s_sub_u32 s15, s36, s8
	s_cselect_b64 s[8:9], -1, 0
	s_cmp_lg_u64 s[8:9], 0
	s_subb_u32 s14, s89, s14
	s_sub_u32 s34, s15, s76
	s_cselect_b64 s[8:9], -1, 0
	s_cmp_lg_u64 s[8:9], 0
	s_subb_u32 s35, s14, 0
	;; [unrolled: 4-line block ×3, first 2 shown]
	s_cmp_ge_u32 s34, s76
	s_cselect_b32 s9, -1, 0
	s_cmp_eq_u32 s35, 0
	s_cselect_b32 s9, s9, -1
	s_cmp_lg_u32 s9, 0
	s_cselect_b32 s8, s8, s35
	s_cselect_b32 s34, s36, s34
	s_cmp_ge_u32 s15, s76
	s_cselect_b32 s9, -1, 0
	s_cmp_eq_u32 s14, 0
	s_cselect_b32 s9, s9, -1
	s_cmp_lg_u32 s9, 0
	s_cselect_b32 s9, s8, s14
	s_cselect_b32 s8, s34, s15
	s_mov_b64 s[14:15], 0
	s_branch .LBB87_223
.LBB87_221:                             ;   in Loop: Header=BB87_34 Depth=1
                                        ; implicit-def: $sgpr14_sgpr15
	s_branch .LBB87_207
.LBB87_222:                             ;   in Loop: Header=BB87_34 Depth=1
	s_mov_b64 s[14:15], -1
                                        ; implicit-def: $sgpr8_sgpr9
.LBB87_223:                             ;   in Loop: Header=BB87_34 Depth=1
	s_andn2_b64 vcc, exec, s[14:15]
	v_readlane_b32 s88, v65, 42
	s_cbranch_vccnz .LBB87_225
; %bb.224:                              ;   in Loop: Header=BB87_34 Depth=1
	v_cvt_f32_u32_e32 v6, s76
	s_sub_i32 s8, 0, s76
	v_readlane_b32 s14, v65, 19
	v_rcp_iflag_f32_e32 v6, v6
	s_nop 0
	v_mul_f32_e32 v6, 0x4f7ffffe, v6
	v_cvt_u32_f32_e32 v6, v6
	s_nop 0
	v_readfirstlane_b32 s9, v6
	s_mul_i32 s8, s8, s9
	s_mul_hi_u32 s8, s9, s8
	s_add_i32 s9, s9, s8
	s_mul_hi_u32 s8, s14, s9
	s_mul_i32 s8, s8, s76
	s_sub_i32 s8, s14, s8
	s_sub_i32 s9, s8, s76
	s_cmp_ge_u32 s8, s76
	s_cselect_b32 s8, s9, s8
	s_sub_i32 s9, s8, s76
	s_cmp_ge_u32 s8, s76
	s_cselect_b32 s80, s9, s8
	s_mov_b64 s[8:9], s[80:81]
.LBB87_225:                             ;   in Loop: Header=BB87_34 Depth=1
	v_readlane_b32 s14, v65, 19
	s_sub_u32 s14, s14, s8
	s_subb_u32 s15, s89, s9
	v_cmp_gt_u64_e32 vcc, s[14:15], v[0:1]
                                        ; implicit-def: $vgpr48
	s_and_saveexec_b64 s[8:9], vcc
	s_cbranch_execz .LBB87_234
; %bb.226:                              ;   in Loop: Header=BB87_34 Depth=1
	s_mov_b64 s[34:35], 0
	v_mov_b64_e32 v[6:7], v[16:17]
	v_mov_b64_e32 v[8:9], v[0:1]
                                        ; implicit-def: $sgpr36_sgpr37
	s_branch .LBB87_229
.LBB87_227:                             ;   in Loop: Header=BB87_229 Depth=2
	s_or_b64 exec, exec, s[42:43]
	s_waitcnt lgkmcnt(0)
	s_barrier
	ds_read_u16 v10, v3 offset:3072
	s_mov_b64 s[42:43], -1
	s_waitcnt lgkmcnt(0)
	s_barrier
	v_cmp_eq_u32_sdwa s[44:45], v10, v3 src0_sel:BYTE_0 src1_sel:DWORD
	s_and_b64 vcc, exec, s[44:45]
	s_mov_b64 s[44:45], -1
	s_cbranch_vccnz .LBB87_232
.LBB87_228:                             ;   in Loop: Header=BB87_229 Depth=2
	s_and_b64 s[42:43], exec, s[42:43]
	s_or_b64 s[34:35], s[42:43], s[34:35]
	s_andn2_b64 s[36:37], s[36:37], exec
	s_and_b64 s[42:43], s[44:45], exec
	s_or_b64 s[36:37], s[36:37], s[42:43]
	s_andn2_b64 exec, exec, s[34:35]
	s_cbranch_execz .LBB87_233
.LBB87_229:                             ;   Parent Loop BB87_34 Depth=1
                                        ; =>  This Inner Loop Header: Depth=2
	v_cmp_gt_u64_e32 vcc, s[56:57], v[8:9]
	s_and_saveexec_b64 s[42:43], vcc
	s_cbranch_execz .LBB87_227
; %bb.230:                              ;   in Loop: Header=BB87_229 Depth=2
	global_load_ubyte v10, v[6:7], off
	s_waitcnt vmcnt(0)
	v_add_u32_sdwa v11, sext(v10), s33 dst_sel:DWORD dst_unused:UNUSED_PAD src0_sel:BYTE_0 src1_sel:DWORD
	v_and_b32_e32 v11, v11, v47
	v_cmp_eq_u32_e32 vcc, v11, v44
	s_and_b64 exec, exec, vcc
	s_cbranch_execz .LBB87_227
; %bb.231:                              ;   in Loop: Header=BB87_229 Depth=2
	v_lshlrev_b16_e32 v10, 8, v10
	v_or_b32_e32 v10, 1, v10
	ds_write_b16 v3, v10 offset:3072
	s_branch .LBB87_227
.LBB87_232:                             ;   in Loop: Header=BB87_229 Depth=2
	v_lshl_add_u64 v[8:9], v[8:9], 0, s[76:77]
	v_cmp_le_u64_e32 vcc, s[14:15], v[8:9]
	v_lshl_add_u64 v[6:7], v[6:7], 0, s[98:99]
	s_mov_b64 s[44:45], 0
	s_orn2_b64 s[42:43], vcc, exec
	s_branch .LBB87_228
.LBB87_233:                             ;   in Loop: Header=BB87_34 Depth=1
	s_or_b64 exec, exec, s[34:35]
	s_andn2_b64 s[6:7], s[6:7], exec
	s_and_b64 s[14:15], s[36:37], exec
	v_lshrrev_b32_sdwa v48, v46, v10 dst_sel:DWORD dst_unused:UNUSED_PAD src0_sel:DWORD src1_sel:WORD_0
	s_or_b64 s[6:7], s[6:7], s[14:15]
.LBB87_234:                             ;   in Loop: Header=BB87_34 Depth=1
	s_or_b64 exec, exec, s[8:9]
	s_mov_b64 s[34:35], 0
	s_mov_b64 s[36:37], -1
.LBB87_235:                             ;   in Loop: Header=BB87_34 Depth=1
	s_orn2_b64 s[6:7], s[6:7], exec
.LBB87_236:                             ;   in Loop: Header=BB87_34 Depth=1
	s_or_b64 exec, exec, s[38:39]
	s_mov_b64 s[8:9], 0
	s_and_saveexec_b64 s[38:39], s[6:7]
	s_cbranch_execz .LBB87_295
; %bb.237:                              ;   in Loop: Header=BB87_34 Depth=1
	s_xor_b64 s[14:15], s[40:41], -1
	v_mov_b32_e32 v2, 1
	v_mov_b64_e32 v[6:7], 1
	s_and_saveexec_b64 s[6:7], s[14:15]
	s_cbranch_execz .LBB87_246
; %bb.238:                              ;   in Loop: Header=BB87_34 Depth=1
	v_cmp_ge_u64_e32 vcc, s[22:23], v[4:5]
	s_and_saveexec_b64 s[8:9], vcc
	s_xor_b64 s[8:9], exec, s[8:9]
	s_cbranch_execz .LBB87_243
; %bb.239:                              ;   in Loop: Header=BB87_34 Depth=1
	ds_read_b64 v[6:7], v3 offset:5120
	v_and_b32_e32 v2, s52, v44
	v_lshl_or_b32 v44, 2, s91, v2
	v_or_b32_e32 v47, s86, v47
	s_waitcnt lgkmcnt(0)
	v_cmp_ne_u64_e32 vcc, 0, v[6:7]
	s_cbranch_vccnz .LBB87_243
; %bb.240:                              ;   in Loop: Header=BB87_34 Depth=1
	s_mov_b64 s[14:15], exec
	v_readlane_b32 s40, v65, 4
	v_readlane_b32 s41, v65, 5
	s_and_b64 s[40:41], s[14:15], s[40:41]
	s_mov_b64 exec, s[40:41]
; %bb.241:                              ;   in Loop: Header=BB87_34 Depth=1
	v_mov_b64_e32 v[6:7], s[22:23]
	ds_write_b64 v3, v[6:7] offset:5128
; %bb.242:                              ;   in Loop: Header=BB87_34 Depth=1
	s_or_b64 exec, exec, s[14:15]
	s_waitcnt lgkmcnt(0)
	s_barrier
.LBB87_243:                             ;   in Loop: Header=BB87_34 Depth=1
	s_or_saveexec_b64 s[8:9], s[8:9]
	s_mov_b64 s[14:15], 0
	v_mov_b32_e32 v2, 8
	s_xor_b64 exec, exec, s[8:9]
; %bb.244:                              ;   in Loop: Header=BB87_34 Depth=1
	v_mov_b32_e32 v2, s23
	v_subrev_co_u32_e32 v4, vcc, s22, v4
	s_mov_b64 s[14:15], exec
	s_nop 0
	v_subb_co_u32_e32 v5, vcc, v5, v2, vcc
	v_mov_b32_e32 v2, 0
; %bb.245:                              ;   in Loop: Header=BB87_34 Depth=1
	s_or_b64 exec, exec, s[8:9]
	s_and_b64 s[8:9], s[14:15], exec
	v_mov_b64_e32 v[6:7], v[4:5]
.LBB87_246:                             ;   in Loop: Header=BB87_34 Depth=1
	s_or_b64 exec, exec, s[6:7]
	s_mov_b64 s[6:7], -1
                                        ; implicit-def: $sgpr46_sgpr47
                                        ; implicit-def: $sgpr44_sgpr45
	s_and_saveexec_b64 s[22:23], s[8:9]
	s_cbranch_execz .LBB87_294
; %bb.247:                              ;   in Loop: Header=BB87_34 Depth=1
	s_cmp_eq_u64 s[2:3], 1
	s_cselect_b64 s[6:7], -1, 0
	v_cmp_eq_u64_e32 vcc, 1, v[6:7]
	s_and_b64 s[40:41], s[6:7], vcc
	s_mov_b64 s[8:9], -1
                                        ; implicit-def: $sgpr46_sgpr47
                                        ; implicit-def: $sgpr44_sgpr45
	s_and_saveexec_b64 s[42:43], s[40:41]
	s_cbranch_execz .LBB87_282
; %bb.248:                              ;   in Loop: Header=BB87_34 Depth=1
	ds_read_b64 v[4:5], v3 offset:5120
	s_waitcnt lgkmcnt(0)
	s_barrier
	v_readfirstlane_b32 s8, v4
	v_readfirstlane_b32 s9, v5
	s_mov_b64 s[6:7], exec
	v_readlane_b32 s14, v65, 12
	v_readlane_b32 s15, v65, 13
	s_and_b64 s[14:15], s[6:7], s[14:15]
	s_mov_b64 exec, s[14:15]
; %bb.249:                              ;   in Loop: Header=BB87_34 Depth=1
	ds_write_b8 v0, v3 offset:3072
; %bb.250:                              ;   in Loop: Header=BB87_34 Depth=1
	s_or_b64 exec, exec, s[6:7]
	v_or_b32_e32 v44, s86, v44
	v_or_b32_e32 v47, s86, v47
	s_mov_b64 s[44:45], -1
	s_mov_b64 s[46:47], 0
	s_cmp_eq_u64 s[8:9], 0
	s_mov_b64 s[6:7], 0
	s_mov_b64 s[14:15], -1
	s_waitcnt lgkmcnt(0)
	s_barrier
                                        ; implicit-def: $vgpr48
	s_cbranch_scc1 .LBB87_264
; %bb.251:                              ;   in Loop: Header=BB87_34 Depth=1
	v_readlane_b32 s6, v65, 18
	s_add_u32 s50, s8, s6
	v_readlane_b32 s6, v65, 20
	s_addc_u32 s7, s9, s6
	s_mov_b32 s6, s81
	s_cmp_lg_u64 s[6:7], 0
	s_cbranch_scc0 .LBB87_267
; %bb.252:                              ;   in Loop: Header=BB87_34 Depth=1
	v_cvt_f32_u32_e32 v4, s76
	s_sub_u32 s6, 0, s76
	s_subb_u32 s48, 0, 0
	v_fmac_f32_e32 v4, 0, v45
	v_rcp_f32_e32 v4, v4
	s_nop 0
	v_mul_f32_e32 v4, 0x5f7ffffc, v4
	v_mul_f32_e32 v5, 0x2f800000, v4
	v_trunc_f32_e32 v5, v5
	v_fmac_f32_e32 v4, 0xcf800000, v5
	v_cvt_u32_f32_e32 v5, v5
	v_cvt_u32_f32_e32 v4, v4
	v_readfirstlane_b32 s49, v5
	v_readfirstlane_b32 s14, v4
	s_mul_i32 s15, s6, s49
	s_mul_hi_u32 s52, s6, s14
	s_mul_i32 s51, s48, s14
	s_add_i32 s15, s52, s15
	s_mul_i32 s53, s6, s14
	s_add_i32 s15, s15, s51
	s_mul_hi_u32 s52, s14, s53
	s_mul_i32 s54, s14, s15
	s_mul_hi_u32 s51, s14, s15
	s_add_u32 s52, s52, s54
	s_addc_u32 s51, 0, s51
	s_mul_hi_u32 s55, s49, s53
	s_mul_i32 s53, s49, s53
	s_add_u32 s52, s52, s53
	s_mul_hi_u32 s54, s49, s15
	s_addc_u32 s51, s51, s55
	s_addc_u32 s52, s54, 0
	s_mul_i32 s15, s49, s15
	s_add_u32 s15, s51, s15
	s_addc_u32 s51, 0, s52
	s_add_u32 s52, s14, s15
	s_cselect_b64 s[14:15], -1, 0
	s_cmp_lg_u64 s[14:15], 0
	s_addc_u32 s49, s49, s51
	s_mul_i32 s14, s6, s49
	s_mul_hi_u32 s15, s6, s52
	s_add_i32 s14, s15, s14
	s_mul_i32 s48, s48, s52
	s_add_i32 s14, s14, s48
	s_mul_i32 s6, s6, s52
	s_mul_hi_u32 s48, s49, s6
	s_mul_i32 s51, s49, s6
	s_mul_i32 s54, s52, s14
	s_mul_hi_u32 s6, s52, s6
	s_mul_hi_u32 s53, s52, s14
	s_add_u32 s6, s6, s54
	s_addc_u32 s53, 0, s53
	s_add_u32 s6, s6, s51
	s_mul_hi_u32 s15, s49, s14
	s_addc_u32 s6, s53, s48
	s_addc_u32 s15, s15, 0
	s_mul_i32 s14, s49, s14
	s_add_u32 s6, s6, s14
	s_addc_u32 s48, 0, s15
	s_add_u32 s6, s52, s6
	s_cselect_b64 s[14:15], -1, 0
	s_cmp_lg_u64 s[14:15], 0
	s_addc_u32 s14, s49, s48
	s_mul_i32 s48, s50, s14
	s_mul_hi_u32 s49, s50, s6
	s_mul_hi_u32 s15, s50, s14
	s_add_u32 s48, s49, s48
	s_addc_u32 s15, 0, s15
	s_mul_hi_u32 s51, s7, s6
	s_mul_i32 s6, s7, s6
	s_add_u32 s6, s48, s6
	s_mul_hi_u32 s49, s7, s14
	s_addc_u32 s6, s15, s51
	s_addc_u32 s15, s49, 0
	s_mul_i32 s14, s7, s14
	s_add_u32 s6, s6, s14
	s_addc_u32 s14, 0, s15
	s_mul_i32 s14, s76, s14
	s_mul_hi_u32 s15, s76, s6
	s_add_i32 s48, s15, s14
	s_mul_i32 s6, s76, s6
	s_sub_u32 s6, s50, s6
	s_cselect_b64 s[14:15], -1, 0
	s_cmp_lg_u64 s[14:15], 0
	s_subb_u32 s48, s7, s48
	s_sub_u32 s49, s6, s76
	s_cselect_b64 s[14:15], -1, 0
	s_cmp_lg_u64 s[14:15], 0
	s_subb_u32 s51, s48, 0
	;; [unrolled: 4-line block ×3, first 2 shown]
	s_cmp_ge_u32 s49, s76
	s_cselect_b32 s15, -1, 0
	s_cmp_eq_u32 s51, 0
	s_cselect_b32 s15, s15, -1
	s_cmp_lg_u32 s15, 0
	s_cselect_b32 s14, s14, s51
	s_cselect_b32 s49, s52, s49
	s_cmp_ge_u32 s6, s76
	s_cselect_b32 s15, -1, 0
	s_cmp_eq_u32 s48, 0
	s_cselect_b32 s15, s15, -1
	s_cmp_lg_u32 s15, 0
	s_cselect_b32 s15, s14, s48
	s_cselect_b32 s14, s49, s6
	s_cbranch_execnz .LBB87_254
.LBB87_253:                             ;   in Loop: Header=BB87_34 Depth=1
	v_cvt_f32_u32_e32 v4, s76
	s_sub_i32 s6, 0, s76
	v_rcp_iflag_f32_e32 v4, v4
	s_nop 0
	v_mul_f32_e32 v4, 0x4f7ffffe, v4
	v_cvt_u32_f32_e32 v4, v4
	s_nop 0
	v_readfirstlane_b32 s14, v4
	s_mul_i32 s6, s6, s14
	s_mul_hi_u32 s6, s14, s6
	s_add_i32 s14, s14, s6
	s_mul_hi_u32 s6, s50, s14
	s_mul_i32 s6, s6, s76
	s_sub_i32 s6, s50, s6
	s_sub_i32 s14, s6, s76
	s_cmp_ge_u32 s6, s76
	s_cselect_b32 s6, s14, s6
	s_sub_i32 s14, s6, s76
	s_cmp_ge_u32 s6, s76
	s_cselect_b32 s80, s14, s6
	s_mov_b64 s[14:15], s[80:81]
.LBB87_254:                             ;   in Loop: Header=BB87_34 Depth=1
	s_sub_u32 s50, s50, s14
	s_subb_u32 s51, s7, s15
	v_cmp_gt_u64_e32 vcc, s[50:51], v[0:1]
	s_mov_b64 s[14:15], 0
	s_mov_b64 s[6:7], 0
                                        ; implicit-def: $vgpr48
	s_and_saveexec_b64 s[48:49], vcc
	s_cbranch_execz .LBB87_263
; %bb.255:                              ;   in Loop: Header=BB87_34 Depth=1
	v_mov_b32_e32 v8, v0
	v_mov_b64_e32 v[4:5], v[0:1]
                                        ; implicit-def: $sgpr52_sgpr53
	s_branch .LBB87_258
.LBB87_256:                             ;   in Loop: Header=BB87_258 Depth=2
	s_or_b64 exec, exec, s[54:55]
	s_waitcnt lgkmcnt(0)
	s_barrier
	ds_read_u16 v9, v3 offset:3072
	s_mov_b64 s[54:55], -1
	s_waitcnt lgkmcnt(0)
	s_barrier
	v_cmp_ne_u32_sdwa s[82:83], v9, v3 src0_sel:BYTE_0 src1_sel:DWORD
	s_and_b64 vcc, exec, s[82:83]
	s_mov_b64 s[82:83], -1
	s_cbranch_vccz .LBB87_261
.LBB87_257:                             ;   in Loop: Header=BB87_258 Depth=2
	s_and_b64 s[54:55], exec, s[54:55]
	s_or_b64 s[6:7], s[54:55], s[6:7]
	s_andn2_b64 s[52:53], s[52:53], exec
	s_and_b64 s[54:55], s[82:83], exec
	s_or_b64 s[52:53], s[52:53], s[54:55]
	s_andn2_b64 exec, exec, s[6:7]
	s_cbranch_execz .LBB87_262
.LBB87_258:                             ;   Parent Loop BB87_34 Depth=1
                                        ; =>  This Inner Loop Header: Depth=2
	v_cmp_gt_u64_e32 vcc, s[8:9], v[4:5]
	s_and_saveexec_b64 s[54:55], vcc
	s_cbranch_execz .LBB87_256
; %bb.259:                              ;   in Loop: Header=BB87_258 Depth=2
	ds_read_u8 v9, v8
	s_waitcnt lgkmcnt(0)
	v_add_u32_sdwa v10, sext(v9), s33 dst_sel:DWORD dst_unused:UNUSED_PAD src0_sel:BYTE_0 src1_sel:DWORD
	v_and_b32_e32 v10, v10, v47
	v_cmp_eq_u32_e32 vcc, v10, v44
	s_and_b64 exec, exec, vcc
	s_cbranch_execz .LBB87_256
; %bb.260:                              ;   in Loop: Header=BB87_258 Depth=2
	v_lshlrev_b16_e32 v9, 8, v9
	v_or_b32_e32 v9, 1, v9
	ds_write_b16 v3, v9 offset:3072
	s_branch .LBB87_256
.LBB87_261:                             ;   in Loop: Header=BB87_258 Depth=2
	v_lshl_add_u64 v[4:5], v[4:5], 0, s[76:77]
	v_cmp_le_u64_e32 vcc, s[50:51], v[4:5]
	v_add_u32_e32 v8, s76, v8
	s_mov_b64 s[82:83], 0
	s_orn2_b64 s[54:55], vcc, exec
	s_branch .LBB87_257
.LBB87_262:                             ;   in Loop: Header=BB87_34 Depth=1
	s_or_b64 exec, exec, s[6:7]
	v_lshrrev_b32_sdwa v48, v46, v9 dst_sel:DWORD dst_unused:UNUSED_PAD src0_sel:DWORD src1_sel:WORD_0
	s_and_b64 s[6:7], s[52:53], exec
.LBB87_263:                             ;   in Loop: Header=BB87_34 Depth=1
	s_or_b64 exec, exec, s[48:49]
	v_readlane_b32 s54, v65, 37
	v_readlane_b32 s55, v65, 38
	;; [unrolled: 1-line block ×4, first 2 shown]
.LBB87_264:                             ;   in Loop: Header=BB87_34 Depth=1
	s_and_b64 vcc, exec, s[14:15]
	s_cbranch_vccz .LBB87_281
; %bb.265:                              ;   in Loop: Header=BB87_34 Depth=1
	s_mov_b32 s88, s81
	s_cmp_lg_u64 s[88:89], 0
	s_cbranch_scc0 .LBB87_268
; %bb.266:                              ;   in Loop: Header=BB87_34 Depth=1
	v_cvt_f32_u32_e32 v4, s76
	s_sub_u32 s14, 0, s76
	s_subb_u32 s15, 0, 0
	v_fmac_f32_e32 v4, 0, v45
	v_rcp_f32_e32 v4, v4
	s_nop 0
	v_mul_f32_e32 v4, 0x5f7ffffc, v4
	v_mul_f32_e32 v5, 0x2f800000, v4
	v_trunc_f32_e32 v5, v5
	v_fmac_f32_e32 v4, 0xcf800000, v5
	v_cvt_u32_f32_e32 v5, v5
	v_cvt_u32_f32_e32 v4, v4
	v_readfirstlane_b32 s44, v5
	v_readfirstlane_b32 s8, v4
	s_mul_i32 s9, s14, s44
	s_mul_hi_u32 s46, s14, s8
	s_mul_i32 s45, s15, s8
	s_add_i32 s9, s46, s9
	s_mul_i32 s47, s14, s8
	s_add_i32 s9, s9, s45
	s_mul_hi_u32 s46, s8, s47
	s_mul_i32 s48, s8, s9
	s_mul_hi_u32 s45, s8, s9
	s_add_u32 s46, s46, s48
	s_addc_u32 s45, 0, s45
	s_mul_hi_u32 s49, s44, s47
	s_mul_i32 s47, s44, s47
	s_add_u32 s46, s46, s47
	s_mul_hi_u32 s48, s44, s9
	s_addc_u32 s45, s45, s49
	s_addc_u32 s46, s48, 0
	s_mul_i32 s9, s44, s9
	s_add_u32 s9, s45, s9
	s_addc_u32 s45, 0, s46
	s_add_u32 s46, s8, s9
	s_cselect_b64 s[8:9], -1, 0
	s_cmp_lg_u64 s[8:9], 0
	s_addc_u32 s44, s44, s45
	s_mul_i32 s8, s14, s44
	s_mul_hi_u32 s9, s14, s46
	s_add_i32 s8, s9, s8
	s_mul_i32 s15, s15, s46
	s_add_i32 s8, s8, s15
	s_mul_i32 s14, s14, s46
	s_mul_hi_u32 s15, s44, s14
	s_mul_i32 s45, s44, s14
	s_mul_i32 s48, s46, s8
	s_mul_hi_u32 s14, s46, s14
	s_mul_hi_u32 s47, s46, s8
	s_add_u32 s14, s14, s48
	s_addc_u32 s47, 0, s47
	s_add_u32 s14, s14, s45
	s_mul_hi_u32 s9, s44, s8
	s_addc_u32 s14, s47, s15
	s_addc_u32 s9, s9, 0
	s_mul_i32 s8, s44, s8
	s_add_u32 s8, s14, s8
	s_addc_u32 s14, 0, s9
	s_add_u32 s15, s46, s8
	s_cselect_b64 s[8:9], -1, 0
	s_cmp_lg_u64 s[8:9], 0
	s_addc_u32 s8, s44, s14
	v_readlane_b32 s46, v65, 19
	s_mul_i32 s14, s46, s8
	s_mul_hi_u32 s44, s46, s15
	s_mul_hi_u32 s9, s46, s8
	s_add_u32 s14, s44, s14
	s_addc_u32 s9, 0, s9
	s_mul_hi_u32 s45, s89, s15
	s_mul_i32 s15, s89, s15
	s_add_u32 s14, s14, s15
	s_mul_hi_u32 s44, s89, s8
	s_addc_u32 s9, s9, s45
	s_addc_u32 s14, s44, 0
	s_mul_i32 s8, s89, s8
	s_add_u32 s8, s9, s8
	s_addc_u32 s9, 0, s14
	s_mul_i32 s9, s76, s9
	s_mul_hi_u32 s14, s76, s8
	s_add_i32 s14, s14, s9
	s_mul_i32 s8, s76, s8
	s_sub_u32 s15, s46, s8
	s_cselect_b64 s[8:9], -1, 0
	s_cmp_lg_u64 s[8:9], 0
	s_subb_u32 s14, s89, s14
	s_sub_u32 s44, s15, s76
	s_cselect_b64 s[8:9], -1, 0
	s_cmp_lg_u64 s[8:9], 0
	s_subb_u32 s45, s14, 0
	;; [unrolled: 4-line block ×3, first 2 shown]
	s_cmp_ge_u32 s44, s76
	s_cselect_b32 s9, -1, 0
	s_cmp_eq_u32 s45, 0
	s_cselect_b32 s9, s9, -1
	s_cmp_lg_u32 s9, 0
	s_cselect_b32 s8, s8, s45
	s_cselect_b32 s44, s46, s44
	s_cmp_ge_u32 s15, s76
	s_cselect_b32 s9, -1, 0
	s_cmp_eq_u32 s14, 0
	s_cselect_b32 s9, s9, -1
	s_cmp_lg_u32 s9, 0
	s_cselect_b32 s9, s8, s14
	s_cselect_b32 s8, s44, s15
	s_mov_b64 s[14:15], 0
	s_branch .LBB87_269
.LBB87_267:                             ;   in Loop: Header=BB87_34 Depth=1
                                        ; implicit-def: $sgpr14_sgpr15
	s_branch .LBB87_253
.LBB87_268:                             ;   in Loop: Header=BB87_34 Depth=1
	s_mov_b64 s[14:15], -1
                                        ; implicit-def: $sgpr8_sgpr9
.LBB87_269:                             ;   in Loop: Header=BB87_34 Depth=1
	s_andn2_b64 vcc, exec, s[14:15]
	v_readlane_b32 s88, v65, 42
	s_cbranch_vccnz .LBB87_271
; %bb.270:                              ;   in Loop: Header=BB87_34 Depth=1
	v_cvt_f32_u32_e32 v4, s76
	s_sub_i32 s8, 0, s76
	v_readlane_b32 s14, v65, 19
	v_rcp_iflag_f32_e32 v4, v4
	s_nop 0
	v_mul_f32_e32 v4, 0x4f7ffffe, v4
	v_cvt_u32_f32_e32 v4, v4
	s_nop 0
	v_readfirstlane_b32 s9, v4
	s_mul_i32 s8, s8, s9
	s_mul_hi_u32 s8, s9, s8
	s_add_i32 s9, s9, s8
	s_mul_hi_u32 s8, s14, s9
	s_mul_i32 s8, s8, s76
	s_sub_i32 s8, s14, s8
	s_sub_i32 s9, s8, s76
	s_cmp_ge_u32 s8, s76
	s_cselect_b32 s8, s9, s8
	s_sub_i32 s9, s8, s76
	s_cmp_ge_u32 s8, s76
	s_cselect_b32 s80, s9, s8
	s_mov_b64 s[8:9], s[80:81]
.LBB87_271:                             ;   in Loop: Header=BB87_34 Depth=1
	v_readlane_b32 s14, v65, 19
	s_sub_u32 s14, s14, s8
	s_subb_u32 s15, s89, s9
	v_cmp_gt_u64_e32 vcc, s[14:15], v[0:1]
                                        ; implicit-def: $vgpr48
	s_and_saveexec_b64 s[8:9], vcc
	s_cbranch_execz .LBB87_280
; %bb.272:                              ;   in Loop: Header=BB87_34 Depth=1
	s_mov_b64 s[44:45], 0
	v_mov_b64_e32 v[4:5], v[16:17]
	v_mov_b64_e32 v[8:9], v[0:1]
                                        ; implicit-def: $sgpr46_sgpr47
	s_branch .LBB87_275
.LBB87_273:                             ;   in Loop: Header=BB87_275 Depth=2
	s_or_b64 exec, exec, s[48:49]
	s_waitcnt lgkmcnt(0)
	s_barrier
	ds_read_u16 v10, v3 offset:3072
	s_mov_b64 s[48:49], -1
	s_waitcnt lgkmcnt(0)
	s_barrier
	v_cmp_eq_u32_sdwa s[50:51], v10, v3 src0_sel:BYTE_0 src1_sel:DWORD
	s_and_b64 vcc, exec, s[50:51]
	s_mov_b64 s[50:51], -1
	s_cbranch_vccnz .LBB87_278
.LBB87_274:                             ;   in Loop: Header=BB87_275 Depth=2
	s_and_b64 s[48:49], exec, s[48:49]
	s_or_b64 s[44:45], s[48:49], s[44:45]
	s_andn2_b64 s[46:47], s[46:47], exec
	s_and_b64 s[48:49], s[50:51], exec
	s_or_b64 s[46:47], s[46:47], s[48:49]
	s_andn2_b64 exec, exec, s[44:45]
	s_cbranch_execz .LBB87_279
.LBB87_275:                             ;   Parent Loop BB87_34 Depth=1
                                        ; =>  This Inner Loop Header: Depth=2
	v_cmp_gt_u64_e32 vcc, s[56:57], v[8:9]
	s_and_saveexec_b64 s[48:49], vcc
	s_cbranch_execz .LBB87_273
; %bb.276:                              ;   in Loop: Header=BB87_275 Depth=2
	global_load_ubyte v10, v[4:5], off
	s_waitcnt vmcnt(0)
	v_add_u32_sdwa v11, sext(v10), s33 dst_sel:DWORD dst_unused:UNUSED_PAD src0_sel:BYTE_0 src1_sel:DWORD
	v_and_b32_e32 v11, v11, v47
	v_cmp_eq_u32_e32 vcc, v11, v44
	s_and_b64 exec, exec, vcc
	s_cbranch_execz .LBB87_273
; %bb.277:                              ;   in Loop: Header=BB87_275 Depth=2
	v_lshlrev_b16_e32 v10, 8, v10
	v_or_b32_e32 v10, 1, v10
	ds_write_b16 v3, v10 offset:3072
	s_branch .LBB87_273
.LBB87_278:                             ;   in Loop: Header=BB87_275 Depth=2
	v_lshl_add_u64 v[8:9], v[8:9], 0, s[76:77]
	v_cmp_le_u64_e32 vcc, s[14:15], v[8:9]
	v_lshl_add_u64 v[4:5], v[4:5], 0, s[98:99]
	s_mov_b64 s[50:51], 0
	s_orn2_b64 s[48:49], vcc, exec
	s_branch .LBB87_274
.LBB87_279:                             ;   in Loop: Header=BB87_34 Depth=1
	s_or_b64 exec, exec, s[44:45]
	s_andn2_b64 s[6:7], s[6:7], exec
	s_and_b64 s[14:15], s[46:47], exec
	v_lshrrev_b32_sdwa v48, v46, v10 dst_sel:DWORD dst_unused:UNUSED_PAD src0_sel:DWORD src1_sel:WORD_0
	s_or_b64 s[6:7], s[6:7], s[14:15]
	v_readlane_b32 s50, v65, 40
	v_readlane_b32 s51, v65, 41
.LBB87_280:                             ;   in Loop: Header=BB87_34 Depth=1
	s_or_b64 exec, exec, s[8:9]
	s_mov_b64 s[44:45], 0
	s_mov_b64 s[46:47], -1
.LBB87_281:                             ;   in Loop: Header=BB87_34 Depth=1
	s_orn2_b64 s[8:9], s[6:7], exec
.LBB87_282:                             ;   in Loop: Header=BB87_34 Depth=1
	s_or_b64 exec, exec, s[42:43]
	s_mov_b64 s[14:15], 0
	s_and_saveexec_b64 s[6:7], s[8:9]
	s_cbranch_execz .LBB87_293
; %bb.283:                              ;   in Loop: Header=BB87_34 Depth=1
	s_xor_b64 s[14:15], s[40:41], -1
	v_mov_b64_e32 v[4:5], 1
	v_mov_b32_e32 v2, 1
	s_and_saveexec_b64 s[8:9], s[14:15]
	s_cbranch_execz .LBB87_292
; %bb.284:                              ;   in Loop: Header=BB87_34 Depth=1
	v_cmp_ge_u64_e32 vcc, s[2:3], v[6:7]
	s_and_saveexec_b64 s[14:15], vcc
	s_xor_b64 s[14:15], exec, s[14:15]
	s_cbranch_execz .LBB87_289
; %bb.285:                              ;   in Loop: Header=BB87_34 Depth=1
	ds_read_b64 v[4:5], v3 offset:5120
	v_or_b32_e32 v44, s86, v44
	v_or_b32_e32 v47, s86, v47
	s_waitcnt lgkmcnt(0)
	v_cmp_ne_u64_e32 vcc, 0, v[4:5]
	s_cbranch_vccnz .LBB87_289
; %bb.286:                              ;   in Loop: Header=BB87_34 Depth=1
	s_mov_b64 s[40:41], exec
	v_readlane_b32 s42, v65, 4
	v_readlane_b32 s43, v65, 5
	s_and_b64 s[42:43], s[40:41], s[42:43]
	s_mov_b64 exec, s[42:43]
; %bb.287:                              ;   in Loop: Header=BB87_34 Depth=1
	v_mov_b64_e32 v[4:5], s[2:3]
	ds_write_b64 v3, v[4:5] offset:5128
; %bb.288:                              ;   in Loop: Header=BB87_34 Depth=1
	s_or_b64 exec, exec, s[40:41]
	s_waitcnt lgkmcnt(0)
	s_barrier
.LBB87_289:                             ;   in Loop: Header=BB87_34 Depth=1
	s_andn2_saveexec_b64 s[14:15], s[14:15]
; %bb.290:                              ;   in Loop: Header=BB87_34 Depth=1
	v_mov_b32_e32 v2, s3
	v_subrev_co_u32_e32 v6, vcc, s2, v6
	s_nop 1
	v_subb_co_u32_e32 v7, vcc, v7, v2, vcc
; %bb.291:                              ;   in Loop: Header=BB87_34 Depth=1
	s_or_b64 exec, exec, s[14:15]
	v_mov_b32_e32 v2, 8
	v_mov_b64_e32 v[4:5], v[6:7]
.LBB87_292:                             ;   in Loop: Header=BB87_34 Depth=1
	s_or_b64 exec, exec, s[8:9]
	s_mov_b64 s[14:15], exec
	v_mov_b64_e32 v[6:7], v[4:5]
.LBB87_293:                             ;   in Loop: Header=BB87_34 Depth=1
	s_or_b64 exec, exec, s[6:7]
	s_orn2_b64 s[6:7], s[14:15], exec
.LBB87_294:                             ;   in Loop: Header=BB87_34 Depth=1
	s_or_b64 exec, exec, s[22:23]
	s_andn2_b64 s[2:3], s[36:37], exec
	s_and_b64 s[8:9], s[46:47], exec
	s_or_b64 s[36:37], s[2:3], s[8:9]
	s_andn2_b64 s[2:3], s[34:35], exec
	s_and_b64 s[8:9], s[44:45], exec
	s_or_b64 s[34:35], s[2:3], s[8:9]
	s_and_b64 s[8:9], s[6:7], exec
	v_mov_b64_e32 v[4:5], v[6:7]
.LBB87_295:                             ;   in Loop: Header=BB87_34 Depth=1
	s_or_b64 exec, exec, s[38:39]
	s_orn2_b64 s[6:7], s[8:9], exec
.LBB87_296:                             ;   in Loop: Header=BB87_34 Depth=1
	s_or_b64 exec, exec, s[28:29]
	s_andn2_b64 s[2:3], s[24:25], exec
	s_and_b64 s[8:9], s[36:37], exec
	s_or_b64 s[24:25], s[2:3], s[8:9]
	s_andn2_b64 s[0:1], s[0:1], exec
	s_and_b64 s[2:3], s[34:35], exec
	s_or_b64 s[0:1], s[0:1], s[2:3]
	s_and_b64 s[8:9], s[6:7], exec
	v_mov_b64_e32 v[8:9], v[4:5]
.LBB87_297:                             ;   in Loop: Header=BB87_34 Depth=1
	s_or_b64 exec, exec, s[26:27]
	s_orn2_b64 s[6:7], s[8:9], exec
.LBB87_298:                             ;   in Loop: Header=BB87_34 Depth=1
	s_or_b64 exec, exec, s[20:21]
	s_mov_b64 s[8:9], 0
	s_and_saveexec_b64 s[2:3], s[6:7]
	s_xor_b64 s[2:3], exec, s[2:3]
	s_cbranch_execz .LBB87_32
; %bb.299:                              ;   in Loop: Header=BB87_34 Depth=1
	v_and_b32_e32 v2, 7, v2
	v_cmp_eq_u32_e32 vcc, 0, v2
	s_mov_b64 s[6:7], -1
	s_mov_b64 s[8:9], -1
	s_and_saveexec_b64 s[14:15], vcc
	s_cbranch_execz .LBB87_31
; %bb.300:                              ;   in Loop: Header=BB87_34 Depth=1
	v_readlane_b32 s6, v65, 34
	s_xor_b32 s6, s6, 1
	s_add_i32 s18, s91, -2
	s_cmp_eq_u32 s91, 0
	v_writelane_b32 v65, s6, 34
	s_cselect_b64 s[6:7], -1, 0
	s_xor_b64 s[8:9], exec, -1
	s_orn2_b64 s[6:7], s[6:7], exec
	s_mov_b32 s91, s18
	s_branch .LBB87_31
.LBB87_301:
	s_or_b64 exec, exec, s[72:73]
	s_xor_b64 s[6:7], s[12:13], -1
	s_xor_b64 s[0:1], s[70:71], -1
	;; [unrolled: 1-line block ×3, first 2 shown]
	s_mov_b64 s[2:3], 0
	s_and_saveexec_b64 s[8:9], s[0:1]
	s_xor_b64 s[0:1], exec, s[8:9]
	s_cbranch_execnz .LBB87_306
; %bb.302:
	s_andn2_saveexec_b64 s[0:1], s[0:1]
	s_cbranch_execnz .LBB87_319
.LBB87_303:
	s_or_b64 exec, exec, s[0:1]
	s_and_saveexec_b64 s[0:1], s[2:3]
.LBB87_304:
	; divergent unreachable
.LBB87_305:
	s_endpgm
.LBB87_306:
	s_and_saveexec_b64 s[2:3], s[6:7]
	s_xor_b64 s[2:3], exec, s[2:3]
	s_cbranch_execz .LBB87_317
; %bb.307:
	s_and_saveexec_b64 s[6:7], s[4:5]
	s_xor_b64 s[4:5], exec, s[6:7]
; %bb.308:
	v_xor_b32_e32 v48, 0xffffff80, v44
; %bb.309:
	s_or_b64 exec, exec, s[4:5]
	v_readlane_b32 s6, v65, 0
	v_readlane_b32 s7, v65, 1
	s_mul_i32 s4, s6, s65
	s_mul_hi_u32 s5, s6, s64
	s_add_i32 s4, s5, s4
	s_mul_i32 s5, s7, s64
	s_add_i32 s4, s4, s5
	s_mul_i32 s5, s6, s64
	v_readlane_b32 s6, v65, 6
	v_readlane_b32 s7, v65, 7
	s_add_u32 s5, s6, s5
	s_addc_u32 s6, s7, s4
	s_add_u32 s4, s5, s58
	s_addc_u32 s5, s6, s59
	v_mov_b32_e32 v2, 0
	global_store_byte v2, v48, s[4:5]
	s_mov_b64 s[4:5], exec
	v_readlane_b32 s6, v65, 10
	v_readlane_b32 s7, v65, 11
	s_and_b64 s[6:7], s[4:5], s[6:7]
	s_mov_b64 exec, s[6:7]
	s_cbranch_execz .LBB87_316
; %bb.310:
	s_mov_b64 s[6:7], 0
                                        ; implicit-def: $sgpr8_sgpr9
                                        ; implicit-def: $sgpr12_sgpr13
                                        ; implicit-def: $sgpr10_sgpr11
	s_branch .LBB87_312
.LBB87_311:                             ;   in Loop: Header=BB87_312 Depth=1
	s_or_b64 exec, exec, s[14:15]
	s_and_b64 s[14:15], exec, s[12:13]
	s_or_b64 s[6:7], s[14:15], s[6:7]
	s_andn2_b64 s[8:9], s[8:9], exec
	s_and_b64 s[14:15], s[10:11], exec
	s_or_b64 s[8:9], s[8:9], s[14:15]
	s_andn2_b64 exec, exec, s[6:7]
	s_cbranch_execz .LBB87_314
.LBB87_312:                             ; =>This Inner Loop Header: Depth=1
	global_load_ubyte v4, v[16:17], off
	v_mov_b64_e32 v[2:3], v[0:1]
	s_or_b64 s[10:11], s[10:11], exec
	s_or_b64 s[12:13], s[12:13], exec
                                        ; implicit-def: $vgpr0_vgpr1
	s_waitcnt vmcnt(0)
	v_cmp_ne_u16_sdwa s[16:17], v4, v48 src0_sel:DWORD src1_sel:BYTE_0
	s_and_saveexec_b64 s[14:15], s[16:17]
	s_cbranch_execz .LBB87_311
; %bb.313:                              ;   in Loop: Header=BB87_312 Depth=1
	v_lshl_add_u64 v[0:1], v[2:3], 0, s[76:77]
	v_cmp_le_u64_e32 vcc, s[56:57], v[0:1]
	s_andn2_b64 s[12:13], s[12:13], exec
	s_and_b64 s[16:17], vcc, exec
	v_lshl_add_u64 v[16:17], v[16:17], 0, s[98:99]
	s_andn2_b64 s[10:11], s[10:11], exec
	s_or_b64 s[12:13], s[12:13], s[16:17]
	s_branch .LBB87_311
.LBB87_314:
	s_or_b64 exec, exec, s[6:7]
	s_and_saveexec_b64 s[6:7], s[8:9]
	s_xor_b64 s[6:7], exec, s[6:7]
	s_cbranch_execz .LBB87_316
; %bb.315:
	v_readlane_b32 s8, v65, 2
	v_readlane_b32 s9, v65, 3
	s_mul_i32 s6, s8, s69
	s_mul_hi_u32 s7, s8, s68
	s_add_i32 s6, s7, s6
	s_mul_i32 s7, s9, s68
	s_add_i32 s7, s6, s7
	s_mul_i32 s6, s8, s68
	s_lshl_b64 s[6:7], s[6:7], 3
	v_readlane_b32 s8, v65, 8
	v_readlane_b32 s9, v65, 9
	s_add_u32 s8, s8, s6
	s_addc_u32 s9, s9, s7
	s_lshl_b64 s[6:7], s[62:63], 3
	s_add_u32 s6, s8, s6
	s_addc_u32 s7, s9, s7
	v_mov_b32_e32 v0, 0
	global_store_dwordx2 v0, v[2:3], s[6:7]
.LBB87_316:
	s_or_b64 exec, exec, s[4:5]
.LBB87_317:
	s_or_saveexec_b64 s[2:3], s[2:3]
	s_mov_b64 s[4:5], 0
	s_xor_b64 exec, exec, s[2:3]
	s_cbranch_execnz .LBB87_320
.LBB87_318:
	s_or_b64 exec, exec, s[2:3]
	s_and_b64 s[2:3], s[4:5], exec
	s_andn2_saveexec_b64 s[0:1], s[0:1]
	s_cbranch_execz .LBB87_303
.LBB87_319:
	s_or_b64 s[2:3], s[2:3], exec
	s_trap 2
	s_or_b64 exec, exec, s[0:1]
	s_and_saveexec_b64 s[0:1], s[2:3]
	s_cbranch_execnz .LBB87_304
	s_branch .LBB87_305
.LBB87_320:
	s_mov_b64 s[4:5], exec
	s_trap 2
	s_branch .LBB87_318
	.section	.rodata,"a",@progbits
	.p2align	6, 0x0
	.amdhsa_kernel _ZN2at6native12_GLOBAL__N_112gatherMedianIamLin1EEEvNS_4cuda6detail10TensorInfoIT_T0_EENS5_IlS7_EENS5_IKS6_S7_EES7_S7_S7_b
		.amdhsa_group_segment_fixed_size 5152
		.amdhsa_private_segment_fixed_size 0
		.amdhsa_kernarg_size 1536
		.amdhsa_user_sgpr_count 2
		.amdhsa_user_sgpr_dispatch_ptr 0
		.amdhsa_user_sgpr_queue_ptr 0
		.amdhsa_user_sgpr_kernarg_segment_ptr 1
		.amdhsa_user_sgpr_dispatch_id 0
		.amdhsa_user_sgpr_kernarg_preload_length 0
		.amdhsa_user_sgpr_kernarg_preload_offset 0
		.amdhsa_user_sgpr_private_segment_size 0
		.amdhsa_uses_dynamic_stack 0
		.amdhsa_enable_private_segment 0
		.amdhsa_system_sgpr_workgroup_id_x 1
		.amdhsa_system_sgpr_workgroup_id_y 1
		.amdhsa_system_sgpr_workgroup_id_z 1
		.amdhsa_system_sgpr_workgroup_info 0
		.amdhsa_system_vgpr_workitem_id 0
		.amdhsa_next_free_vgpr 66
		.amdhsa_next_free_sgpr 100
		.amdhsa_accum_offset 68
		.amdhsa_reserve_vcc 1
		.amdhsa_float_round_mode_32 0
		.amdhsa_float_round_mode_16_64 0
		.amdhsa_float_denorm_mode_32 3
		.amdhsa_float_denorm_mode_16_64 3
		.amdhsa_dx10_clamp 1
		.amdhsa_ieee_mode 1
		.amdhsa_fp16_overflow 0
		.amdhsa_tg_split 0
		.amdhsa_exception_fp_ieee_invalid_op 0
		.amdhsa_exception_fp_denorm_src 0
		.amdhsa_exception_fp_ieee_div_zero 0
		.amdhsa_exception_fp_ieee_overflow 0
		.amdhsa_exception_fp_ieee_underflow 0
		.amdhsa_exception_fp_ieee_inexact 0
		.amdhsa_exception_int_div_zero 0
	.end_amdhsa_kernel
	.section	.text._ZN2at6native12_GLOBAL__N_112gatherMedianIamLin1EEEvNS_4cuda6detail10TensorInfoIT_T0_EENS5_IlS7_EENS5_IKS6_S7_EES7_S7_S7_b,"axG",@progbits,_ZN2at6native12_GLOBAL__N_112gatherMedianIamLin1EEEvNS_4cuda6detail10TensorInfoIT_T0_EENS5_IlS7_EENS5_IKS6_S7_EES7_S7_S7_b,comdat
.Lfunc_end87:
	.size	_ZN2at6native12_GLOBAL__N_112gatherMedianIamLin1EEEvNS_4cuda6detail10TensorInfoIT_T0_EENS5_IlS7_EENS5_IKS6_S7_EES7_S7_S7_b, .Lfunc_end87-_ZN2at6native12_GLOBAL__N_112gatherMedianIamLin1EEEvNS_4cuda6detail10TensorInfoIT_T0_EENS5_IlS7_EENS5_IKS6_S7_EES7_S7_S7_b
                                        ; -- End function
	.set _ZN2at6native12_GLOBAL__N_112gatherMedianIamLin1EEEvNS_4cuda6detail10TensorInfoIT_T0_EENS5_IlS7_EENS5_IKS6_S7_EES7_S7_S7_b.num_vgpr, 66
	.set _ZN2at6native12_GLOBAL__N_112gatherMedianIamLin1EEEvNS_4cuda6detail10TensorInfoIT_T0_EENS5_IlS7_EENS5_IKS6_S7_EES7_S7_S7_b.num_agpr, 0
	.set _ZN2at6native12_GLOBAL__N_112gatherMedianIamLin1EEEvNS_4cuda6detail10TensorInfoIT_T0_EENS5_IlS7_EENS5_IKS6_S7_EES7_S7_S7_b.numbered_sgpr, 100
	.set _ZN2at6native12_GLOBAL__N_112gatherMedianIamLin1EEEvNS_4cuda6detail10TensorInfoIT_T0_EENS5_IlS7_EENS5_IKS6_S7_EES7_S7_S7_b.num_named_barrier, 0
	.set _ZN2at6native12_GLOBAL__N_112gatherMedianIamLin1EEEvNS_4cuda6detail10TensorInfoIT_T0_EENS5_IlS7_EENS5_IKS6_S7_EES7_S7_S7_b.private_seg_size, 0
	.set _ZN2at6native12_GLOBAL__N_112gatherMedianIamLin1EEEvNS_4cuda6detail10TensorInfoIT_T0_EENS5_IlS7_EENS5_IKS6_S7_EES7_S7_S7_b.uses_vcc, 1
	.set _ZN2at6native12_GLOBAL__N_112gatherMedianIamLin1EEEvNS_4cuda6detail10TensorInfoIT_T0_EENS5_IlS7_EENS5_IKS6_S7_EES7_S7_S7_b.uses_flat_scratch, 0
	.set _ZN2at6native12_GLOBAL__N_112gatherMedianIamLin1EEEvNS_4cuda6detail10TensorInfoIT_T0_EENS5_IlS7_EENS5_IKS6_S7_EES7_S7_S7_b.has_dyn_sized_stack, 0
	.set _ZN2at6native12_GLOBAL__N_112gatherMedianIamLin1EEEvNS_4cuda6detail10TensorInfoIT_T0_EENS5_IlS7_EENS5_IKS6_S7_EES7_S7_S7_b.has_recursion, 0
	.set _ZN2at6native12_GLOBAL__N_112gatherMedianIamLin1EEEvNS_4cuda6detail10TensorInfoIT_T0_EENS5_IlS7_EENS5_IKS6_S7_EES7_S7_S7_b.has_indirect_call, 0
	.section	.AMDGPU.csdata,"",@progbits
; Kernel info:
; codeLenInByte = 17928
; TotalNumSgprs: 106
; NumVgprs: 66
; NumAgprs: 0
; TotalNumVgprs: 66
; ScratchSize: 0
; MemoryBound: 0
; FloatMode: 240
; IeeeMode: 1
; LDSByteSize: 5152 bytes/workgroup (compile time only)
; SGPRBlocks: 13
; VGPRBlocks: 8
; NumSGPRsForWavesPerEU: 106
; NumVGPRsForWavesPerEU: 66
; AccumOffset: 68
; Occupancy: 7
; WaveLimiterHint : 1
; COMPUTE_PGM_RSRC2:SCRATCH_EN: 0
; COMPUTE_PGM_RSRC2:USER_SGPR: 2
; COMPUTE_PGM_RSRC2:TRAP_HANDLER: 0
; COMPUTE_PGM_RSRC2:TGID_X_EN: 1
; COMPUTE_PGM_RSRC2:TGID_Y_EN: 1
; COMPUTE_PGM_RSRC2:TGID_Z_EN: 1
; COMPUTE_PGM_RSRC2:TIDIG_COMP_CNT: 0
; COMPUTE_PGM_RSRC3_GFX90A:ACCUM_OFFSET: 16
; COMPUTE_PGM_RSRC3_GFX90A:TG_SPLIT: 0
	.section	.text._ZN2at6native12_GLOBAL__N_112gatherMedianIijLi1EEEvNS_4cuda6detail10TensorInfoIT_T0_EENS5_IlS7_EENS5_IKS6_S7_EES7_S7_S7_b,"axG",@progbits,_ZN2at6native12_GLOBAL__N_112gatherMedianIijLi1EEEvNS_4cuda6detail10TensorInfoIT_T0_EENS5_IlS7_EENS5_IKS6_S7_EES7_S7_S7_b,comdat
	.globl	_ZN2at6native12_GLOBAL__N_112gatherMedianIijLi1EEEvNS_4cuda6detail10TensorInfoIT_T0_EENS5_IlS7_EENS5_IKS6_S7_EES7_S7_S7_b ; -- Begin function _ZN2at6native12_GLOBAL__N_112gatherMedianIijLi1EEEvNS_4cuda6detail10TensorInfoIT_T0_EENS5_IlS7_EENS5_IKS6_S7_EES7_S7_S7_b
	.p2align	8
	.type	_ZN2at6native12_GLOBAL__N_112gatherMedianIijLi1EEEvNS_4cuda6detail10TensorInfoIT_T0_EENS5_IlS7_EENS5_IKS6_S7_EES7_S7_S7_b,@function
_ZN2at6native12_GLOBAL__N_112gatherMedianIijLi1EEEvNS_4cuda6detail10TensorInfoIT_T0_EENS5_IlS7_EENS5_IKS6_S7_EES7_S7_S7_b: ; @_ZN2at6native12_GLOBAL__N_112gatherMedianIijLi1EEEvNS_4cuda6detail10TensorInfoIT_T0_EENS5_IlS7_EENS5_IKS6_S7_EES7_S7_S7_b
; %bb.0:
	s_load_dwordx2 s[10:11], s[0:1], 0x298
	s_load_dwordx4 s[64:67], s[0:1], 0x288
	s_add_u32 s8, s0, 0x298
	s_addc_u32 s9, s1, 0
	s_waitcnt lgkmcnt(0)
	s_mul_i32 s4, s11, s4
	s_add_i32 s3, s4, s3
	s_mul_i32 s3, s3, s10
	s_add_i32 s16, s3, s2
	s_cmp_ge_u32 s16, s65
	s_cbranch_scc1 .LBB88_255
; %bb.1:
	v_cmp_eq_u32_e64 s[22:23], 0, v0
	s_and_saveexec_b64 s[4:5], s[22:23]
; %bb.2:
	v_mov_b32_e32 v2, 0
	v_mov_b32_e32 v3, v2
	ds_write_b64 v2, v[2:3] offset:4096
; %bb.3:
	s_or_b64 exec, exec, s[4:5]
	v_mov_b32_e32 v1, 0
	s_waitcnt lgkmcnt(0)
	s_barrier
	s_barrier
	ds_read_b64 v[2:3], v1 offset:4096
	s_load_dwordx2 s[4:5], s[0:1], 0x1b0
	s_bitcmp1_b32 s67, 0
	s_cselect_b64 s[12:13], -1, 0
	s_mov_b32 s3, s64
	s_waitcnt lgkmcnt(0)
	v_readfirstlane_b32 s6, v2
	v_readfirstlane_b32 s7, v3
	s_nop 1
	v_cmp_lt_i64_e64 s[14:15], s[6:7], 1
	s_or_b64 s[12:13], s[12:13], s[14:15]
	s_andn2_b64 vcc, exec, s[12:13]
	s_cbranch_vccnz .LBB88_5
; %bb.4:
	s_not_b64 s[6:7], s[6:7]
	s_add_u32 s3, s6, s64
	s_addc_u32 s7, s7, 0
	s_lshr_b32 s6, s7, 31
	s_add_u32 s6, s3, s6
	s_addc_u32 s7, s7, 0
	s_lshr_b64 s[6:7], s[6:7], 1
	s_add_i32 s3, s6, 1
.LBB88_5:
	s_load_dwordx2 s[6:7], s[0:1], 0xd8
                                        ; implicit-def: $vgpr68 : SGPR spill to VGPR lane
	s_waitcnt lgkmcnt(0)
	v_writelane_b32 v68, s6, 0
	s_nop 1
	v_writelane_b32 v68, s7, 1
	s_load_dword s11, s[0:1], 0x21c
	s_load_dwordx2 s[6:7], s[0:1], 0x0
	s_waitcnt lgkmcnt(0)
	v_writelane_b32 v68, s6, 2
	s_nop 1
	v_writelane_b32 v68, s7, 3
	s_and_saveexec_b64 s[6:7], s[22:23]
	s_cbranch_execz .LBB88_7
; %bb.6:
	v_mov_b32_e32 v2, 0
	v_mov_b32_e32 v3, s64
	ds_write_b32 v2, v2 offset:4112
	ds_write_b64 v2, v[2:3] offset:4104
.LBB88_7:
	s_or_b64 exec, exec, s[6:7]
	s_load_dword s6, s[0:1], 0x144
                                        ; kill: killed $sgpr0 killed $sgpr1
	s_waitcnt lgkmcnt(0)
	s_barrier
	v_mbcnt_lo_u32_b32 v1, -1, 0
	v_writelane_b32 v68, s6, 4
	s_load_dword s6, s[0:1], 0x6c
	s_mul_i32 s0, s11, s16
	s_load_dword s11, s[8:9], 0xc
	v_mbcnt_hi_u32_b32 v20, -1, v1
	v_cmp_gt_u32_e32 vcc, 64, v0
	s_waitcnt lgkmcnt(0)
	v_writelane_b32 v68, s6, 5
	s_mov_b32 s6, 0
	s_mov_b32 s7, 1
	;; [unrolled: 1-line block ×3, first 2 shown]
	s_lshl_b64 s[0:1], s[0:1], 2
	s_add_u32 s70, s4, s0
	v_writelane_b32 v68, s16, 6
	s_addc_u32 s71, s5, s1
	v_cmp_gt_u32_e64 s[0:1], s64, v0
	s_and_b32 s67, s11, 0xffff
	s_add_i32 s74, s67, -1
	v_writelane_b32 v68, s0, 7
	s_lshl_b32 s65, s67, 2
	v_lshlrev_b64 v[2:3], v20, -1
	v_writelane_b32 v68, s1, 8
	v_cmp_gt_i32_e64 s[0:1], 4, v20
	s_and_b64 s[76:77], vcc, s[0:1]
	s_add_i32 s0, s74, s64
	s_cmpk_gt_u32 s64, 0x300
	s_cselect_b64 s[78:79], -1, 0
	s_cmp_gt_u32 s67, 63
	s_cselect_b64 s[80:81], -1, 0
	v_not_b32_e32 v12, v2
	v_lshrrev_b32_e32 v2, 2, v0
	s_cmp_lt_u32 s2, s10
	v_and_b32_e32 v2, 0xf0, v2
	s_cselect_b32 s1, 12, 18
	v_or_b32_e32 v22, 0xc00, v2
	s_add_u32 s8, s8, s1
	v_add_u32_e32 v2, 2, v0
	s_addc_u32 s9, s9, 0
	v_max_u32_e32 v2, s64, v2
	v_writelane_b32 v68, s8, 9
	v_xad_u32 v2, v0, -1, v2
	v_not_b32_e32 v1, v3
	v_writelane_b32 v68, s9, 10
	v_add_u32_e32 v3, -2, v2
	s_bfe_u32 s8, s11, 0xa0006
	v_cmp_lt_u32_e64 s[10:11], 29, v2
	v_lshrrev_b32_e32 v5, 1, v3
	v_add_u32_e32 v5, 1, v5
	v_writelane_b32 v68, s10, 11
	v_and_b32_e32 v16, 7, v5
	s_add_i32 s1, s8, -2
	v_writelane_b32 v68, s11, 12
	v_cmp_lt_u32_e64 s[10:11], 13, v3
	s_lshr_b32 s2, s1, 1
	v_and_b32_e32 v23, -2, v2
	v_writelane_b32 v68, s10, 13
	s_add_i32 s2, s2, 1
	s_cmpk_gt_u32 s67, 0x7f
	v_writelane_b32 v68, s11, 14
	v_cmp_ne_u32_e64 s[10:11], 0, v16
	v_lshlrev_b32_e32 v13, 2, v0
	v_mov_b32_e32 v9, 0
	v_writelane_b32 v68, s10, 15
	v_mul_lo_u32 v6, s66, v0
	v_mov_b32_e32 v7, v9
	v_writelane_b32 v68, s11, 16
	v_cmp_ne_u32_e64 s[10:11], v2, v23
	v_cvt_f32_u32_e32 v2, s65
	v_lshlrev_b32_e32 v4, 2, v20
	v_writelane_b32 v68, s10, 17
	s_mul_i32 s75, s66, s67
	v_rcp_iflag_f32_e32 v2, v2
	v_writelane_b32 v68, s11, 18
	s_cselect_b64 s[10:11], -1, 0
	v_writelane_b32 v68, s10, 19
	v_mul_f32_e32 v2, 0x4f7ffffe, v2
	v_cvt_u32_f32_e32 v2, v2
	v_writelane_b32 v68, s11, 20
	s_and_b32 s10, s8, 0x3fe
	s_and_b32 s11, s2, 7
	s_cmp_gt_u32 s1, 13
	s_cselect_b64 s[12:13], -1, 0
	v_writelane_b32 v68, s12, 21
	s_and_b32 s1, s2, -8
	s_cmp_lg_u32 s11, 0
	v_writelane_b32 v68, s13, 22
	v_writelane_b32 v68, s1, 23
	;; [unrolled: 1-line block ×3, first 2 shown]
	s_cselect_b64 s[12:13], -1, 0
	v_writelane_b32 v68, s12, 25
	s_cmp_lg_u32 s10, s8
	v_readfirstlane_b32 s2, v2
	v_writelane_b32 v68, s13, 26
	v_writelane_b32 v68, s8, 27
	v_cvt_f32_u32_e32 v2, s67
	v_writelane_b32 v68, s10, 28
	s_cselect_b64 s[10:11], -1, 0
	s_sub_i32 s1, 0, s65
	s_mul_i32 s1, s1, s2
	s_mul_hi_u32 s1, s2, s1
	s_add_i32 s87, s2, s1
	v_rcp_iflag_f32_e32 v2, v2
	s_mul_hi_u32 s1, s64, s87
	s_mul_i32 s1, s1, s65
	s_sub_i32 s1, s64, s1
	s_sub_i32 s2, s1, s65
	v_mul_f32_e32 v2, 0x4f7ffffe, v2
	s_cmp_ge_u32 s1, s65
	v_cvt_u32_f32_e32 v2, v2
	s_cselect_b32 s1, s2, s1
	s_sub_i32 s2, s1, s65
	s_cmp_ge_u32 s1, s65
	s_cselect_b32 s1, s2, s1
	s_sub_i32 s2, 0, s67
	v_readfirstlane_b32 s8, v2
	s_mul_i32 s2, s2, s8
	s_mul_hi_u32 s2, s8, s2
	s_add_i32 s89, s8, s2
	s_mul_hi_u32 s2, s0, s89
	s_mul_i32 s2, s2, s67
	s_sub_i32 s2, s0, s2
	s_sub_i32 s88, s64, s1
	;; [unrolled: 1-line block ×3, first 2 shown]
	s_cmp_ge_u32 s2, s67
	s_cselect_b32 s2, s8, s2
	s_sub_i32 s8, s2, s67
	s_cmp_ge_u32 s2, s67
	v_mul_lo_u32 v2, s66, v13
	s_cselect_b32 s2, s8, s2
	v_add_u32_e32 v28, s66, v2
	v_or_b32_e32 v2, 2, v13
	s_sub_i32 s90, s0, s2
	v_mul_lo_u32 v29, s66, v2
	v_or_b32_e32 v2, 3, v13
	s_add_i32 s0, s67, s64
	v_add_u32_e32 v26, s88, v0
	v_mul_lo_u32 v30, s66, v2
	v_add_u32_e32 v2, s0, v0
	v_mul_lo_u32 v8, v26, s66
	v_subrev_u32_e32 v2, s1, v2
	v_cmp_eq_u32_e64 s[4:5], 0, v20
	v_cmp_gt_u32_e64 s[6:7], 2, v0
	v_add_u32_e32 v21, 0xc00, v13
	v_lshl_add_u64 v[10:11], v[6:7], 2, s[70:71]
	v_and_b32_e32 v7, 0x100, v4
	v_add_u32_e32 v24, v0, v23
	s_mov_b32 s9, s66
	v_and_b32_e32 v25, -8, v5
	v_writelane_b32 v68, s10, 29
	v_cmp_gt_u32_e64 s[16:17], s88, v13
	v_cmp_gt_u32_e64 s[18:19], s64, v26
	v_lshl_add_u64 v[14:15], v[8:9], 2, s[70:71]
	v_cmp_gt_u32_e64 s[20:21], s90, v0
	v_lshlrev_b32_e32 v27, 3, v16
	s_lshl_b32 s91, s75, 2
	v_lshlrev_b32_e32 v31, 2, v6
	v_mul_lo_u32 v33, s66, v2
	v_lshlrev_b32_e32 v34, 4, v0
	s_lshl_b32 s33, s67, 4
	v_or_b32_e32 v35, 0xc00, v4
	s_mov_b64 s[92:93], 0
	v_mov_b32_e32 v36, 30
	v_mov_b32_e32 v40, s3
	s_brev_b32 s86, 1
	v_mov_b32_e32 v42, s64
	v_mov_b32_e32 v16, 1
	;; [unrolled: 1-line block ×7, first 2 shown]
	v_writelane_b32 v68, s11, 30
                                        ; implicit-def: $sgpr94_sgpr95
                                        ; implicit-def: $sgpr98_sgpr99
                                        ; implicit-def: $sgpr96_sgpr97
                                        ; implicit-def: $sgpr68_sgpr69
                                        ; implicit-def: $sgpr10_sgpr11
                                        ; implicit-def: $sgpr12_sgpr13
	s_branch .LBB88_11
.LBB88_8:                               ;   in Loop: Header=BB88_11 Depth=1
	s_or_b64 exec, exec, s[34:35]
	s_and_b64 s[26:27], s[26:27], exec
	s_andn2_b64 s[30:31], s[30:31], exec
	s_andn2_b64 s[28:29], s[28:29], exec
	s_orn2_b64 s[2:3], s[2:3], exec
.LBB88_9:                               ;   in Loop: Header=BB88_11 Depth=1
	s_or_b64 exec, exec, s[14:15]
	s_andn2_b64 s[12:13], s[12:13], exec
	s_and_b64 s[14:15], s[26:27], exec
	s_or_b64 s[12:13], s[12:13], s[14:15]
	s_andn2_b64 s[10:11], s[10:11], exec
	s_and_b64 s[14:15], s[30:31], exec
	s_or_b64 s[10:11], s[10:11], s[14:15]
	;; [unrolled: 3-line block ×3, first 2 shown]
	s_orn2_b64 s[2:3], s[2:3], exec
.LBB88_10:                              ;   in Loop: Header=BB88_11 Depth=1
	s_or_b64 exec, exec, s[0:1]
	s_and_b64 s[0:1], exec, s[2:3]
	s_or_b64 s[92:93], s[0:1], s[92:93]
	s_andn2_b64 s[0:1], s[96:97], exec
	s_and_b64 s[2:3], s[12:13], exec
	s_or_b64 s[96:97], s[0:1], s[2:3]
	s_andn2_b64 s[0:1], s[98:99], exec
	s_and_b64 s[2:3], s[10:11], exec
	;; [unrolled: 3-line block ×3, first 2 shown]
	s_or_b64 s[94:95], s[0:1], s[2:3]
	v_mov_b32_e32 v40, v5
	s_andn2_b64 exec, exec, s[92:93]
	s_cbranch_execz .LBB88_251
.LBB88_11:                              ; =>This Loop Header: Depth=1
                                        ;     Child Loop BB88_17 Depth 2
                                        ;     Child Loop BB88_38 Depth 2
	;; [unrolled: 1-line block ×19, first 2 shown]
	ds_read_b64 v[2:3], v9 offset:4104
	s_waitcnt lgkmcnt(0)
	v_readfirstlane_b32 s82, v2
	s_cmp_lg_u32 s82, 0
	s_cbranch_scc1 .LBB88_57
; %bb.12:                               ;   in Loop: Header=BB88_11 Depth=1
	s_and_b64 vcc, exec, s[78:79]
	s_cbranch_vccz .LBB88_25
; %bb.13:                               ;   in Loop: Header=BB88_11 Depth=1
	s_movk_i32 s0, 0x301
	v_cmp_gt_u32_e32 vcc, s0, v3
	s_mov_b64 s[14:15], 0
	s_mov_b64 s[0:1], 0
	s_cbranch_vccz .LBB88_26
; %bb.14:                               ;   in Loop: Header=BB88_11 Depth=1
	s_mov_b64 s[26:27], exec
	v_readlane_b32 s0, v68, 7
	v_readlane_b32 s1, v68, 8
	s_and_b64 s[0:1], s[26:27], s[0:1]
	s_mov_b64 exec, s[0:1]
	s_cbranch_execz .LBB88_32
; %bb.15:                               ;   in Loop: Header=BB88_11 Depth=1
	v_readlane_b32 s0, v68, 9
	v_readlane_b32 s1, v68, 10
	s_nop 4
	global_load_ushort v2, v9, s[0:1]
	global_load_dword v4, v[10:11], off
	s_mov_b64 s[28:29], 0
	s_waitcnt vmcnt(1)
	v_add_u32_e32 v5, v0, v2
	v_mul_lo_u32 v3, s66, v2
	v_mul_lo_u32 v8, s66, v5
	v_mov_b32_e32 v5, v0
	s_branch .LBB88_17
.LBB88_16:                              ;   in Loop: Header=BB88_17 Depth=2
	s_or_b64 exec, exec, s[2:3]
	v_add_u32_e32 v8, v8, v3
	v_mov_b32_e32 v4, v17
	s_andn2_b64 exec, exec, s[28:29]
	s_cbranch_execz .LBB88_32
.LBB88_17:                              ;   Parent Loop BB88_11 Depth=1
                                        ; =>  This Inner Loop Header: Depth=2
	v_add_u32_e32 v5, v5, v2
	v_cmp_gt_u32_e64 s[0:1], s64, v5
	v_cmp_le_u32_e32 vcc, s64, v5
	s_waitcnt lgkmcnt(0)
	v_mov_b32_e32 v18, 0
	v_mov_b32_e32 v17, 0
	s_and_saveexec_b64 s[2:3], s[0:1]
	s_cbranch_execz .LBB88_19
; %bb.18:                               ;   in Loop: Header=BB88_17 Depth=2
	v_lshl_add_u64 v[44:45], v[8:9], 2, s[70:71]
	global_load_dword v17, v[44:45], off
.LBB88_19:                              ;   in Loop: Header=BB88_17 Depth=2
	s_or_b64 exec, exec, s[2:3]
	s_waitcnt vmcnt(0)
	v_bitop3_b32 v41, v4, v39, s86 bitop3:0x48
	v_cmp_eq_u32_e64 s[0:1], v41, v32
	s_cmp_lg_u64 s[0:1], 0
	s_cselect_b64 s[2:3], -1, 0
	s_and_b64 s[2:3], s[4:5], s[2:3]
	s_and_saveexec_b64 s[30:31], s[2:3]
	s_cbranch_execz .LBB88_23
; %bb.20:                               ;   in Loop: Header=BB88_17 Depth=2
	s_mov_b64 s[36:37], exec
	v_mbcnt_lo_u32_b32 v18, s36, 0
	v_mbcnt_hi_u32_b32 v18, s37, v18
	s_bcnt1_i32_b64 s8, s[0:1]
	v_cmp_eq_u32_e64 s[2:3], 0, v18
                                        ; implicit-def: $vgpr41
	s_and_saveexec_b64 s[34:35], s[2:3]
; %bb.21:                               ;   in Loop: Header=BB88_17 Depth=2
	s_bcnt1_i32_b64 s2, s[36:37]
	s_mul_i32 s2, s8, s2
	v_mov_b32_e32 v41, s2
	ds_add_rtn_u32 v41, v9, v41 offset:4112
; %bb.22:                               ;   in Loop: Header=BB88_17 Depth=2
	s_or_b64 exec, exec, s[34:35]
	s_waitcnt lgkmcnt(0)
	v_readfirstlane_b32 s2, v41
	s_nop 1
	v_mov_b32_e32 v41, s2
	v_mad_u32_u24 v18, s8, v18, v41
.LBB88_23:                              ;   in Loop: Header=BB88_17 Depth=2
	s_or_b64 exec, exec, s[30:31]
	ds_bpermute_b32 v18, v7, v18
	s_and_b64 s[2:3], exec, vcc
	s_or_b64 s[28:29], s[2:3], s[28:29]
	s_and_saveexec_b64 s[2:3], s[0:1]
	s_cbranch_execz .LBB88_16
; %bb.24:                               ;   in Loop: Header=BB88_17 Depth=2
	v_and_b32_e32 v43, s0, v12
	v_and_b32_e32 v41, s1, v1
	v_bcnt_u32_b32 v43, v43, 0
	v_bcnt_u32_b32 v41, v41, v43
	v_lshlrev_b32_e32 v41, 2, v41
	s_waitcnt lgkmcnt(0)
	v_lshl_add_u32 v18, v18, 2, v41
	ds_write_b32 v18, v4
	s_branch .LBB88_16
.LBB88_25:                              ;   in Loop: Header=BB88_11 Depth=1
	s_mov_b64 s[14:15], -1
	s_mov_b64 s[0:1], 0
.LBB88_26:                              ;   in Loop: Header=BB88_11 Depth=1
	s_and_b64 vcc, exec, s[14:15]
	s_cbranch_vccz .LBB88_55
.LBB88_27:                              ;   in Loop: Header=BB88_11 Depth=1
	s_mov_b64 s[2:3], exec
	v_readlane_b32 s0, v68, 7
	v_readlane_b32 s1, v68, 8
	s_and_b64 s[0:1], s[2:3], s[0:1]
	s_mov_b64 exec, s[0:1]
	s_cbranch_execz .LBB88_52
; %bb.28:                               ;   in Loop: Header=BB88_11 Depth=1
	v_readlane_b32 s0, v68, 9
	v_readlane_b32 s1, v68, 10
	s_nop 4
	global_load_ushort v2, v9, s[0:1]
	global_load_dword v17, v[10:11], off
	v_mov_b32_e32 v3, v0
	s_waitcnt vmcnt(1)
	v_readfirstlane_b32 s34, v2
	v_add_u32_e32 v2, v0, v2
	v_cmp_gt_u32_e32 vcc, s64, v2
	s_and_saveexec_b64 s[26:27], vcc
	s_cbranch_execz .LBB88_51
; %bb.29:                               ;   in Loop: Header=BB88_11 Depth=1
	s_mov_b64 s[0:1], 0
	s_mul_i32 s35, s66, s34
                                        ; implicit-def: $vgpr3
                                        ; implicit-def: $vgpr18
                                        ; implicit-def: $vgpr4
                                        ; implicit-def: $vgpr5
	s_mov_b64 s[14:15], exec
	v_readlane_b32 s24, v68, 11
	v_readlane_b32 s25, v68, 12
	s_and_b64 s[24:25], s[14:15], s[24:25]
	s_xor_b64 s[28:29], s[24:25], s[14:15]
	s_mov_b64 exec, s[24:25]
	s_cbranch_execnz .LBB88_35
; %bb.30:                               ;   in Loop: Header=BB88_11 Depth=1
	s_andn2_saveexec_b64 s[14:15], s[28:29]
	s_cbranch_execnz .LBB88_46
.LBB88_31:                              ;   in Loop: Header=BB88_11 Depth=1
	s_or_b64 exec, exec, s[14:15]
	s_and_saveexec_b64 s[14:15], s[0:1]
	s_cbranch_execnz .LBB88_47
	s_branch .LBB88_50
.LBB88_32:                              ;   in Loop: Header=BB88_11 Depth=1
	s_or_b64 exec, exec, s[26:27]
	s_waitcnt lgkmcnt(0)
	s_barrier
	s_and_saveexec_b64 s[0:1], s[22:23]
	s_cbranch_execz .LBB88_34
; %bb.33:                               ;   in Loop: Header=BB88_11 Depth=1
	ds_read_b32 v2, v9 offset:4112
	s_waitcnt lgkmcnt(0)
	ds_write_b32 v9, v2 offset:4104
.LBB88_34:                              ;   in Loop: Header=BB88_11 Depth=1
	s_or_b64 exec, exec, s[0:1]
	s_waitcnt lgkmcnt(0)
	s_barrier
	s_mov_b64 s[0:1], -1
	s_and_b64 vcc, exec, s[14:15]
	s_cbranch_vccnz .LBB88_27
	s_branch .LBB88_55
.LBB88_35:                              ;   in Loop: Header=BB88_11 Depth=1
	v_cvt_f32_u32_e32 v3, s34
	v_add_u32_e32 v4, s34, v2
	v_max_u32_e32 v4, s64, v4
	s_lshl_b32 s0, s34, 1
	v_rcp_iflag_f32_e32 v3, v3
	v_sub_u32_e32 v4, v4, v0
	v_cmp_ne_u32_e32 vcc, s0, v4
	s_sub_i32 s1, 0, s34
	v_mul_f32_e32 v3, 0x4f7ffffe, v3
	v_cvt_u32_f32_e32 v3, v3
	v_cndmask_b32_e64 v5, 0, 1, vcc
	v_or_b32_e32 v5, s0, v5
	v_sub_u32_e32 v4, v4, v5
	v_mul_lo_u32 v5, s1, v3
	v_mul_hi_u32 v5, v3, v5
	v_add_u32_e32 v3, v3, v5
	v_mul_hi_u32 v3, v4, v3
	v_mul_lo_u32 v5, v3, s34
	v_sub_u32_e32 v4, v4, v5
	v_add_u32_e32 v5, 1, v3
	v_cmp_le_u32_e64 s[0:1], s34, v4
	s_nop 1
	v_cndmask_b32_e64 v3, v3, v5, s[0:1]
	v_subrev_u32_e32 v5, s34, v4
	v_cndmask_b32_e64 v4, v4, v5, s[0:1]
	v_add_u32_e32 v5, 1, v3
	v_cmp_le_u32_e64 s[0:1], s34, v4
	v_mul_lo_u32 v4, s66, v2
	s_nop 0
	v_cndmask_b32_e64 v3, v3, v5, s[0:1]
	v_addc_co_u32_e32 v3, vcc, 0, v3, vcc
	s_abs_i32 s0, s35
	v_mul_hi_u32 v5, s0, v3
	v_mul_lo_u32 v3, s0, v3
	s_not_b32 s0, s35
	s_ashr_i32 s0, s0, 31
	s_cmp_eq_u32 s34, 1
	v_cmp_eq_u32_e32 vcc, 0, v5
	v_xor_b32_e32 v4, s0, v4
	s_cselect_b64 s[14:15], -1, 0
	v_cmp_le_u32_e64 s[0:1], v3, v4
	s_and_b64 s[14:15], vcc, s[14:15]
	s_and_b64 s[24:25], s[14:15], s[0:1]
	s_mov_b64 s[14:15], -1
	v_mov_b32_e32 v4, v0
                                        ; implicit-def: $vgpr3
	s_and_saveexec_b64 s[0:1], s[24:25]
	s_cbranch_execz .LBB88_45
; %bb.36:                               ;   in Loop: Header=BB88_11 Depth=1
	v_add_u32_e32 v3, 1, v2
	v_mov_b32_e32 v8, 0
	v_mov_b64_e32 v[4:5], v[2:3]
	s_mov_b64 s[14:15], exec
	v_readlane_b32 s24, v68, 13
	v_readlane_b32 s25, v68, 14
	s_and_b64 s[24:25], s[14:15], s[24:25]
	s_mov_b64 exec, s[24:25]
	s_cbranch_execz .LBB88_40
; %bb.37:                               ;   in Loop: Header=BB88_11 Depth=1
	s_mov_b32 s8, 0
	s_mov_b64 s[30:31], 0
	v_mov_b32_e32 v18, v25
	v_mov_b32_e32 v41, v13
	v_mov_b64_e32 v[4:5], v[2:3]
.LBB88_38:                              ;   Parent Loop BB88_11 Depth=1
                                        ; =>  This Inner Loop Header: Depth=2
	v_mul_lo_u32 v8, v4, s66
	v_lshl_add_u64 v[44:45], v[8:9], 2, s[70:71]
	global_load_dword v3, v[44:45], off
	v_add_u32_e32 v8, 2, v4
	v_mul_lo_u32 v44, v5, s9
	v_mov_b32_e32 v45, v9
	v_add_u32_e32 v43, 2, v5
	v_add_u32_e32 v62, 4, v4
	;; [unrolled: 1-line block ×4, first 2 shown]
	v_mul_lo_u32 v8, v8, s66
	v_mov_b32_e32 v47, v9
	v_add_u32_e32 v48, 4, v5
	v_add_u32_e32 v63, 6, v4
	v_add_u32_e32 v50, 6, v5
	v_mov_b32_e32 v53, v9
	v_mov_b32_e32 v55, v9
	v_add_u32_e32 v56, 12, v5
	v_lshl_add_u64 v[44:45], v[44:45], 2, s[70:71]
	v_mul_lo_u32 v46, v43, s9
	v_mul_lo_u32 v52, v52, s9
	;; [unrolled: 1-line block ×3, first 2 shown]
	v_lshl_add_u64 v[60:61], v[8:9], 2, s[70:71]
	v_mul_lo_u32 v8, v62, s66
	v_mov_b32_e32 v49, v9
	v_mov_b32_e32 v51, v9
	v_add_u32_e32 v64, 8, v4
	v_mov_b32_e32 v57, v9
	v_mul_lo_u32 v48, v48, s9
	v_mul_lo_u32 v50, v50, s9
	;; [unrolled: 1-line block ×3, first 2 shown]
	v_lshl_add_u64 v[46:47], v[46:47], 2, s[70:71]
	v_lshl_add_u64 v[52:53], v[52:53], 2, s[70:71]
	;; [unrolled: 1-line block ×3, first 2 shown]
	global_load_dword v43, v[44:45], off
	v_lshl_add_u64 v[44:45], v[8:9], 2, s[70:71]
	v_mul_lo_u32 v8, v63, s66
	v_add_u32_e32 v65, 10, v4
	v_lshl_add_u64 v[48:49], v[48:49], 2, s[70:71]
	v_lshl_add_u64 v[50:51], v[50:51], 2, s[70:71]
	v_lshl_add_u64 v[56:57], v[56:57], 2, s[70:71]
	global_load_dword v60, v[60:61], off
	s_nop 0
	global_load_dword v61, v[46:47], off
	global_load_dword v62, v[48:49], off
	;; [unrolled: 1-line block ×3, first 2 shown]
	s_nop 0
	global_load_dword v52, v[52:53], off
	s_nop 0
	global_load_dword v53, v[54:55], off
	;; [unrolled: 2-line block ×3, first 2 shown]
	v_lshl_add_u64 v[46:47], v[8:9], 2, s[70:71]
	v_mul_lo_u32 v8, v64, s66
	v_add_u32_e32 v66, 12, v4
	global_load_dword v55, v[46:47], off
	global_load_dword v56, v[44:45], off
	v_lshl_add_u64 v[44:45], v[8:9], 2, s[70:71]
	v_mul_lo_u32 v8, v65, s66
	v_add_u32_e32 v67, 14, v4
	v_add_u32_e32 v58, 14, v5
	v_lshl_add_u64 v[46:47], v[8:9], 2, s[70:71]
	v_mul_lo_u32 v8, v66, s66
	v_mov_b32_e32 v59, v9
	v_mul_lo_u32 v58, v58, s9
	v_lshl_add_u64 v[48:49], v[8:9], 2, s[70:71]
	v_mul_lo_u32 v8, v67, s66
	v_lshl_add_u64 v[58:59], v[58:59], 2, s[70:71]
	v_lshl_add_u64 v[50:51], v[8:9], 2, s[70:71]
	global_load_dword v50, v[50:51], off
	v_add_u32_e32 v18, -8, v18
	s_add_i32 s8, s8, 16
	v_cmp_eq_u32_e32 vcc, 0, v18
	v_add_u32_e32 v5, 16, v5
	v_add_u32_e32 v4, 16, v4
	v_mov_b32_e32 v8, s8
	s_or_b64 s[30:31], vcc, s[30:31]
	s_waitcnt vmcnt(11)
	ds_write2_b32 v41, v17, v3 offset1:1
	global_load_dword v17, v[58:59], off
	global_load_dword v3, v[48:49], off
	s_nop 0
	global_load_dword v46, v[46:47], off
	s_nop 0
	global_load_dword v44, v[44:45], off
	s_waitcnt vmcnt(13)
	ds_write2_b32 v41, v43, v60 offset0:2 offset1:3
	s_waitcnt vmcnt(5)
	ds_write2_b32 v41, v61, v56 offset0:4 offset1:5
	ds_write2_b32 v41, v62, v55 offset0:6 offset1:7
	s_waitcnt vmcnt(4)
	ds_write2_b32 v41, v54, v50 offset0:14 offset1:15
	s_waitcnt vmcnt(0)
	ds_write2_b32 v41, v63, v44 offset0:8 offset1:9
	ds_write2_b32 v41, v52, v46 offset0:10 offset1:11
	;; [unrolled: 1-line block ×3, first 2 shown]
	v_add_u32_e32 v41, 64, v41
	s_andn2_b64 exec, exec, s[30:31]
	s_cbranch_execnz .LBB88_38
; %bb.39:                               ;   in Loop: Header=BB88_11 Depth=1
	s_or_b64 exec, exec, s[30:31]
.LBB88_40:                              ;   in Loop: Header=BB88_11 Depth=1
	s_or_b64 exec, exec, s[14:15]
	s_mov_b64 s[14:15], exec
	v_readlane_b32 s24, v68, 15
	v_readlane_b32 s25, v68, 16
	s_and_b64 s[24:25], s[14:15], s[24:25]
	s_mov_b64 exec, s[24:25]
	s_cbranch_execz .LBB88_44
; %bb.41:                               ;   in Loop: Header=BB88_11 Depth=1
	v_lshl_add_u32 v3, v8, 2, v13
	s_mov_b64 s[30:31], 0
	v_mov_b32_e32 v18, v27
.LBB88_42:                              ;   Parent Loop BB88_11 Depth=1
                                        ; =>  This Inner Loop Header: Depth=2
	v_mul_lo_u32 v8, v4, s66
	v_mul_lo_u32 v44, v5, s9
	v_mov_b32_e32 v45, v9
	v_lshl_add_u64 v[46:47], v[8:9], 2, s[70:71]
	v_lshl_add_u64 v[44:45], v[44:45], 2, s[70:71]
	global_load_dword v41, v[46:47], off
	global_load_dword v8, v[44:45], off
	v_add_u32_e32 v18, -8, v18
	v_cmp_eq_u32_e32 vcc, 0, v18
	v_add_u32_e32 v5, 2, v5
	v_add_u32_e32 v4, 2, v4
	s_or_b64 s[30:31], vcc, s[30:31]
	s_waitcnt vmcnt(1)
	ds_write2_b32 v3, v17, v41 offset1:1
	v_add_u32_e32 v3, 8, v3
	s_waitcnt vmcnt(0)
	v_mov_b32_e32 v17, v8
	s_andn2_b64 exec, exec, s[30:31]
	s_cbranch_execnz .LBB88_42
; %bb.43:                               ;   in Loop: Header=BB88_11 Depth=1
	s_or_b64 exec, exec, s[30:31]
	v_mov_b32_e32 v17, v8
.LBB88_44:                              ;   in Loop: Header=BB88_11 Depth=1
	s_or_b64 exec, exec, s[14:15]
	v_readlane_b32 s14, v68, 17
	v_add_u32_e32 v2, v2, v23
	v_readlane_b32 s15, v68, 18
	v_add_u32_e32 v3, -1, v2
	s_orn2_b64 s[14:15], s[14:15], exec
	v_mov_b32_e32 v4, v24
.LBB88_45:                              ;   in Loop: Header=BB88_11 Depth=1
	s_or_b64 exec, exec, s[0:1]
	v_mov_b32_e32 v5, s35
	s_and_b64 s[0:1], s[14:15], exec
	s_waitcnt vmcnt(0)
	v_mov_b32_e32 v18, v17
	s_andn2_saveexec_b64 s[14:15], s[28:29]
	s_cbranch_execz .LBB88_31
.LBB88_46:                              ;   in Loop: Header=BB88_11 Depth=1
	v_mov_b32_e32 v5, s35
	s_or_b64 s[0:1], s[0:1], exec
	s_waitcnt vmcnt(0)
	v_mov_b32_e32 v18, v17
	v_mov_b32_e32 v4, v0
	s_or_b64 exec, exec, s[14:15]
	s_and_saveexec_b64 s[14:15], s[0:1]
	s_cbranch_execz .LBB88_50
.LBB88_47:                              ;   in Loop: Header=BB88_11 Depth=1
	s_sub_i32 s8, 0, s34
	v_mul_lo_u32 v8, s66, v2
	s_mov_b64 s[0:1], 0
.LBB88_48:                              ;   Parent Loop BB88_11 Depth=1
                                        ; =>  This Inner Loop Header: Depth=2
	v_lshl_add_u64 v[44:45], v[8:9], 2, s[70:71]
	global_load_dword v17, v[44:45], off
	v_mov_b32_e32 v3, v2
	v_lshlrev_b32_e32 v2, 2, v4
	ds_write_b32 v2, v18
	v_add_u32_e32 v2, s34, v3
	v_cmp_le_u32_e32 vcc, s64, v2
	v_add_u32_e32 v8, v8, v5
	v_mov_b32_e32 v4, v3
	s_or_b64 s[0:1], vcc, s[0:1]
	s_waitcnt vmcnt(0)
	v_mov_b32_e32 v18, v17
	s_andn2_b64 exec, exec, s[0:1]
	s_cbranch_execnz .LBB88_48
; %bb.49:                               ;   in Loop: Header=BB88_11 Depth=1
	s_or_b64 exec, exec, s[0:1]
	v_add_u32_e32 v3, s8, v2
.LBB88_50:                              ;   in Loop: Header=BB88_11 Depth=1
	s_or_b64 exec, exec, s[14:15]
.LBB88_51:                              ;   in Loop: Header=BB88_11 Depth=1
	s_or_b64 exec, exec, s[26:27]
	v_lshlrev_b32_e32 v2, 2, v3
	s_waitcnt vmcnt(0)
	ds_write_b32 v2, v17
.LBB88_52:                              ;   in Loop: Header=BB88_11 Depth=1
	s_or_b64 exec, exec, s[2:3]
	s_waitcnt lgkmcnt(0)
	s_barrier
	s_and_saveexec_b64 s[0:1], s[22:23]
; %bb.53:                               ;   in Loop: Header=BB88_11 Depth=1
	ds_write_b32 v9, v42 offset:4104
; %bb.54:                               ;   in Loop: Header=BB88_11 Depth=1
	s_or_b64 exec, exec, s[0:1]
	s_mov_b64 s[0:1], -1
	s_waitcnt lgkmcnt(0)
	s_barrier
.LBB88_55:                              ;   in Loop: Header=BB88_11 Depth=1
	s_mov_b32 s82, 0
	s_and_b64 vcc, exec, s[0:1]
	s_cbranch_vccz .LBB88_57
; %bb.56:                               ;   in Loop: Header=BB88_11 Depth=1
	ds_read_b32 v2, v9 offset:4104
	s_waitcnt lgkmcnt(0)
	v_readfirstlane_b32 s82, v2
.LBB88_57:                              ;   in Loop: Header=BB88_11 Depth=1
	s_cmp_lt_i32 s82, 1
	s_mov_b64 s[0:1], -1
                                        ; implicit-def: $vgpr5
	s_cbranch_scc1 .LBB88_67
; %bb.58:                               ;   in Loop: Header=BB88_11 Depth=1
	s_and_b64 vcc, exec, s[0:1]
	s_cbranch_vccnz .LBB88_78
.LBB88_59:                              ;   in Loop: Header=BB88_11 Depth=1
	v_lshlrev_b32_e32 v17, 6, v38
	s_and_saveexec_b64 s[0:1], s[4:5]
.LBB88_60:                              ;   in Loop: Header=BB88_11 Depth=1
	v_lshl_add_u32 v8, v17, 2, v22
	ds_write_b128 v8, v[2:5]
.LBB88_61:                              ;   in Loop: Header=BB88_11 Depth=1
	s_or_b64 exec, exec, s[0:1]
	s_waitcnt lgkmcnt(0)
	s_barrier
	s_and_saveexec_b64 s[0:1], s[76:77]
	s_cbranch_execz .LBB88_95
; %bb.62:                               ;   in Loop: Header=BB88_11 Depth=1
	v_add_u32_e32 v4, v17, v20
	s_andn2_b64 vcc, exec, s[80:81]
	v_mov_b32_e32 v2, 0
	s_cbranch_vccnz .LBB88_94
; %bb.63:                               ;   in Loop: Header=BB88_11 Depth=1
	v_readlane_b32 s2, v68, 19
	v_readlane_b32 s3, v68, 20
	s_andn2_b64 vcc, exec, s[2:3]
	s_cbranch_vccnz .LBB88_87
; %bb.64:                               ;   in Loop: Header=BB88_11 Depth=1
	v_readlane_b32 s2, v68, 21
	v_readlane_b32 s3, v68, 22
	s_andn2_b64 vcc, exec, s[2:3]
	v_lshl_add_u32 v5, v4, 2, v37
	s_cbranch_vccnz .LBB88_88
; %bb.65:                               ;   in Loop: Header=BB88_11 Depth=1
	s_mov_b32 s3, 1
	s_mov_b32 s2, 0
	v_mov_b32_e32 v2, 0
	v_mov_b32_e32 v3, 0
	v_readlane_b32 s8, v68, 23
.LBB88_66:                              ;   Parent Loop BB88_11 Depth=1
                                        ; =>  This Inner Loop Header: Depth=2
	v_lshl_add_u32 v8, s2, 4, v5
	v_lshl_add_u32 v18, s3, 4, v5
	ds_read2_b32 v[44:45], v8 offset1:8
	ds_read2_b32 v[46:47], v18 offset1:8
	ds_read2_b32 v[48:49], v8 offset0:16 offset1:24
	ds_read2_b32 v[50:51], v18 offset0:16 offset1:24
	;; [unrolled: 1-line block ×6, first 2 shown]
	s_waitcnt lgkmcnt(7)
	v_add3_u32 v2, v44, v2, v45
	s_waitcnt lgkmcnt(6)
	v_add3_u32 v3, v46, v3, v47
	;; [unrolled: 2-line block ×3, first 2 shown]
	v_add3_u32 v2, v48, v2, v49
	s_add_i32 s3, s3, 16
	s_add_i32 s2, s2, 16
	s_add_i32 s8, s8, -8
	s_waitcnt lgkmcnt(3)
	v_add3_u32 v2, v52, v2, v53
	s_waitcnt lgkmcnt(2)
	v_add3_u32 v3, v54, v3, v55
	s_cmp_lg_u32 s8, 0
	s_waitcnt lgkmcnt(0)
	v_add3_u32 v3, v58, v3, v59
	v_add3_u32 v2, v56, v2, v57
	s_cbranch_scc1 .LBB88_66
	s_branch .LBB88_89
.LBB88_67:                              ;   in Loop: Header=BB88_11 Depth=1
	v_mov_b32_e32 v2, 0
	v_mov_b32_e32 v3, 0
	;; [unrolled: 1-line block ×4, first 2 shown]
	s_and_saveexec_b64 s[52:53], s[16:17]
	s_cbranch_execz .LBB88_71
; %bb.68:                               ;   in Loop: Header=BB88_11 Depth=1
	s_mov_b32 s14, 0
	s_mov_b64 s[54:55], 0
	s_mov_b32 s15, 0
	s_mov_b32 s56, 0
	;; [unrolled: 1-line block ×4, first 2 shown]
	v_mov_b32_e32 v17, v13
.LBB88_69:                              ;   Parent Loop BB88_11 Depth=1
                                        ; =>  This Inner Loop Header: Depth=2
	v_add_u32_e32 v8, s14, v31
	v_lshl_add_u64 v[2:3], v[8:9], 2, s[70:71]
	v_add_u32_e32 v8, s14, v28
	global_load_dword v4, v[2:3], off
	v_lshl_add_u64 v[2:3], v[8:9], 2, s[70:71]
	v_add_u32_e32 v8, s14, v29
	global_load_dword v5, v[2:3], off
	v_lshl_add_u64 v[2:3], v[8:9], 2, s[70:71]
	global_load_dword v18, v[2:3], off
	v_add_u32_e32 v8, s14, v30
	v_lshl_add_u64 v[2:3], v[8:9], 2, s[70:71]
	global_load_dword v2, v[2:3], off
	v_add_u32_e32 v17, s65, v17
	v_cmp_le_u32_e32 vcc, s88, v17
	s_add_i32 s14, s14, s91
	s_waitcnt vmcnt(3)
	v_xor_b32_e32 v3, 0x80000000, v4
	v_bitop3_b32 v4, v4, v39, s86 bitop3:0x48
	v_bfe_u32 v3, v3, v36, 2
	v_cmp_eq_u32_e64 s[0:1], v4, v32
	s_waitcnt vmcnt(2)
	v_bitop3_b32 v4, v5, v39, s86 bitop3:0x48
	v_cmp_eq_u32_e64 s[26:27], 0, v3
	v_xor_b32_e32 v8, 0x80000000, v5
	s_waitcnt vmcnt(1)
	v_xor_b32_e32 v5, 0x80000000, v18
	v_cmp_eq_u32_e64 s[2:3], v4, v32
	v_bitop3_b32 v4, v18, v39, s86 bitop3:0x48
	v_cmp_eq_u32_e64 s[28:29], 1, v3
	s_and_b64 s[24:25], s[0:1], s[26:27]
	v_bfe_u32 v8, v8, v36, 2
	v_cmp_eq_u32_e64 s[30:31], 2, v3
	v_cmp_eq_u32_e64 s[36:37], v4, v32
	v_bfe_u32 v4, v5, v36, 2
	v_cndmask_b32_e64 v5, 0, 1, s[24:25]
	s_and_b64 s[24:25], s[0:1], s[28:29]
	v_cmp_eq_u32_e64 s[34:35], 3, v3
	v_cmp_eq_u32_e64 s[38:39], 0, v8
	;; [unrolled: 1-line block ×5, first 2 shown]
	v_cndmask_b32_e64 v8, 0, 1, s[24:25]
	s_and_b64 s[24:25], s[0:1], s[30:31]
	s_waitcnt vmcnt(0)
	v_xor_b32_e32 v3, 0x80000000, v2
	v_bitop3_b32 v2, v2, v39, s86 bitop3:0x48
	v_cndmask_b32_e64 v18, 0, 1, s[24:25]
	s_and_b64 s[0:1], s[0:1], s[34:35]
	s_and_b64 s[24:25], s[2:3], s[38:39]
	v_cndmask_b32_e64 v41, 0, 1, s[0:1]
	v_cmp_eq_u32_e64 s[0:1], v2, v32
	v_bfe_u32 v2, v3, v36, 2
	v_cndmask_b32_e64 v3, 0, 1, s[24:25]
	s_and_b64 s[24:25], s[2:3], s[40:41]
	v_cmp_eq_u32_e64 s[26:27], 0, v4
	v_cmp_eq_u32_e64 s[28:29], 1, v4
	;; [unrolled: 1-line block ×4, first 2 shown]
	v_cndmask_b32_e64 v4, 0, 1, s[24:25]
	s_and_b64 s[24:25], s[2:3], s[42:43]
	v_cmp_ne_u32_e64 s[46:47], 0, v5
	v_cndmask_b32_e64 v5, 0, 1, s[24:25]
	s_and_b64 s[2:3], s[2:3], s[44:45]
	s_and_b64 s[24:25], s[36:37], s[26:27]
	v_cmp_ne_u32_e64 s[38:39], 0, v8
	v_cndmask_b32_e64 v8, 0, 1, s[2:3]
	v_cmp_eq_u32_e64 s[2:3], 0, v2
	v_cmp_eq_u32_e64 s[44:45], 1, v2
	;; [unrolled: 1-line block ×4, first 2 shown]
	v_cndmask_b32_e64 v2, 0, 1, s[24:25]
	s_and_b64 s[24:25], s[36:37], s[28:29]
	s_bcnt1_i32_b64 s8, s[46:47]
	v_cmp_ne_u32_e64 s[46:47], 0, v3
	v_cndmask_b32_e64 v3, 0, 1, s[24:25]
	s_and_b64 s[24:25], s[36:37], s[30:31]
	v_cmp_ne_u32_e64 s[26:27], 0, v4
	v_cndmask_b32_e64 v4, 0, 1, s[24:25]
	s_and_b64 s[24:25], s[36:37], s[34:35]
	v_cmp_ne_u32_e64 s[40:41], 0, v18
	v_cmp_ne_u32_e64 s[42:43], 0, v41
	;; [unrolled: 1-line block ×3, first 2 shown]
	v_cndmask_b32_e64 v5, 0, 1, s[24:25]
	s_and_b64 s[2:3], s[0:1], s[2:3]
	s_and_b64 s[24:25], s[0:1], s[44:45]
	s_bcnt1_i32_b64 s38, s[38:39]
	s_bcnt1_i32_b64 s39, s[40:41]
	;; [unrolled: 1-line block ×3, first 2 shown]
	v_cmp_ne_u32_e64 s[30:31], 0, v8
	v_cmp_ne_u32_e64 s[34:35], 0, v2
	v_cndmask_b32_e64 v2, 0, 1, s[2:3]
	v_cmp_ne_u32_e64 s[2:3], 0, v3
	v_cndmask_b32_e64 v3, 0, 1, s[24:25]
	s_and_b64 s[24:25], s[0:1], s[48:49]
	s_and_b64 s[0:1], s[0:1], s[50:51]
	s_bcnt1_i32_b64 s36, s[46:47]
	s_add_i32 s8, s58, s8
	s_bcnt1_i32_b64 s37, s[26:27]
	s_add_i32 s38, s57, s38
	s_bcnt1_i32_b64 s41, s[28:29]
	v_cmp_ne_u32_e64 s[26:27], 0, v4
	v_cndmask_b32_e64 v4, 0, 1, s[24:25]
	s_add_i32 s24, s56, s39
	s_bcnt1_i32_b64 s25, s[30:31]
	v_cmp_ne_u32_e64 s[28:29], 0, v5
	v_cndmask_b32_e64 v5, 0, 1, s[0:1]
	s_add_i32 s15, s15, s40
	s_bcnt1_i32_b64 s30, s[34:35]
	v_cmp_ne_u32_e64 s[0:1], 0, v2
	s_add_i32 s8, s8, s36
	s_bcnt1_i32_b64 s31, s[2:3]
	v_cmp_ne_u32_e64 s[2:3], 0, v3
	;; [unrolled: 3-line block ×4, first 2 shown]
	s_add_i32 s15, s15, s25
	s_bcnt1_i32_b64 s0, s[0:1]
	s_add_i32 s1, s8, s30
	s_bcnt1_i32_b64 s2, s[2:3]
	s_add_i32 s3, s34, s31
	s_bcnt1_i32_b64 s8, s[26:27]
	s_add_i32 s24, s24, s35
	s_bcnt1_i32_b64 s25, s[28:29]
	s_add_i32 s15, s15, s36
	s_add_i32 s58, s1, s0
	;; [unrolled: 1-line block ×5, first 2 shown]
	s_or_b64 s[54:55], vcc, s[54:55]
	v_mov_b32_e32 v2, s58
	v_mov_b32_e32 v3, s57
	;; [unrolled: 1-line block ×4, first 2 shown]
	s_andn2_b64 exec, exec, s[54:55]
	s_cbranch_execnz .LBB88_69
; %bb.70:                               ;   in Loop: Header=BB88_11 Depth=1
	s_or_b64 exec, exec, s[54:55]
.LBB88_71:                              ;   in Loop: Header=BB88_11 Depth=1
	s_or_b64 exec, exec, s[52:53]
	s_and_saveexec_b64 s[2:3], s[18:19]
	s_cbranch_execz .LBB88_77
; %bb.72:                               ;   in Loop: Header=BB88_11 Depth=1
	global_load_dword v41, v[14:15], off
	s_mov_b64 s[14:15], 0
	v_mov_b32_e32 v8, v33
	v_mov_b32_e32 v17, v26
	s_branch .LBB88_74
.LBB88_73:                              ;   in Loop: Header=BB88_74 Depth=2
	s_or_b64 exec, exec, s[26:27]
	s_waitcnt vmcnt(0)
	v_xor_b32_e32 v43, 0x80000000, v41
	v_bitop3_b32 v41, v41, v39, s86 bitop3:0x48
	s_and_b64 s[0:1], exec, vcc
	v_cmp_eq_u32_e32 vcc, v41, v32
	v_bfe_u32 v41, v43, v36, 2
	s_or_b64 s[14:15], s[0:1], s[14:15]
	v_cmp_eq_u32_e64 s[0:1], 0, v41
	s_and_b64 s[0:1], vcc, s[0:1]
	v_add_u32_e32 v8, s75, v8
	v_cndmask_b32_e64 v43, 0, 1, s[0:1]
	v_cmp_ne_u32_e64 s[0:1], 0, v43
	s_bcnt1_i32_b64 s0, s[0:1]
	s_nop 0
	v_add_u32_e32 v2, s0, v2
	v_cmp_eq_u32_e64 s[0:1], 1, v41
	s_and_b64 s[0:1], vcc, s[0:1]
	s_nop 0
	v_cndmask_b32_e64 v43, 0, 1, s[0:1]
	v_cmp_ne_u32_e64 s[0:1], 0, v43
	s_bcnt1_i32_b64 s0, s[0:1]
	s_nop 0
	v_add_u32_e32 v3, s0, v3
	v_cmp_eq_u32_e64 s[0:1], 2, v41
	s_and_b64 s[0:1], vcc, s[0:1]
	s_nop 0
	;; [unrolled: 8-line block ×3, first 2 shown]
	v_cndmask_b32_e64 v41, 0, 1, s[0:1]
	v_cmp_ne_u32_e32 vcc, 0, v41
	s_bcnt1_i32_b64 s0, vcc
	v_add_u32_e32 v5, s0, v5
	v_mov_b32_e32 v41, v18
	s_andn2_b64 exec, exec, s[14:15]
	s_cbranch_execz .LBB88_76
.LBB88_74:                              ;   Parent Loop BB88_11 Depth=1
                                        ; =>  This Inner Loop Header: Depth=2
	v_add_u32_e32 v17, s67, v17
	v_cmp_gt_u32_e64 s[0:1], s64, v17
	v_cmp_le_u32_e32 vcc, s64, v17
	v_mov_b32_e32 v18, 0
	s_and_saveexec_b64 s[26:27], s[0:1]
	s_cbranch_execz .LBB88_73
; %bb.75:                               ;   in Loop: Header=BB88_74 Depth=2
	v_lshl_add_u64 v[44:45], v[8:9], 2, s[70:71]
	global_load_dword v18, v[44:45], off
	s_branch .LBB88_73
.LBB88_76:                              ;   in Loop: Header=BB88_11 Depth=1
	s_or_b64 exec, exec, s[14:15]
.LBB88_77:                              ;   in Loop: Header=BB88_11 Depth=1
	s_or_b64 exec, exec, s[2:3]
	s_branch .LBB88_59
.LBB88_78:                              ;   in Loop: Header=BB88_11 Depth=1
	s_mul_hi_u32 s0, s82, s87
	s_mul_i32 s0, s0, s65
	s_sub_i32 s0, s82, s0
	s_sub_i32 s1, s0, s65
	s_cmp_ge_u32 s0, s65
	s_cselect_b32 s0, s1, s0
	s_sub_i32 s1, s0, s65
	s_cmp_ge_u32 s0, s65
	s_cselect_b32 s0, s1, s0
	s_sub_i32 s83, s82, s0
	v_cmp_gt_u32_e32 vcc, s83, v13
	v_mov_b32_e32 v2, 0
	v_mov_b32_e32 v3, 0
	;; [unrolled: 1-line block ×4, first 2 shown]
	s_and_saveexec_b64 s[14:15], vcc
	s_cbranch_execz .LBB88_82
; %bb.79:                               ;   in Loop: Header=BB88_11 Depth=1
	s_mov_b32 s8, 0
	s_mov_b64 s[72:73], 0
	v_mov_b32_e32 v8, v34
	s_mov_b32 s84, 0
	s_mov_b32 s85, 0
	;; [unrolled: 1-line block ×3, first 2 shown]
	v_mov_b32_e32 v17, v13
.LBB88_80:                              ;   Parent Loop BB88_11 Depth=1
                                        ; =>  This Inner Loop Header: Depth=2
	ds_read_b128 v[2:5], v8
	v_add_u32_e32 v17, s65, v17
	v_cmp_le_u32_e32 vcc, s83, v17
	v_add_u32_e32 v8, s33, v8
	s_waitcnt lgkmcnt(0)
	v_xor_b32_e32 v18, 0x80000000, v2
	v_bitop3_b32 v2, v2, v39, s86 bitop3:0x48
	v_xor_b32_e32 v41, 0x80000000, v3
	v_bitop3_b32 v3, v3, v39, s86 bitop3:0x48
	v_cmp_eq_u32_e64 s[0:1], v2, v32
	v_bfe_u32 v2, v18, v36, 2
	v_xor_b32_e32 v43, 0x80000000, v4
	v_bitop3_b32 v4, v4, v39, s86 bitop3:0x48
	v_cmp_eq_u32_e64 s[2:3], v3, v32
	v_bfe_u32 v3, v41, v36, 2
	v_cmp_eq_u32_e64 s[30:31], 0, v2
	v_xor_b32_e32 v44, 0x80000000, v5
	v_bitop3_b32 v5, v5, v39, s86 bitop3:0x48
	v_cmp_eq_u32_e64 s[26:27], v4, v32
	v_bfe_u32 v4, v43, v36, 2
	v_cmp_eq_u32_e64 s[34:35], 0, v3
	s_and_b64 s[30:31], s[0:1], s[30:31]
	v_cmp_eq_u32_e64 s[28:29], v5, v32
	v_bfe_u32 v5, v44, v36, 2
	v_cmp_eq_u32_e64 s[36:37], 0, v4
	v_cmp_eq_u32_e64 s[40:41], 1, v2
	;; [unrolled: 1-line block ×4, first 2 shown]
	v_cndmask_b32_e64 v2, 0, 1, s[30:31]
	s_and_b64 s[30:31], s[2:3], s[34:35]
	v_cmp_eq_u32_e64 s[38:39], 0, v5
	v_cmp_eq_u32_e64 s[42:43], 1, v3
	;; [unrolled: 1-line block ×4, first 2 shown]
	v_cndmask_b32_e64 v3, 0, 1, s[30:31]
	s_and_b64 s[30:31], s[26:27], s[36:37]
	v_cmp_eq_u32_e64 s[44:45], 1, v4
	v_cmp_eq_u32_e64 s[52:53], 2, v4
	;; [unrolled: 1-line block ×3, first 2 shown]
	v_cndmask_b32_e64 v4, 0, 1, s[30:31]
	s_and_b64 s[30:31], s[28:29], s[38:39]
	v_cmp_eq_u32_e64 s[46:47], 1, v5
	v_cmp_eq_u32_e64 s[54:55], 2, v5
	;; [unrolled: 1-line block ×3, first 2 shown]
	v_cndmask_b32_e64 v5, 0, 1, s[30:31]
	s_and_b64 s[30:31], s[0:1], s[40:41]
	v_cndmask_b32_e64 v18, 0, 1, s[30:31]
	s_and_b64 s[30:31], s[2:3], s[42:43]
	;; [unrolled: 2-line block ×5, first 2 shown]
	s_and_b64 s[0:1], s[0:1], s[56:57]
	v_cndmask_b32_e64 v45, 0, 1, s[30:31]
	s_and_b64 s[30:31], s[2:3], s[50:51]
	v_cndmask_b32_e64 v49, 0, 1, s[0:1]
	;; [unrolled: 2-line block ×7, first 2 shown]
	v_cndmask_b32_e64 v52, 0, 1, s[0:1]
	v_cmp_ne_u32_e64 s[0:1], 0, v2
	v_cmp_ne_u32_e64 s[2:3], 0, v3
	;; [unrolled: 1-line block ×11, first 2 shown]
	s_bcnt1_i32_b64 s0, s[0:1]
	s_bcnt1_i32_b64 s1, s[2:3]
	;; [unrolled: 1-line block ×8, first 2 shown]
	v_cmp_ne_u32_e64 s[44:45], 0, v47
	v_cmp_ne_u32_e64 s[52:53], 0, v51
	s_bcnt1_i32_b64 s27, s[36:37]
	s_bcnt1_i32_b64 s30, s[42:43]
	s_bcnt1_i32_b64 s36, s[50:51]
	s_add_i32 s0, s24, s0
	s_add_i32 s24, s85, s25
	;; [unrolled: 1-line block ×4, first 2 shown]
	v_cmp_ne_u32_e64 s[38:39], 0, v44
	v_cmp_ne_u32_e64 s[46:47], 0, v48
	;; [unrolled: 1-line block ×3, first 2 shown]
	s_bcnt1_i32_b64 s31, s[44:45]
	s_bcnt1_i32_b64 s37, s[52:53]
	s_add_i32 s0, s0, s1
	s_add_i32 s1, s24, s26
	;; [unrolled: 1-line block ×4, first 2 shown]
	s_bcnt1_i32_b64 s28, s[38:39]
	s_bcnt1_i32_b64 s34, s[46:47]
	;; [unrolled: 1-line block ×3, first 2 shown]
	s_add_i32 s0, s0, s2
	s_add_i32 s1, s1, s27
	;; [unrolled: 1-line block ×8, first 2 shown]
	s_or_b64 s[72:73], vcc, s[72:73]
	v_mov_b32_e32 v2, s24
	v_mov_b32_e32 v3, s85
	;; [unrolled: 1-line block ×4, first 2 shown]
	s_andn2_b64 exec, exec, s[72:73]
	s_cbranch_execnz .LBB88_80
; %bb.81:                               ;   in Loop: Header=BB88_11 Depth=1
	s_or_b64 exec, exec, s[72:73]
.LBB88_82:                              ;   in Loop: Header=BB88_11 Depth=1
	s_or_b64 exec, exec, s[14:15]
	v_add_u32_e32 v8, s83, v0
	v_cmp_gt_u32_e32 vcc, s82, v8
	s_and_saveexec_b64 s[14:15], vcc
	s_cbranch_execz .LBB88_86
; %bb.83:                               ;   in Loop: Header=BB88_11 Depth=1
	v_lshlrev_b32_e32 v17, 2, v8
	s_mov_b64 s[34:35], 0
.LBB88_84:                              ;   Parent Loop BB88_11 Depth=1
                                        ; =>  This Inner Loop Header: Depth=2
	ds_read_b32 v18, v17
	v_add_u32_e32 v8, s67, v8
	v_cmp_le_u32_e32 vcc, s82, v8
	v_add_u32_e32 v17, s65, v17
	s_waitcnt lgkmcnt(0)
	v_xor_b32_e32 v41, 0x80000000, v18
	v_bitop3_b32 v18, v18, v39, s86 bitop3:0x48
	v_cmp_eq_u32_e64 s[0:1], v18, v32
	v_bfe_u32 v18, v41, v36, 2
	v_cmp_eq_u32_e64 s[2:3], 0, v18
	v_cmp_eq_u32_e64 s[26:27], 1, v18
	s_and_b64 s[2:3], s[0:1], s[2:3]
	v_cmp_eq_u32_e64 s[28:29], 2, v18
	v_cmp_eq_u32_e64 s[30:31], 3, v18
	v_cndmask_b32_e64 v18, 0, 1, s[2:3]
	s_and_b64 s[2:3], s[0:1], s[26:27]
	v_cndmask_b32_e64 v41, 0, 1, s[2:3]
	s_and_b64 s[2:3], s[0:1], s[28:29]
	s_and_b64 s[0:1], s[0:1], s[30:31]
	v_cndmask_b32_e64 v43, 0, 1, s[2:3]
	v_cndmask_b32_e64 v44, 0, 1, s[0:1]
	v_cmp_ne_u32_e64 s[0:1], 0, v18
	v_cmp_ne_u32_e64 s[2:3], 0, v41
	;; [unrolled: 1-line block ×4, first 2 shown]
	s_bcnt1_i32_b64 s0, s[0:1]
	s_bcnt1_i32_b64 s1, s[2:3]
	;; [unrolled: 1-line block ×4, first 2 shown]
	v_add_u32_e32 v2, s0, v2
	v_add_u32_e32 v3, s1, v3
	;; [unrolled: 1-line block ×3, first 2 shown]
	s_or_b64 s[34:35], vcc, s[34:35]
	v_add_u32_e32 v5, s3, v5
	s_andn2_b64 exec, exec, s[34:35]
	s_cbranch_execnz .LBB88_84
; %bb.85:                               ;   in Loop: Header=BB88_11 Depth=1
	s_or_b64 exec, exec, s[34:35]
.LBB88_86:                              ;   in Loop: Header=BB88_11 Depth=1
	s_or_b64 exec, exec, s[14:15]
	v_lshlrev_b32_e32 v17, 6, v38
	s_and_saveexec_b64 s[0:1], s[4:5]
	s_cbranch_execnz .LBB88_60
	s_branch .LBB88_61
.LBB88_87:                              ;   in Loop: Header=BB88_11 Depth=1
	v_mov_b32_e32 v2, 0
	s_mov_b32 s8, 0
	s_cbranch_execnz .LBB88_92
	s_branch .LBB88_94
.LBB88_88:                              ;   in Loop: Header=BB88_11 Depth=1
	v_mov_b32_e32 v8, v9
	s_mov_b32 s2, 0
	v_mov_b64_e32 v[2:3], v[8:9]
	s_mov_b32 s3, 1
.LBB88_89:                              ;   in Loop: Header=BB88_11 Depth=1
	v_readlane_b32 s14, v68, 25
	v_readlane_b32 s15, v68, 26
	s_andn2_b64 vcc, exec, s[14:15]
	v_readlane_b32 s8, v68, 24
	s_cbranch_vccnz .LBB88_91
.LBB88_90:                              ;   Parent Loop BB88_11 Depth=1
                                        ; =>  This Inner Loop Header: Depth=2
	v_lshl_add_u32 v8, s2, 4, v5
	v_lshl_add_u32 v18, s3, 4, v5
	ds_read_b32 v18, v18
	ds_read_b32 v8, v8
	s_add_i32 s3, s3, 2
	s_add_i32 s2, s2, 2
	s_add_i32 s8, s8, -1
	s_cmp_lg_u32 s8, 0
	s_waitcnt lgkmcnt(1)
	v_add_u32_e32 v3, v18, v3
	s_waitcnt lgkmcnt(0)
	v_add_u32_e32 v2, v8, v2
	s_cbranch_scc1 .LBB88_90
.LBB88_91:                              ;   in Loop: Header=BB88_11 Depth=1
	v_readlane_b32 s2, v68, 29
	v_add_u32_e32 v2, v2, v3
	v_readlane_b32 s8, v68, 28
	v_readlane_b32 s3, v68, 30
	s_and_b64 vcc, exec, s[2:3]
	s_cbranch_vccz .LBB88_94
.LBB88_92:                              ;   in Loop: Header=BB88_11 Depth=1
	v_lshlrev_b32_e32 v3, 8, v38
	s_lshl_b32 s2, s8, 4
	v_add_u32_e32 v3, s2, v3
	v_readlane_b32 s2, v68, 27
	v_add_u32_e32 v3, v35, v3
	s_sub_i32 s2, s2, s8
.LBB88_93:                              ;   Parent Loop BB88_11 Depth=1
                                        ; =>  This Inner Loop Header: Depth=2
	ds_read_b32 v5, v3
	s_add_i32 s2, s2, -1
	v_add_u32_e32 v3, 16, v3
	s_cmp_eq_u32 s2, 0
	s_waitcnt lgkmcnt(0)
	v_add_u32_e32 v2, v5, v2
	s_cbranch_scc0 .LBB88_93
.LBB88_94:                              ;   in Loop: Header=BB88_11 Depth=1
	v_lshlrev_b32_e32 v3, 2, v4
	ds_write_b32 v3, v2 offset:3072
.LBB88_95:                              ;   in Loop: Header=BB88_11 Depth=1
	s_or_b64 exec, exec, s[0:1]
	v_lshlrev_b32_e32 v2, 2, v17
	s_waitcnt lgkmcnt(0)
	s_barrier
	ds_read_b128 v[2:5], v2 offset:3072
	v_cmp_eq_u32_e32 vcc, 1, v40
	s_mov_b64 s[2:3], -1
	s_mov_b64 s[30:31], -1
                                        ; implicit-def: $sgpr28_sgpr29
                                        ; implicit-def: $sgpr14_sgpr15
	s_waitcnt lgkmcnt(0)
	v_readfirstlane_b32 s44, v2
	s_cmp_eq_u32 s44, 1
	v_lshlrev_b32_e64 v2, v36, 3
	s_cselect_b64 s[0:1], -1, 0
	v_readfirstlane_b32 s48, v3
	v_readfirstlane_b32 s56, v4
	;; [unrolled: 1-line block ×3, first 2 shown]
	v_not_b32_e32 v4, v2
	s_and_b64 s[26:27], s[0:1], vcc
	s_and_saveexec_b64 s[0:1], s[26:27]
	s_cbranch_execz .LBB88_121
; %bb.96:                               ;   in Loop: Header=BB88_11 Depth=1
	ds_read_b32 v3, v9 offset:4104
	s_waitcnt lgkmcnt(0)
	s_barrier
	v_readfirstlane_b32 s8, v3
	s_and_saveexec_b64 s[14:15], s[6:7]
; %bb.97:                               ;   in Loop: Header=BB88_11 Depth=1
	ds_write_b32 v21, v9
; %bb.98:                               ;   in Loop: Header=BB88_11 Depth=1
	s_or_b64 exec, exec, s[14:15]
	v_and_b32_e32 v32, v32, v4
	v_or_b32_e32 v39, v39, v2
	s_mov_b64 s[14:15], -1
	s_mov_b64 s[28:29], 0
	s_cmp_eq_u32 s8, 0
	s_mov_b64 s[30:31], 0
	s_mov_b64 s[34:35], -1
	s_waitcnt lgkmcnt(0)
	s_barrier
                                        ; implicit-def: $vgpr19
	s_cbranch_scc1 .LBB88_109
; %bb.99:                               ;   in Loop: Header=BB88_11 Depth=1
	s_add_i32 s24, s8, s74
	s_mul_hi_u32 s25, s24, s89
	s_mul_i32 s25, s25, s67
	s_sub_i32 s25, s24, s25
	s_sub_i32 s30, s25, s67
	s_cmp_ge_u32 s25, s67
	s_cselect_b32 s25, s30, s25
	s_sub_i32 s30, s25, s67
	s_cmp_ge_u32 s25, s67
	s_cselect_b32 s25, s30, s25
	s_sub_i32 s24, s24, s25
	v_cmp_gt_u32_e32 vcc, s24, v0
	s_mov_b64 s[34:35], 0
	s_mov_b64 s[30:31], 0
                                        ; implicit-def: $vgpr19
	s_and_saveexec_b64 s[36:37], vcc
	s_cbranch_execz .LBB88_108
; %bb.100:                              ;   in Loop: Header=BB88_11 Depth=1
	v_mov_b32_e32 v3, v13
	v_mov_b32_e32 v5, v0
                                        ; implicit-def: $sgpr38_sgpr39
	s_branch .LBB88_103
.LBB88_101:                             ;   in Loop: Header=BB88_103 Depth=2
	s_or_b64 exec, exec, s[40:41]
	s_waitcnt lgkmcnt(0)
	s_barrier
	ds_read_b64 v[18:19], v9 offset:3072
	s_mov_b64 s[40:41], -1
	s_mov_b64 s[42:43], -1
	s_waitcnt lgkmcnt(0)
	s_barrier
	v_cmp_ne_u32_e32 vcc, 0, v18
	s_cbranch_vccz .LBB88_106
.LBB88_102:                             ;   in Loop: Header=BB88_103 Depth=2
	s_and_b64 s[40:41], exec, s[40:41]
	s_or_b64 s[30:31], s[40:41], s[30:31]
	s_andn2_b64 s[38:39], s[38:39], exec
	s_and_b64 s[40:41], s[42:43], exec
	s_or_b64 s[38:39], s[38:39], s[40:41]
	s_andn2_b64 exec, exec, s[30:31]
	s_cbranch_execz .LBB88_107
.LBB88_103:                             ;   Parent Loop BB88_11 Depth=1
                                        ; =>  This Inner Loop Header: Depth=2
	v_cmp_gt_u32_e32 vcc, s8, v5
	s_and_saveexec_b64 s[40:41], vcc
	s_cbranch_execz .LBB88_101
; %bb.104:                              ;   in Loop: Header=BB88_103 Depth=2
	ds_read_b32 v17, v3
	s_waitcnt lgkmcnt(0)
	v_bitop3_b32 v8, v17, v39, s86 bitop3:0x48
	v_cmp_eq_u32_e32 vcc, v8, v32
	s_and_b64 exec, exec, vcc
	s_cbranch_execz .LBB88_101
; %bb.105:                              ;   in Loop: Header=BB88_103 Depth=2
	ds_write_b64 v9, v[16:17] offset:3072
	s_branch .LBB88_101
.LBB88_106:                             ;   in Loop: Header=BB88_103 Depth=2
	v_add_u32_e32 v5, s67, v5
	v_cmp_le_u32_e32 vcc, s24, v5
	v_add_u32_e32 v3, s65, v3
	s_mov_b64 s[42:43], 0
	s_orn2_b64 s[40:41], vcc, exec
	s_branch .LBB88_102
.LBB88_107:                             ;   in Loop: Header=BB88_11 Depth=1
	s_or_b64 exec, exec, s[30:31]
	s_and_b64 s[30:31], s[38:39], exec
.LBB88_108:                             ;   in Loop: Header=BB88_11 Depth=1
	s_or_b64 exec, exec, s[36:37]
.LBB88_109:                             ;   in Loop: Header=BB88_11 Depth=1
	s_and_b64 vcc, exec, s[34:35]
	s_cbranch_vccz .LBB88_120
; %bb.110:                              ;   in Loop: Header=BB88_11 Depth=1
                                        ; implicit-def: $vgpr19
	s_and_saveexec_b64 s[14:15], s[20:21]
	s_cbranch_execz .LBB88_119
; %bb.111:                              ;   in Loop: Header=BB88_11 Depth=1
	s_mov_b64 s[28:29], 0
	v_mov_b32_e32 v8, v6
	v_mov_b32_e32 v3, v0
                                        ; implicit-def: $sgpr34_sgpr35
	s_branch .LBB88_114
.LBB88_112:                             ;   in Loop: Header=BB88_114 Depth=2
	s_or_b64 exec, exec, s[36:37]
	s_waitcnt lgkmcnt(0)
	s_barrier
	ds_read_b64 v[18:19], v9 offset:3072
	s_mov_b64 s[36:37], -1
	s_mov_b64 s[38:39], -1
	s_waitcnt lgkmcnt(0)
	s_barrier
	v_cmp_ne_u32_e32 vcc, 0, v18
	s_cbranch_vccz .LBB88_117
.LBB88_113:                             ;   in Loop: Header=BB88_114 Depth=2
	s_and_b64 s[24:25], exec, s[36:37]
	s_or_b64 s[28:29], s[24:25], s[28:29]
	s_andn2_b64 s[24:25], s[34:35], exec
	s_and_b64 s[34:35], s[38:39], exec
	s_or_b64 s[34:35], s[24:25], s[34:35]
	s_andn2_b64 exec, exec, s[28:29]
	s_cbranch_execz .LBB88_118
.LBB88_114:                             ;   Parent Loop BB88_11 Depth=1
                                        ; =>  This Inner Loop Header: Depth=2
	v_cmp_gt_u32_e32 vcc, s64, v3
	s_and_saveexec_b64 s[36:37], vcc
	s_cbranch_execz .LBB88_112
; %bb.115:                              ;   in Loop: Header=BB88_114 Depth=2
	v_lshl_add_u64 v[18:19], v[8:9], 2, s[70:71]
	global_load_dword v17, v[18:19], off
	s_waitcnt vmcnt(0)
	v_bitop3_b32 v5, v17, v39, s86 bitop3:0x48
	v_cmp_eq_u32_e32 vcc, v5, v32
	s_and_b64 exec, exec, vcc
	s_cbranch_execz .LBB88_112
; %bb.116:                              ;   in Loop: Header=BB88_114 Depth=2
	ds_write_b64 v9, v[16:17] offset:3072
	s_branch .LBB88_112
.LBB88_117:                             ;   in Loop: Header=BB88_114 Depth=2
	v_add_u32_e32 v3, s67, v3
	v_cmp_le_u32_e32 vcc, s90, v3
	v_add_u32_e32 v8, s75, v8
	s_mov_b64 s[38:39], 0
	s_orn2_b64 s[36:37], vcc, exec
	s_branch .LBB88_113
.LBB88_118:                             ;   in Loop: Header=BB88_11 Depth=1
	s_or_b64 exec, exec, s[28:29]
	s_andn2_b64 s[24:25], s[30:31], exec
	s_and_b64 s[28:29], s[34:35], exec
	s_or_b64 s[30:31], s[24:25], s[28:29]
.LBB88_119:                             ;   in Loop: Header=BB88_11 Depth=1
	s_or_b64 exec, exec, s[14:15]
	s_mov_b64 s[14:15], 0
	s_mov_b64 s[28:29], -1
.LBB88_120:                             ;   in Loop: Header=BB88_11 Depth=1
	s_orn2_b64 s[30:31], s[30:31], exec
.LBB88_121:                             ;   in Loop: Header=BB88_11 Depth=1
	s_or_b64 exec, exec, s[0:1]
	s_andn2_b64 s[0:1], s[10:11], exec
	s_and_b64 s[10:11], s[28:29], exec
	s_or_b64 s[10:11], s[0:1], s[10:11]
	s_andn2_b64 s[0:1], s[68:69], exec
	s_and_b64 s[14:15], s[14:15], exec
	s_andn2_b64 s[12:13], s[12:13], exec
	s_or_b64 s[68:69], s[0:1], s[14:15]
                                        ; implicit-def: $vgpr5
	s_and_saveexec_b64 s[0:1], s[30:31]
	s_cbranch_execz .LBB88_10
; %bb.122:                              ;   in Loop: Header=BB88_11 Depth=1
	s_xor_b64 s[14:15], s[26:27], -1
	s_mov_b64 s[26:27], 0
	v_mov_b32_e32 v5, 1
	v_mov_b32_e32 v3, 1
	s_and_saveexec_b64 s[2:3], s[14:15]
	s_cbranch_execz .LBB88_131
; %bb.123:                              ;   in Loop: Header=BB88_11 Depth=1
	v_cmp_ge_u32_e32 vcc, s44, v40
	s_and_saveexec_b64 s[14:15], vcc
	s_xor_b64 s[14:15], exec, s[14:15]
	s_cbranch_execz .LBB88_128
; %bb.124:                              ;   in Loop: Header=BB88_11 Depth=1
	ds_read_b32 v3, v9 offset:4104
	v_and_b32_e32 v32, v32, v4
	v_or_b32_e32 v39, v39, v2
	s_waitcnt lgkmcnt(0)
	v_cmp_ne_u32_e32 vcc, 0, v3
	s_cbranch_vccnz .LBB88_128
; %bb.125:                              ;   in Loop: Header=BB88_11 Depth=1
	s_and_saveexec_b64 s[26:27], s[22:23]
; %bb.126:                              ;   in Loop: Header=BB88_11 Depth=1
	v_mov_b32_e32 v3, s44
	ds_write_b32 v9, v3 offset:4108
; %bb.127:                              ;   in Loop: Header=BB88_11 Depth=1
	s_or_b64 exec, exec, s[26:27]
	s_waitcnt lgkmcnt(0)
	s_barrier
.LBB88_128:                             ;   in Loop: Header=BB88_11 Depth=1
	s_or_saveexec_b64 s[14:15], s[14:15]
	s_mov_b64 s[26:27], 0
	v_mov_b32_e32 v3, 8
	s_xor_b64 exec, exec, s[14:15]
; %bb.129:                              ;   in Loop: Header=BB88_11 Depth=1
	s_mov_b64 s[26:27], exec
	v_subrev_u32_e32 v40, s44, v40
	v_mov_b32_e32 v3, 0
; %bb.130:                              ;   in Loop: Header=BB88_11 Depth=1
	s_or_b64 exec, exec, s[14:15]
	s_and_b64 s[26:27], s[26:27], exec
	v_mov_b32_e32 v5, v40
.LBB88_131:                             ;   in Loop: Header=BB88_11 Depth=1
	s_or_b64 exec, exec, s[2:3]
	s_mov_b64 s[2:3], -1
	s_mov_b64 s[14:15], -1
                                        ; implicit-def: $sgpr28_sgpr29
                                        ; implicit-def: $sgpr30_sgpr31
	s_and_saveexec_b64 s[24:25], s[26:27]
	s_xor_b64 s[26:27], exec, s[24:25]
	s_cbranch_execz .LBB88_248
; %bb.132:                              ;   in Loop: Header=BB88_11 Depth=1
	s_cmp_eq_u32 s48, 1
	s_cselect_b64 s[14:15], -1, 0
	v_cmp_eq_u32_e32 vcc, 1, v5
	s_and_b64 s[36:37], s[14:15], vcc
	s_mov_b64 s[38:39], -1
                                        ; implicit-def: $sgpr30_sgpr31
                                        ; implicit-def: $sgpr28_sgpr29
	s_and_saveexec_b64 s[14:15], s[36:37]
	s_cbranch_execz .LBB88_158
; %bb.133:                              ;   in Loop: Header=BB88_11 Depth=1
	ds_read_b32 v8, v9 offset:4104
	s_waitcnt lgkmcnt(0)
	s_barrier
	v_readfirstlane_b32 s8, v8
	s_and_saveexec_b64 s[28:29], s[6:7]
; %bb.134:                              ;   in Loop: Header=BB88_11 Depth=1
	ds_write_b32 v21, v9
; %bb.135:                              ;   in Loop: Header=BB88_11 Depth=1
	s_or_b64 exec, exec, s[28:29]
	v_and_b32_e32 v8, v32, v4
	v_lshl_or_b32 v32, 1, v36, v8
	v_or_b32_e32 v39, v39, v2
	s_mov_b64 s[28:29], -1
	s_mov_b64 s[30:31], 0
	s_cmp_eq_u32 s8, 0
	s_mov_b64 s[34:35], 0
	s_waitcnt lgkmcnt(0)
	s_barrier
                                        ; implicit-def: $vgpr19
	s_cbranch_scc1 .LBB88_146
; %bb.136:                              ;   in Loop: Header=BB88_11 Depth=1
	s_add_i32 s24, s8, s74
	s_mul_hi_u32 s25, s24, s89
	s_mul_i32 s25, s25, s67
	s_sub_i32 s25, s24, s25
	s_sub_i32 s34, s25, s67
	s_cmp_ge_u32 s25, s67
	s_cselect_b32 s25, s34, s25
	s_sub_i32 s34, s25, s67
	s_cmp_ge_u32 s25, s67
	s_cselect_b32 s25, s34, s25
	s_sub_i32 s24, s24, s25
	v_cmp_gt_u32_e32 vcc, s24, v0
	s_mov_b64 s[38:39], 0
	s_mov_b64 s[34:35], 0
                                        ; implicit-def: $vgpr19
	s_and_saveexec_b64 s[40:41], vcc
	s_cbranch_execz .LBB88_145
; %bb.137:                              ;   in Loop: Header=BB88_11 Depth=1
	v_mov_b32_e32 v8, v13
	v_mov_b32_e32 v40, v0
                                        ; implicit-def: $sgpr42_sgpr43
	s_branch .LBB88_140
.LBB88_138:                             ;   in Loop: Header=BB88_140 Depth=2
	s_or_b64 exec, exec, s[44:45]
	s_waitcnt lgkmcnt(0)
	s_barrier
	ds_read_b64 v[18:19], v9 offset:3072
	s_mov_b64 s[44:45], -1
	s_mov_b64 s[46:47], -1
	s_waitcnt lgkmcnt(0)
	s_barrier
	v_cmp_ne_u32_e32 vcc, 0, v18
	s_cbranch_vccz .LBB88_143
.LBB88_139:                             ;   in Loop: Header=BB88_140 Depth=2
	s_and_b64 s[44:45], exec, s[44:45]
	s_or_b64 s[34:35], s[44:45], s[34:35]
	s_andn2_b64 s[42:43], s[42:43], exec
	s_and_b64 s[44:45], s[46:47], exec
	s_or_b64 s[42:43], s[42:43], s[44:45]
	s_andn2_b64 exec, exec, s[34:35]
	s_cbranch_execz .LBB88_144
.LBB88_140:                             ;   Parent Loop BB88_11 Depth=1
                                        ; =>  This Inner Loop Header: Depth=2
	v_cmp_gt_u32_e32 vcc, s8, v40
	s_and_saveexec_b64 s[44:45], vcc
	s_cbranch_execz .LBB88_138
; %bb.141:                              ;   in Loop: Header=BB88_140 Depth=2
	ds_read_b32 v17, v8
	s_waitcnt lgkmcnt(0)
	v_bitop3_b32 v18, v17, v39, s86 bitop3:0x48
	v_cmp_eq_u32_e32 vcc, v18, v32
	s_and_b64 exec, exec, vcc
	s_cbranch_execz .LBB88_138
; %bb.142:                              ;   in Loop: Header=BB88_140 Depth=2
	ds_write_b64 v9, v[16:17] offset:3072
	s_branch .LBB88_138
.LBB88_143:                             ;   in Loop: Header=BB88_140 Depth=2
	v_add_u32_e32 v40, s67, v40
	v_cmp_le_u32_e32 vcc, s24, v40
	v_add_u32_e32 v8, s65, v8
	s_mov_b64 s[46:47], 0
	s_orn2_b64 s[44:45], vcc, exec
	s_branch .LBB88_139
.LBB88_144:                             ;   in Loop: Header=BB88_11 Depth=1
	s_or_b64 exec, exec, s[34:35]
	s_and_b64 s[34:35], s[42:43], exec
.LBB88_145:                             ;   in Loop: Header=BB88_11 Depth=1
	s_or_b64 exec, exec, s[40:41]
.LBB88_146:                             ;   in Loop: Header=BB88_11 Depth=1
	s_and_b64 vcc, exec, s[38:39]
	s_cbranch_vccz .LBB88_157
; %bb.147:                              ;   in Loop: Header=BB88_11 Depth=1
                                        ; implicit-def: $vgpr19
	s_and_saveexec_b64 s[28:29], s[20:21]
	s_cbranch_execz .LBB88_156
; %bb.148:                              ;   in Loop: Header=BB88_11 Depth=1
	s_mov_b64 s[30:31], 0
	v_mov_b32_e32 v8, v6
	v_mov_b32_e32 v40, v0
                                        ; implicit-def: $sgpr38_sgpr39
	s_branch .LBB88_151
.LBB88_149:                             ;   in Loop: Header=BB88_151 Depth=2
	s_or_b64 exec, exec, s[40:41]
	s_waitcnt lgkmcnt(0)
	s_barrier
	ds_read_b64 v[18:19], v9 offset:3072
	s_mov_b64 s[40:41], -1
	s_mov_b64 s[42:43], -1
	s_waitcnt lgkmcnt(0)
	s_barrier
	v_cmp_eq_u32_e32 vcc, 0, v18
	s_cbranch_vccnz .LBB88_154
.LBB88_150:                             ;   in Loop: Header=BB88_151 Depth=2
	s_and_b64 s[24:25], exec, s[40:41]
	s_or_b64 s[30:31], s[24:25], s[30:31]
	s_andn2_b64 s[24:25], s[38:39], exec
	s_and_b64 s[38:39], s[42:43], exec
	s_or_b64 s[38:39], s[24:25], s[38:39]
	s_andn2_b64 exec, exec, s[30:31]
	s_cbranch_execz .LBB88_155
.LBB88_151:                             ;   Parent Loop BB88_11 Depth=1
                                        ; =>  This Inner Loop Header: Depth=2
	v_cmp_gt_u32_e32 vcc, s64, v40
	s_and_saveexec_b64 s[40:41], vcc
	s_cbranch_execz .LBB88_149
; %bb.152:                              ;   in Loop: Header=BB88_151 Depth=2
	v_lshl_add_u64 v[18:19], v[8:9], 2, s[70:71]
	global_load_dword v17, v[18:19], off
	s_waitcnt vmcnt(0)
	v_bitop3_b32 v18, v17, v39, s86 bitop3:0x48
	v_cmp_eq_u32_e32 vcc, v18, v32
	s_and_b64 exec, exec, vcc
	s_cbranch_execz .LBB88_149
; %bb.153:                              ;   in Loop: Header=BB88_151 Depth=2
	ds_write_b64 v9, v[16:17] offset:3072
	s_branch .LBB88_149
.LBB88_154:                             ;   in Loop: Header=BB88_151 Depth=2
	v_add_u32_e32 v40, s67, v40
	v_cmp_le_u32_e32 vcc, s90, v40
	v_add_u32_e32 v8, s75, v8
	s_mov_b64 s[42:43], 0
	s_orn2_b64 s[40:41], vcc, exec
	s_branch .LBB88_150
.LBB88_155:                             ;   in Loop: Header=BB88_11 Depth=1
	s_or_b64 exec, exec, s[30:31]
	s_andn2_b64 s[24:25], s[34:35], exec
	s_and_b64 s[30:31], s[38:39], exec
	s_or_b64 s[34:35], s[24:25], s[30:31]
.LBB88_156:                             ;   in Loop: Header=BB88_11 Depth=1
	s_or_b64 exec, exec, s[28:29]
	s_mov_b64 s[28:29], 0
	s_mov_b64 s[30:31], -1
.LBB88_157:                             ;   in Loop: Header=BB88_11 Depth=1
	s_orn2_b64 s[38:39], s[34:35], exec
.LBB88_158:                             ;   in Loop: Header=BB88_11 Depth=1
	s_or_b64 exec, exec, s[14:15]
	s_mov_b64 s[14:15], 0
	s_and_saveexec_b64 s[34:35], s[38:39]
	s_cbranch_execz .LBB88_247
; %bb.159:                              ;   in Loop: Header=BB88_11 Depth=1
	s_xor_b64 s[24:25], s[36:37], -1
	s_mov_b64 s[42:43], 0
	v_mov_b32_e32 v40, 1
	v_mov_b32_e32 v3, 1
	s_and_saveexec_b64 s[14:15], s[24:25]
	s_cbranch_execz .LBB88_168
; %bb.160:                              ;   in Loop: Header=BB88_11 Depth=1
	v_cmp_ge_u32_e32 vcc, s48, v5
	s_and_saveexec_b64 s[24:25], vcc
	s_xor_b64 s[36:37], exec, s[24:25]
	s_cbranch_execz .LBB88_165
; %bb.161:                              ;   in Loop: Header=BB88_11 Depth=1
	ds_read_b32 v3, v9 offset:4104
	v_and_b32_e32 v8, v32, v4
	v_lshl_or_b32 v32, 1, v36, v8
	v_or_b32_e32 v39, v39, v2
	s_waitcnt lgkmcnt(0)
	v_cmp_ne_u32_e32 vcc, 0, v3
	s_cbranch_vccnz .LBB88_165
; %bb.162:                              ;   in Loop: Header=BB88_11 Depth=1
	s_and_saveexec_b64 s[38:39], s[22:23]
; %bb.163:                              ;   in Loop: Header=BB88_11 Depth=1
	v_mov_b32_e32 v3, s48
	ds_write_b32 v9, v3 offset:4108
; %bb.164:                              ;   in Loop: Header=BB88_11 Depth=1
	s_or_b64 exec, exec, s[38:39]
	s_waitcnt lgkmcnt(0)
	s_barrier
.LBB88_165:                             ;   in Loop: Header=BB88_11 Depth=1
	s_or_saveexec_b64 s[36:37], s[36:37]
	s_mov_b64 s[38:39], 0
	v_mov_b32_e32 v3, 8
	s_xor_b64 exec, exec, s[36:37]
; %bb.166:                              ;   in Loop: Header=BB88_11 Depth=1
	s_mov_b64 s[38:39], exec
	v_subrev_u32_e32 v5, s48, v5
	v_mov_b32_e32 v3, 0
; %bb.167:                              ;   in Loop: Header=BB88_11 Depth=1
	s_or_b64 exec, exec, s[36:37]
	s_and_b64 s[42:43], s[38:39], exec
	v_mov_b32_e32 v40, v5
.LBB88_168:                             ;   in Loop: Header=BB88_11 Depth=1
	s_or_b64 exec, exec, s[14:15]
	s_mov_b64 s[14:15], -1
                                        ; implicit-def: $sgpr38_sgpr39
                                        ; implicit-def: $sgpr40_sgpr41
	s_and_saveexec_b64 s[36:37], s[42:43]
	s_cbranch_execz .LBB88_246
; %bb.169:                              ;   in Loop: Header=BB88_11 Depth=1
	s_cmp_eq_u32 s56, 1
	s_cselect_b64 s[14:15], -1, 0
	v_cmp_eq_u32_e32 vcc, 1, v40
	s_and_b64 s[44:45], s[14:15], vcc
	s_mov_b64 s[46:47], -1
                                        ; implicit-def: $sgpr40_sgpr41
                                        ; implicit-def: $sgpr38_sgpr39
	s_and_saveexec_b64 s[14:15], s[44:45]
	s_cbranch_execz .LBB88_195
; %bb.170:                              ;   in Loop: Header=BB88_11 Depth=1
	ds_read_b32 v5, v9 offset:4104
	s_waitcnt lgkmcnt(0)
	s_barrier
	v_readfirstlane_b32 s8, v5
	s_and_saveexec_b64 s[38:39], s[6:7]
; %bb.171:                              ;   in Loop: Header=BB88_11 Depth=1
	ds_write_b32 v21, v9
; %bb.172:                              ;   in Loop: Header=BB88_11 Depth=1
	s_or_b64 exec, exec, s[38:39]
	v_and_b32_e32 v5, v32, v4
	v_lshl_or_b32 v32, 2, v36, v5
	v_or_b32_e32 v39, v39, v2
	s_mov_b64 s[38:39], -1
	s_mov_b64 s[40:41], 0
	s_cmp_eq_u32 s8, 0
	s_mov_b64 s[42:43], 0
	s_waitcnt lgkmcnt(0)
	s_barrier
                                        ; implicit-def: $vgpr19
	s_cbranch_scc1 .LBB88_183
; %bb.173:                              ;   in Loop: Header=BB88_11 Depth=1
	s_add_i32 s24, s8, s74
	s_mul_hi_u32 s25, s24, s89
	s_mul_i32 s25, s25, s67
	s_sub_i32 s25, s24, s25
	s_sub_i32 s42, s25, s67
	s_cmp_ge_u32 s25, s67
	s_cselect_b32 s25, s42, s25
	s_sub_i32 s42, s25, s67
	s_cmp_ge_u32 s25, s67
	s_cselect_b32 s25, s42, s25
	s_sub_i32 s24, s24, s25
	v_cmp_gt_u32_e32 vcc, s24, v0
	s_mov_b64 s[46:47], 0
	s_mov_b64 s[42:43], 0
                                        ; implicit-def: $vgpr19
	s_and_saveexec_b64 s[48:49], vcc
	s_cbranch_execz .LBB88_182
; %bb.174:                              ;   in Loop: Header=BB88_11 Depth=1
	v_mov_b32_e32 v5, v13
	v_mov_b32_e32 v8, v0
                                        ; implicit-def: $sgpr50_sgpr51
	s_branch .LBB88_177
.LBB88_175:                             ;   in Loop: Header=BB88_177 Depth=2
	s_or_b64 exec, exec, s[52:53]
	s_waitcnt lgkmcnt(0)
	s_barrier
	ds_read_b64 v[18:19], v9 offset:3072
	s_mov_b64 s[52:53], -1
	s_mov_b64 s[54:55], -1
	s_waitcnt lgkmcnt(0)
	s_barrier
	v_cmp_ne_u32_e32 vcc, 0, v18
	s_cbranch_vccz .LBB88_180
.LBB88_176:                             ;   in Loop: Header=BB88_177 Depth=2
	s_and_b64 s[52:53], exec, s[52:53]
	s_or_b64 s[42:43], s[52:53], s[42:43]
	s_andn2_b64 s[50:51], s[50:51], exec
	s_and_b64 s[52:53], s[54:55], exec
	s_or_b64 s[50:51], s[50:51], s[52:53]
	s_andn2_b64 exec, exec, s[42:43]
	s_cbranch_execz .LBB88_181
.LBB88_177:                             ;   Parent Loop BB88_11 Depth=1
                                        ; =>  This Inner Loop Header: Depth=2
	v_cmp_gt_u32_e32 vcc, s8, v8
	s_and_saveexec_b64 s[52:53], vcc
	s_cbranch_execz .LBB88_175
; %bb.178:                              ;   in Loop: Header=BB88_177 Depth=2
	ds_read_b32 v17, v5
	s_waitcnt lgkmcnt(0)
	v_bitop3_b32 v18, v17, v39, s86 bitop3:0x48
	v_cmp_eq_u32_e32 vcc, v18, v32
	s_and_b64 exec, exec, vcc
	s_cbranch_execz .LBB88_175
; %bb.179:                              ;   in Loop: Header=BB88_177 Depth=2
	ds_write_b64 v9, v[16:17] offset:3072
	s_branch .LBB88_175
.LBB88_180:                             ;   in Loop: Header=BB88_177 Depth=2
	v_add_u32_e32 v8, s67, v8
	v_cmp_le_u32_e32 vcc, s24, v8
	v_add_u32_e32 v5, s65, v5
	s_mov_b64 s[54:55], 0
	s_orn2_b64 s[52:53], vcc, exec
	s_branch .LBB88_176
.LBB88_181:                             ;   in Loop: Header=BB88_11 Depth=1
	s_or_b64 exec, exec, s[42:43]
	s_and_b64 s[42:43], s[50:51], exec
.LBB88_182:                             ;   in Loop: Header=BB88_11 Depth=1
	s_or_b64 exec, exec, s[48:49]
.LBB88_183:                             ;   in Loop: Header=BB88_11 Depth=1
	s_and_b64 vcc, exec, s[46:47]
	s_cbranch_vccz .LBB88_194
; %bb.184:                              ;   in Loop: Header=BB88_11 Depth=1
                                        ; implicit-def: $vgpr19
	s_and_saveexec_b64 s[38:39], s[20:21]
	s_cbranch_execz .LBB88_193
; %bb.185:                              ;   in Loop: Header=BB88_11 Depth=1
	s_mov_b64 s[40:41], 0
	v_mov_b32_e32 v8, v6
	v_mov_b32_e32 v5, v0
                                        ; implicit-def: $sgpr46_sgpr47
	s_branch .LBB88_188
.LBB88_186:                             ;   in Loop: Header=BB88_188 Depth=2
	s_or_b64 exec, exec, s[48:49]
	s_waitcnt lgkmcnt(0)
	s_barrier
	ds_read_b64 v[18:19], v9 offset:3072
	s_mov_b64 s[48:49], -1
	s_mov_b64 s[50:51], -1
	s_waitcnt lgkmcnt(0)
	s_barrier
	v_cmp_eq_u32_e32 vcc, 0, v18
	s_cbranch_vccnz .LBB88_191
.LBB88_187:                             ;   in Loop: Header=BB88_188 Depth=2
	s_and_b64 s[24:25], exec, s[48:49]
	s_or_b64 s[40:41], s[24:25], s[40:41]
	s_andn2_b64 s[24:25], s[46:47], exec
	s_and_b64 s[46:47], s[50:51], exec
	s_or_b64 s[46:47], s[24:25], s[46:47]
	s_andn2_b64 exec, exec, s[40:41]
	s_cbranch_execz .LBB88_192
.LBB88_188:                             ;   Parent Loop BB88_11 Depth=1
                                        ; =>  This Inner Loop Header: Depth=2
	v_cmp_gt_u32_e32 vcc, s64, v5
	s_and_saveexec_b64 s[48:49], vcc
	s_cbranch_execz .LBB88_186
; %bb.189:                              ;   in Loop: Header=BB88_188 Depth=2
	v_lshl_add_u64 v[18:19], v[8:9], 2, s[70:71]
	global_load_dword v17, v[18:19], off
	s_waitcnt vmcnt(0)
	v_bitop3_b32 v18, v17, v39, s86 bitop3:0x48
	v_cmp_eq_u32_e32 vcc, v18, v32
	s_and_b64 exec, exec, vcc
	s_cbranch_execz .LBB88_186
; %bb.190:                              ;   in Loop: Header=BB88_188 Depth=2
	ds_write_b64 v9, v[16:17] offset:3072
	s_branch .LBB88_186
.LBB88_191:                             ;   in Loop: Header=BB88_188 Depth=2
	v_add_u32_e32 v5, s67, v5
	v_cmp_le_u32_e32 vcc, s90, v5
	v_add_u32_e32 v8, s75, v8
	s_mov_b64 s[50:51], 0
	s_orn2_b64 s[48:49], vcc, exec
	s_branch .LBB88_187
.LBB88_192:                             ;   in Loop: Header=BB88_11 Depth=1
	s_or_b64 exec, exec, s[40:41]
	s_andn2_b64 s[24:25], s[42:43], exec
	s_and_b64 s[40:41], s[46:47], exec
	s_or_b64 s[42:43], s[24:25], s[40:41]
.LBB88_193:                             ;   in Loop: Header=BB88_11 Depth=1
	s_or_b64 exec, exec, s[38:39]
	s_mov_b64 s[38:39], 0
	s_mov_b64 s[40:41], -1
.LBB88_194:                             ;   in Loop: Header=BB88_11 Depth=1
	s_orn2_b64 s[46:47], s[42:43], exec
.LBB88_195:                             ;   in Loop: Header=BB88_11 Depth=1
	s_or_b64 exec, exec, s[14:15]
	s_mov_b64 s[14:15], 0
	s_and_saveexec_b64 s[42:43], s[46:47]
	s_cbranch_execz .LBB88_245
; %bb.196:                              ;   in Loop: Header=BB88_11 Depth=1
	s_xor_b64 s[24:25], s[44:45], -1
	s_mov_b64 s[50:51], 0
	v_mov_b32_e32 v5, 1
	v_mov_b32_e32 v3, 1
	s_and_saveexec_b64 s[14:15], s[24:25]
	s_cbranch_execz .LBB88_205
; %bb.197:                              ;   in Loop: Header=BB88_11 Depth=1
	v_cmp_ge_u32_e32 vcc, s56, v40
	s_and_saveexec_b64 s[24:25], vcc
	s_xor_b64 s[44:45], exec, s[24:25]
	s_cbranch_execz .LBB88_202
; %bb.198:                              ;   in Loop: Header=BB88_11 Depth=1
	ds_read_b32 v3, v9 offset:4104
	v_and_b32_e32 v4, v32, v4
	v_lshl_or_b32 v32, 2, v36, v4
	v_or_b32_e32 v39, v39, v2
	s_waitcnt lgkmcnt(0)
	v_cmp_ne_u32_e32 vcc, 0, v3
	s_cbranch_vccnz .LBB88_202
; %bb.199:                              ;   in Loop: Header=BB88_11 Depth=1
	s_and_saveexec_b64 s[46:47], s[22:23]
; %bb.200:                              ;   in Loop: Header=BB88_11 Depth=1
	v_mov_b32_e32 v3, s56
	ds_write_b32 v9, v3 offset:4108
; %bb.201:                              ;   in Loop: Header=BB88_11 Depth=1
	s_or_b64 exec, exec, s[46:47]
	s_waitcnt lgkmcnt(0)
	s_barrier
.LBB88_202:                             ;   in Loop: Header=BB88_11 Depth=1
	s_or_saveexec_b64 s[44:45], s[44:45]
	s_mov_b64 s[46:47], 0
	v_mov_b32_e32 v3, 8
	s_xor_b64 exec, exec, s[44:45]
; %bb.203:                              ;   in Loop: Header=BB88_11 Depth=1
	s_mov_b64 s[46:47], exec
	v_subrev_u32_e32 v40, s56, v40
	v_mov_b32_e32 v3, 0
; %bb.204:                              ;   in Loop: Header=BB88_11 Depth=1
	s_or_b64 exec, exec, s[44:45]
	s_and_b64 s[50:51], s[46:47], exec
	v_mov_b32_e32 v5, v40
.LBB88_205:                             ;   in Loop: Header=BB88_11 Depth=1
	s_or_b64 exec, exec, s[14:15]
	s_mov_b64 s[14:15], -1
                                        ; implicit-def: $sgpr48_sgpr49
                                        ; implicit-def: $sgpr46_sgpr47
	s_and_saveexec_b64 s[44:45], s[50:51]
	s_cbranch_execz .LBB88_244
; %bb.206:                              ;   in Loop: Header=BB88_11 Depth=1
	s_cmp_eq_u32 s72, 1
	s_cselect_b64 s[14:15], -1, 0
	v_cmp_eq_u32_e32 vcc, 1, v5
	s_and_b64 s[50:51], s[14:15], vcc
	s_mov_b64 s[52:53], -1
                                        ; implicit-def: $sgpr48_sgpr49
                                        ; implicit-def: $sgpr46_sgpr47
	s_and_saveexec_b64 s[14:15], s[50:51]
	s_cbranch_execz .LBB88_232
; %bb.207:                              ;   in Loop: Header=BB88_11 Depth=1
	ds_read_b32 v4, v9 offset:4104
	s_waitcnt lgkmcnt(0)
	s_barrier
	v_readfirstlane_b32 s8, v4
	s_and_saveexec_b64 s[46:47], s[6:7]
; %bb.208:                              ;   in Loop: Header=BB88_11 Depth=1
	ds_write_b32 v21, v9
; %bb.209:                              ;   in Loop: Header=BB88_11 Depth=1
	s_or_b64 exec, exec, s[46:47]
	v_or_b32_e32 v32, v32, v2
	v_or_b32_e32 v39, v39, v2
	s_mov_b64 s[46:47], -1
	s_mov_b64 s[48:49], 0
	s_cmp_eq_u32 s8, 0
	s_mov_b64 s[52:53], 0
	s_mov_b64 s[54:55], -1
	s_waitcnt lgkmcnt(0)
	s_barrier
                                        ; implicit-def: $vgpr19
	s_cbranch_scc1 .LBB88_220
; %bb.210:                              ;   in Loop: Header=BB88_11 Depth=1
	s_add_i32 s24, s8, s74
	s_mul_hi_u32 s25, s24, s89
	s_mul_i32 s25, s25, s67
	s_sub_i32 s25, s24, s25
	s_sub_i32 s52, s25, s67
	s_cmp_ge_u32 s25, s67
	s_cselect_b32 s25, s52, s25
	s_sub_i32 s52, s25, s67
	s_cmp_ge_u32 s25, s67
	s_cselect_b32 s25, s52, s25
	s_sub_i32 s24, s24, s25
	v_cmp_gt_u32_e32 vcc, s24, v0
	s_mov_b64 s[54:55], 0
	s_mov_b64 s[52:53], 0
                                        ; implicit-def: $vgpr19
	s_and_saveexec_b64 s[56:57], vcc
	s_cbranch_execz .LBB88_219
; %bb.211:                              ;   in Loop: Header=BB88_11 Depth=1
	v_mov_b32_e32 v4, v13
	v_mov_b32_e32 v8, v0
                                        ; implicit-def: $sgpr58_sgpr59
	s_branch .LBB88_214
.LBB88_212:                             ;   in Loop: Header=BB88_214 Depth=2
	s_or_b64 exec, exec, s[60:61]
	s_waitcnt lgkmcnt(0)
	s_barrier
	ds_read_b64 v[18:19], v9 offset:3072
	s_mov_b64 s[60:61], -1
	s_mov_b64 s[62:63], -1
	s_waitcnt lgkmcnt(0)
	s_barrier
	v_cmp_ne_u32_e32 vcc, 0, v18
	s_cbranch_vccz .LBB88_217
.LBB88_213:                             ;   in Loop: Header=BB88_214 Depth=2
	s_and_b64 s[60:61], exec, s[60:61]
	s_or_b64 s[52:53], s[60:61], s[52:53]
	s_andn2_b64 s[58:59], s[58:59], exec
	s_and_b64 s[60:61], s[62:63], exec
	s_or_b64 s[58:59], s[58:59], s[60:61]
	s_andn2_b64 exec, exec, s[52:53]
	s_cbranch_execz .LBB88_218
.LBB88_214:                             ;   Parent Loop BB88_11 Depth=1
                                        ; =>  This Inner Loop Header: Depth=2
	v_cmp_gt_u32_e32 vcc, s8, v8
	s_and_saveexec_b64 s[60:61], vcc
	s_cbranch_execz .LBB88_212
; %bb.215:                              ;   in Loop: Header=BB88_214 Depth=2
	ds_read_b32 v17, v4
	s_waitcnt lgkmcnt(0)
	v_bitop3_b32 v18, v17, v39, s86 bitop3:0x48
	v_cmp_eq_u32_e32 vcc, v18, v32
	s_and_b64 exec, exec, vcc
	s_cbranch_execz .LBB88_212
; %bb.216:                              ;   in Loop: Header=BB88_214 Depth=2
	ds_write_b64 v9, v[16:17] offset:3072
	s_branch .LBB88_212
.LBB88_217:                             ;   in Loop: Header=BB88_214 Depth=2
	v_add_u32_e32 v8, s67, v8
	v_cmp_le_u32_e32 vcc, s24, v8
	v_add_u32_e32 v4, s65, v4
	s_mov_b64 s[62:63], 0
	s_orn2_b64 s[60:61], vcc, exec
	s_branch .LBB88_213
.LBB88_218:                             ;   in Loop: Header=BB88_11 Depth=1
	s_or_b64 exec, exec, s[52:53]
	s_and_b64 s[52:53], s[58:59], exec
.LBB88_219:                             ;   in Loop: Header=BB88_11 Depth=1
	s_or_b64 exec, exec, s[56:57]
.LBB88_220:                             ;   in Loop: Header=BB88_11 Depth=1
	s_and_b64 vcc, exec, s[54:55]
	s_cbranch_vccz .LBB88_231
; %bb.221:                              ;   in Loop: Header=BB88_11 Depth=1
                                        ; implicit-def: $vgpr19
	s_and_saveexec_b64 s[46:47], s[20:21]
	s_cbranch_execz .LBB88_230
; %bb.222:                              ;   in Loop: Header=BB88_11 Depth=1
	s_mov_b64 s[48:49], 0
	v_mov_b32_e32 v8, v6
	v_mov_b32_e32 v4, v0
                                        ; implicit-def: $sgpr54_sgpr55
	s_branch .LBB88_225
.LBB88_223:                             ;   in Loop: Header=BB88_225 Depth=2
	s_or_b64 exec, exec, s[56:57]
	s_waitcnt lgkmcnt(0)
	s_barrier
	ds_read_b64 v[18:19], v9 offset:3072
	s_mov_b64 s[56:57], -1
	s_mov_b64 s[58:59], -1
	s_waitcnt lgkmcnt(0)
	s_barrier
	v_cmp_eq_u32_e32 vcc, 0, v18
	s_cbranch_vccnz .LBB88_228
.LBB88_224:                             ;   in Loop: Header=BB88_225 Depth=2
	s_and_b64 s[24:25], exec, s[56:57]
	s_or_b64 s[48:49], s[24:25], s[48:49]
	s_andn2_b64 s[24:25], s[54:55], exec
	s_and_b64 s[54:55], s[58:59], exec
	s_or_b64 s[54:55], s[24:25], s[54:55]
	s_andn2_b64 exec, exec, s[48:49]
	s_cbranch_execz .LBB88_229
.LBB88_225:                             ;   Parent Loop BB88_11 Depth=1
                                        ; =>  This Inner Loop Header: Depth=2
	v_cmp_gt_u32_e32 vcc, s64, v4
	s_and_saveexec_b64 s[56:57], vcc
	s_cbranch_execz .LBB88_223
; %bb.226:                              ;   in Loop: Header=BB88_225 Depth=2
	v_lshl_add_u64 v[18:19], v[8:9], 2, s[70:71]
	global_load_dword v17, v[18:19], off
	s_waitcnt vmcnt(0)
	v_bitop3_b32 v18, v17, v39, s86 bitop3:0x48
	v_cmp_eq_u32_e32 vcc, v18, v32
	s_and_b64 exec, exec, vcc
	s_cbranch_execz .LBB88_223
; %bb.227:                              ;   in Loop: Header=BB88_225 Depth=2
	ds_write_b64 v9, v[16:17] offset:3072
	s_branch .LBB88_223
.LBB88_228:                             ;   in Loop: Header=BB88_225 Depth=2
	v_add_u32_e32 v4, s67, v4
	v_cmp_le_u32_e32 vcc, s90, v4
	v_add_u32_e32 v8, s75, v8
	s_mov_b64 s[58:59], 0
	s_orn2_b64 s[56:57], vcc, exec
	s_branch .LBB88_224
.LBB88_229:                             ;   in Loop: Header=BB88_11 Depth=1
	s_or_b64 exec, exec, s[48:49]
	s_andn2_b64 s[24:25], s[52:53], exec
	s_and_b64 s[48:49], s[54:55], exec
	s_or_b64 s[52:53], s[24:25], s[48:49]
.LBB88_230:                             ;   in Loop: Header=BB88_11 Depth=1
	s_or_b64 exec, exec, s[46:47]
	s_mov_b64 s[46:47], 0
	s_mov_b64 s[48:49], -1
.LBB88_231:                             ;   in Loop: Header=BB88_11 Depth=1
	s_orn2_b64 s[52:53], s[52:53], exec
.LBB88_232:                             ;   in Loop: Header=BB88_11 Depth=1
	s_or_b64 exec, exec, s[14:15]
	s_mov_b64 s[54:55], 0
	s_and_saveexec_b64 s[14:15], s[52:53]
	s_cbranch_execz .LBB88_243
; %bb.233:                              ;   in Loop: Header=BB88_11 Depth=1
	s_xor_b64 s[24:25], s[50:51], -1
	v_mov_b32_e32 v3, 1
	v_mov_b32_e32 v4, 1
	s_and_saveexec_b64 s[50:51], s[24:25]
	s_cbranch_execz .LBB88_242
; %bb.234:                              ;   in Loop: Header=BB88_11 Depth=1
	v_cmp_ge_u32_e32 vcc, s72, v5
	s_and_saveexec_b64 s[24:25], vcc
	s_xor_b64 s[52:53], exec, s[24:25]
	s_cbranch_execz .LBB88_239
; %bb.235:                              ;   in Loop: Header=BB88_11 Depth=1
	ds_read_b32 v3, v9 offset:4104
	v_or_b32_e32 v32, v32, v2
	v_or_b32_e32 v39, v39, v2
	s_waitcnt lgkmcnt(0)
	v_cmp_ne_u32_e32 vcc, 0, v3
	s_cbranch_vccnz .LBB88_239
; %bb.236:                              ;   in Loop: Header=BB88_11 Depth=1
	s_and_saveexec_b64 s[54:55], s[22:23]
; %bb.237:                              ;   in Loop: Header=BB88_11 Depth=1
	v_mov_b32_e32 v2, s72
	ds_write_b32 v9, v2 offset:4108
; %bb.238:                              ;   in Loop: Header=BB88_11 Depth=1
	s_or_b64 exec, exec, s[54:55]
	s_waitcnt lgkmcnt(0)
	s_barrier
.LBB88_239:                             ;   in Loop: Header=BB88_11 Depth=1
	s_andn2_saveexec_b64 s[52:53], s[52:53]
; %bb.240:                              ;   in Loop: Header=BB88_11 Depth=1
	v_subrev_u32_e32 v5, s72, v5
; %bb.241:                              ;   in Loop: Header=BB88_11 Depth=1
	s_or_b64 exec, exec, s[52:53]
	v_mov_b32_e32 v3, 8
	v_mov_b32_e32 v4, v5
.LBB88_242:                             ;   in Loop: Header=BB88_11 Depth=1
	s_or_b64 exec, exec, s[50:51]
	s_mov_b64 s[54:55], exec
	v_mov_b32_e32 v5, v4
.LBB88_243:                             ;   in Loop: Header=BB88_11 Depth=1
	s_or_b64 exec, exec, s[14:15]
	s_orn2_b64 s[14:15], s[54:55], exec
.LBB88_244:                             ;   in Loop: Header=BB88_11 Depth=1
	s_or_b64 exec, exec, s[44:45]
	s_andn2_b64 s[24:25], s[40:41], exec
	s_and_b64 s[40:41], s[48:49], exec
	s_or_b64 s[40:41], s[24:25], s[40:41]
	s_andn2_b64 s[24:25], s[38:39], exec
	s_and_b64 s[38:39], s[46:47], exec
	s_or_b64 s[38:39], s[24:25], s[38:39]
	s_and_b64 s[14:15], s[14:15], exec
	v_mov_b32_e32 v40, v5
.LBB88_245:                             ;   in Loop: Header=BB88_11 Depth=1
	s_or_b64 exec, exec, s[42:43]
	s_orn2_b64 s[14:15], s[14:15], exec
.LBB88_246:                             ;   in Loop: Header=BB88_11 Depth=1
	s_or_b64 exec, exec, s[36:37]
	s_andn2_b64 s[24:25], s[30:31], exec
	s_and_b64 s[30:31], s[40:41], exec
	s_or_b64 s[30:31], s[24:25], s[30:31]
	s_andn2_b64 s[24:25], s[28:29], exec
	s_and_b64 s[28:29], s[38:39], exec
	s_or_b64 s[28:29], s[24:25], s[28:29]
	s_and_b64 s[14:15], s[14:15], exec
	v_mov_b32_e32 v5, v40
.LBB88_247:                             ;   in Loop: Header=BB88_11 Depth=1
	s_or_b64 exec, exec, s[34:35]
	s_orn2_b64 s[14:15], s[14:15], exec
.LBB88_248:                             ;   in Loop: Header=BB88_11 Depth=1
	s_or_b64 exec, exec, s[26:27]
	s_mov_b64 s[26:27], 0
	s_and_saveexec_b64 s[24:25], s[14:15]
	s_xor_b64 s[14:15], exec, s[24:25]
	s_cbranch_execz .LBB88_9
; %bb.249:                              ;   in Loop: Header=BB88_11 Depth=1
	v_and_b32_e32 v2, 7, v3
	v_cmp_eq_u32_e32 vcc, 0, v2
	s_mov_b64 s[2:3], -1
	s_mov_b64 s[26:27], -1
	s_and_saveexec_b64 s[34:35], vcc
	s_cbranch_execz .LBB88_8
; %bb.250:                              ;   in Loop: Header=BB88_11 Depth=1
	v_add_u32_e32 v2, -2, v36
	v_cmp_eq_u32_e32 vcc, 0, v36
	v_xor_b32_e32 v38, 1, v38
	s_xor_b64 s[26:27], exec, -1
	s_orn2_b64 s[2:3], vcc, exec
	v_mov_b32_e32 v36, v2
	s_branch .LBB88_8
.LBB88_251:
	s_or_b64 exec, exec, s[92:93]
	s_xor_b64 s[6:7], s[98:99], -1
	s_xor_b64 s[0:1], s[94:95], -1
	;; [unrolled: 1-line block ×3, first 2 shown]
	s_mov_b64 s[2:3], 0
	s_and_saveexec_b64 s[8:9], s[0:1]
	s_xor_b64 s[0:1], exec, s[8:9]
	s_cbranch_execnz .LBB88_256
; %bb.252:
	s_andn2_saveexec_b64 s[0:1], s[0:1]
	s_cbranch_execnz .LBB88_269
.LBB88_253:
	s_or_b64 exec, exec, s[0:1]
	s_and_saveexec_b64 s[0:1], s[2:3]
.LBB88_254:
	; divergent unreachable
.LBB88_255:
	s_endpgm
.LBB88_256:
	s_and_saveexec_b64 s[2:3], s[6:7]
	s_xor_b64 s[2:3], exec, s[2:3]
	s_cbranch_execz .LBB88_267
; %bb.257:
	s_and_saveexec_b64 s[6:7], s[4:5]
	s_xor_b64 s[4:5], exec, s[6:7]
; %bb.258:
	v_xor_b32_e32 v19, 0x80000000, v32
; %bb.259:
	s_or_b64 exec, exec, s[4:5]
	v_readlane_b32 s18, v68, 6
	v_readlane_b32 s4, v68, 5
	s_mul_i32 s4, s4, s18
	s_mov_b32 s5, 0
	s_lshl_b64 s[4:5], s[4:5], 2
	v_readlane_b32 s6, v68, 2
	v_readlane_b32 s7, v68, 3
	s_add_u32 s4, s6, s4
	s_addc_u32 s5, s7, s5
	v_mov_b32_e32 v7, 0
	global_store_dword v7, v19, s[4:5]
	s_mov_b64 s[4:5], exec
	v_readlane_b32 s6, v68, 7
	v_readlane_b32 s7, v68, 8
	s_and_b64 s[6:7], s[4:5], s[6:7]
	s_mov_b64 exec, s[6:7]
	s_cbranch_execz .LBB88_266
; %bb.260:
	s_mov_b64 s[6:7], 0
                                        ; implicit-def: $sgpr8_sgpr9
                                        ; implicit-def: $sgpr12_sgpr13
                                        ; implicit-def: $sgpr10_sgpr11
	s_branch .LBB88_262
.LBB88_261:                             ;   in Loop: Header=BB88_262 Depth=1
	s_or_b64 exec, exec, s[14:15]
	s_and_b64 s[14:15], exec, s[12:13]
	s_or_b64 s[6:7], s[14:15], s[6:7]
	s_andn2_b64 s[8:9], s[8:9], exec
	s_and_b64 s[14:15], s[10:11], exec
	s_or_b64 s[8:9], s[8:9], s[14:15]
	s_andn2_b64 exec, exec, s[6:7]
	s_cbranch_execz .LBB88_264
.LBB88_262:                             ; =>This Inner Loop Header: Depth=1
	v_lshl_add_u64 v[2:3], v[6:7], 2, s[70:71]
	global_load_dword v1, v[2:3], off
	v_mov_b32_e32 v2, v0
	s_or_b64 s[10:11], s[10:11], exec
	s_or_b64 s[12:13], s[12:13], exec
                                        ; implicit-def: $vgpr0
	s_waitcnt vmcnt(0)
	v_cmp_ne_u32_e32 vcc, v1, v19
	s_and_saveexec_b64 s[14:15], vcc
	s_cbranch_execz .LBB88_261
; %bb.263:                              ;   in Loop: Header=BB88_262 Depth=1
	v_add_u32_e32 v0, s67, v2
	v_cmp_le_u32_e32 vcc, s64, v0
	s_andn2_b64 s[12:13], s[12:13], exec
	s_and_b64 s[16:17], vcc, exec
	v_add_u32_e32 v6, s75, v6
	s_andn2_b64 s[10:11], s[10:11], exec
	s_or_b64 s[12:13], s[12:13], s[16:17]
	s_branch .LBB88_261
.LBB88_264:
	s_or_b64 exec, exec, s[6:7]
	s_and_saveexec_b64 s[6:7], s[8:9]
	s_xor_b64 s[6:7], exec, s[6:7]
	s_cbranch_execz .LBB88_266
; %bb.265:
	v_readlane_b32 s6, v68, 4
	s_mul_i32 s6, s6, s18
	s_mov_b32 s7, 0
	s_lshl_b64 s[6:7], s[6:7], 3
	v_readlane_b32 s8, v68, 0
	v_readlane_b32 s9, v68, 1
	s_add_u32 s6, s8, s6
	s_addc_u32 s7, s9, s7
	v_mov_b32_e32 v3, 0
	global_store_dwordx2 v3, v[2:3], s[6:7]
.LBB88_266:
	s_or_b64 exec, exec, s[4:5]
.LBB88_267:
	s_or_saveexec_b64 s[2:3], s[2:3]
	s_mov_b64 s[4:5], 0
	s_xor_b64 exec, exec, s[2:3]
	s_cbranch_execnz .LBB88_270
.LBB88_268:
	s_or_b64 exec, exec, s[2:3]
	s_and_b64 s[2:3], s[4:5], exec
	s_andn2_saveexec_b64 s[0:1], s[0:1]
	s_cbranch_execz .LBB88_253
.LBB88_269:
	s_or_b64 s[2:3], s[2:3], exec
	s_trap 2
	s_or_b64 exec, exec, s[0:1]
	s_and_saveexec_b64 s[0:1], s[2:3]
	s_cbranch_execnz .LBB88_254
	s_branch .LBB88_255
.LBB88_270:
	s_mov_b64 s[4:5], exec
	s_trap 2
	s_branch .LBB88_268
	.section	.rodata,"a",@progbits
	.p2align	6, 0x0
	.amdhsa_kernel _ZN2at6native12_GLOBAL__N_112gatherMedianIijLi1EEEvNS_4cuda6detail10TensorInfoIT_T0_EENS5_IlS7_EENS5_IKS6_S7_EES7_S7_S7_b
		.amdhsa_group_segment_fixed_size 4120
		.amdhsa_private_segment_fixed_size 0
		.amdhsa_kernarg_size 920
		.amdhsa_user_sgpr_count 2
		.amdhsa_user_sgpr_dispatch_ptr 0
		.amdhsa_user_sgpr_queue_ptr 0
		.amdhsa_user_sgpr_kernarg_segment_ptr 1
		.amdhsa_user_sgpr_dispatch_id 0
		.amdhsa_user_sgpr_kernarg_preload_length 0
		.amdhsa_user_sgpr_kernarg_preload_offset 0
		.amdhsa_user_sgpr_private_segment_size 0
		.amdhsa_uses_dynamic_stack 0
		.amdhsa_enable_private_segment 0
		.amdhsa_system_sgpr_workgroup_id_x 1
		.amdhsa_system_sgpr_workgroup_id_y 1
		.amdhsa_system_sgpr_workgroup_id_z 1
		.amdhsa_system_sgpr_workgroup_info 0
		.amdhsa_system_vgpr_workitem_id 0
		.amdhsa_next_free_vgpr 69
		.amdhsa_next_free_sgpr 100
		.amdhsa_accum_offset 72
		.amdhsa_reserve_vcc 1
		.amdhsa_float_round_mode_32 0
		.amdhsa_float_round_mode_16_64 0
		.amdhsa_float_denorm_mode_32 3
		.amdhsa_float_denorm_mode_16_64 3
		.amdhsa_dx10_clamp 1
		.amdhsa_ieee_mode 1
		.amdhsa_fp16_overflow 0
		.amdhsa_tg_split 0
		.amdhsa_exception_fp_ieee_invalid_op 0
		.amdhsa_exception_fp_denorm_src 0
		.amdhsa_exception_fp_ieee_div_zero 0
		.amdhsa_exception_fp_ieee_overflow 0
		.amdhsa_exception_fp_ieee_underflow 0
		.amdhsa_exception_fp_ieee_inexact 0
		.amdhsa_exception_int_div_zero 0
	.end_amdhsa_kernel
	.section	.text._ZN2at6native12_GLOBAL__N_112gatherMedianIijLi1EEEvNS_4cuda6detail10TensorInfoIT_T0_EENS5_IlS7_EENS5_IKS6_S7_EES7_S7_S7_b,"axG",@progbits,_ZN2at6native12_GLOBAL__N_112gatherMedianIijLi1EEEvNS_4cuda6detail10TensorInfoIT_T0_EENS5_IlS7_EENS5_IKS6_S7_EES7_S7_S7_b,comdat
.Lfunc_end88:
	.size	_ZN2at6native12_GLOBAL__N_112gatherMedianIijLi1EEEvNS_4cuda6detail10TensorInfoIT_T0_EENS5_IlS7_EENS5_IKS6_S7_EES7_S7_S7_b, .Lfunc_end88-_ZN2at6native12_GLOBAL__N_112gatherMedianIijLi1EEEvNS_4cuda6detail10TensorInfoIT_T0_EENS5_IlS7_EENS5_IKS6_S7_EES7_S7_S7_b
                                        ; -- End function
	.set _ZN2at6native12_GLOBAL__N_112gatherMedianIijLi1EEEvNS_4cuda6detail10TensorInfoIT_T0_EENS5_IlS7_EENS5_IKS6_S7_EES7_S7_S7_b.num_vgpr, 69
	.set _ZN2at6native12_GLOBAL__N_112gatherMedianIijLi1EEEvNS_4cuda6detail10TensorInfoIT_T0_EENS5_IlS7_EENS5_IKS6_S7_EES7_S7_S7_b.num_agpr, 0
	.set _ZN2at6native12_GLOBAL__N_112gatherMedianIijLi1EEEvNS_4cuda6detail10TensorInfoIT_T0_EENS5_IlS7_EENS5_IKS6_S7_EES7_S7_S7_b.numbered_sgpr, 100
	.set _ZN2at6native12_GLOBAL__N_112gatherMedianIijLi1EEEvNS_4cuda6detail10TensorInfoIT_T0_EENS5_IlS7_EENS5_IKS6_S7_EES7_S7_S7_b.num_named_barrier, 0
	.set _ZN2at6native12_GLOBAL__N_112gatherMedianIijLi1EEEvNS_4cuda6detail10TensorInfoIT_T0_EENS5_IlS7_EENS5_IKS6_S7_EES7_S7_S7_b.private_seg_size, 0
	.set _ZN2at6native12_GLOBAL__N_112gatherMedianIijLi1EEEvNS_4cuda6detail10TensorInfoIT_T0_EENS5_IlS7_EENS5_IKS6_S7_EES7_S7_S7_b.uses_vcc, 1
	.set _ZN2at6native12_GLOBAL__N_112gatherMedianIijLi1EEEvNS_4cuda6detail10TensorInfoIT_T0_EENS5_IlS7_EENS5_IKS6_S7_EES7_S7_S7_b.uses_flat_scratch, 0
	.set _ZN2at6native12_GLOBAL__N_112gatherMedianIijLi1EEEvNS_4cuda6detail10TensorInfoIT_T0_EENS5_IlS7_EENS5_IKS6_S7_EES7_S7_S7_b.has_dyn_sized_stack, 0
	.set _ZN2at6native12_GLOBAL__N_112gatherMedianIijLi1EEEvNS_4cuda6detail10TensorInfoIT_T0_EENS5_IlS7_EENS5_IKS6_S7_EES7_S7_S7_b.has_recursion, 0
	.set _ZN2at6native12_GLOBAL__N_112gatherMedianIijLi1EEEvNS_4cuda6detail10TensorInfoIT_T0_EENS5_IlS7_EENS5_IKS6_S7_EES7_S7_S7_b.has_indirect_call, 0
	.section	.AMDGPU.csdata,"",@progbits
; Kernel info:
; codeLenInByte = 10028
; TotalNumSgprs: 106
; NumVgprs: 69
; NumAgprs: 0
; TotalNumVgprs: 69
; ScratchSize: 0
; MemoryBound: 0
; FloatMode: 240
; IeeeMode: 1
; LDSByteSize: 4120 bytes/workgroup (compile time only)
; SGPRBlocks: 13
; VGPRBlocks: 8
; NumSGPRsForWavesPerEU: 106
; NumVGPRsForWavesPerEU: 69
; AccumOffset: 72
; Occupancy: 7
; WaveLimiterHint : 1
; COMPUTE_PGM_RSRC2:SCRATCH_EN: 0
; COMPUTE_PGM_RSRC2:USER_SGPR: 2
; COMPUTE_PGM_RSRC2:TRAP_HANDLER: 0
; COMPUTE_PGM_RSRC2:TGID_X_EN: 1
; COMPUTE_PGM_RSRC2:TGID_Y_EN: 1
; COMPUTE_PGM_RSRC2:TGID_Z_EN: 1
; COMPUTE_PGM_RSRC2:TIDIG_COMP_CNT: 0
; COMPUTE_PGM_RSRC3_GFX90A:ACCUM_OFFSET: 17
; COMPUTE_PGM_RSRC3_GFX90A:TG_SPLIT: 0
	.section	.text._ZN2at6native12_GLOBAL__N_112gatherMedianIijLi2EEEvNS_4cuda6detail10TensorInfoIT_T0_EENS5_IlS7_EENS5_IKS6_S7_EES7_S7_S7_b,"axG",@progbits,_ZN2at6native12_GLOBAL__N_112gatherMedianIijLi2EEEvNS_4cuda6detail10TensorInfoIT_T0_EENS5_IlS7_EENS5_IKS6_S7_EES7_S7_S7_b,comdat
	.globl	_ZN2at6native12_GLOBAL__N_112gatherMedianIijLi2EEEvNS_4cuda6detail10TensorInfoIT_T0_EENS5_IlS7_EENS5_IKS6_S7_EES7_S7_S7_b ; -- Begin function _ZN2at6native12_GLOBAL__N_112gatherMedianIijLi2EEEvNS_4cuda6detail10TensorInfoIT_T0_EENS5_IlS7_EENS5_IKS6_S7_EES7_S7_S7_b
	.p2align	8
	.type	_ZN2at6native12_GLOBAL__N_112gatherMedianIijLi2EEEvNS_4cuda6detail10TensorInfoIT_T0_EENS5_IlS7_EENS5_IKS6_S7_EES7_S7_S7_b,@function
_ZN2at6native12_GLOBAL__N_112gatherMedianIijLi2EEEvNS_4cuda6detail10TensorInfoIT_T0_EENS5_IlS7_EENS5_IKS6_S7_EES7_S7_S7_b: ; @_ZN2at6native12_GLOBAL__N_112gatherMedianIijLi2EEEvNS_4cuda6detail10TensorInfoIT_T0_EENS5_IlS7_EENS5_IKS6_S7_EES7_S7_S7_b
; %bb.0:
	s_load_dwordx2 s[10:11], s[0:1], 0x298
	s_load_dwordx4 s[64:67], s[0:1], 0x288
	s_add_u32 s8, s0, 0x298
	s_addc_u32 s9, s1, 0
	s_waitcnt lgkmcnt(0)
	s_mul_i32 s4, s11, s4
	s_add_i32 s3, s4, s3
	s_mul_i32 s3, s3, s10
	s_add_i32 s87, s3, s2
	s_cmp_ge_u32 s87, s65
	s_cbranch_scc1 .LBB89_255
; %bb.1:
	s_load_dword s3, s[0:1], 0xc
	s_load_dword s4, s[0:1], 0xe4
	;; [unrolled: 1-line block ×3, first 2 shown]
                                        ; implicit-def: $vgpr70 : SGPR spill to VGPR lane
	v_cmp_eq_u32_e64 s[22:23], 0, v0
	s_waitcnt lgkmcnt(0)
	v_cvt_f32_u32_e32 v1, s3
	v_cvt_f32_u32_e32 v2, s4
	;; [unrolled: 1-line block ×3, first 2 shown]
	v_writelane_b32 v70, s3, 0
	v_rcp_iflag_f32_e32 v1, v1
	v_rcp_iflag_f32_e32 v2, v2
	;; [unrolled: 1-line block ×3, first 2 shown]
	v_writelane_b32 v70, s4, 1
	v_mul_f32_e32 v1, 0x4f7ffffe, v1
	v_mul_f32_e32 v2, 0x4f7ffffe, v2
	v_cvt_u32_f32_e32 v2, v2
	v_mul_f32_e32 v3, 0x4f7ffffe, v3
	v_cvt_u32_f32_e32 v1, v1
	v_cvt_u32_f32_e32 v3, v3
	s_sub_i32 s4, 0, s4
	v_readfirstlane_b32 s13, v2
	s_mul_i32 s4, s4, s13
	s_mul_hi_u32 s6, s13, s4
	s_sub_i32 s4, 0, s11
	s_sub_i32 s3, 0, s3
	v_readfirstlane_b32 s12, v1
	v_mul_lo_u32 v1, s4, v3
	s_mul_i32 s3, s3, s12
	v_mul_hi_u32 v1, v3, v1
	s_mul_hi_u32 s3, s12, s3
	v_add_u32_e32 v1, v3, v1
	s_and_saveexec_b64 s[4:5], s[22:23]
; %bb.2:
	v_mov_b32_e32 v2, 0
	v_mov_b32_e32 v3, v2
	ds_write_b64 v2, v[2:3] offset:4096
; %bb.3:
	s_or_b64 exec, exec, s[4:5]
	v_mov_b32_e32 v2, 0
	s_waitcnt lgkmcnt(0)
	s_barrier
	s_barrier
	ds_read_b64 v[2:3], v2 offset:4096
	s_add_i32 s12, s12, s3
	s_add_i32 s13, s13, s6
	s_load_dwordx2 s[4:5], s[0:1], 0x21c
	s_bitcmp1_b32 s67, 0
	s_waitcnt lgkmcnt(0)
	v_readfirstlane_b32 s6, v2
	v_readfirstlane_b32 s7, v3
	s_cselect_b64 s[14:15], -1, 0
	v_mul_hi_u32 v1, s87, v1
	v_cmp_lt_i64_e64 s[16:17], s[6:7], 1
	s_or_b64 s[14:15], s[14:15], s[16:17]
	s_andn2_b64 vcc, exec, s[14:15]
	s_mov_b32 s3, s64
	s_cbranch_vccnz .LBB89_5
; %bb.4:
	s_not_b64 s[6:7], s[6:7]
	s_add_u32 s3, s6, s64
	s_addc_u32 s7, s7, 0
	s_lshr_b32 s6, s7, 31
	s_add_u32 s6, s3, s6
	s_addc_u32 s7, s7, 0
	s_lshr_b64 s[6:7], s[6:7], 1
	s_add_i32 s3, s6, 1
.LBB89_5:
	s_load_dwordx2 s[6:7], s[0:1], 0x144
                                        ; kill: killed $sgpr0 killed $sgpr1
	s_waitcnt lgkmcnt(0)
	v_writelane_b32 v70, s6, 2
	s_nop 1
	v_writelane_b32 v70, s7, 3
	s_load_dwordx2 s[6:7], s[0:1], 0xd8
	s_waitcnt lgkmcnt(0)
	v_writelane_b32 v70, s6, 4
	s_nop 1
	v_writelane_b32 v70, s7, 5
	s_load_dwordx2 s[6:7], s[0:1], 0x6c
	;; [unrolled: 5-line block ×4, first 2 shown]
	s_mul_hi_u32 s0, s87, s12
	v_writelane_b32 v70, s0, 10
	s_mul_hi_u32 s0, s87, s13
	v_writelane_b32 v70, s0, 11
	s_and_saveexec_b64 s[0:1], s[22:23]
	s_cbranch_execz .LBB89_7
; %bb.6:
	v_mov_b32_e32 v2, 0
	v_mov_b32_e32 v3, s64
	ds_write_b32 v2, v2 offset:4112
	ds_write_b64 v2, v[2:3] offset:4104
.LBB89_7:
	s_or_b64 exec, exec, s[0:1]
	v_mul_lo_u32 v2, v1, s11
	v_sub_u32_e32 v2, s87, v2
	v_add_u32_e32 v3, 1, v1
	v_subrev_u32_e32 v4, s11, v2
	v_cmp_le_u32_e32 vcc, s11, v2
	s_waitcnt lgkmcnt(0)
	s_barrier
	v_cndmask_b32_e32 v1, v1, v3, vcc
	v_cndmask_b32_e32 v2, v2, v4, vcc
	v_add_u32_e32 v3, 1, v1
	v_cmp_le_u32_e32 vcc, s11, v2
	v_mov_b32_e32 v11, 0
	s_nop 0
	v_cndmask_b32_e32 v1, v1, v3, vcc
	v_mul_lo_u32 v2, v1, s11
	s_load_dword s11, s[8:9], 0xc
	v_sub_u32_e32 v2, s87, v2
	v_mul_lo_u32 v2, v2, s5
	v_mul_lo_u32 v1, v1, s4
	v_add_u32_e32 v10, v1, v2
	v_mbcnt_lo_u32_b32 v1, -1, 0
	s_waitcnt lgkmcnt(0)
	s_and_b32 s75, s11, 0xffff
	v_mbcnt_hi_u32_b32 v22, -1, v1
	v_cmp_gt_u32_e32 vcc, 64, v0
	v_cmp_gt_i32_e64 s[0:1], 4, v22
	s_add_i32 s67, s75, -1
	s_lshl_b32 s76, s75, 2
	s_and_b64 s[78:79], vcc, s[0:1]
	s_add_i32 s0, s67, s64
	v_lshlrev_b64 v[2:3], 2, v[10:11]
	s_cmpk_gt_u32 s64, 0x300
	v_lshl_add_u64 v[6:7], s[6:7], 0, v[2:3]
	s_cselect_b64 s[80:81], -1, 0
	s_cmp_gt_u32 s75, 63
	v_lshlrev_b64 v[2:3], v22, -1
	s_cselect_b64 s[82:83], -1, 0
	v_not_b32_e32 v14, v2
	v_lshrrev_b32_e32 v2, 2, v0
	s_cmp_lt_u32 s2, s10
	v_and_b32_e32 v2, 0xf0, v2
	s_cselect_b32 s1, 12, 18
	v_or_b32_e32 v24, 0xc00, v2
	s_add_u32 s8, s8, s1
	v_add_u32_e32 v2, 2, v0
	s_addc_u32 s9, s9, 0
	v_max_u32_e32 v2, s64, v2
	v_writelane_b32 v70, s8, 12
	v_xad_u32 v2, v0, -1, v2
	v_not_b32_e32 v1, v3
	v_writelane_b32 v70, s9, 13
	v_add_u32_e32 v3, -2, v2
	s_bfe_u32 s8, s11, 0xa0006
	v_cmp_lt_u32_e64 s[10:11], 29, v2
	v_lshrrev_b32_e32 v5, 1, v3
	v_add_u32_e32 v5, 1, v5
	v_writelane_b32 v70, s10, 14
	v_and_b32_e32 v18, 7, v5
	s_add_i32 s1, s8, -2
	v_writelane_b32 v70, s11, 15
	v_cmp_lt_u32_e64 s[10:11], 13, v3
	s_lshr_b32 s2, s1, 1
	v_and_b32_e32 v25, -2, v2
	v_writelane_b32 v70, s10, 16
	s_add_i32 s2, s2, 1
	s_cmpk_gt_u32 s75, 0x7f
	v_writelane_b32 v70, s11, 17
	v_cmp_ne_u32_e64 s[10:11], 0, v18
	v_lshlrev_b32_e32 v15, 2, v0
	v_mul_lo_u32 v8, s66, v0
	v_writelane_b32 v70, s10, 18
	v_mov_b32_e32 v9, v11
	v_lshlrev_b32_e32 v4, 2, v22
	v_writelane_b32 v70, s11, 19
	v_cmp_ne_u32_e64 s[10:11], v2, v25
	v_cvt_f32_u32_e32 v2, s76
	s_mul_i32 s77, s66, s75
	v_writelane_b32 v70, s10, 20
	v_cmp_gt_u32_e64 s[24:25], s64, v0
	v_rcp_iflag_f32_e32 v2, v2
	v_writelane_b32 v70, s11, 21
	s_cselect_b64 s[10:11], -1, 0
	v_writelane_b32 v70, s10, 22
	v_mul_f32_e32 v2, 0x4f7ffffe, v2
	v_cvt_u32_f32_e32 v2, v2
	v_writelane_b32 v70, s11, 23
	s_and_b32 s10, s8, 0x3fe
	s_and_b32 s11, s2, 7
	s_cmp_gt_u32 s1, 13
	s_cselect_b64 s[12:13], -1, 0
	v_writelane_b32 v70, s12, 24
	s_and_b32 s1, s2, -8
	s_cmp_lg_u32 s11, 0
	v_writelane_b32 v70, s13, 25
	v_writelane_b32 v70, s1, 26
	;; [unrolled: 1-line block ×3, first 2 shown]
	s_cselect_b64 s[12:13], -1, 0
	v_writelane_b32 v70, s12, 28
	s_cmp_lg_u32 s10, s8
	v_readfirstlane_b32 s2, v2
	v_writelane_b32 v70, s13, 29
	v_writelane_b32 v70, s8, 30
	v_cvt_f32_u32_e32 v2, s75
	v_writelane_b32 v70, s10, 31
	s_cselect_b64 s[10:11], -1, 0
	s_sub_i32 s1, 0, s76
	s_mul_i32 s1, s1, s2
	s_mul_hi_u32 s1, s2, s1
	s_add_i32 s88, s2, s1
	v_rcp_iflag_f32_e32 v2, v2
	s_mul_hi_u32 s1, s64, s88
	s_mul_i32 s1, s1, s76
	s_sub_i32 s1, s64, s1
	s_sub_i32 s2, s1, s76
	v_mul_f32_e32 v2, 0x4f7ffffe, v2
	s_cmp_ge_u32 s1, s76
	v_cvt_u32_f32_e32 v2, v2
	s_cselect_b32 s1, s2, s1
	s_sub_i32 s2, s1, s76
	s_cmp_ge_u32 s1, s76
	s_cselect_b32 s1, s2, s1
	s_sub_i32 s2, 0, s75
	v_readfirstlane_b32 s8, v2
	s_mul_i32 s2, s2, s8
	s_mul_hi_u32 s2, s8, s2
	s_add_i32 s90, s8, s2
	s_mul_hi_u32 s2, s0, s90
	s_mul_i32 s2, s2, s75
	s_sub_i32 s2, s0, s2
	s_sub_i32 s89, s64, s1
	;; [unrolled: 1-line block ×3, first 2 shown]
	s_cmp_ge_u32 s2, s75
	s_cselect_b32 s2, s8, s2
	s_sub_i32 s8, s2, s75
	s_cmp_ge_u32 s2, s75
	v_mul_lo_u32 v2, s66, v15
	s_cselect_b32 s2, s8, s2
	v_add_u32_e32 v30, s66, v2
	v_or_b32_e32 v2, 2, v15
	s_sub_i32 s91, s0, s2
	v_mul_lo_u32 v31, s66, v2
	v_or_b32_e32 v2, 3, v15
	s_add_i32 s0, s75, s64
	v_add_u32_e32 v28, s89, v0
	v_mul_lo_u32 v32, s66, v2
	v_add_u32_e32 v2, s0, v0
	v_mul_lo_u32 v10, v28, s66
	v_subrev_u32_e32 v2, s1, v2
	v_cmp_eq_u32_e64 s[4:5], 0, v22
	v_cmp_gt_u32_e64 s[6:7], 2, v0
	v_add_u32_e32 v23, 0xc00, v15
	v_lshl_add_u64 v[12:13], v[8:9], 2, v[6:7]
	v_and_b32_e32 v9, 0x100, v4
	v_add_u32_e32 v26, v0, v25
	s_mov_b32 s9, s66
	v_and_b32_e32 v27, -8, v5
	v_writelane_b32 v70, s10, 32
	v_cmp_gt_u32_e64 s[16:17], s89, v15
	v_cmp_gt_u32_e64 s[18:19], s64, v28
	v_lshl_add_u64 v[16:17], v[10:11], 2, v[6:7]
	v_cmp_gt_u32_e64 s[20:21], s91, v0
	v_lshlrev_b32_e32 v29, 3, v18
	s_lshl_b32 s92, s77, 2
	v_lshlrev_b32_e32 v33, 2, v8
	v_mul_lo_u32 v35, s66, v2
	v_lshlrev_b32_e32 v36, 4, v0
	s_lshl_b32 s93, s75, 4
	v_or_b32_e32 v37, 0xc00, v4
	s_mov_b64 s[94:95], 0
	v_mov_b32_e32 v38, 30
	v_mov_b32_e32 v42, s3
	s_brev_b32 s65, 1
	v_mov_b32_e32 v44, s64
	v_mov_b32_e32 v18, 1
	;; [unrolled: 1-line block ×7, first 2 shown]
	v_writelane_b32 v70, s11, 33
                                        ; implicit-def: $sgpr96_sgpr97
                                        ; implicit-def: $sgpr68_sgpr69
                                        ; implicit-def: $sgpr98_sgpr99
                                        ; implicit-def: $sgpr10_sgpr11
                                        ; implicit-def: $sgpr12_sgpr13
                                        ; implicit-def: $sgpr70_sgpr71
	s_branch .LBB89_11
.LBB89_8:                               ;   in Loop: Header=BB89_11 Depth=1
	s_or_b64 exec, exec, s[34:35]
	s_and_b64 s[26:27], s[26:27], exec
	s_andn2_b64 s[30:31], s[30:31], exec
	s_andn2_b64 s[28:29], s[28:29], exec
	s_orn2_b64 s[2:3], s[2:3], exec
.LBB89_9:                               ;   in Loop: Header=BB89_11 Depth=1
	s_or_b64 exec, exec, s[14:15]
	s_andn2_b64 s[14:15], s[70:71], exec
	s_and_b64 s[26:27], s[26:27], exec
	s_or_b64 s[70:71], s[14:15], s[26:27]
	s_andn2_b64 s[12:13], s[12:13], exec
	s_and_b64 s[14:15], s[30:31], exec
	s_or_b64 s[12:13], s[12:13], s[14:15]
	;; [unrolled: 3-line block ×3, first 2 shown]
	s_orn2_b64 s[2:3], s[2:3], exec
.LBB89_10:                              ;   in Loop: Header=BB89_11 Depth=1
	s_or_b64 exec, exec, s[0:1]
	s_and_b64 s[0:1], exec, s[2:3]
	s_or_b64 s[94:95], s[0:1], s[94:95]
	s_andn2_b64 s[0:1], s[98:99], exec
	s_and_b64 s[2:3], s[70:71], exec
	s_or_b64 s[98:99], s[0:1], s[2:3]
	s_andn2_b64 s[0:1], s[68:69], exec
	s_and_b64 s[2:3], s[12:13], exec
	;; [unrolled: 3-line block ×3, first 2 shown]
	s_or_b64 s[96:97], s[0:1], s[2:3]
	v_mov_b32_e32 v42, v5
	s_andn2_b64 exec, exec, s[94:95]
	s_cbranch_execz .LBB89_251
.LBB89_11:                              ; =>This Loop Header: Depth=1
                                        ;     Child Loop BB89_17 Depth 2
                                        ;     Child Loop BB89_38 Depth 2
                                        ;     Child Loop BB89_42 Depth 2
                                        ;     Child Loop BB89_48 Depth 2
                                        ;     Child Loop BB89_80 Depth 2
                                        ;     Child Loop BB89_84 Depth 2
                                        ;     Child Loop BB89_69 Depth 2
                                        ;     Child Loop BB89_74 Depth 2
                                        ;     Child Loop BB89_66 Depth 2
                                        ;     Child Loop BB89_90 Depth 2
                                        ;     Child Loop BB89_93 Depth 2
                                        ;     Child Loop BB89_103 Depth 2
                                        ;     Child Loop BB89_114 Depth 2
                                        ;     Child Loop BB89_140 Depth 2
                                        ;     Child Loop BB89_151 Depth 2
                                        ;     Child Loop BB89_177 Depth 2
                                        ;     Child Loop BB89_188 Depth 2
                                        ;     Child Loop BB89_214 Depth 2
                                        ;     Child Loop BB89_225 Depth 2
	ds_read_b64 v[2:3], v11 offset:4104
	s_waitcnt lgkmcnt(0)
	v_readfirstlane_b32 s74, v2
	s_cmp_lg_u32 s74, 0
	s_cbranch_scc1 .LBB89_57
; %bb.12:                               ;   in Loop: Header=BB89_11 Depth=1
	s_and_b64 vcc, exec, s[80:81]
	s_cbranch_vccz .LBB89_25
; %bb.13:                               ;   in Loop: Header=BB89_11 Depth=1
	s_movk_i32 s0, 0x301
	v_cmp_gt_u32_e32 vcc, s0, v3
	s_mov_b64 s[14:15], 0
	s_mov_b64 s[0:1], 0
	s_cbranch_vccz .LBB89_26
; %bb.14:                               ;   in Loop: Header=BB89_11 Depth=1
	s_and_saveexec_b64 s[26:27], s[24:25]
	s_cbranch_execz .LBB89_32
; %bb.15:                               ;   in Loop: Header=BB89_11 Depth=1
	v_readlane_b32 s0, v70, 12
	v_readlane_b32 s1, v70, 13
	s_nop 4
	global_load_ushort v2, v11, s[0:1]
	global_load_dword v4, v[12:13], off
	s_mov_b64 s[28:29], 0
	s_waitcnt vmcnt(1)
	v_add_u32_e32 v5, v0, v2
	v_mul_lo_u32 v3, s66, v2
	v_mul_lo_u32 v10, s66, v5
	v_mov_b32_e32 v5, v0
	s_branch .LBB89_17
.LBB89_16:                              ;   in Loop: Header=BB89_17 Depth=2
	s_or_b64 exec, exec, s[2:3]
	v_add_u32_e32 v10, v10, v3
	v_mov_b32_e32 v4, v19
	s_andn2_b64 exec, exec, s[28:29]
	s_cbranch_execz .LBB89_32
.LBB89_17:                              ;   Parent Loop BB89_11 Depth=1
                                        ; =>  This Inner Loop Header: Depth=2
	v_add_u32_e32 v5, v5, v2
	v_cmp_gt_u32_e64 s[0:1], s64, v5
	v_cmp_le_u32_e32 vcc, s64, v5
	s_waitcnt lgkmcnt(0)
	v_mov_b32_e32 v20, 0
	v_mov_b32_e32 v19, 0
	s_and_saveexec_b64 s[2:3], s[0:1]
	s_cbranch_execz .LBB89_19
; %bb.18:                               ;   in Loop: Header=BB89_17 Depth=2
	v_lshl_add_u64 v[46:47], v[10:11], 2, v[6:7]
	global_load_dword v19, v[46:47], off
.LBB89_19:                              ;   in Loop: Header=BB89_17 Depth=2
	s_or_b64 exec, exec, s[2:3]
	s_waitcnt vmcnt(0)
	v_bitop3_b32 v43, v4, v41, s65 bitop3:0x48
	v_cmp_eq_u32_e64 s[0:1], v43, v34
	s_cmp_lg_u64 s[0:1], 0
	s_cselect_b64 s[2:3], -1, 0
	s_and_b64 s[2:3], s[4:5], s[2:3]
	s_and_saveexec_b64 s[30:31], s[2:3]
	s_cbranch_execz .LBB89_23
; %bb.20:                               ;   in Loop: Header=BB89_17 Depth=2
	s_mov_b64 s[36:37], exec
	v_mbcnt_lo_u32_b32 v20, s36, 0
	v_mbcnt_hi_u32_b32 v20, s37, v20
	s_bcnt1_i32_b64 s8, s[0:1]
	v_cmp_eq_u32_e64 s[2:3], 0, v20
                                        ; implicit-def: $vgpr43
	s_and_saveexec_b64 s[34:35], s[2:3]
; %bb.21:                               ;   in Loop: Header=BB89_17 Depth=2
	s_bcnt1_i32_b64 s2, s[36:37]
	s_mul_i32 s2, s8, s2
	v_mov_b32_e32 v43, s2
	ds_add_rtn_u32 v43, v11, v43 offset:4112
; %bb.22:                               ;   in Loop: Header=BB89_17 Depth=2
	s_or_b64 exec, exec, s[34:35]
	s_waitcnt lgkmcnt(0)
	v_readfirstlane_b32 s2, v43
	s_nop 1
	v_mov_b32_e32 v43, s2
	v_mad_u32_u24 v20, s8, v20, v43
.LBB89_23:                              ;   in Loop: Header=BB89_17 Depth=2
	s_or_b64 exec, exec, s[30:31]
	ds_bpermute_b32 v20, v9, v20
	s_and_b64 s[2:3], exec, vcc
	s_or_b64 s[28:29], s[2:3], s[28:29]
	s_and_saveexec_b64 s[2:3], s[0:1]
	s_cbranch_execz .LBB89_16
; %bb.24:                               ;   in Loop: Header=BB89_17 Depth=2
	v_and_b32_e32 v45, s0, v14
	v_and_b32_e32 v43, s1, v1
	v_bcnt_u32_b32 v45, v45, 0
	v_bcnt_u32_b32 v43, v43, v45
	v_lshlrev_b32_e32 v43, 2, v43
	s_waitcnt lgkmcnt(0)
	v_lshl_add_u32 v20, v20, 2, v43
	ds_write_b32 v20, v4
	s_branch .LBB89_16
.LBB89_25:                              ;   in Loop: Header=BB89_11 Depth=1
	s_mov_b64 s[14:15], -1
	s_mov_b64 s[0:1], 0
.LBB89_26:                              ;   in Loop: Header=BB89_11 Depth=1
	s_and_b64 vcc, exec, s[14:15]
	s_cbranch_vccz .LBB89_55
.LBB89_27:                              ;   in Loop: Header=BB89_11 Depth=1
	s_and_saveexec_b64 s[2:3], s[24:25]
	s_cbranch_execz .LBB89_52
; %bb.28:                               ;   in Loop: Header=BB89_11 Depth=1
	v_readlane_b32 s0, v70, 12
	v_readlane_b32 s1, v70, 13
	s_nop 4
	global_load_ushort v2, v11, s[0:1]
	global_load_dword v19, v[12:13], off
	v_mov_b32_e32 v3, v0
	s_waitcnt vmcnt(1)
	v_readfirstlane_b32 s34, v2
	v_add_u32_e32 v2, v0, v2
	v_cmp_gt_u32_e32 vcc, s64, v2
	s_and_saveexec_b64 s[26:27], vcc
	s_cbranch_execz .LBB89_51
; %bb.29:                               ;   in Loop: Header=BB89_11 Depth=1
	v_readlane_b32 s28, v70, 14
	s_mov_b64 s[0:1], 0
	s_mul_i32 s35, s66, s34
	v_readlane_b32 s29, v70, 15
                                        ; implicit-def: $vgpr3
                                        ; implicit-def: $vgpr20
                                        ; implicit-def: $vgpr4
                                        ; implicit-def: $vgpr5
	s_and_saveexec_b64 s[14:15], s[28:29]
	s_xor_b64 s[28:29], exec, s[14:15]
	s_cbranch_execnz .LBB89_35
; %bb.30:                               ;   in Loop: Header=BB89_11 Depth=1
	s_andn2_saveexec_b64 s[14:15], s[28:29]
	s_cbranch_execnz .LBB89_46
.LBB89_31:                              ;   in Loop: Header=BB89_11 Depth=1
	s_or_b64 exec, exec, s[14:15]
	s_and_saveexec_b64 s[14:15], s[0:1]
	s_cbranch_execnz .LBB89_47
	s_branch .LBB89_50
.LBB89_32:                              ;   in Loop: Header=BB89_11 Depth=1
	s_or_b64 exec, exec, s[26:27]
	s_waitcnt lgkmcnt(0)
	s_barrier
	s_and_saveexec_b64 s[0:1], s[22:23]
	s_cbranch_execz .LBB89_34
; %bb.33:                               ;   in Loop: Header=BB89_11 Depth=1
	ds_read_b32 v2, v11 offset:4112
	s_waitcnt lgkmcnt(0)
	ds_write_b32 v11, v2 offset:4104
.LBB89_34:                              ;   in Loop: Header=BB89_11 Depth=1
	s_or_b64 exec, exec, s[0:1]
	s_waitcnt lgkmcnt(0)
	s_barrier
	s_mov_b64 s[0:1], -1
	s_and_b64 vcc, exec, s[14:15]
	s_cbranch_vccnz .LBB89_27
	s_branch .LBB89_55
.LBB89_35:                              ;   in Loop: Header=BB89_11 Depth=1
	v_cvt_f32_u32_e32 v3, s34
	v_add_u32_e32 v4, s34, v2
	v_max_u32_e32 v4, s64, v4
	s_lshl_b32 s0, s34, 1
	v_rcp_iflag_f32_e32 v3, v3
	v_sub_u32_e32 v4, v4, v0
	v_cmp_ne_u32_e32 vcc, s0, v4
	s_sub_i32 s1, 0, s34
	v_mul_f32_e32 v3, 0x4f7ffffe, v3
	v_cvt_u32_f32_e32 v3, v3
	v_cndmask_b32_e64 v5, 0, 1, vcc
	v_or_b32_e32 v5, s0, v5
	v_sub_u32_e32 v4, v4, v5
	v_mul_lo_u32 v5, s1, v3
	v_mul_hi_u32 v5, v3, v5
	v_add_u32_e32 v3, v3, v5
	v_mul_hi_u32 v3, v4, v3
	v_mul_lo_u32 v5, v3, s34
	v_sub_u32_e32 v4, v4, v5
	v_add_u32_e32 v5, 1, v3
	v_cmp_le_u32_e64 s[0:1], s34, v4
	s_nop 1
	v_cndmask_b32_e64 v3, v3, v5, s[0:1]
	v_subrev_u32_e32 v5, s34, v4
	v_cndmask_b32_e64 v4, v4, v5, s[0:1]
	v_add_u32_e32 v5, 1, v3
	v_cmp_le_u32_e64 s[0:1], s34, v4
	v_mul_lo_u32 v4, s66, v2
	s_nop 0
	v_cndmask_b32_e64 v3, v3, v5, s[0:1]
	v_addc_co_u32_e32 v3, vcc, 0, v3, vcc
	s_abs_i32 s0, s35
	v_mul_hi_u32 v5, s0, v3
	v_mul_lo_u32 v3, s0, v3
	s_not_b32 s0, s35
	s_ashr_i32 s0, s0, 31
	s_cmp_eq_u32 s34, 1
	v_cmp_eq_u32_e32 vcc, 0, v5
	v_xor_b32_e32 v4, s0, v4
	s_cselect_b64 s[14:15], -1, 0
	v_cmp_le_u32_e64 s[0:1], v3, v4
	s_and_b64 s[14:15], vcc, s[14:15]
	s_and_b64 s[30:31], s[14:15], s[0:1]
	s_mov_b64 s[14:15], -1
	v_mov_b32_e32 v4, v0
                                        ; implicit-def: $vgpr3
	s_and_saveexec_b64 s[0:1], s[30:31]
	s_cbranch_execz .LBB89_45
; %bb.36:                               ;   in Loop: Header=BB89_11 Depth=1
	v_add_u32_e32 v3, 1, v2
	v_mov_b32_e32 v10, 0
	v_mov_b64_e32 v[4:5], v[2:3]
	s_mov_b64 s[14:15], exec
	v_readlane_b32 s30, v70, 16
	v_readlane_b32 s31, v70, 17
	s_and_b64 s[30:31], s[14:15], s[30:31]
	s_mov_b64 exec, s[30:31]
	s_cbranch_execz .LBB89_40
; %bb.37:                               ;   in Loop: Header=BB89_11 Depth=1
	s_mov_b32 s8, 0
	s_mov_b64 s[30:31], 0
	v_mov_b32_e32 v20, v27
	v_mov_b32_e32 v43, v15
	v_mov_b64_e32 v[4:5], v[2:3]
.LBB89_38:                              ;   Parent Loop BB89_11 Depth=1
                                        ; =>  This Inner Loop Header: Depth=2
	v_mul_lo_u32 v10, v4, s66
	v_lshl_add_u64 v[46:47], v[10:11], 2, v[6:7]
	global_load_dword v3, v[46:47], off
	v_add_u32_e32 v10, 2, v4
	v_mul_lo_u32 v46, v5, s9
	v_mov_b32_e32 v47, v11
	v_add_u32_e32 v45, 2, v5
	v_add_u32_e32 v64, 4, v4
	;; [unrolled: 1-line block ×4, first 2 shown]
	v_mul_lo_u32 v10, v10, s66
	v_mov_b32_e32 v49, v11
	v_add_u32_e32 v50, 4, v5
	v_add_u32_e32 v65, 6, v4
	;; [unrolled: 1-line block ×3, first 2 shown]
	v_mov_b32_e32 v55, v11
	v_mov_b32_e32 v57, v11
	v_add_u32_e32 v58, 12, v5
	v_lshl_add_u64 v[46:47], v[46:47], 2, v[6:7]
	v_mul_lo_u32 v48, v45, s9
	v_mul_lo_u32 v54, v54, s9
	;; [unrolled: 1-line block ×3, first 2 shown]
	v_lshl_add_u64 v[62:63], v[10:11], 2, v[6:7]
	v_mul_lo_u32 v10, v64, s66
	v_mov_b32_e32 v51, v11
	v_mov_b32_e32 v53, v11
	v_add_u32_e32 v66, 8, v4
	v_mov_b32_e32 v59, v11
	v_mul_lo_u32 v50, v50, s9
	v_mul_lo_u32 v52, v52, s9
	;; [unrolled: 1-line block ×3, first 2 shown]
	v_lshl_add_u64 v[48:49], v[48:49], 2, v[6:7]
	v_lshl_add_u64 v[54:55], v[54:55], 2, v[6:7]
	;; [unrolled: 1-line block ×3, first 2 shown]
	global_load_dword v45, v[46:47], off
	v_lshl_add_u64 v[46:47], v[10:11], 2, v[6:7]
	v_mul_lo_u32 v10, v65, s66
	v_add_u32_e32 v67, 10, v4
	v_lshl_add_u64 v[50:51], v[50:51], 2, v[6:7]
	v_lshl_add_u64 v[52:53], v[52:53], 2, v[6:7]
	v_lshl_add_u64 v[58:59], v[58:59], 2, v[6:7]
	global_load_dword v62, v[62:63], off
	s_nop 0
	global_load_dword v63, v[48:49], off
	global_load_dword v64, v[50:51], off
	;; [unrolled: 1-line block ×3, first 2 shown]
	s_nop 0
	global_load_dword v54, v[54:55], off
	s_nop 0
	global_load_dword v55, v[56:57], off
	;; [unrolled: 2-line block ×3, first 2 shown]
	v_lshl_add_u64 v[48:49], v[10:11], 2, v[6:7]
	v_mul_lo_u32 v10, v66, s66
	v_add_u32_e32 v68, 12, v4
	global_load_dword v57, v[48:49], off
	global_load_dword v58, v[46:47], off
	v_lshl_add_u64 v[46:47], v[10:11], 2, v[6:7]
	v_mul_lo_u32 v10, v67, s66
	v_add_u32_e32 v69, 14, v4
	v_add_u32_e32 v60, 14, v5
	v_lshl_add_u64 v[48:49], v[10:11], 2, v[6:7]
	v_mul_lo_u32 v10, v68, s66
	v_mov_b32_e32 v61, v11
	v_mul_lo_u32 v60, v60, s9
	v_lshl_add_u64 v[50:51], v[10:11], 2, v[6:7]
	v_mul_lo_u32 v10, v69, s66
	v_lshl_add_u64 v[60:61], v[60:61], 2, v[6:7]
	v_lshl_add_u64 v[52:53], v[10:11], 2, v[6:7]
	global_load_dword v52, v[52:53], off
	v_add_u32_e32 v20, -8, v20
	s_add_i32 s8, s8, 16
	v_cmp_eq_u32_e32 vcc, 0, v20
	v_add_u32_e32 v5, 16, v5
	v_add_u32_e32 v4, 16, v4
	v_mov_b32_e32 v10, s8
	s_or_b64 s[30:31], vcc, s[30:31]
	s_waitcnt vmcnt(11)
	ds_write2_b32 v43, v19, v3 offset1:1
	global_load_dword v19, v[60:61], off
	global_load_dword v3, v[50:51], off
	s_nop 0
	global_load_dword v48, v[48:49], off
	s_nop 0
	global_load_dword v46, v[46:47], off
	s_waitcnt vmcnt(13)
	ds_write2_b32 v43, v45, v62 offset0:2 offset1:3
	s_waitcnt vmcnt(5)
	ds_write2_b32 v43, v63, v58 offset0:4 offset1:5
	ds_write2_b32 v43, v64, v57 offset0:6 offset1:7
	s_waitcnt vmcnt(4)
	ds_write2_b32 v43, v56, v52 offset0:14 offset1:15
	s_waitcnt vmcnt(0)
	ds_write2_b32 v43, v65, v46 offset0:8 offset1:9
	ds_write2_b32 v43, v54, v48 offset0:10 offset1:11
	;; [unrolled: 1-line block ×3, first 2 shown]
	v_add_u32_e32 v43, 64, v43
	s_andn2_b64 exec, exec, s[30:31]
	s_cbranch_execnz .LBB89_38
; %bb.39:                               ;   in Loop: Header=BB89_11 Depth=1
	s_or_b64 exec, exec, s[30:31]
.LBB89_40:                              ;   in Loop: Header=BB89_11 Depth=1
	s_or_b64 exec, exec, s[14:15]
	s_mov_b64 s[14:15], exec
	v_readlane_b32 s30, v70, 18
	v_readlane_b32 s31, v70, 19
	s_and_b64 s[30:31], s[14:15], s[30:31]
	s_mov_b64 exec, s[30:31]
	s_cbranch_execz .LBB89_44
; %bb.41:                               ;   in Loop: Header=BB89_11 Depth=1
	v_lshl_add_u32 v3, v10, 2, v15
	s_mov_b64 s[30:31], 0
	v_mov_b32_e32 v20, v29
.LBB89_42:                              ;   Parent Loop BB89_11 Depth=1
                                        ; =>  This Inner Loop Header: Depth=2
	v_mul_lo_u32 v10, v4, s66
	v_mul_lo_u32 v46, v5, s9
	v_mov_b32_e32 v47, v11
	v_lshl_add_u64 v[48:49], v[10:11], 2, v[6:7]
	v_lshl_add_u64 v[46:47], v[46:47], 2, v[6:7]
	global_load_dword v43, v[48:49], off
	global_load_dword v10, v[46:47], off
	v_add_u32_e32 v20, -8, v20
	v_cmp_eq_u32_e32 vcc, 0, v20
	v_add_u32_e32 v5, 2, v5
	v_add_u32_e32 v4, 2, v4
	s_or_b64 s[30:31], vcc, s[30:31]
	s_waitcnt vmcnt(1)
	ds_write2_b32 v3, v19, v43 offset1:1
	v_add_u32_e32 v3, 8, v3
	s_waitcnt vmcnt(0)
	v_mov_b32_e32 v19, v10
	s_andn2_b64 exec, exec, s[30:31]
	s_cbranch_execnz .LBB89_42
; %bb.43:                               ;   in Loop: Header=BB89_11 Depth=1
	s_or_b64 exec, exec, s[30:31]
	v_mov_b32_e32 v19, v10
.LBB89_44:                              ;   in Loop: Header=BB89_11 Depth=1
	s_or_b64 exec, exec, s[14:15]
	v_readlane_b32 s14, v70, 20
	v_add_u32_e32 v2, v2, v25
	v_readlane_b32 s15, v70, 21
	v_add_u32_e32 v3, -1, v2
	s_orn2_b64 s[14:15], s[14:15], exec
	v_mov_b32_e32 v4, v26
.LBB89_45:                              ;   in Loop: Header=BB89_11 Depth=1
	s_or_b64 exec, exec, s[0:1]
	v_mov_b32_e32 v5, s35
	s_and_b64 s[0:1], s[14:15], exec
	s_waitcnt vmcnt(0)
	v_mov_b32_e32 v20, v19
	s_andn2_saveexec_b64 s[14:15], s[28:29]
	s_cbranch_execz .LBB89_31
.LBB89_46:                              ;   in Loop: Header=BB89_11 Depth=1
	v_mov_b32_e32 v5, s35
	s_or_b64 s[0:1], s[0:1], exec
	s_waitcnt vmcnt(0)
	v_mov_b32_e32 v20, v19
	v_mov_b32_e32 v4, v0
	s_or_b64 exec, exec, s[14:15]
	s_and_saveexec_b64 s[14:15], s[0:1]
	s_cbranch_execz .LBB89_50
.LBB89_47:                              ;   in Loop: Header=BB89_11 Depth=1
	s_sub_i32 s8, 0, s34
	v_mul_lo_u32 v10, s66, v2
	s_mov_b64 s[0:1], 0
.LBB89_48:                              ;   Parent Loop BB89_11 Depth=1
                                        ; =>  This Inner Loop Header: Depth=2
	v_lshl_add_u64 v[46:47], v[10:11], 2, v[6:7]
	global_load_dword v19, v[46:47], off
	v_mov_b32_e32 v3, v2
	v_lshlrev_b32_e32 v2, 2, v4
	ds_write_b32 v2, v20
	v_add_u32_e32 v2, s34, v3
	v_cmp_le_u32_e32 vcc, s64, v2
	v_add_u32_e32 v10, v10, v5
	v_mov_b32_e32 v4, v3
	s_or_b64 s[0:1], vcc, s[0:1]
	s_waitcnt vmcnt(0)
	v_mov_b32_e32 v20, v19
	s_andn2_b64 exec, exec, s[0:1]
	s_cbranch_execnz .LBB89_48
; %bb.49:                               ;   in Loop: Header=BB89_11 Depth=1
	s_or_b64 exec, exec, s[0:1]
	v_add_u32_e32 v3, s8, v2
.LBB89_50:                              ;   in Loop: Header=BB89_11 Depth=1
	s_or_b64 exec, exec, s[14:15]
.LBB89_51:                              ;   in Loop: Header=BB89_11 Depth=1
	s_or_b64 exec, exec, s[26:27]
	v_lshlrev_b32_e32 v2, 2, v3
	s_waitcnt vmcnt(0)
	ds_write_b32 v2, v19
.LBB89_52:                              ;   in Loop: Header=BB89_11 Depth=1
	s_or_b64 exec, exec, s[2:3]
	s_waitcnt lgkmcnt(0)
	s_barrier
	s_and_saveexec_b64 s[0:1], s[22:23]
; %bb.53:                               ;   in Loop: Header=BB89_11 Depth=1
	ds_write_b32 v11, v44 offset:4104
; %bb.54:                               ;   in Loop: Header=BB89_11 Depth=1
	s_or_b64 exec, exec, s[0:1]
	s_mov_b64 s[0:1], -1
	s_waitcnt lgkmcnt(0)
	s_barrier
.LBB89_55:                              ;   in Loop: Header=BB89_11 Depth=1
	s_mov_b32 s74, 0
	s_and_b64 vcc, exec, s[0:1]
	s_cbranch_vccz .LBB89_57
; %bb.56:                               ;   in Loop: Header=BB89_11 Depth=1
	ds_read_b32 v2, v11 offset:4104
	s_waitcnt lgkmcnt(0)
	v_readfirstlane_b32 s74, v2
.LBB89_57:                              ;   in Loop: Header=BB89_11 Depth=1
	s_cmp_lt_i32 s74, 1
	s_mov_b64 s[0:1], -1
                                        ; implicit-def: $vgpr5
	s_cbranch_scc1 .LBB89_67
; %bb.58:                               ;   in Loop: Header=BB89_11 Depth=1
	s_and_b64 vcc, exec, s[0:1]
	s_cbranch_vccnz .LBB89_78
.LBB89_59:                              ;   in Loop: Header=BB89_11 Depth=1
	v_lshlrev_b32_e32 v19, 6, v40
	s_and_saveexec_b64 s[0:1], s[4:5]
.LBB89_60:                              ;   in Loop: Header=BB89_11 Depth=1
	v_lshl_add_u32 v10, v19, 2, v24
	ds_write_b128 v10, v[2:5]
.LBB89_61:                              ;   in Loop: Header=BB89_11 Depth=1
	s_or_b64 exec, exec, s[0:1]
	s_waitcnt lgkmcnt(0)
	s_barrier
	s_and_saveexec_b64 s[0:1], s[78:79]
	s_cbranch_execz .LBB89_95
; %bb.62:                               ;   in Loop: Header=BB89_11 Depth=1
	v_add_u32_e32 v4, v19, v22
	s_andn2_b64 vcc, exec, s[82:83]
	v_mov_b32_e32 v2, 0
	s_cbranch_vccnz .LBB89_94
; %bb.63:                               ;   in Loop: Header=BB89_11 Depth=1
	v_readlane_b32 s2, v70, 22
	v_readlane_b32 s3, v70, 23
	s_andn2_b64 vcc, exec, s[2:3]
	s_cbranch_vccnz .LBB89_87
; %bb.64:                               ;   in Loop: Header=BB89_11 Depth=1
	v_readlane_b32 s2, v70, 24
	v_readlane_b32 s3, v70, 25
	s_andn2_b64 vcc, exec, s[2:3]
	v_lshl_add_u32 v5, v4, 2, v39
	s_cbranch_vccnz .LBB89_88
; %bb.65:                               ;   in Loop: Header=BB89_11 Depth=1
	s_mov_b32 s3, 1
	s_mov_b32 s2, 0
	v_mov_b32_e32 v2, 0
	v_mov_b32_e32 v3, 0
	v_readlane_b32 s8, v70, 26
.LBB89_66:                              ;   Parent Loop BB89_11 Depth=1
                                        ; =>  This Inner Loop Header: Depth=2
	v_lshl_add_u32 v10, s2, 4, v5
	v_lshl_add_u32 v20, s3, 4, v5
	ds_read2_b32 v[46:47], v10 offset1:8
	ds_read2_b32 v[48:49], v20 offset1:8
	ds_read2_b32 v[50:51], v10 offset0:16 offset1:24
	ds_read2_b32 v[52:53], v20 offset0:16 offset1:24
	;; [unrolled: 1-line block ×6, first 2 shown]
	s_waitcnt lgkmcnt(7)
	v_add3_u32 v2, v46, v2, v47
	s_waitcnt lgkmcnt(6)
	v_add3_u32 v3, v48, v3, v49
	;; [unrolled: 2-line block ×3, first 2 shown]
	v_add3_u32 v2, v50, v2, v51
	s_add_i32 s3, s3, 16
	s_add_i32 s2, s2, 16
	s_add_i32 s8, s8, -8
	s_waitcnt lgkmcnt(3)
	v_add3_u32 v2, v54, v2, v55
	s_waitcnt lgkmcnt(2)
	v_add3_u32 v3, v56, v3, v57
	s_cmp_lg_u32 s8, 0
	s_waitcnt lgkmcnt(0)
	v_add3_u32 v3, v60, v3, v61
	v_add3_u32 v2, v58, v2, v59
	s_cbranch_scc1 .LBB89_66
	s_branch .LBB89_89
.LBB89_67:                              ;   in Loop: Header=BB89_11 Depth=1
	v_mov_b32_e32 v2, 0
	v_mov_b32_e32 v3, 0
	;; [unrolled: 1-line block ×4, first 2 shown]
	s_and_saveexec_b64 s[52:53], s[16:17]
	s_cbranch_execz .LBB89_71
; %bb.68:                               ;   in Loop: Header=BB89_11 Depth=1
	s_mov_b32 s14, 0
	s_mov_b64 s[54:55], 0
	s_mov_b32 s15, 0
	s_mov_b32 s56, 0
	;; [unrolled: 1-line block ×4, first 2 shown]
	v_mov_b32_e32 v19, v15
.LBB89_69:                              ;   Parent Loop BB89_11 Depth=1
                                        ; =>  This Inner Loop Header: Depth=2
	v_add_u32_e32 v10, s14, v33
	v_lshl_add_u64 v[2:3], v[10:11], 2, v[6:7]
	v_add_u32_e32 v10, s14, v30
	global_load_dword v4, v[2:3], off
	v_lshl_add_u64 v[2:3], v[10:11], 2, v[6:7]
	v_add_u32_e32 v10, s14, v31
	global_load_dword v5, v[2:3], off
	v_lshl_add_u64 v[2:3], v[10:11], 2, v[6:7]
	global_load_dword v20, v[2:3], off
	v_add_u32_e32 v10, s14, v32
	v_lshl_add_u64 v[2:3], v[10:11], 2, v[6:7]
	global_load_dword v2, v[2:3], off
	v_add_u32_e32 v19, s76, v19
	v_cmp_le_u32_e32 vcc, s89, v19
	s_add_i32 s14, s14, s92
	s_waitcnt vmcnt(3)
	v_xor_b32_e32 v3, 0x80000000, v4
	v_bitop3_b32 v4, v4, v41, s65 bitop3:0x48
	v_bfe_u32 v3, v3, v38, 2
	v_cmp_eq_u32_e64 s[0:1], v4, v34
	s_waitcnt vmcnt(2)
	v_bitop3_b32 v4, v5, v41, s65 bitop3:0x48
	v_cmp_eq_u32_e64 s[26:27], 0, v3
	v_xor_b32_e32 v10, 0x80000000, v5
	s_waitcnt vmcnt(1)
	v_xor_b32_e32 v5, 0x80000000, v20
	v_cmp_eq_u32_e64 s[2:3], v4, v34
	v_bitop3_b32 v4, v20, v41, s65 bitop3:0x48
	v_cmp_eq_u32_e64 s[28:29], 1, v3
	s_and_b64 s[26:27], s[0:1], s[26:27]
	v_bfe_u32 v10, v10, v38, 2
	v_cmp_eq_u32_e64 s[30:31], 2, v3
	v_cmp_eq_u32_e64 s[36:37], v4, v34
	v_bfe_u32 v4, v5, v38, 2
	v_cndmask_b32_e64 v5, 0, 1, s[26:27]
	s_and_b64 s[26:27], s[0:1], s[28:29]
	v_cmp_eq_u32_e64 s[34:35], 3, v3
	v_cmp_eq_u32_e64 s[38:39], 0, v10
	;; [unrolled: 1-line block ×5, first 2 shown]
	v_cndmask_b32_e64 v10, 0, 1, s[26:27]
	s_and_b64 s[26:27], s[0:1], s[30:31]
	s_waitcnt vmcnt(0)
	v_xor_b32_e32 v3, 0x80000000, v2
	v_bitop3_b32 v2, v2, v41, s65 bitop3:0x48
	v_cndmask_b32_e64 v20, 0, 1, s[26:27]
	s_and_b64 s[0:1], s[0:1], s[34:35]
	v_cmp_eq_u32_e64 s[26:27], 0, v4
	v_cmp_eq_u32_e64 s[28:29], 1, v4
	s_and_b64 s[38:39], s[2:3], s[38:39]
	s_and_b64 s[40:41], s[2:3], s[40:41]
	;; [unrolled: 1-line block ×3, first 2 shown]
	v_cndmask_b32_e64 v43, 0, 1, s[0:1]
	v_cmp_eq_u32_e64 s[0:1], v2, v34
	v_bfe_u32 v2, v3, v38, 2
	v_cmp_eq_u32_e64 s[30:31], 2, v4
	v_cmp_eq_u32_e64 s[34:35], 3, v4
	v_cmp_ne_u32_e64 s[46:47], 0, v5
	v_cndmask_b32_e64 v3, 0, 1, s[38:39]
	v_cndmask_b32_e64 v4, 0, 1, s[40:41]
	;; [unrolled: 1-line block ×3, first 2 shown]
	s_and_b64 s[2:3], s[2:3], s[44:45]
	s_and_b64 s[26:27], s[36:37], s[26:27]
	;; [unrolled: 1-line block ×3, first 2 shown]
	v_cmp_ne_u32_e64 s[38:39], 0, v10
	v_cmp_ne_u32_e64 s[40:41], 0, v20
	;; [unrolled: 1-line block ×3, first 2 shown]
	v_cndmask_b32_e64 v10, 0, 1, s[2:3]
	v_cmp_eq_u32_e64 s[2:3], 0, v2
	v_cmp_eq_u32_e64 s[44:45], 1, v2
	;; [unrolled: 1-line block ×4, first 2 shown]
	s_bcnt1_i32_b64 s8, s[46:47]
	v_cmp_ne_u32_e64 s[46:47], 0, v3
	v_cndmask_b32_e64 v2, 0, 1, s[26:27]
	v_cmp_ne_u32_e64 s[26:27], 0, v4
	v_cndmask_b32_e64 v3, 0, 1, s[28:29]
	v_cmp_ne_u32_e64 s[28:29], 0, v5
	s_and_b64 s[30:31], s[36:37], s[30:31]
	s_and_b64 s[34:35], s[36:37], s[34:35]
	s_bcnt1_i32_b64 s33, s[38:39]
	s_bcnt1_i32_b64 s38, s[40:41]
	v_cndmask_b32_e64 v4, 0, 1, s[30:31]
	s_bcnt1_i32_b64 s39, s[42:43]
	v_cmp_ne_u32_e64 s[30:31], 0, v10
	v_cndmask_b32_e64 v5, 0, 1, s[34:35]
	s_and_b64 s[2:3], s[0:1], s[2:3]
	s_bcnt1_i32_b64 s37, s[26:27]
	s_and_b64 s[26:27], s[0:1], s[44:45]
	s_bcnt1_i32_b64 s40, s[28:29]
	s_and_b64 s[28:29], s[0:1], s[48:49]
	s_and_b64 s[0:1], s[0:1], s[50:51]
	s_bcnt1_i32_b64 s36, s[46:47]
	v_cmp_ne_u32_e64 s[34:35], 0, v2
	v_cndmask_b32_e64 v2, 0, 1, s[2:3]
	s_add_i32 s8, s58, s8
	v_cmp_ne_u32_e64 s[2:3], 0, v3
	v_cndmask_b32_e64 v3, 0, 1, s[26:27]
	s_add_i32 s33, s57, s33
	;; [unrolled: 3-line block ×3, first 2 shown]
	s_bcnt1_i32_b64 s30, s[30:31]
	v_cmp_ne_u32_e64 s[28:29], 0, v5
	v_cndmask_b32_e64 v5, 0, 1, s[0:1]
	s_add_i32 s15, s15, s39
	s_bcnt1_i32_b64 s31, s[34:35]
	v_cmp_ne_u32_e64 s[0:1], 0, v2
	s_add_i32 s8, s8, s36
	s_bcnt1_i32_b64 s34, s[2:3]
	v_cmp_ne_u32_e64 s[2:3], 0, v3
	;; [unrolled: 3-line block ×4, first 2 shown]
	s_add_i32 s15, s15, s30
	s_bcnt1_i32_b64 s0, s[0:1]
	s_add_i32 s1, s8, s31
	s_bcnt1_i32_b64 s2, s[2:3]
	;; [unrolled: 2-line block ×4, first 2 shown]
	s_add_i32 s15, s15, s37
	s_add_i32 s58, s1, s0
	;; [unrolled: 1-line block ×5, first 2 shown]
	s_or_b64 s[54:55], vcc, s[54:55]
	v_mov_b32_e32 v2, s58
	v_mov_b32_e32 v3, s57
	;; [unrolled: 1-line block ×4, first 2 shown]
	s_andn2_b64 exec, exec, s[54:55]
	s_cbranch_execnz .LBB89_69
; %bb.70:                               ;   in Loop: Header=BB89_11 Depth=1
	s_or_b64 exec, exec, s[54:55]
.LBB89_71:                              ;   in Loop: Header=BB89_11 Depth=1
	s_or_b64 exec, exec, s[52:53]
	s_and_saveexec_b64 s[2:3], s[18:19]
	s_cbranch_execz .LBB89_77
; %bb.72:                               ;   in Loop: Header=BB89_11 Depth=1
	global_load_dword v43, v[16:17], off
	s_mov_b64 s[14:15], 0
	v_mov_b32_e32 v10, v35
	v_mov_b32_e32 v19, v28
	s_branch .LBB89_74
.LBB89_73:                              ;   in Loop: Header=BB89_74 Depth=2
	s_or_b64 exec, exec, s[26:27]
	s_waitcnt vmcnt(0)
	v_xor_b32_e32 v45, 0x80000000, v43
	v_bitop3_b32 v43, v43, v41, s65 bitop3:0x48
	s_and_b64 s[0:1], exec, vcc
	v_cmp_eq_u32_e32 vcc, v43, v34
	v_bfe_u32 v43, v45, v38, 2
	s_or_b64 s[14:15], s[0:1], s[14:15]
	v_cmp_eq_u32_e64 s[0:1], 0, v43
	s_and_b64 s[0:1], vcc, s[0:1]
	v_add_u32_e32 v10, s77, v10
	v_cndmask_b32_e64 v45, 0, 1, s[0:1]
	v_cmp_ne_u32_e64 s[0:1], 0, v45
	s_bcnt1_i32_b64 s0, s[0:1]
	s_nop 0
	v_add_u32_e32 v2, s0, v2
	v_cmp_eq_u32_e64 s[0:1], 1, v43
	s_and_b64 s[0:1], vcc, s[0:1]
	s_nop 0
	v_cndmask_b32_e64 v45, 0, 1, s[0:1]
	v_cmp_ne_u32_e64 s[0:1], 0, v45
	s_bcnt1_i32_b64 s0, s[0:1]
	s_nop 0
	v_add_u32_e32 v3, s0, v3
	v_cmp_eq_u32_e64 s[0:1], 2, v43
	s_and_b64 s[0:1], vcc, s[0:1]
	s_nop 0
	;; [unrolled: 8-line block ×3, first 2 shown]
	v_cndmask_b32_e64 v43, 0, 1, s[0:1]
	v_cmp_ne_u32_e32 vcc, 0, v43
	s_bcnt1_i32_b64 s0, vcc
	v_add_u32_e32 v5, s0, v5
	v_mov_b32_e32 v43, v20
	s_andn2_b64 exec, exec, s[14:15]
	s_cbranch_execz .LBB89_76
.LBB89_74:                              ;   Parent Loop BB89_11 Depth=1
                                        ; =>  This Inner Loop Header: Depth=2
	v_add_u32_e32 v19, s75, v19
	v_cmp_gt_u32_e64 s[0:1], s64, v19
	v_cmp_le_u32_e32 vcc, s64, v19
	v_mov_b32_e32 v20, 0
	s_and_saveexec_b64 s[26:27], s[0:1]
	s_cbranch_execz .LBB89_73
; %bb.75:                               ;   in Loop: Header=BB89_74 Depth=2
	v_lshl_add_u64 v[46:47], v[10:11], 2, v[6:7]
	global_load_dword v20, v[46:47], off
	s_branch .LBB89_73
.LBB89_76:                              ;   in Loop: Header=BB89_11 Depth=1
	s_or_b64 exec, exec, s[14:15]
.LBB89_77:                              ;   in Loop: Header=BB89_11 Depth=1
	s_or_b64 exec, exec, s[2:3]
	s_branch .LBB89_59
.LBB89_78:                              ;   in Loop: Header=BB89_11 Depth=1
	s_mul_hi_u32 s0, s74, s88
	s_mul_i32 s0, s0, s76
	s_sub_i32 s0, s74, s0
	s_sub_i32 s1, s0, s76
	s_cmp_ge_u32 s0, s76
	s_cselect_b32 s0, s1, s0
	s_sub_i32 s1, s0, s76
	s_cmp_ge_u32 s0, s76
	s_cselect_b32 s0, s1, s0
	s_sub_i32 s84, s74, s0
	v_cmp_gt_u32_e32 vcc, s84, v15
	v_mov_b32_e32 v2, 0
	v_mov_b32_e32 v3, 0
	;; [unrolled: 1-line block ×4, first 2 shown]
	s_and_saveexec_b64 s[14:15], vcc
	s_cbranch_execz .LBB89_82
; %bb.79:                               ;   in Loop: Header=BB89_11 Depth=1
	s_mov_b32 s85, 0
	s_mov_b64 s[72:73], 0
	v_mov_b32_e32 v10, v36
	s_mov_b32 s8, 0
	s_mov_b32 s33, 0
	;; [unrolled: 1-line block ×3, first 2 shown]
	v_mov_b32_e32 v19, v15
.LBB89_80:                              ;   Parent Loop BB89_11 Depth=1
                                        ; =>  This Inner Loop Header: Depth=2
	ds_read_b128 v[2:5], v10
	v_add_u32_e32 v19, s76, v19
	v_cmp_le_u32_e32 vcc, s84, v19
	v_add_u32_e32 v10, s93, v10
	s_waitcnt lgkmcnt(0)
	v_xor_b32_e32 v20, 0x80000000, v2
	v_bitop3_b32 v2, v2, v41, s65 bitop3:0x48
	v_xor_b32_e32 v43, 0x80000000, v3
	v_bitop3_b32 v3, v3, v41, s65 bitop3:0x48
	v_cmp_eq_u32_e64 s[0:1], v2, v34
	v_bfe_u32 v2, v20, v38, 2
	v_xor_b32_e32 v45, 0x80000000, v4
	v_bitop3_b32 v4, v4, v41, s65 bitop3:0x48
	v_cmp_eq_u32_e64 s[2:3], v3, v34
	v_bfe_u32 v3, v43, v38, 2
	v_cmp_eq_u32_e64 s[30:31], 0, v2
	v_xor_b32_e32 v46, 0x80000000, v5
	v_bitop3_b32 v5, v5, v41, s65 bitop3:0x48
	v_cmp_eq_u32_e64 s[26:27], v4, v34
	v_bfe_u32 v4, v45, v38, 2
	v_cmp_eq_u32_e64 s[34:35], 0, v3
	s_and_b64 s[30:31], s[0:1], s[30:31]
	v_cmp_eq_u32_e64 s[28:29], v5, v34
	v_bfe_u32 v5, v46, v38, 2
	v_cmp_eq_u32_e64 s[36:37], 0, v4
	v_cmp_eq_u32_e64 s[40:41], 1, v2
	;; [unrolled: 1-line block ×4, first 2 shown]
	v_cndmask_b32_e64 v2, 0, 1, s[30:31]
	s_and_b64 s[30:31], s[2:3], s[34:35]
	v_cmp_eq_u32_e64 s[38:39], 0, v5
	v_cmp_eq_u32_e64 s[42:43], 1, v3
	;; [unrolled: 1-line block ×4, first 2 shown]
	v_cndmask_b32_e64 v3, 0, 1, s[30:31]
	s_and_b64 s[30:31], s[26:27], s[36:37]
	v_cmp_eq_u32_e64 s[44:45], 1, v4
	v_cmp_eq_u32_e64 s[52:53], 2, v4
	;; [unrolled: 1-line block ×3, first 2 shown]
	v_cndmask_b32_e64 v4, 0, 1, s[30:31]
	s_and_b64 s[30:31], s[28:29], s[38:39]
	v_cmp_eq_u32_e64 s[46:47], 1, v5
	v_cmp_eq_u32_e64 s[54:55], 2, v5
	;; [unrolled: 1-line block ×3, first 2 shown]
	v_cndmask_b32_e64 v5, 0, 1, s[30:31]
	s_and_b64 s[30:31], s[0:1], s[40:41]
	v_cndmask_b32_e64 v20, 0, 1, s[30:31]
	s_and_b64 s[30:31], s[2:3], s[42:43]
	;; [unrolled: 2-line block ×5, first 2 shown]
	s_and_b64 s[0:1], s[0:1], s[56:57]
	v_cndmask_b32_e64 v47, 0, 1, s[30:31]
	s_and_b64 s[30:31], s[2:3], s[50:51]
	v_cndmask_b32_e64 v51, 0, 1, s[0:1]
	;; [unrolled: 2-line block ×7, first 2 shown]
	v_cndmask_b32_e64 v54, 0, 1, s[0:1]
	v_cmp_ne_u32_e64 s[0:1], 0, v2
	v_cmp_ne_u32_e64 s[2:3], 0, v3
	v_cmp_ne_u32_e64 s[26:27], 0, v4
	v_cmp_ne_u32_e64 s[28:29], 0, v5
	v_cmp_ne_u32_e64 s[30:31], 0, v20
	v_cmp_ne_u32_e64 s[36:37], 0, v45
	v_cmp_ne_u32_e64 s[40:41], 0, v47
	v_cmp_ne_u32_e64 s[48:49], 0, v51
	v_cmp_ne_u32_e64 s[34:35], 0, v43
	v_cmp_ne_u32_e64 s[42:43], 0, v48
	v_cmp_ne_u32_e64 s[50:51], 0, v52
	s_bcnt1_i32_b64 s0, s[0:1]
	s_bcnt1_i32_b64 s1, s[2:3]
	;; [unrolled: 1-line block ×8, first 2 shown]
	v_cmp_ne_u32_e64 s[38:39], 0, v46
	v_cmp_ne_u32_e64 s[44:45], 0, v49
	;; [unrolled: 1-line block ×3, first 2 shown]
	s_bcnt1_i32_b64 s27, s[34:35]
	s_bcnt1_i32_b64 s31, s[42:43]
	;; [unrolled: 1-line block ×3, first 2 shown]
	s_add_i32 s0, s86, s0
	s_add_i32 s26, s33, s26
	;; [unrolled: 1-line block ×4, first 2 shown]
	v_cmp_ne_u32_e64 s[46:47], 0, v50
	v_cmp_ne_u32_e64 s[54:55], 0, v54
	s_bcnt1_i32_b64 s29, s[38:39]
	s_bcnt1_i32_b64 s34, s[44:45]
	s_bcnt1_i32_b64 s38, s[52:53]
	s_add_i32 s0, s0, s1
	s_add_i32 s1, s26, s27
	;; [unrolled: 1-line block ×4, first 2 shown]
	s_bcnt1_i32_b64 s35, s[46:47]
	s_bcnt1_i32_b64 s39, s[54:55]
	s_add_i32 s0, s0, s2
	s_add_i32 s1, s1, s28
	;; [unrolled: 1-line block ×8, first 2 shown]
	s_or_b64 s[72:73], vcc, s[72:73]
	v_mov_b32_e32 v2, s86
	v_mov_b32_e32 v3, s33
	;; [unrolled: 1-line block ×4, first 2 shown]
	s_andn2_b64 exec, exec, s[72:73]
	s_cbranch_execnz .LBB89_80
; %bb.81:                               ;   in Loop: Header=BB89_11 Depth=1
	s_or_b64 exec, exec, s[72:73]
.LBB89_82:                              ;   in Loop: Header=BB89_11 Depth=1
	s_or_b64 exec, exec, s[14:15]
	v_add_u32_e32 v10, s84, v0
	v_cmp_gt_u32_e32 vcc, s74, v10
	s_and_saveexec_b64 s[14:15], vcc
	s_cbranch_execz .LBB89_86
; %bb.83:                               ;   in Loop: Header=BB89_11 Depth=1
	v_lshlrev_b32_e32 v19, 2, v10
	s_mov_b64 s[34:35], 0
.LBB89_84:                              ;   Parent Loop BB89_11 Depth=1
                                        ; =>  This Inner Loop Header: Depth=2
	ds_read_b32 v20, v19
	v_add_u32_e32 v10, s75, v10
	v_cmp_le_u32_e32 vcc, s74, v10
	v_add_u32_e32 v19, s76, v19
	s_waitcnt lgkmcnt(0)
	v_xor_b32_e32 v43, 0x80000000, v20
	v_bitop3_b32 v20, v20, v41, s65 bitop3:0x48
	v_cmp_eq_u32_e64 s[0:1], v20, v34
	v_bfe_u32 v20, v43, v38, 2
	v_cmp_eq_u32_e64 s[2:3], 0, v20
	v_cmp_eq_u32_e64 s[26:27], 1, v20
	s_and_b64 s[2:3], s[0:1], s[2:3]
	v_cmp_eq_u32_e64 s[28:29], 2, v20
	v_cmp_eq_u32_e64 s[30:31], 3, v20
	v_cndmask_b32_e64 v20, 0, 1, s[2:3]
	s_and_b64 s[2:3], s[0:1], s[26:27]
	v_cndmask_b32_e64 v43, 0, 1, s[2:3]
	s_and_b64 s[2:3], s[0:1], s[28:29]
	s_and_b64 s[0:1], s[0:1], s[30:31]
	v_cndmask_b32_e64 v45, 0, 1, s[2:3]
	v_cndmask_b32_e64 v46, 0, 1, s[0:1]
	v_cmp_ne_u32_e64 s[0:1], 0, v20
	v_cmp_ne_u32_e64 s[2:3], 0, v43
	;; [unrolled: 1-line block ×4, first 2 shown]
	s_bcnt1_i32_b64 s0, s[0:1]
	s_bcnt1_i32_b64 s1, s[2:3]
	;; [unrolled: 1-line block ×4, first 2 shown]
	v_add_u32_e32 v2, s0, v2
	v_add_u32_e32 v3, s1, v3
	;; [unrolled: 1-line block ×3, first 2 shown]
	s_or_b64 s[34:35], vcc, s[34:35]
	v_add_u32_e32 v5, s3, v5
	s_andn2_b64 exec, exec, s[34:35]
	s_cbranch_execnz .LBB89_84
; %bb.85:                               ;   in Loop: Header=BB89_11 Depth=1
	s_or_b64 exec, exec, s[34:35]
.LBB89_86:                              ;   in Loop: Header=BB89_11 Depth=1
	s_or_b64 exec, exec, s[14:15]
	v_lshlrev_b32_e32 v19, 6, v40
	s_and_saveexec_b64 s[0:1], s[4:5]
	s_cbranch_execnz .LBB89_60
	s_branch .LBB89_61
.LBB89_87:                              ;   in Loop: Header=BB89_11 Depth=1
	v_mov_b32_e32 v2, 0
	s_mov_b32 s8, 0
	s_cbranch_execnz .LBB89_92
	s_branch .LBB89_94
.LBB89_88:                              ;   in Loop: Header=BB89_11 Depth=1
	v_mov_b32_e32 v10, v11
	s_mov_b32 s2, 0
	v_mov_b64_e32 v[2:3], v[10:11]
	s_mov_b32 s3, 1
.LBB89_89:                              ;   in Loop: Header=BB89_11 Depth=1
	v_readlane_b32 s14, v70, 28
	v_readlane_b32 s15, v70, 29
	s_andn2_b64 vcc, exec, s[14:15]
	v_readlane_b32 s8, v70, 27
	s_cbranch_vccnz .LBB89_91
.LBB89_90:                              ;   Parent Loop BB89_11 Depth=1
                                        ; =>  This Inner Loop Header: Depth=2
	v_lshl_add_u32 v10, s2, 4, v5
	v_lshl_add_u32 v20, s3, 4, v5
	ds_read_b32 v20, v20
	ds_read_b32 v10, v10
	s_add_i32 s3, s3, 2
	s_add_i32 s2, s2, 2
	s_add_i32 s8, s8, -1
	s_cmp_lg_u32 s8, 0
	s_waitcnt lgkmcnt(1)
	v_add_u32_e32 v3, v20, v3
	s_waitcnt lgkmcnt(0)
	v_add_u32_e32 v2, v10, v2
	s_cbranch_scc1 .LBB89_90
.LBB89_91:                              ;   in Loop: Header=BB89_11 Depth=1
	v_readlane_b32 s2, v70, 32
	v_add_u32_e32 v2, v2, v3
	v_readlane_b32 s8, v70, 31
	v_readlane_b32 s3, v70, 33
	s_and_b64 vcc, exec, s[2:3]
	s_cbranch_vccz .LBB89_94
.LBB89_92:                              ;   in Loop: Header=BB89_11 Depth=1
	v_lshlrev_b32_e32 v3, 8, v40
	s_lshl_b32 s2, s8, 4
	v_add_u32_e32 v3, s2, v3
	v_readlane_b32 s2, v70, 30
	v_add_u32_e32 v3, v37, v3
	s_sub_i32 s2, s2, s8
.LBB89_93:                              ;   Parent Loop BB89_11 Depth=1
                                        ; =>  This Inner Loop Header: Depth=2
	ds_read_b32 v5, v3
	s_add_i32 s2, s2, -1
	v_add_u32_e32 v3, 16, v3
	s_cmp_eq_u32 s2, 0
	s_waitcnt lgkmcnt(0)
	v_add_u32_e32 v2, v5, v2
	s_cbranch_scc0 .LBB89_93
.LBB89_94:                              ;   in Loop: Header=BB89_11 Depth=1
	v_lshlrev_b32_e32 v3, 2, v4
	ds_write_b32 v3, v2 offset:3072
.LBB89_95:                              ;   in Loop: Header=BB89_11 Depth=1
	s_or_b64 exec, exec, s[0:1]
	v_lshlrev_b32_e32 v2, 2, v19
	s_waitcnt lgkmcnt(0)
	s_barrier
	ds_read_b128 v[2:5], v2 offset:3072
	v_cmp_eq_u32_e32 vcc, 1, v42
	s_mov_b64 s[2:3], -1
	s_mov_b64 s[30:31], -1
                                        ; implicit-def: $sgpr28_sgpr29
                                        ; implicit-def: $sgpr14_sgpr15
	s_waitcnt lgkmcnt(0)
	v_readfirstlane_b32 s44, v2
	s_cmp_eq_u32 s44, 1
	v_lshlrev_b32_e64 v2, v38, 3
	s_cselect_b64 s[0:1], -1, 0
	v_readfirstlane_b32 s48, v3
	v_readfirstlane_b32 s56, v4
	;; [unrolled: 1-line block ×3, first 2 shown]
	v_not_b32_e32 v4, v2
	s_and_b64 s[26:27], s[0:1], vcc
	s_and_saveexec_b64 s[0:1], s[26:27]
	s_cbranch_execz .LBB89_121
; %bb.96:                               ;   in Loop: Header=BB89_11 Depth=1
	ds_read_b32 v3, v11 offset:4104
	s_waitcnt lgkmcnt(0)
	s_barrier
	v_readfirstlane_b32 s8, v3
	s_and_saveexec_b64 s[14:15], s[6:7]
; %bb.97:                               ;   in Loop: Header=BB89_11 Depth=1
	ds_write_b32 v23, v11
; %bb.98:                               ;   in Loop: Header=BB89_11 Depth=1
	s_or_b64 exec, exec, s[14:15]
	v_and_b32_e32 v34, v34, v4
	v_or_b32_e32 v41, v41, v2
	s_mov_b64 s[14:15], -1
	s_mov_b64 s[28:29], 0
	s_cmp_eq_u32 s8, 0
	s_mov_b64 s[30:31], 0
	s_mov_b64 s[34:35], -1
	s_waitcnt lgkmcnt(0)
	s_barrier
                                        ; implicit-def: $vgpr21
	s_cbranch_scc1 .LBB89_109
; %bb.99:                               ;   in Loop: Header=BB89_11 Depth=1
	s_add_i32 s30, s8, s67
	s_mul_hi_u32 s31, s30, s90
	s_mul_i32 s31, s31, s75
	s_sub_i32 s31, s30, s31
	s_sub_i32 s33, s31, s75
	s_cmp_ge_u32 s31, s75
	s_cselect_b32 s31, s33, s31
	s_sub_i32 s33, s31, s75
	s_cmp_ge_u32 s31, s75
	s_cselect_b32 s31, s33, s31
	s_sub_i32 s33, s30, s31
	v_cmp_gt_u32_e32 vcc, s33, v0
	s_mov_b64 s[34:35], 0
	s_mov_b64 s[30:31], 0
                                        ; implicit-def: $vgpr21
	s_and_saveexec_b64 s[36:37], vcc
	s_cbranch_execz .LBB89_108
; %bb.100:                              ;   in Loop: Header=BB89_11 Depth=1
	v_mov_b32_e32 v3, v15
	v_mov_b32_e32 v5, v0
                                        ; implicit-def: $sgpr38_sgpr39
	s_branch .LBB89_103
.LBB89_101:                             ;   in Loop: Header=BB89_103 Depth=2
	s_or_b64 exec, exec, s[40:41]
	s_waitcnt lgkmcnt(0)
	s_barrier
	ds_read_b64 v[20:21], v11 offset:3072
	s_mov_b64 s[40:41], -1
	s_mov_b64 s[42:43], -1
	s_waitcnt lgkmcnt(0)
	s_barrier
	v_cmp_ne_u32_e32 vcc, 0, v20
	s_cbranch_vccz .LBB89_106
.LBB89_102:                             ;   in Loop: Header=BB89_103 Depth=2
	s_and_b64 s[40:41], exec, s[40:41]
	s_or_b64 s[30:31], s[40:41], s[30:31]
	s_andn2_b64 s[38:39], s[38:39], exec
	s_and_b64 s[40:41], s[42:43], exec
	s_or_b64 s[38:39], s[38:39], s[40:41]
	s_andn2_b64 exec, exec, s[30:31]
	s_cbranch_execz .LBB89_107
.LBB89_103:                             ;   Parent Loop BB89_11 Depth=1
                                        ; =>  This Inner Loop Header: Depth=2
	v_cmp_gt_u32_e32 vcc, s8, v5
	s_and_saveexec_b64 s[40:41], vcc
	s_cbranch_execz .LBB89_101
; %bb.104:                              ;   in Loop: Header=BB89_103 Depth=2
	ds_read_b32 v19, v3
	s_waitcnt lgkmcnt(0)
	v_bitop3_b32 v10, v19, v41, s65 bitop3:0x48
	v_cmp_eq_u32_e32 vcc, v10, v34
	s_and_b64 exec, exec, vcc
	s_cbranch_execz .LBB89_101
; %bb.105:                              ;   in Loop: Header=BB89_103 Depth=2
	ds_write_b64 v11, v[18:19] offset:3072
	s_branch .LBB89_101
.LBB89_106:                             ;   in Loop: Header=BB89_103 Depth=2
	v_add_u32_e32 v5, s75, v5
	v_cmp_le_u32_e32 vcc, s33, v5
	v_add_u32_e32 v3, s76, v3
	s_mov_b64 s[42:43], 0
	s_orn2_b64 s[40:41], vcc, exec
	s_branch .LBB89_102
.LBB89_107:                             ;   in Loop: Header=BB89_11 Depth=1
	s_or_b64 exec, exec, s[30:31]
	s_and_b64 s[30:31], s[38:39], exec
.LBB89_108:                             ;   in Loop: Header=BB89_11 Depth=1
	s_or_b64 exec, exec, s[36:37]
.LBB89_109:                             ;   in Loop: Header=BB89_11 Depth=1
	s_and_b64 vcc, exec, s[34:35]
	s_cbranch_vccz .LBB89_120
; %bb.110:                              ;   in Loop: Header=BB89_11 Depth=1
                                        ; implicit-def: $vgpr21
	s_and_saveexec_b64 s[14:15], s[20:21]
	s_cbranch_execz .LBB89_119
; %bb.111:                              ;   in Loop: Header=BB89_11 Depth=1
	s_mov_b64 s[28:29], 0
	v_mov_b32_e32 v10, v8
	v_mov_b32_e32 v3, v0
                                        ; implicit-def: $sgpr34_sgpr35
	s_branch .LBB89_114
.LBB89_112:                             ;   in Loop: Header=BB89_114 Depth=2
	s_or_b64 exec, exec, s[36:37]
	s_waitcnt lgkmcnt(0)
	s_barrier
	ds_read_b64 v[20:21], v11 offset:3072
	s_mov_b64 s[36:37], -1
	s_mov_b64 s[38:39], -1
	s_waitcnt lgkmcnt(0)
	s_barrier
	v_cmp_ne_u32_e32 vcc, 0, v20
	s_cbranch_vccz .LBB89_117
.LBB89_113:                             ;   in Loop: Header=BB89_114 Depth=2
	s_and_b64 s[36:37], exec, s[36:37]
	s_or_b64 s[28:29], s[36:37], s[28:29]
	s_andn2_b64 s[34:35], s[34:35], exec
	s_and_b64 s[36:37], s[38:39], exec
	s_or_b64 s[34:35], s[34:35], s[36:37]
	s_andn2_b64 exec, exec, s[28:29]
	s_cbranch_execz .LBB89_118
.LBB89_114:                             ;   Parent Loop BB89_11 Depth=1
                                        ; =>  This Inner Loop Header: Depth=2
	v_cmp_gt_u32_e32 vcc, s64, v3
	s_and_saveexec_b64 s[36:37], vcc
	s_cbranch_execz .LBB89_112
; %bb.115:                              ;   in Loop: Header=BB89_114 Depth=2
	v_lshl_add_u64 v[20:21], v[10:11], 2, v[6:7]
	global_load_dword v19, v[20:21], off
	s_waitcnt vmcnt(0)
	v_bitop3_b32 v5, v19, v41, s65 bitop3:0x48
	v_cmp_eq_u32_e32 vcc, v5, v34
	s_and_b64 exec, exec, vcc
	s_cbranch_execz .LBB89_112
; %bb.116:                              ;   in Loop: Header=BB89_114 Depth=2
	ds_write_b64 v11, v[18:19] offset:3072
	s_branch .LBB89_112
.LBB89_117:                             ;   in Loop: Header=BB89_114 Depth=2
	v_add_u32_e32 v3, s75, v3
	v_cmp_le_u32_e32 vcc, s91, v3
	v_add_u32_e32 v10, s77, v10
	s_mov_b64 s[38:39], 0
	s_orn2_b64 s[36:37], vcc, exec
	s_branch .LBB89_113
.LBB89_118:                             ;   in Loop: Header=BB89_11 Depth=1
	s_or_b64 exec, exec, s[28:29]
	s_andn2_b64 s[28:29], s[30:31], exec
	s_and_b64 s[30:31], s[34:35], exec
	s_or_b64 s[30:31], s[28:29], s[30:31]
.LBB89_119:                             ;   in Loop: Header=BB89_11 Depth=1
	s_or_b64 exec, exec, s[14:15]
	s_mov_b64 s[14:15], 0
	s_mov_b64 s[28:29], -1
.LBB89_120:                             ;   in Loop: Header=BB89_11 Depth=1
	s_orn2_b64 s[30:31], s[30:31], exec
.LBB89_121:                             ;   in Loop: Header=BB89_11 Depth=1
	s_or_b64 exec, exec, s[0:1]
	s_andn2_b64 s[0:1], s[12:13], exec
	s_and_b64 s[12:13], s[28:29], exec
	s_or_b64 s[12:13], s[0:1], s[12:13]
	s_andn2_b64 s[0:1], s[10:11], exec
	s_and_b64 s[10:11], s[14:15], exec
	s_andn2_b64 s[70:71], s[70:71], exec
	s_or_b64 s[10:11], s[0:1], s[10:11]
                                        ; implicit-def: $vgpr5
	s_and_saveexec_b64 s[0:1], s[30:31]
	s_cbranch_execz .LBB89_10
; %bb.122:                              ;   in Loop: Header=BB89_11 Depth=1
	s_xor_b64 s[14:15], s[26:27], -1
	s_mov_b64 s[26:27], 0
	v_mov_b32_e32 v5, 1
	v_mov_b32_e32 v3, 1
	s_and_saveexec_b64 s[2:3], s[14:15]
	s_cbranch_execz .LBB89_131
; %bb.123:                              ;   in Loop: Header=BB89_11 Depth=1
	v_cmp_ge_u32_e32 vcc, s44, v42
	s_and_saveexec_b64 s[14:15], vcc
	s_xor_b64 s[14:15], exec, s[14:15]
	s_cbranch_execz .LBB89_128
; %bb.124:                              ;   in Loop: Header=BB89_11 Depth=1
	ds_read_b32 v3, v11 offset:4104
	v_and_b32_e32 v34, v34, v4
	v_or_b32_e32 v41, v41, v2
	s_waitcnt lgkmcnt(0)
	v_cmp_ne_u32_e32 vcc, 0, v3
	s_cbranch_vccnz .LBB89_128
; %bb.125:                              ;   in Loop: Header=BB89_11 Depth=1
	s_and_saveexec_b64 s[26:27], s[22:23]
; %bb.126:                              ;   in Loop: Header=BB89_11 Depth=1
	v_mov_b32_e32 v3, s44
	ds_write_b32 v11, v3 offset:4108
; %bb.127:                              ;   in Loop: Header=BB89_11 Depth=1
	s_or_b64 exec, exec, s[26:27]
	s_waitcnt lgkmcnt(0)
	s_barrier
.LBB89_128:                             ;   in Loop: Header=BB89_11 Depth=1
	s_or_saveexec_b64 s[14:15], s[14:15]
	s_mov_b64 s[26:27], 0
	v_mov_b32_e32 v3, 8
	s_xor_b64 exec, exec, s[14:15]
; %bb.129:                              ;   in Loop: Header=BB89_11 Depth=1
	s_mov_b64 s[26:27], exec
	v_subrev_u32_e32 v42, s44, v42
	v_mov_b32_e32 v3, 0
; %bb.130:                              ;   in Loop: Header=BB89_11 Depth=1
	s_or_b64 exec, exec, s[14:15]
	s_and_b64 s[26:27], s[26:27], exec
	v_mov_b32_e32 v5, v42
.LBB89_131:                             ;   in Loop: Header=BB89_11 Depth=1
	s_or_b64 exec, exec, s[2:3]
	s_mov_b64 s[2:3], -1
	s_mov_b64 s[14:15], -1
                                        ; implicit-def: $sgpr28_sgpr29
                                        ; implicit-def: $sgpr30_sgpr31
	s_and_saveexec_b64 s[34:35], s[26:27]
	s_xor_b64 s[26:27], exec, s[34:35]
	s_cbranch_execz .LBB89_248
; %bb.132:                              ;   in Loop: Header=BB89_11 Depth=1
	s_cmp_eq_u32 s48, 1
	s_cselect_b64 s[14:15], -1, 0
	v_cmp_eq_u32_e32 vcc, 1, v5
	s_and_b64 s[36:37], s[14:15], vcc
	s_mov_b64 s[38:39], -1
                                        ; implicit-def: $sgpr30_sgpr31
                                        ; implicit-def: $sgpr28_sgpr29
	s_and_saveexec_b64 s[14:15], s[36:37]
	s_cbranch_execz .LBB89_158
; %bb.133:                              ;   in Loop: Header=BB89_11 Depth=1
	ds_read_b32 v10, v11 offset:4104
	s_waitcnt lgkmcnt(0)
	s_barrier
	v_readfirstlane_b32 s8, v10
	s_and_saveexec_b64 s[28:29], s[6:7]
; %bb.134:                              ;   in Loop: Header=BB89_11 Depth=1
	ds_write_b32 v23, v11
; %bb.135:                              ;   in Loop: Header=BB89_11 Depth=1
	s_or_b64 exec, exec, s[28:29]
	v_and_b32_e32 v10, v34, v4
	v_lshl_or_b32 v34, 1, v38, v10
	v_or_b32_e32 v41, v41, v2
	s_mov_b64 s[28:29], -1
	s_mov_b64 s[30:31], 0
	s_cmp_eq_u32 s8, 0
	s_mov_b64 s[34:35], 0
	s_waitcnt lgkmcnt(0)
	s_barrier
                                        ; implicit-def: $vgpr21
	s_cbranch_scc1 .LBB89_146
; %bb.136:                              ;   in Loop: Header=BB89_11 Depth=1
	s_add_i32 s33, s8, s67
	s_mul_hi_u32 s34, s33, s90
	s_mul_i32 s34, s34, s75
	s_sub_i32 s34, s33, s34
	s_sub_i32 s35, s34, s75
	s_cmp_ge_u32 s34, s75
	s_cselect_b32 s34, s35, s34
	s_sub_i32 s35, s34, s75
	s_cmp_ge_u32 s34, s75
	s_cselect_b32 s34, s35, s34
	s_sub_i32 s33, s33, s34
	v_cmp_gt_u32_e32 vcc, s33, v0
	s_mov_b64 s[38:39], 0
	s_mov_b64 s[34:35], 0
                                        ; implicit-def: $vgpr21
	s_and_saveexec_b64 s[40:41], vcc
	s_cbranch_execz .LBB89_145
; %bb.137:                              ;   in Loop: Header=BB89_11 Depth=1
	v_mov_b32_e32 v10, v15
	v_mov_b32_e32 v42, v0
                                        ; implicit-def: $sgpr42_sgpr43
	s_branch .LBB89_140
.LBB89_138:                             ;   in Loop: Header=BB89_140 Depth=2
	s_or_b64 exec, exec, s[44:45]
	s_waitcnt lgkmcnt(0)
	s_barrier
	ds_read_b64 v[20:21], v11 offset:3072
	s_mov_b64 s[44:45], -1
	s_mov_b64 s[46:47], -1
	s_waitcnt lgkmcnt(0)
	s_barrier
	v_cmp_ne_u32_e32 vcc, 0, v20
	s_cbranch_vccz .LBB89_143
.LBB89_139:                             ;   in Loop: Header=BB89_140 Depth=2
	s_and_b64 s[44:45], exec, s[44:45]
	s_or_b64 s[34:35], s[44:45], s[34:35]
	s_andn2_b64 s[42:43], s[42:43], exec
	s_and_b64 s[44:45], s[46:47], exec
	s_or_b64 s[42:43], s[42:43], s[44:45]
	s_andn2_b64 exec, exec, s[34:35]
	s_cbranch_execz .LBB89_144
.LBB89_140:                             ;   Parent Loop BB89_11 Depth=1
                                        ; =>  This Inner Loop Header: Depth=2
	v_cmp_gt_u32_e32 vcc, s8, v42
	s_and_saveexec_b64 s[44:45], vcc
	s_cbranch_execz .LBB89_138
; %bb.141:                              ;   in Loop: Header=BB89_140 Depth=2
	ds_read_b32 v19, v10
	s_waitcnt lgkmcnt(0)
	v_bitop3_b32 v20, v19, v41, s65 bitop3:0x48
	v_cmp_eq_u32_e32 vcc, v20, v34
	s_and_b64 exec, exec, vcc
	s_cbranch_execz .LBB89_138
; %bb.142:                              ;   in Loop: Header=BB89_140 Depth=2
	ds_write_b64 v11, v[18:19] offset:3072
	s_branch .LBB89_138
.LBB89_143:                             ;   in Loop: Header=BB89_140 Depth=2
	v_add_u32_e32 v42, s75, v42
	v_cmp_le_u32_e32 vcc, s33, v42
	v_add_u32_e32 v10, s76, v10
	s_mov_b64 s[46:47], 0
	s_orn2_b64 s[44:45], vcc, exec
	s_branch .LBB89_139
.LBB89_144:                             ;   in Loop: Header=BB89_11 Depth=1
	s_or_b64 exec, exec, s[34:35]
	s_and_b64 s[34:35], s[42:43], exec
.LBB89_145:                             ;   in Loop: Header=BB89_11 Depth=1
	s_or_b64 exec, exec, s[40:41]
.LBB89_146:                             ;   in Loop: Header=BB89_11 Depth=1
	s_and_b64 vcc, exec, s[38:39]
	s_cbranch_vccz .LBB89_157
; %bb.147:                              ;   in Loop: Header=BB89_11 Depth=1
                                        ; implicit-def: $vgpr21
	s_and_saveexec_b64 s[28:29], s[20:21]
	s_cbranch_execz .LBB89_156
; %bb.148:                              ;   in Loop: Header=BB89_11 Depth=1
	s_mov_b64 s[30:31], 0
	v_mov_b32_e32 v10, v8
	v_mov_b32_e32 v42, v0
                                        ; implicit-def: $sgpr38_sgpr39
	s_branch .LBB89_151
.LBB89_149:                             ;   in Loop: Header=BB89_151 Depth=2
	s_or_b64 exec, exec, s[40:41]
	s_waitcnt lgkmcnt(0)
	s_barrier
	ds_read_b64 v[20:21], v11 offset:3072
	s_mov_b64 s[40:41], -1
	s_mov_b64 s[42:43], -1
	s_waitcnt lgkmcnt(0)
	s_barrier
	v_cmp_eq_u32_e32 vcc, 0, v20
	s_cbranch_vccnz .LBB89_154
.LBB89_150:                             ;   in Loop: Header=BB89_151 Depth=2
	s_and_b64 s[40:41], exec, s[40:41]
	s_or_b64 s[30:31], s[40:41], s[30:31]
	s_andn2_b64 s[38:39], s[38:39], exec
	s_and_b64 s[40:41], s[42:43], exec
	s_or_b64 s[38:39], s[38:39], s[40:41]
	s_andn2_b64 exec, exec, s[30:31]
	s_cbranch_execz .LBB89_155
.LBB89_151:                             ;   Parent Loop BB89_11 Depth=1
                                        ; =>  This Inner Loop Header: Depth=2
	v_cmp_gt_u32_e32 vcc, s64, v42
	s_and_saveexec_b64 s[40:41], vcc
	s_cbranch_execz .LBB89_149
; %bb.152:                              ;   in Loop: Header=BB89_151 Depth=2
	v_lshl_add_u64 v[20:21], v[10:11], 2, v[6:7]
	global_load_dword v19, v[20:21], off
	s_waitcnt vmcnt(0)
	v_bitop3_b32 v20, v19, v41, s65 bitop3:0x48
	v_cmp_eq_u32_e32 vcc, v20, v34
	s_and_b64 exec, exec, vcc
	s_cbranch_execz .LBB89_149
; %bb.153:                              ;   in Loop: Header=BB89_151 Depth=2
	ds_write_b64 v11, v[18:19] offset:3072
	s_branch .LBB89_149
.LBB89_154:                             ;   in Loop: Header=BB89_151 Depth=2
	v_add_u32_e32 v42, s75, v42
	v_cmp_le_u32_e32 vcc, s91, v42
	v_add_u32_e32 v10, s77, v10
	s_mov_b64 s[42:43], 0
	s_orn2_b64 s[40:41], vcc, exec
	s_branch .LBB89_150
.LBB89_155:                             ;   in Loop: Header=BB89_11 Depth=1
	s_or_b64 exec, exec, s[30:31]
	s_andn2_b64 s[30:31], s[34:35], exec
	s_and_b64 s[34:35], s[38:39], exec
	s_or_b64 s[34:35], s[30:31], s[34:35]
.LBB89_156:                             ;   in Loop: Header=BB89_11 Depth=1
	s_or_b64 exec, exec, s[28:29]
	s_mov_b64 s[28:29], 0
	s_mov_b64 s[30:31], -1
.LBB89_157:                             ;   in Loop: Header=BB89_11 Depth=1
	s_orn2_b64 s[38:39], s[34:35], exec
.LBB89_158:                             ;   in Loop: Header=BB89_11 Depth=1
	s_or_b64 exec, exec, s[14:15]
	s_mov_b64 s[14:15], 0
	s_and_saveexec_b64 s[34:35], s[38:39]
	s_cbranch_execz .LBB89_247
; %bb.159:                              ;   in Loop: Header=BB89_11 Depth=1
	s_xor_b64 s[36:37], s[36:37], -1
	s_mov_b64 s[42:43], 0
	v_mov_b32_e32 v42, 1
	v_mov_b32_e32 v3, 1
	s_and_saveexec_b64 s[14:15], s[36:37]
	s_cbranch_execz .LBB89_168
; %bb.160:                              ;   in Loop: Header=BB89_11 Depth=1
	v_cmp_ge_u32_e32 vcc, s48, v5
	s_and_saveexec_b64 s[36:37], vcc
	s_xor_b64 s[36:37], exec, s[36:37]
	s_cbranch_execz .LBB89_165
; %bb.161:                              ;   in Loop: Header=BB89_11 Depth=1
	ds_read_b32 v3, v11 offset:4104
	v_and_b32_e32 v10, v34, v4
	v_lshl_or_b32 v34, 1, v38, v10
	v_or_b32_e32 v41, v41, v2
	s_waitcnt lgkmcnt(0)
	v_cmp_ne_u32_e32 vcc, 0, v3
	s_cbranch_vccnz .LBB89_165
; %bb.162:                              ;   in Loop: Header=BB89_11 Depth=1
	s_and_saveexec_b64 s[38:39], s[22:23]
; %bb.163:                              ;   in Loop: Header=BB89_11 Depth=1
	v_mov_b32_e32 v3, s48
	ds_write_b32 v11, v3 offset:4108
; %bb.164:                              ;   in Loop: Header=BB89_11 Depth=1
	s_or_b64 exec, exec, s[38:39]
	s_waitcnt lgkmcnt(0)
	s_barrier
.LBB89_165:                             ;   in Loop: Header=BB89_11 Depth=1
	s_or_saveexec_b64 s[36:37], s[36:37]
	s_mov_b64 s[38:39], 0
	v_mov_b32_e32 v3, 8
	s_xor_b64 exec, exec, s[36:37]
; %bb.166:                              ;   in Loop: Header=BB89_11 Depth=1
	s_mov_b64 s[38:39], exec
	v_subrev_u32_e32 v5, s48, v5
	v_mov_b32_e32 v3, 0
; %bb.167:                              ;   in Loop: Header=BB89_11 Depth=1
	s_or_b64 exec, exec, s[36:37]
	s_and_b64 s[42:43], s[38:39], exec
	v_mov_b32_e32 v42, v5
.LBB89_168:                             ;   in Loop: Header=BB89_11 Depth=1
	s_or_b64 exec, exec, s[14:15]
	s_mov_b64 s[14:15], -1
                                        ; implicit-def: $sgpr38_sgpr39
                                        ; implicit-def: $sgpr40_sgpr41
	s_and_saveexec_b64 s[36:37], s[42:43]
	s_cbranch_execz .LBB89_246
; %bb.169:                              ;   in Loop: Header=BB89_11 Depth=1
	s_cmp_eq_u32 s56, 1
	s_cselect_b64 s[14:15], -1, 0
	v_cmp_eq_u32_e32 vcc, 1, v42
	s_and_b64 s[44:45], s[14:15], vcc
	s_mov_b64 s[46:47], -1
                                        ; implicit-def: $sgpr40_sgpr41
                                        ; implicit-def: $sgpr38_sgpr39
	s_and_saveexec_b64 s[14:15], s[44:45]
	s_cbranch_execz .LBB89_195
; %bb.170:                              ;   in Loop: Header=BB89_11 Depth=1
	ds_read_b32 v5, v11 offset:4104
	s_waitcnt lgkmcnt(0)
	s_barrier
	v_readfirstlane_b32 s8, v5
	s_and_saveexec_b64 s[38:39], s[6:7]
; %bb.171:                              ;   in Loop: Header=BB89_11 Depth=1
	ds_write_b32 v23, v11
; %bb.172:                              ;   in Loop: Header=BB89_11 Depth=1
	s_or_b64 exec, exec, s[38:39]
	v_and_b32_e32 v5, v34, v4
	v_lshl_or_b32 v34, 2, v38, v5
	v_or_b32_e32 v41, v41, v2
	s_mov_b64 s[38:39], -1
	s_mov_b64 s[40:41], 0
	s_cmp_eq_u32 s8, 0
	s_mov_b64 s[42:43], 0
	s_waitcnt lgkmcnt(0)
	s_barrier
                                        ; implicit-def: $vgpr21
	s_cbranch_scc1 .LBB89_183
; %bb.173:                              ;   in Loop: Header=BB89_11 Depth=1
	s_add_i32 s33, s8, s67
	s_mul_hi_u32 s42, s33, s90
	s_mul_i32 s42, s42, s75
	s_sub_i32 s42, s33, s42
	s_sub_i32 s43, s42, s75
	s_cmp_ge_u32 s42, s75
	s_cselect_b32 s42, s43, s42
	s_sub_i32 s43, s42, s75
	s_cmp_ge_u32 s42, s75
	s_cselect_b32 s42, s43, s42
	s_sub_i32 s33, s33, s42
	v_cmp_gt_u32_e32 vcc, s33, v0
	s_mov_b64 s[46:47], 0
	s_mov_b64 s[42:43], 0
                                        ; implicit-def: $vgpr21
	s_and_saveexec_b64 s[48:49], vcc
	s_cbranch_execz .LBB89_182
; %bb.174:                              ;   in Loop: Header=BB89_11 Depth=1
	v_mov_b32_e32 v5, v15
	v_mov_b32_e32 v10, v0
                                        ; implicit-def: $sgpr50_sgpr51
	s_branch .LBB89_177
.LBB89_175:                             ;   in Loop: Header=BB89_177 Depth=2
	s_or_b64 exec, exec, s[52:53]
	s_waitcnt lgkmcnt(0)
	s_barrier
	ds_read_b64 v[20:21], v11 offset:3072
	s_mov_b64 s[52:53], -1
	s_mov_b64 s[54:55], -1
	s_waitcnt lgkmcnt(0)
	s_barrier
	v_cmp_ne_u32_e32 vcc, 0, v20
	s_cbranch_vccz .LBB89_180
.LBB89_176:                             ;   in Loop: Header=BB89_177 Depth=2
	s_and_b64 s[52:53], exec, s[52:53]
	s_or_b64 s[42:43], s[52:53], s[42:43]
	s_andn2_b64 s[50:51], s[50:51], exec
	s_and_b64 s[52:53], s[54:55], exec
	s_or_b64 s[50:51], s[50:51], s[52:53]
	s_andn2_b64 exec, exec, s[42:43]
	s_cbranch_execz .LBB89_181
.LBB89_177:                             ;   Parent Loop BB89_11 Depth=1
                                        ; =>  This Inner Loop Header: Depth=2
	v_cmp_gt_u32_e32 vcc, s8, v10
	s_and_saveexec_b64 s[52:53], vcc
	s_cbranch_execz .LBB89_175
; %bb.178:                              ;   in Loop: Header=BB89_177 Depth=2
	ds_read_b32 v19, v5
	s_waitcnt lgkmcnt(0)
	v_bitop3_b32 v20, v19, v41, s65 bitop3:0x48
	v_cmp_eq_u32_e32 vcc, v20, v34
	s_and_b64 exec, exec, vcc
	s_cbranch_execz .LBB89_175
; %bb.179:                              ;   in Loop: Header=BB89_177 Depth=2
	ds_write_b64 v11, v[18:19] offset:3072
	s_branch .LBB89_175
.LBB89_180:                             ;   in Loop: Header=BB89_177 Depth=2
	v_add_u32_e32 v10, s75, v10
	v_cmp_le_u32_e32 vcc, s33, v10
	v_add_u32_e32 v5, s76, v5
	s_mov_b64 s[54:55], 0
	s_orn2_b64 s[52:53], vcc, exec
	s_branch .LBB89_176
.LBB89_181:                             ;   in Loop: Header=BB89_11 Depth=1
	s_or_b64 exec, exec, s[42:43]
	s_and_b64 s[42:43], s[50:51], exec
.LBB89_182:                             ;   in Loop: Header=BB89_11 Depth=1
	s_or_b64 exec, exec, s[48:49]
.LBB89_183:                             ;   in Loop: Header=BB89_11 Depth=1
	s_and_b64 vcc, exec, s[46:47]
	s_cbranch_vccz .LBB89_194
; %bb.184:                              ;   in Loop: Header=BB89_11 Depth=1
                                        ; implicit-def: $vgpr21
	s_and_saveexec_b64 s[38:39], s[20:21]
	s_cbranch_execz .LBB89_193
; %bb.185:                              ;   in Loop: Header=BB89_11 Depth=1
	s_mov_b64 s[40:41], 0
	v_mov_b32_e32 v10, v8
	v_mov_b32_e32 v5, v0
                                        ; implicit-def: $sgpr46_sgpr47
	s_branch .LBB89_188
.LBB89_186:                             ;   in Loop: Header=BB89_188 Depth=2
	s_or_b64 exec, exec, s[48:49]
	s_waitcnt lgkmcnt(0)
	s_barrier
	ds_read_b64 v[20:21], v11 offset:3072
	s_mov_b64 s[48:49], -1
	s_mov_b64 s[50:51], -1
	s_waitcnt lgkmcnt(0)
	s_barrier
	v_cmp_eq_u32_e32 vcc, 0, v20
	s_cbranch_vccnz .LBB89_191
.LBB89_187:                             ;   in Loop: Header=BB89_188 Depth=2
	s_and_b64 s[48:49], exec, s[48:49]
	s_or_b64 s[40:41], s[48:49], s[40:41]
	s_andn2_b64 s[46:47], s[46:47], exec
	s_and_b64 s[48:49], s[50:51], exec
	s_or_b64 s[46:47], s[46:47], s[48:49]
	s_andn2_b64 exec, exec, s[40:41]
	s_cbranch_execz .LBB89_192
.LBB89_188:                             ;   Parent Loop BB89_11 Depth=1
                                        ; =>  This Inner Loop Header: Depth=2
	v_cmp_gt_u32_e32 vcc, s64, v5
	s_and_saveexec_b64 s[48:49], vcc
	s_cbranch_execz .LBB89_186
; %bb.189:                              ;   in Loop: Header=BB89_188 Depth=2
	v_lshl_add_u64 v[20:21], v[10:11], 2, v[6:7]
	global_load_dword v19, v[20:21], off
	s_waitcnt vmcnt(0)
	v_bitop3_b32 v20, v19, v41, s65 bitop3:0x48
	v_cmp_eq_u32_e32 vcc, v20, v34
	s_and_b64 exec, exec, vcc
	s_cbranch_execz .LBB89_186
; %bb.190:                              ;   in Loop: Header=BB89_188 Depth=2
	ds_write_b64 v11, v[18:19] offset:3072
	s_branch .LBB89_186
.LBB89_191:                             ;   in Loop: Header=BB89_188 Depth=2
	v_add_u32_e32 v5, s75, v5
	v_cmp_le_u32_e32 vcc, s91, v5
	v_add_u32_e32 v10, s77, v10
	s_mov_b64 s[50:51], 0
	s_orn2_b64 s[48:49], vcc, exec
	s_branch .LBB89_187
.LBB89_192:                             ;   in Loop: Header=BB89_11 Depth=1
	s_or_b64 exec, exec, s[40:41]
	s_andn2_b64 s[40:41], s[42:43], exec
	s_and_b64 s[42:43], s[46:47], exec
	s_or_b64 s[42:43], s[40:41], s[42:43]
.LBB89_193:                             ;   in Loop: Header=BB89_11 Depth=1
	s_or_b64 exec, exec, s[38:39]
	s_mov_b64 s[38:39], 0
	s_mov_b64 s[40:41], -1
.LBB89_194:                             ;   in Loop: Header=BB89_11 Depth=1
	s_orn2_b64 s[46:47], s[42:43], exec
.LBB89_195:                             ;   in Loop: Header=BB89_11 Depth=1
	s_or_b64 exec, exec, s[14:15]
	s_mov_b64 s[14:15], 0
	s_and_saveexec_b64 s[42:43], s[46:47]
	s_cbranch_execz .LBB89_245
; %bb.196:                              ;   in Loop: Header=BB89_11 Depth=1
	s_xor_b64 s[44:45], s[44:45], -1
	s_mov_b64 s[50:51], 0
	v_mov_b32_e32 v5, 1
	v_mov_b32_e32 v3, 1
	s_and_saveexec_b64 s[14:15], s[44:45]
	s_cbranch_execz .LBB89_205
; %bb.197:                              ;   in Loop: Header=BB89_11 Depth=1
	v_cmp_ge_u32_e32 vcc, s56, v42
	s_and_saveexec_b64 s[44:45], vcc
	s_xor_b64 s[44:45], exec, s[44:45]
	s_cbranch_execz .LBB89_202
; %bb.198:                              ;   in Loop: Header=BB89_11 Depth=1
	ds_read_b32 v3, v11 offset:4104
	v_and_b32_e32 v4, v34, v4
	v_lshl_or_b32 v34, 2, v38, v4
	v_or_b32_e32 v41, v41, v2
	s_waitcnt lgkmcnt(0)
	v_cmp_ne_u32_e32 vcc, 0, v3
	s_cbranch_vccnz .LBB89_202
; %bb.199:                              ;   in Loop: Header=BB89_11 Depth=1
	s_and_saveexec_b64 s[46:47], s[22:23]
; %bb.200:                              ;   in Loop: Header=BB89_11 Depth=1
	v_mov_b32_e32 v3, s56
	ds_write_b32 v11, v3 offset:4108
; %bb.201:                              ;   in Loop: Header=BB89_11 Depth=1
	s_or_b64 exec, exec, s[46:47]
	s_waitcnt lgkmcnt(0)
	s_barrier
.LBB89_202:                             ;   in Loop: Header=BB89_11 Depth=1
	s_or_saveexec_b64 s[44:45], s[44:45]
	s_mov_b64 s[46:47], 0
	v_mov_b32_e32 v3, 8
	s_xor_b64 exec, exec, s[44:45]
; %bb.203:                              ;   in Loop: Header=BB89_11 Depth=1
	s_mov_b64 s[46:47], exec
	v_subrev_u32_e32 v42, s56, v42
	v_mov_b32_e32 v3, 0
; %bb.204:                              ;   in Loop: Header=BB89_11 Depth=1
	s_or_b64 exec, exec, s[44:45]
	s_and_b64 s[50:51], s[46:47], exec
	v_mov_b32_e32 v5, v42
.LBB89_205:                             ;   in Loop: Header=BB89_11 Depth=1
	s_or_b64 exec, exec, s[14:15]
	s_mov_b64 s[14:15], -1
                                        ; implicit-def: $sgpr48_sgpr49
                                        ; implicit-def: $sgpr46_sgpr47
	s_and_saveexec_b64 s[44:45], s[50:51]
	s_cbranch_execz .LBB89_244
; %bb.206:                              ;   in Loop: Header=BB89_11 Depth=1
	s_cmp_eq_u32 s72, 1
	s_cselect_b64 s[14:15], -1, 0
	v_cmp_eq_u32_e32 vcc, 1, v5
	s_and_b64 s[50:51], s[14:15], vcc
	s_mov_b64 s[52:53], -1
                                        ; implicit-def: $sgpr48_sgpr49
                                        ; implicit-def: $sgpr46_sgpr47
	s_and_saveexec_b64 s[14:15], s[50:51]
	s_cbranch_execz .LBB89_232
; %bb.207:                              ;   in Loop: Header=BB89_11 Depth=1
	ds_read_b32 v4, v11 offset:4104
	s_waitcnt lgkmcnt(0)
	s_barrier
	v_readfirstlane_b32 s8, v4
	s_and_saveexec_b64 s[46:47], s[6:7]
; %bb.208:                              ;   in Loop: Header=BB89_11 Depth=1
	ds_write_b32 v23, v11
; %bb.209:                              ;   in Loop: Header=BB89_11 Depth=1
	s_or_b64 exec, exec, s[46:47]
	v_or_b32_e32 v34, v34, v2
	v_or_b32_e32 v41, v41, v2
	s_mov_b64 s[46:47], -1
	s_mov_b64 s[48:49], 0
	s_cmp_eq_u32 s8, 0
	s_mov_b64 s[52:53], 0
	s_mov_b64 s[54:55], -1
	s_waitcnt lgkmcnt(0)
	s_barrier
                                        ; implicit-def: $vgpr21
	s_cbranch_scc1 .LBB89_220
; %bb.210:                              ;   in Loop: Header=BB89_11 Depth=1
	s_add_i32 s33, s8, s67
	s_mul_hi_u32 s52, s33, s90
	s_mul_i32 s52, s52, s75
	s_sub_i32 s52, s33, s52
	s_sub_i32 s53, s52, s75
	s_cmp_ge_u32 s52, s75
	s_cselect_b32 s52, s53, s52
	s_sub_i32 s53, s52, s75
	s_cmp_ge_u32 s52, s75
	s_cselect_b32 s52, s53, s52
	s_sub_i32 s33, s33, s52
	v_cmp_gt_u32_e32 vcc, s33, v0
	s_mov_b64 s[54:55], 0
	s_mov_b64 s[52:53], 0
                                        ; implicit-def: $vgpr21
	s_and_saveexec_b64 s[56:57], vcc
	s_cbranch_execz .LBB89_219
; %bb.211:                              ;   in Loop: Header=BB89_11 Depth=1
	v_mov_b32_e32 v4, v15
	v_mov_b32_e32 v10, v0
                                        ; implicit-def: $sgpr58_sgpr59
	s_branch .LBB89_214
.LBB89_212:                             ;   in Loop: Header=BB89_214 Depth=2
	s_or_b64 exec, exec, s[60:61]
	s_waitcnt lgkmcnt(0)
	s_barrier
	ds_read_b64 v[20:21], v11 offset:3072
	s_mov_b64 s[60:61], -1
	s_mov_b64 s[62:63], -1
	s_waitcnt lgkmcnt(0)
	s_barrier
	v_cmp_ne_u32_e32 vcc, 0, v20
	s_cbranch_vccz .LBB89_217
.LBB89_213:                             ;   in Loop: Header=BB89_214 Depth=2
	s_and_b64 s[60:61], exec, s[60:61]
	s_or_b64 s[52:53], s[60:61], s[52:53]
	s_andn2_b64 s[58:59], s[58:59], exec
	s_and_b64 s[60:61], s[62:63], exec
	s_or_b64 s[58:59], s[58:59], s[60:61]
	s_andn2_b64 exec, exec, s[52:53]
	s_cbranch_execz .LBB89_218
.LBB89_214:                             ;   Parent Loop BB89_11 Depth=1
                                        ; =>  This Inner Loop Header: Depth=2
	v_cmp_gt_u32_e32 vcc, s8, v10
	s_and_saveexec_b64 s[60:61], vcc
	s_cbranch_execz .LBB89_212
; %bb.215:                              ;   in Loop: Header=BB89_214 Depth=2
	ds_read_b32 v19, v4
	s_waitcnt lgkmcnt(0)
	v_bitop3_b32 v20, v19, v41, s65 bitop3:0x48
	v_cmp_eq_u32_e32 vcc, v20, v34
	s_and_b64 exec, exec, vcc
	s_cbranch_execz .LBB89_212
; %bb.216:                              ;   in Loop: Header=BB89_214 Depth=2
	ds_write_b64 v11, v[18:19] offset:3072
	s_branch .LBB89_212
.LBB89_217:                             ;   in Loop: Header=BB89_214 Depth=2
	v_add_u32_e32 v10, s75, v10
	v_cmp_le_u32_e32 vcc, s33, v10
	v_add_u32_e32 v4, s76, v4
	s_mov_b64 s[62:63], 0
	s_orn2_b64 s[60:61], vcc, exec
	s_branch .LBB89_213
.LBB89_218:                             ;   in Loop: Header=BB89_11 Depth=1
	s_or_b64 exec, exec, s[52:53]
	s_and_b64 s[52:53], s[58:59], exec
.LBB89_219:                             ;   in Loop: Header=BB89_11 Depth=1
	s_or_b64 exec, exec, s[56:57]
.LBB89_220:                             ;   in Loop: Header=BB89_11 Depth=1
	s_and_b64 vcc, exec, s[54:55]
	s_cbranch_vccz .LBB89_231
; %bb.221:                              ;   in Loop: Header=BB89_11 Depth=1
                                        ; implicit-def: $vgpr21
	s_and_saveexec_b64 s[46:47], s[20:21]
	s_cbranch_execz .LBB89_230
; %bb.222:                              ;   in Loop: Header=BB89_11 Depth=1
	s_mov_b64 s[48:49], 0
	v_mov_b32_e32 v10, v8
	v_mov_b32_e32 v4, v0
                                        ; implicit-def: $sgpr54_sgpr55
	s_branch .LBB89_225
.LBB89_223:                             ;   in Loop: Header=BB89_225 Depth=2
	s_or_b64 exec, exec, s[56:57]
	s_waitcnt lgkmcnt(0)
	s_barrier
	ds_read_b64 v[20:21], v11 offset:3072
	s_mov_b64 s[56:57], -1
	s_mov_b64 s[58:59], -1
	s_waitcnt lgkmcnt(0)
	s_barrier
	v_cmp_eq_u32_e32 vcc, 0, v20
	s_cbranch_vccnz .LBB89_228
.LBB89_224:                             ;   in Loop: Header=BB89_225 Depth=2
	s_and_b64 s[56:57], exec, s[56:57]
	s_or_b64 s[48:49], s[56:57], s[48:49]
	s_andn2_b64 s[54:55], s[54:55], exec
	s_and_b64 s[56:57], s[58:59], exec
	s_or_b64 s[54:55], s[54:55], s[56:57]
	s_andn2_b64 exec, exec, s[48:49]
	s_cbranch_execz .LBB89_229
.LBB89_225:                             ;   Parent Loop BB89_11 Depth=1
                                        ; =>  This Inner Loop Header: Depth=2
	v_cmp_gt_u32_e32 vcc, s64, v4
	s_and_saveexec_b64 s[56:57], vcc
	s_cbranch_execz .LBB89_223
; %bb.226:                              ;   in Loop: Header=BB89_225 Depth=2
	v_lshl_add_u64 v[20:21], v[10:11], 2, v[6:7]
	global_load_dword v19, v[20:21], off
	s_waitcnt vmcnt(0)
	v_bitop3_b32 v20, v19, v41, s65 bitop3:0x48
	v_cmp_eq_u32_e32 vcc, v20, v34
	s_and_b64 exec, exec, vcc
	s_cbranch_execz .LBB89_223
; %bb.227:                              ;   in Loop: Header=BB89_225 Depth=2
	ds_write_b64 v11, v[18:19] offset:3072
	s_branch .LBB89_223
.LBB89_228:                             ;   in Loop: Header=BB89_225 Depth=2
	v_add_u32_e32 v4, s75, v4
	v_cmp_le_u32_e32 vcc, s91, v4
	v_add_u32_e32 v10, s77, v10
	s_mov_b64 s[58:59], 0
	s_orn2_b64 s[56:57], vcc, exec
	s_branch .LBB89_224
.LBB89_229:                             ;   in Loop: Header=BB89_11 Depth=1
	s_or_b64 exec, exec, s[48:49]
	s_andn2_b64 s[48:49], s[52:53], exec
	s_and_b64 s[52:53], s[54:55], exec
	s_or_b64 s[52:53], s[48:49], s[52:53]
.LBB89_230:                             ;   in Loop: Header=BB89_11 Depth=1
	s_or_b64 exec, exec, s[46:47]
	s_mov_b64 s[46:47], 0
	s_mov_b64 s[48:49], -1
.LBB89_231:                             ;   in Loop: Header=BB89_11 Depth=1
	s_orn2_b64 s[52:53], s[52:53], exec
.LBB89_232:                             ;   in Loop: Header=BB89_11 Depth=1
	s_or_b64 exec, exec, s[14:15]
	s_mov_b64 s[54:55], 0
	s_and_saveexec_b64 s[14:15], s[52:53]
	s_cbranch_execz .LBB89_243
; %bb.233:                              ;   in Loop: Header=BB89_11 Depth=1
	s_xor_b64 s[52:53], s[50:51], -1
	v_mov_b32_e32 v3, 1
	v_mov_b32_e32 v4, 1
	s_and_saveexec_b64 s[50:51], s[52:53]
	s_cbranch_execz .LBB89_242
; %bb.234:                              ;   in Loop: Header=BB89_11 Depth=1
	v_cmp_ge_u32_e32 vcc, s72, v5
	s_and_saveexec_b64 s[52:53], vcc
	s_xor_b64 s[52:53], exec, s[52:53]
	s_cbranch_execz .LBB89_239
; %bb.235:                              ;   in Loop: Header=BB89_11 Depth=1
	ds_read_b32 v3, v11 offset:4104
	v_or_b32_e32 v34, v34, v2
	v_or_b32_e32 v41, v41, v2
	s_waitcnt lgkmcnt(0)
	v_cmp_ne_u32_e32 vcc, 0, v3
	s_cbranch_vccnz .LBB89_239
; %bb.236:                              ;   in Loop: Header=BB89_11 Depth=1
	s_and_saveexec_b64 s[54:55], s[22:23]
; %bb.237:                              ;   in Loop: Header=BB89_11 Depth=1
	v_mov_b32_e32 v2, s72
	ds_write_b32 v11, v2 offset:4108
; %bb.238:                              ;   in Loop: Header=BB89_11 Depth=1
	s_or_b64 exec, exec, s[54:55]
	s_waitcnt lgkmcnt(0)
	s_barrier
.LBB89_239:                             ;   in Loop: Header=BB89_11 Depth=1
	s_andn2_saveexec_b64 s[52:53], s[52:53]
; %bb.240:                              ;   in Loop: Header=BB89_11 Depth=1
	v_subrev_u32_e32 v5, s72, v5
; %bb.241:                              ;   in Loop: Header=BB89_11 Depth=1
	s_or_b64 exec, exec, s[52:53]
	v_mov_b32_e32 v3, 8
	v_mov_b32_e32 v4, v5
.LBB89_242:                             ;   in Loop: Header=BB89_11 Depth=1
	s_or_b64 exec, exec, s[50:51]
	s_mov_b64 s[54:55], exec
	v_mov_b32_e32 v5, v4
.LBB89_243:                             ;   in Loop: Header=BB89_11 Depth=1
	s_or_b64 exec, exec, s[14:15]
	s_orn2_b64 s[14:15], s[54:55], exec
.LBB89_244:                             ;   in Loop: Header=BB89_11 Depth=1
	s_or_b64 exec, exec, s[44:45]
	s_andn2_b64 s[40:41], s[40:41], exec
	s_and_b64 s[44:45], s[48:49], exec
	s_or_b64 s[40:41], s[40:41], s[44:45]
	s_andn2_b64 s[38:39], s[38:39], exec
	s_and_b64 s[44:45], s[46:47], exec
	s_or_b64 s[38:39], s[38:39], s[44:45]
	s_and_b64 s[14:15], s[14:15], exec
	v_mov_b32_e32 v42, v5
.LBB89_245:                             ;   in Loop: Header=BB89_11 Depth=1
	s_or_b64 exec, exec, s[42:43]
	s_orn2_b64 s[14:15], s[14:15], exec
.LBB89_246:                             ;   in Loop: Header=BB89_11 Depth=1
	s_or_b64 exec, exec, s[36:37]
	s_andn2_b64 s[30:31], s[30:31], exec
	s_and_b64 s[36:37], s[40:41], exec
	s_or_b64 s[30:31], s[30:31], s[36:37]
	s_andn2_b64 s[28:29], s[28:29], exec
	s_and_b64 s[36:37], s[38:39], exec
	s_or_b64 s[28:29], s[28:29], s[36:37]
	s_and_b64 s[14:15], s[14:15], exec
	v_mov_b32_e32 v5, v42
.LBB89_247:                             ;   in Loop: Header=BB89_11 Depth=1
	s_or_b64 exec, exec, s[34:35]
	s_orn2_b64 s[14:15], s[14:15], exec
.LBB89_248:                             ;   in Loop: Header=BB89_11 Depth=1
	s_or_b64 exec, exec, s[26:27]
	s_mov_b64 s[26:27], 0
	s_and_saveexec_b64 s[34:35], s[14:15]
	s_xor_b64 s[14:15], exec, s[34:35]
	s_cbranch_execz .LBB89_9
; %bb.249:                              ;   in Loop: Header=BB89_11 Depth=1
	v_and_b32_e32 v2, 7, v3
	v_cmp_eq_u32_e32 vcc, 0, v2
	s_mov_b64 s[2:3], -1
	s_mov_b64 s[26:27], -1
	s_and_saveexec_b64 s[34:35], vcc
	s_cbranch_execz .LBB89_8
; %bb.250:                              ;   in Loop: Header=BB89_11 Depth=1
	v_add_u32_e32 v2, -2, v38
	v_cmp_eq_u32_e32 vcc, 0, v38
	v_xor_b32_e32 v40, 1, v40
	s_xor_b64 s[26:27], exec, -1
	s_orn2_b64 s[2:3], vcc, exec
	v_mov_b32_e32 v38, v2
	s_branch .LBB89_8
.LBB89_251:
	s_or_b64 exec, exec, s[94:95]
	s_xor_b64 s[6:7], s[68:69], -1
	s_xor_b64 s[0:1], s[96:97], -1
	;; [unrolled: 1-line block ×3, first 2 shown]
	s_mov_b64 s[2:3], 0
	s_and_saveexec_b64 s[8:9], s[0:1]
	s_xor_b64 s[0:1], exec, s[8:9]
	s_cbranch_execnz .LBB89_256
; %bb.252:
	s_andn2_saveexec_b64 s[0:1], s[0:1]
	s_cbranch_execnz .LBB89_269
.LBB89_253:
	s_or_b64 exec, exec, s[0:1]
	s_and_saveexec_b64 s[0:1], s[2:3]
.LBB89_254:
	; divergent unreachable
.LBB89_255:
	s_endpgm
.LBB89_256:
	s_and_saveexec_b64 s[2:3], s[6:7]
	s_xor_b64 s[2:3], exec, s[2:3]
	s_cbranch_execz .LBB89_267
; %bb.257:
	s_and_saveexec_b64 s[6:7], s[4:5]
	s_xor_b64 s[4:5], exec, s[6:7]
; %bb.258:
	v_xor_b32_e32 v21, 0x80000000, v34
; %bb.259:
	s_or_b64 exec, exec, s[4:5]
	v_readlane_b32 s7, v70, 0
	v_readlane_b32 s8, v70, 10
	s_mul_i32 s4, s8, s7
	s_sub_i32 s4, s87, s4
	s_add_i32 s5, s8, 1
	s_sub_i32 s6, s4, s7
	s_cmp_ge_u32 s4, s7
	s_cselect_b32 s5, s5, s8
	s_cselect_b32 s4, s6, s4
	s_add_i32 s6, s5, 1
	s_cmp_ge_u32 s4, s7
	s_cselect_b32 s4, s6, s5
	s_mul_i32 s5, s4, s7
	v_readlane_b32 s6, v70, 6
	s_sub_i32 s5, s87, s5
	v_readlane_b32 s7, v70, 7
	s_mul_i32 s5, s5, s7
	s_mul_i32 s4, s4, s6
	s_add_i32 s4, s4, s5
	s_mov_b32 s5, 0
	s_lshl_b64 s[4:5], s[4:5], 2
	v_readlane_b32 s6, v70, 8
	v_readlane_b32 s7, v70, 9
	s_add_u32 s4, s6, s4
	s_addc_u32 s5, s7, s5
	v_mov_b32_e32 v9, 0
	global_store_dword v9, v21, s[4:5]
	s_and_saveexec_b64 s[4:5], s[24:25]
	s_cbranch_execz .LBB89_266
; %bb.260:
	s_mov_b64 s[6:7], 0
                                        ; implicit-def: $sgpr8_sgpr9
                                        ; implicit-def: $sgpr12_sgpr13
                                        ; implicit-def: $sgpr10_sgpr11
	s_branch .LBB89_262
.LBB89_261:                             ;   in Loop: Header=BB89_262 Depth=1
	s_or_b64 exec, exec, s[14:15]
	s_and_b64 s[14:15], exec, s[12:13]
	s_or_b64 s[6:7], s[14:15], s[6:7]
	s_andn2_b64 s[8:9], s[8:9], exec
	s_and_b64 s[14:15], s[10:11], exec
	s_or_b64 s[8:9], s[8:9], s[14:15]
	s_andn2_b64 exec, exec, s[6:7]
	s_cbranch_execz .LBB89_264
.LBB89_262:                             ; =>This Inner Loop Header: Depth=1
	v_lshl_add_u64 v[2:3], v[8:9], 2, v[6:7]
	global_load_dword v1, v[2:3], off
	v_mov_b32_e32 v2, v0
	s_or_b64 s[10:11], s[10:11], exec
	s_or_b64 s[12:13], s[12:13], exec
                                        ; implicit-def: $vgpr0
	s_waitcnt vmcnt(0)
	v_cmp_ne_u32_e32 vcc, v1, v21
	s_and_saveexec_b64 s[14:15], vcc
	s_cbranch_execz .LBB89_261
; %bb.263:                              ;   in Loop: Header=BB89_262 Depth=1
	v_add_u32_e32 v0, s75, v2
	v_cmp_le_u32_e32 vcc, s64, v0
	s_andn2_b64 s[12:13], s[12:13], exec
	s_and_b64 s[16:17], vcc, exec
	v_add_u32_e32 v8, s77, v8
	s_andn2_b64 s[10:11], s[10:11], exec
	s_or_b64 s[12:13], s[12:13], s[16:17]
	s_branch .LBB89_261
.LBB89_264:
	s_or_b64 exec, exec, s[6:7]
	s_and_saveexec_b64 s[6:7], s[8:9]
	s_xor_b64 s[6:7], exec, s[6:7]
	s_cbranch_execz .LBB89_266
; %bb.265:
	v_readlane_b32 s9, v70, 1
	v_readlane_b32 s10, v70, 11
	s_mul_i32 s6, s10, s9
	s_sub_i32 s6, s87, s6
	s_add_i32 s7, s10, 1
	s_sub_i32 s8, s6, s9
	s_cmp_ge_u32 s6, s9
	s_cselect_b32 s7, s7, s10
	s_cselect_b32 s6, s8, s6
	s_add_i32 s8, s7, 1
	s_cmp_ge_u32 s6, s9
	s_cselect_b32 s6, s8, s7
	s_mul_i32 s7, s6, s9
	v_readlane_b32 s8, v70, 2
	s_sub_i32 s7, s87, s7
	v_readlane_b32 s9, v70, 3
	s_mul_i32 s7, s7, s9
	s_mul_i32 s6, s6, s8
	s_add_i32 s6, s6, s7
	s_mov_b32 s7, 0
	s_lshl_b64 s[6:7], s[6:7], 3
	v_readlane_b32 s8, v70, 4
	v_readlane_b32 s9, v70, 5
	s_add_u32 s6, s8, s6
	s_addc_u32 s7, s9, s7
	v_mov_b32_e32 v3, 0
	global_store_dwordx2 v3, v[2:3], s[6:7]
.LBB89_266:
	s_or_b64 exec, exec, s[4:5]
.LBB89_267:
	s_or_saveexec_b64 s[2:3], s[2:3]
	s_mov_b64 s[4:5], 0
	s_xor_b64 exec, exec, s[2:3]
	s_cbranch_execnz .LBB89_270
.LBB89_268:
	s_or_b64 exec, exec, s[2:3]
	s_and_b64 s[2:3], s[4:5], exec
	s_andn2_saveexec_b64 s[0:1], s[0:1]
	s_cbranch_execz .LBB89_253
.LBB89_269:
	s_or_b64 s[2:3], s[2:3], exec
	s_trap 2
	s_or_b64 exec, exec, s[0:1]
	s_and_saveexec_b64 s[0:1], s[2:3]
	s_cbranch_execnz .LBB89_254
	s_branch .LBB89_255
.LBB89_270:
	s_mov_b64 s[4:5], exec
	s_trap 2
	s_branch .LBB89_268
	.section	.rodata,"a",@progbits
	.p2align	6, 0x0
	.amdhsa_kernel _ZN2at6native12_GLOBAL__N_112gatherMedianIijLi2EEEvNS_4cuda6detail10TensorInfoIT_T0_EENS5_IlS7_EENS5_IKS6_S7_EES7_S7_S7_b
		.amdhsa_group_segment_fixed_size 4120
		.amdhsa_private_segment_fixed_size 0
		.amdhsa_kernarg_size 920
		.amdhsa_user_sgpr_count 2
		.amdhsa_user_sgpr_dispatch_ptr 0
		.amdhsa_user_sgpr_queue_ptr 0
		.amdhsa_user_sgpr_kernarg_segment_ptr 1
		.amdhsa_user_sgpr_dispatch_id 0
		.amdhsa_user_sgpr_kernarg_preload_length 0
		.amdhsa_user_sgpr_kernarg_preload_offset 0
		.amdhsa_user_sgpr_private_segment_size 0
		.amdhsa_uses_dynamic_stack 0
		.amdhsa_enable_private_segment 0
		.amdhsa_system_sgpr_workgroup_id_x 1
		.amdhsa_system_sgpr_workgroup_id_y 1
		.amdhsa_system_sgpr_workgroup_id_z 1
		.amdhsa_system_sgpr_workgroup_info 0
		.amdhsa_system_vgpr_workitem_id 0
		.amdhsa_next_free_vgpr 71
		.amdhsa_next_free_sgpr 100
		.amdhsa_accum_offset 72
		.amdhsa_reserve_vcc 1
		.amdhsa_float_round_mode_32 0
		.amdhsa_float_round_mode_16_64 0
		.amdhsa_float_denorm_mode_32 3
		.amdhsa_float_denorm_mode_16_64 3
		.amdhsa_dx10_clamp 1
		.amdhsa_ieee_mode 1
		.amdhsa_fp16_overflow 0
		.amdhsa_tg_split 0
		.amdhsa_exception_fp_ieee_invalid_op 0
		.amdhsa_exception_fp_denorm_src 0
		.amdhsa_exception_fp_ieee_div_zero 0
		.amdhsa_exception_fp_ieee_overflow 0
		.amdhsa_exception_fp_ieee_underflow 0
		.amdhsa_exception_fp_ieee_inexact 0
		.amdhsa_exception_int_div_zero 0
	.end_amdhsa_kernel
	.section	.text._ZN2at6native12_GLOBAL__N_112gatherMedianIijLi2EEEvNS_4cuda6detail10TensorInfoIT_T0_EENS5_IlS7_EENS5_IKS6_S7_EES7_S7_S7_b,"axG",@progbits,_ZN2at6native12_GLOBAL__N_112gatherMedianIijLi2EEEvNS_4cuda6detail10TensorInfoIT_T0_EENS5_IlS7_EENS5_IKS6_S7_EES7_S7_S7_b,comdat
.Lfunc_end89:
	.size	_ZN2at6native12_GLOBAL__N_112gatherMedianIijLi2EEEvNS_4cuda6detail10TensorInfoIT_T0_EENS5_IlS7_EENS5_IKS6_S7_EES7_S7_S7_b, .Lfunc_end89-_ZN2at6native12_GLOBAL__N_112gatherMedianIijLi2EEEvNS_4cuda6detail10TensorInfoIT_T0_EENS5_IlS7_EENS5_IKS6_S7_EES7_S7_S7_b
                                        ; -- End function
	.set _ZN2at6native12_GLOBAL__N_112gatherMedianIijLi2EEEvNS_4cuda6detail10TensorInfoIT_T0_EENS5_IlS7_EENS5_IKS6_S7_EES7_S7_S7_b.num_vgpr, 71
	.set _ZN2at6native12_GLOBAL__N_112gatherMedianIijLi2EEEvNS_4cuda6detail10TensorInfoIT_T0_EENS5_IlS7_EENS5_IKS6_S7_EES7_S7_S7_b.num_agpr, 0
	.set _ZN2at6native12_GLOBAL__N_112gatherMedianIijLi2EEEvNS_4cuda6detail10TensorInfoIT_T0_EENS5_IlS7_EENS5_IKS6_S7_EES7_S7_S7_b.numbered_sgpr, 100
	.set _ZN2at6native12_GLOBAL__N_112gatherMedianIijLi2EEEvNS_4cuda6detail10TensorInfoIT_T0_EENS5_IlS7_EENS5_IKS6_S7_EES7_S7_S7_b.num_named_barrier, 0
	.set _ZN2at6native12_GLOBAL__N_112gatherMedianIijLi2EEEvNS_4cuda6detail10TensorInfoIT_T0_EENS5_IlS7_EENS5_IKS6_S7_EES7_S7_S7_b.private_seg_size, 0
	.set _ZN2at6native12_GLOBAL__N_112gatherMedianIijLi2EEEvNS_4cuda6detail10TensorInfoIT_T0_EENS5_IlS7_EENS5_IKS6_S7_EES7_S7_S7_b.uses_vcc, 1
	.set _ZN2at6native12_GLOBAL__N_112gatherMedianIijLi2EEEvNS_4cuda6detail10TensorInfoIT_T0_EENS5_IlS7_EENS5_IKS6_S7_EES7_S7_S7_b.uses_flat_scratch, 0
	.set _ZN2at6native12_GLOBAL__N_112gatherMedianIijLi2EEEvNS_4cuda6detail10TensorInfoIT_T0_EENS5_IlS7_EENS5_IKS6_S7_EES7_S7_S7_b.has_dyn_sized_stack, 0
	.set _ZN2at6native12_GLOBAL__N_112gatherMedianIijLi2EEEvNS_4cuda6detail10TensorInfoIT_T0_EENS5_IlS7_EENS5_IKS6_S7_EES7_S7_S7_b.has_recursion, 0
	.set _ZN2at6native12_GLOBAL__N_112gatherMedianIijLi2EEEvNS_4cuda6detail10TensorInfoIT_T0_EENS5_IlS7_EENS5_IKS6_S7_EES7_S7_S7_b.has_indirect_call, 0
	.section	.AMDGPU.csdata,"",@progbits
; Kernel info:
; codeLenInByte = 10372
; TotalNumSgprs: 106
; NumVgprs: 71
; NumAgprs: 0
; TotalNumVgprs: 71
; ScratchSize: 0
; MemoryBound: 0
; FloatMode: 240
; IeeeMode: 1
; LDSByteSize: 4120 bytes/workgroup (compile time only)
; SGPRBlocks: 13
; VGPRBlocks: 8
; NumSGPRsForWavesPerEU: 106
; NumVGPRsForWavesPerEU: 71
; AccumOffset: 72
; Occupancy: 7
; WaveLimiterHint : 1
; COMPUTE_PGM_RSRC2:SCRATCH_EN: 0
; COMPUTE_PGM_RSRC2:USER_SGPR: 2
; COMPUTE_PGM_RSRC2:TRAP_HANDLER: 0
; COMPUTE_PGM_RSRC2:TGID_X_EN: 1
; COMPUTE_PGM_RSRC2:TGID_Y_EN: 1
; COMPUTE_PGM_RSRC2:TGID_Z_EN: 1
; COMPUTE_PGM_RSRC2:TIDIG_COMP_CNT: 0
; COMPUTE_PGM_RSRC3_GFX90A:ACCUM_OFFSET: 17
; COMPUTE_PGM_RSRC3_GFX90A:TG_SPLIT: 0
	.section	.text._ZN2at6native12_GLOBAL__N_112gatherMedianIijLi3EEEvNS_4cuda6detail10TensorInfoIT_T0_EENS5_IlS7_EENS5_IKS6_S7_EES7_S7_S7_b,"axG",@progbits,_ZN2at6native12_GLOBAL__N_112gatherMedianIijLi3EEEvNS_4cuda6detail10TensorInfoIT_T0_EENS5_IlS7_EENS5_IKS6_S7_EES7_S7_S7_b,comdat
	.globl	_ZN2at6native12_GLOBAL__N_112gatherMedianIijLi3EEEvNS_4cuda6detail10TensorInfoIT_T0_EENS5_IlS7_EENS5_IKS6_S7_EES7_S7_S7_b ; -- Begin function _ZN2at6native12_GLOBAL__N_112gatherMedianIijLi3EEEvNS_4cuda6detail10TensorInfoIT_T0_EENS5_IlS7_EENS5_IKS6_S7_EES7_S7_S7_b
	.p2align	8
	.type	_ZN2at6native12_GLOBAL__N_112gatherMedianIijLi3EEEvNS_4cuda6detail10TensorInfoIT_T0_EENS5_IlS7_EENS5_IKS6_S7_EES7_S7_S7_b,@function
_ZN2at6native12_GLOBAL__N_112gatherMedianIijLi3EEEvNS_4cuda6detail10TensorInfoIT_T0_EENS5_IlS7_EENS5_IKS6_S7_EES7_S7_S7_b: ; @_ZN2at6native12_GLOBAL__N_112gatherMedianIijLi3EEEvNS_4cuda6detail10TensorInfoIT_T0_EENS5_IlS7_EENS5_IKS6_S7_EES7_S7_S7_b
; %bb.0:
	s_load_dwordx2 s[10:11], s[0:1], 0x298
	s_load_dwordx4 s[64:67], s[0:1], 0x288
	s_add_u32 s8, s0, 0x298
	s_addc_u32 s9, s1, 0
	s_waitcnt lgkmcnt(0)
	s_mul_i32 s4, s11, s4
	s_add_i32 s3, s4, s3
	s_mul_i32 s33, s3, s10
	s_add_i32 s33, s33, s2
	s_cmp_ge_u32 s33, s65
	s_cbranch_scc1 .LBB90_255
; %bb.1:
	s_load_dwordx2 s[16:17], s[0:1], 0xc
	s_load_dwordx2 s[12:13], s[0:1], 0x1bc
	;; [unrolled: 1-line block ×3, first 2 shown]
	s_load_dwordx4 s[4:7], s[0:1], 0x21c
                                        ; implicit-def: $vgpr70 : SGPR spill to VGPR lane
	v_cmp_eq_u32_e64 s[22:23], 0, v0
	s_waitcnt lgkmcnt(0)
	v_cvt_f32_u32_e32 v3, s19
	v_cvt_f32_u32_e32 v1, s17
	s_sub_i32 s3, 0, s17
	v_cvt_f32_u32_e32 v2, s16
	v_rcp_iflag_f32_e32 v3, v3
	v_rcp_iflag_f32_e32 v1, v1
	;; [unrolled: 1-line block ×3, first 2 shown]
	v_mul_f32_e32 v1, 0x4f7ffffe, v1
	v_cvt_u32_f32_e32 v1, v1
	v_mul_f32_e32 v2, 0x4f7ffffe, v2
	v_cvt_u32_f32_e32 v2, v2
	v_readfirstlane_b32 s7, v1
	s_mul_i32 s3, s3, s7
	s_mul_hi_u32 s3, s7, s3
	s_add_i32 s7, s7, s3
	s_mul_hi_u32 s3, s33, s7
	s_mul_i32 s7, s3, s17
	s_sub_i32 s7, s33, s7
	s_add_i32 s11, s3, 1
	s_sub_i32 s14, s7, s17
	v_mul_f32_e32 v1, 0x4f7ffffe, v3
	s_cmp_ge_u32 s7, s17
	v_cvt_u32_f32_e32 v1, v1
	s_cselect_b32 s3, s11, s3
	s_cselect_b32 s7, s14, s7
	s_add_i32 s11, s3, 1
	s_cmp_ge_u32 s7, s17
	s_cselect_b32 s3, s11, s3
	s_sub_i32 s11, 0, s19
	v_readfirstlane_b32 s14, v1
	v_cvt_f32_u32_e32 v1, s18
	s_mul_i32 s11, s11, s14
	s_mul_hi_u32 s11, s14, s11
	s_add_i32 s14, s14, s11
	s_mul_hi_u32 s11, s33, s14
	v_rcp_iflag_f32_e32 v1, v1
	v_writelane_b32 v70, s3, 0
	v_readfirstlane_b32 s3, v2
	s_mul_i32 s14, s11, s19
	v_cvt_f32_u32_e32 v2, s13
	v_writelane_b32 v70, s16, 1
	s_sub_i32 s14, s33, s14
	s_sub_i32 s7, 0, s16
	v_writelane_b32 v70, s17, 2
	s_add_i32 s15, s11, 1
	s_sub_i32 s16, s14, s19
	s_cmp_ge_u32 s14, s19
	v_mul_f32_e32 v1, 0x4f7ffffe, v1
	s_cselect_b32 s11, s15, s11
	v_cvt_u32_f32_e32 v1, v1
	v_rcp_iflag_f32_e32 v2, v2
	s_cselect_b32 s14, s16, s14
	s_add_i32 s15, s11, 1
	s_cmp_ge_u32 s14, s19
	s_cselect_b32 s11, s15, s11
	v_writelane_b32 v70, s11, 3
	v_readfirstlane_b32 s11, v1
	v_mul_f32_e32 v1, 0x4f7ffffe, v2
	v_cvt_f32_u32_e32 v3, s12
	v_cvt_u32_f32_e32 v1, v1
	v_writelane_b32 v70, s18, 4
	s_sub_i32 s14, 0, s18
	s_mul_i32 s14, s14, s11
	s_mul_hi_u32 s16, s11, s14
	s_sub_i32 s14, 0, s13
	v_rcp_iflag_f32_e32 v3, v3
	v_mul_lo_u32 v2, s14, v1
	v_mul_hi_u32 v2, v1, v2
	v_add_u32_e32 v1, v1, v2
	v_mul_hi_u32 v1, s33, v1
	v_mul_f32_e32 v3, 0x4f7ffffe, v3
	v_mul_lo_u32 v2, v1, s13
	v_cvt_u32_f32_e32 v3, v3
	v_sub_u32_e32 v2, s33, v2
	v_subrev_u32_e32 v5, s13, v2
	v_cmp_le_u32_e32 vcc, s13, v2
	v_add_u32_e32 v4, 1, v1
	s_sub_i32 s14, 0, s12
	v_cndmask_b32_e32 v2, v2, v5, vcc
	v_cndmask_b32_e32 v1, v1, v4, vcc
	v_cmp_le_u32_e32 vcc, s13, v2
	v_mul_lo_u32 v2, s14, v3
	s_mul_i32 s7, s7, s3
	v_add_u32_e32 v4, 1, v1
	v_mul_hi_u32 v2, v3, v2
	s_mul_hi_u32 s7, s3, s7
	v_cndmask_b32_e32 v1, v1, v4, vcc
	v_add_u32_e32 v2, v3, v2
	v_writelane_b32 v70, s19, 5
	s_and_saveexec_b64 s[14:15], s[22:23]
; %bb.2:
	v_mov_b32_e32 v4, 0
	v_mov_b32_e32 v5, v4
	ds_write_b64 v4, v[4:5] offset:4096
; %bb.3:
	s_or_b64 exec, exec, s[14:15]
	s_load_dwordx4 s[24:27], s[0:1], 0x144
	v_mov_b32_e32 v3, 0
	s_waitcnt lgkmcnt(0)
	s_barrier
	v_writelane_b32 v70, s24, 6
	s_barrier
	s_nop 0
	v_writelane_b32 v70, s25, 7
	v_writelane_b32 v70, s26, 8
	ds_read_b64 v[4:5], v3 offset:4096
	v_writelane_b32 v70, s27, 9
	s_load_dwordx4 s[24:27], s[0:1], 0x6c
	s_add_i32 s7, s3, s7
	s_add_i32 s11, s11, s16
	s_bitcmp1_b32 s67, 0
	s_waitcnt lgkmcnt(0)
	v_readfirstlane_b32 s14, v4
	v_readfirstlane_b32 s15, v5
	v_writelane_b32 v70, s24, 10
	s_cselect_b64 s[16:17], -1, 0
	v_cmp_lt_i64_e64 s[18:19], s[14:15], 1
	v_writelane_b32 v70, s25, 11
	s_or_b64 s[16:17], s[16:17], s[18:19]
	v_writelane_b32 v70, s26, 12
	v_mul_hi_u32 v2, v1, v2
	s_andn2_b64 vcc, exec, s[16:17]
	s_mov_b32 s3, s64
	v_writelane_b32 v70, s27, 13
	s_cbranch_vccnz .LBB90_5
; %bb.4:
	s_not_b64 s[14:15], s[14:15]
	s_add_u32 s3, s14, s64
	s_addc_u32 s15, s15, 0
	s_lshr_b32 s14, s15, 31
	s_add_u32 s14, s3, s14
	s_addc_u32 s15, s15, 0
	s_lshr_b64 s[14:15], s[14:15], 1
	s_add_i32 s3, s14, 1
.LBB90_5:
	s_load_dwordx2 s[14:15], s[0:1], 0xd8
                                        ; kill: killed $sgpr0 killed $sgpr1
	s_waitcnt lgkmcnt(0)
	v_writelane_b32 v70, s14, 14
	s_nop 1
	v_writelane_b32 v70, s15, 15
	s_load_dwordx2 s[14:15], s[0:1], 0x1b0
	s_load_dwordx2 s[16:17], s[0:1], 0x0
	s_waitcnt lgkmcnt(0)
	v_writelane_b32 v70, s16, 16
	s_nop 1
	v_writelane_b32 v70, s17, 17
	s_nop 0
	v_readlane_b32 s0, v70, 0
	s_mul_hi_u32 s0, s0, s7
	s_nop 0
	v_writelane_b32 v70, s0, 18
	s_nop 0
	v_readlane_b32 s0, v70, 3
	s_mul_hi_u32 s0, s0, s11
	s_nop 0
	v_writelane_b32 v70, s0, 19
	s_and_saveexec_b64 s[0:1], s[22:23]
	s_cbranch_execz .LBB90_7
; %bb.6:
	v_mov_b32_e32 v4, 0
	v_mov_b32_e32 v5, s64
	ds_write_b32 v4, v4 offset:4112
	ds_write_b64 v4, v[4:5] offset:4104
.LBB90_7:
	s_or_b64 exec, exec, s[0:1]
	v_mul_lo_u32 v4, v2, s12
	v_sub_u32_e32 v4, v1, v4
	v_add_u32_e32 v5, 1, v2
	v_subrev_u32_e32 v6, s12, v4
	v_cmp_le_u32_e32 vcc, s12, v4
	v_mul_lo_u32 v3, v1, s13
	s_waitcnt lgkmcnt(0)
	v_cndmask_b32_e32 v2, v2, v5, vcc
	v_cndmask_b32_e32 v4, v4, v6, vcc
	v_add_u32_e32 v5, 1, v2
	v_cmp_le_u32_e32 vcc, s12, v4
	s_barrier
	s_nop 0
	v_cndmask_b32_e32 v2, v2, v5, vcc
	v_mul_lo_u32 v4, v2, s12
	s_load_dword s11, s[8:9], 0xc
	v_sub_u32_e32 v3, s33, v3
	v_sub_u32_e32 v1, v1, v4
	v_mul_lo_u32 v3, v3, s6
	v_mul_lo_u32 v1, v1, s5
	v_add_u32_e32 v1, v1, v3
	v_mul_lo_u32 v2, v2, s4
	v_add_u32_e32 v10, v1, v2
	v_mbcnt_lo_u32_b32 v1, -1, 0
	s_waitcnt lgkmcnt(0)
	s_and_b32 s67, s11, 0xffff
	v_mbcnt_hi_u32_b32 v22, -1, v1
	v_cmp_gt_u32_e32 vcc, 64, v0
	v_cmp_gt_i32_e64 s[0:1], 4, v22
	s_add_i32 s97, s67, -1
	v_mov_b32_e32 v11, 0
	s_lshl_b32 s96, s67, 2
	s_and_b64 s[86:87], vcc, s[0:1]
	s_add_i32 s0, s97, s64
	v_lshlrev_b64 v[2:3], 2, v[10:11]
	s_cmpk_gt_u32 s64, 0x300
	v_lshl_add_u64 v[6:7], s[14:15], 0, v[2:3]
	s_cselect_b64 s[88:89], -1, 0
	s_cmp_gt_u32 s67, 63
	v_lshlrev_b64 v[2:3], v22, -1
	s_cselect_b64 s[90:91], -1, 0
	v_not_b32_e32 v14, v2
	v_lshrrev_b32_e32 v2, 2, v0
	s_cmp_lt_u32 s2, s10
	v_and_b32_e32 v2, 0xf0, v2
	s_cselect_b32 s1, 12, 18
	v_or_b32_e32 v24, 0xc00, v2
	s_add_u32 s8, s8, s1
	v_add_u32_e32 v2, 2, v0
	s_addc_u32 s9, s9, 0
	v_max_u32_e32 v2, s64, v2
	v_writelane_b32 v70, s8, 20
	v_xad_u32 v2, v0, -1, v2
	v_not_b32_e32 v1, v3
	v_writelane_b32 v70, s9, 21
	v_add_u32_e32 v3, -2, v2
	s_bfe_u32 s8, s11, 0xa0006
	v_cmp_lt_u32_e64 s[10:11], 29, v2
	v_lshrrev_b32_e32 v5, 1, v3
	v_add_u32_e32 v5, 1, v5
	v_writelane_b32 v70, s10, 22
	v_and_b32_e32 v18, 7, v5
	s_add_i32 s1, s8, -2
	v_writelane_b32 v70, s11, 23
	v_cmp_lt_u32_e64 s[10:11], 13, v3
	s_lshr_b32 s2, s1, 1
	v_and_b32_e32 v25, -2, v2
	v_writelane_b32 v70, s10, 24
	s_add_i32 s2, s2, 1
	s_cmpk_gt_u32 s67, 0x7f
	v_writelane_b32 v70, s11, 25
	v_cmp_ne_u32_e64 s[10:11], 0, v18
	v_lshlrev_b32_e32 v15, 2, v0
	v_mul_lo_u32 v8, s66, v0
	v_writelane_b32 v70, s10, 26
	v_mov_b32_e32 v9, v11
	v_lshlrev_b32_e32 v4, 2, v22
	v_writelane_b32 v70, s11, 27
	v_cmp_ne_u32_e64 s[10:11], v2, v25
	v_cvt_f32_u32_e32 v2, s96
	s_mul_i32 s65, s66, s67
	v_writelane_b32 v70, s10, 28
	v_cmp_gt_u32_e64 s[24:25], s64, v0
	v_rcp_iflag_f32_e32 v2, v2
	v_writelane_b32 v70, s11, 29
	s_cselect_b64 s[10:11], -1, 0
	v_writelane_b32 v70, s10, 30
	v_mul_f32_e32 v2, 0x4f7ffffe, v2
	v_cvt_u32_f32_e32 v2, v2
	v_writelane_b32 v70, s11, 31
	s_and_b32 s10, s8, 0x3fe
	s_and_b32 s11, s2, 7
	s_cmp_gt_u32 s1, 13
	s_cselect_b64 s[12:13], -1, 0
	v_writelane_b32 v70, s12, 32
	s_and_b32 s1, s2, -8
	s_cmp_lg_u32 s11, 0
	v_writelane_b32 v70, s13, 33
	v_writelane_b32 v70, s1, 34
	;; [unrolled: 1-line block ×3, first 2 shown]
	s_cselect_b64 s[12:13], -1, 0
	v_writelane_b32 v70, s12, 36
	s_cmp_lg_u32 s10, s8
	v_readfirstlane_b32 s2, v2
	v_writelane_b32 v70, s13, 37
	v_writelane_b32 v70, s8, 38
	v_cvt_f32_u32_e32 v2, s67
	v_writelane_b32 v70, s10, 39
	s_cselect_b64 s[10:11], -1, 0
	s_sub_i32 s1, 0, s96
	s_mul_i32 s1, s1, s2
	s_mul_hi_u32 s1, s2, s1
	s_add_i32 s80, s2, s1
	v_rcp_iflag_f32_e32 v2, v2
	s_mul_hi_u32 s1, s64, s80
	s_mul_i32 s1, s1, s96
	s_sub_i32 s1, s64, s1
	s_sub_i32 s2, s1, s96
	v_mul_f32_e32 v2, 0x4f7ffffe, v2
	s_cmp_ge_u32 s1, s96
	v_cvt_u32_f32_e32 v2, v2
	s_cselect_b32 s1, s2, s1
	s_sub_i32 s2, s1, s96
	s_cmp_ge_u32 s1, s96
	s_cselect_b32 s1, s2, s1
	s_sub_i32 s2, 0, s67
	v_readfirstlane_b32 s8, v2
	s_mul_i32 s2, s2, s8
	s_mul_hi_u32 s2, s8, s2
	s_add_i32 s98, s8, s2
	s_mul_hi_u32 s2, s0, s98
	s_mul_i32 s2, s2, s67
	s_sub_i32 s2, s0, s2
	s_sub_i32 s81, s64, s1
	;; [unrolled: 1-line block ×3, first 2 shown]
	s_cmp_ge_u32 s2, s67
	s_cselect_b32 s2, s8, s2
	s_sub_i32 s8, s2, s67
	s_cmp_ge_u32 s2, s67
	v_mul_lo_u32 v2, s66, v15
	s_cselect_b32 s2, s8, s2
	v_add_u32_e32 v30, s66, v2
	v_or_b32_e32 v2, 2, v15
	s_sub_i32 s99, s0, s2
	v_mul_lo_u32 v31, s66, v2
	v_or_b32_e32 v2, 3, v15
	s_add_i32 s0, s67, s64
	v_add_u32_e32 v28, s81, v0
	v_mul_lo_u32 v32, s66, v2
	v_add_u32_e32 v2, s0, v0
	v_mul_lo_u32 v10, v28, s66
	v_subrev_u32_e32 v2, s1, v2
	v_cmp_eq_u32_e64 s[4:5], 0, v22
	v_cmp_gt_u32_e64 s[6:7], 2, v0
	v_add_u32_e32 v23, 0xc00, v15
	v_lshl_add_u64 v[12:13], v[8:9], 2, v[6:7]
	v_and_b32_e32 v9, 0x100, v4
	v_add_u32_e32 v26, v0, v25
	s_mov_b32 s9, s66
	v_and_b32_e32 v27, -8, v5
	v_writelane_b32 v70, s10, 40
	v_cmp_gt_u32_e64 s[16:17], s81, v15
	v_cmp_gt_u32_e64 s[18:19], s64, v28
	v_lshl_add_u64 v[16:17], v[10:11], 2, v[6:7]
	v_cmp_gt_u32_e64 s[20:21], s99, v0
	v_lshlrev_b32_e32 v29, 3, v18
	s_lshl_b32 s92, s65, 2
	v_lshlrev_b32_e32 v33, 2, v8
	v_mul_lo_u32 v35, s66, v2
	v_lshlrev_b32_e32 v36, 4, v0
	s_lshl_b32 s93, s67, 4
	v_or_b32_e32 v37, 0xc00, v4
	s_mov_b64 s[68:69], 0
	v_mov_b32_e32 v38, 30
	v_mov_b32_e32 v42, s3
	s_brev_b32 s8, 1
	v_mov_b32_e32 v44, s64
	v_mov_b32_e32 v18, 1
	;; [unrolled: 1-line block ×7, first 2 shown]
	v_writelane_b32 v70, s11, 41
                                        ; implicit-def: $sgpr70_sgpr71
                                        ; implicit-def: $sgpr12_sgpr13
                                        ; implicit-def: $sgpr10_sgpr11
                                        ; implicit-def: $sgpr82_sgpr83
                                        ; implicit-def: $sgpr84_sgpr85
                                        ; implicit-def: $sgpr14_sgpr15
	s_branch .LBB90_11
.LBB90_8:                               ;   in Loop: Header=BB90_11 Depth=1
	s_or_b64 exec, exec, s[36:37]
	s_and_b64 s[36:37], s[34:35], exec
	s_andn2_b64 s[30:31], s[30:31], exec
	s_andn2_b64 s[28:29], s[28:29], exec
	s_orn2_b64 s[2:3], s[2:3], exec
.LBB90_9:                               ;   in Loop: Header=BB90_11 Depth=1
	s_or_b64 exec, exec, s[26:27]
	s_andn2_b64 s[14:15], s[14:15], exec
	s_and_b64 s[26:27], s[36:37], exec
	s_or_b64 s[14:15], s[14:15], s[26:27]
	s_andn2_b64 s[26:27], s[84:85], exec
	s_and_b64 s[30:31], s[30:31], exec
	s_or_b64 s[84:85], s[26:27], s[30:31]
	;; [unrolled: 3-line block ×3, first 2 shown]
	s_orn2_b64 s[2:3], s[2:3], exec
.LBB90_10:                              ;   in Loop: Header=BB90_11 Depth=1
	s_or_b64 exec, exec, s[0:1]
	s_and_b64 s[0:1], exec, s[2:3]
	s_or_b64 s[68:69], s[0:1], s[68:69]
	s_andn2_b64 s[0:1], s[10:11], exec
	s_and_b64 s[2:3], s[14:15], exec
	s_or_b64 s[10:11], s[0:1], s[2:3]
	s_andn2_b64 s[0:1], s[12:13], exec
	s_and_b64 s[2:3], s[84:85], exec
	;; [unrolled: 3-line block ×3, first 2 shown]
	s_or_b64 s[70:71], s[0:1], s[2:3]
	v_mov_b32_e32 v42, v5
	s_andn2_b64 exec, exec, s[68:69]
	s_cbranch_execz .LBB90_251
.LBB90_11:                              ; =>This Loop Header: Depth=1
                                        ;     Child Loop BB90_17 Depth 2
                                        ;     Child Loop BB90_38 Depth 2
	;; [unrolled: 1-line block ×19, first 2 shown]
	ds_read_b64 v[2:3], v11 offset:4104
	s_waitcnt lgkmcnt(0)
	v_readfirstlane_b32 s76, v2
	s_cmp_lg_u32 s76, 0
	s_cbranch_scc1 .LBB90_57
; %bb.12:                               ;   in Loop: Header=BB90_11 Depth=1
	s_and_b64 vcc, exec, s[88:89]
	s_cbranch_vccz .LBB90_25
; %bb.13:                               ;   in Loop: Header=BB90_11 Depth=1
	s_movk_i32 s0, 0x301
	v_cmp_gt_u32_e32 vcc, s0, v3
	s_mov_b64 s[26:27], 0
	s_mov_b64 s[0:1], 0
	s_cbranch_vccz .LBB90_26
; %bb.14:                               ;   in Loop: Header=BB90_11 Depth=1
	s_and_saveexec_b64 s[28:29], s[24:25]
	s_cbranch_execz .LBB90_32
; %bb.15:                               ;   in Loop: Header=BB90_11 Depth=1
	v_readlane_b32 s0, v70, 20
	v_readlane_b32 s1, v70, 21
	s_nop 4
	global_load_ushort v2, v11, s[0:1]
	global_load_dword v4, v[12:13], off
	s_mov_b64 s[30:31], 0
	s_waitcnt vmcnt(1)
	v_add_u32_e32 v5, v0, v2
	v_mul_lo_u32 v3, s66, v2
	v_mul_lo_u32 v10, s66, v5
	v_mov_b32_e32 v5, v0
	s_branch .LBB90_17
.LBB90_16:                              ;   in Loop: Header=BB90_17 Depth=2
	s_or_b64 exec, exec, s[2:3]
	v_add_u32_e32 v10, v10, v3
	v_mov_b32_e32 v4, v19
	s_andn2_b64 exec, exec, s[30:31]
	s_cbranch_execz .LBB90_32
.LBB90_17:                              ;   Parent Loop BB90_11 Depth=1
                                        ; =>  This Inner Loop Header: Depth=2
	v_add_u32_e32 v5, v5, v2
	v_cmp_gt_u32_e64 s[0:1], s64, v5
	v_cmp_le_u32_e32 vcc, s64, v5
	s_waitcnt lgkmcnt(0)
	v_mov_b32_e32 v20, 0
	v_mov_b32_e32 v19, 0
	s_and_saveexec_b64 s[2:3], s[0:1]
	s_cbranch_execz .LBB90_19
; %bb.18:                               ;   in Loop: Header=BB90_17 Depth=2
	v_lshl_add_u64 v[46:47], v[10:11], 2, v[6:7]
	global_load_dword v19, v[46:47], off
.LBB90_19:                              ;   in Loop: Header=BB90_17 Depth=2
	s_or_b64 exec, exec, s[2:3]
	s_waitcnt vmcnt(0)
	v_bitop3_b32 v43, v4, v41, s8 bitop3:0x48
	v_cmp_eq_u32_e64 s[0:1], v43, v34
	s_cmp_lg_u64 s[0:1], 0
	s_cselect_b64 s[2:3], -1, 0
	s_and_b64 s[2:3], s[4:5], s[2:3]
	s_and_saveexec_b64 s[34:35], s[2:3]
	s_cbranch_execz .LBB90_23
; %bb.20:                               ;   in Loop: Header=BB90_17 Depth=2
	s_mov_b64 s[38:39], exec
	v_mbcnt_lo_u32_b32 v20, s38, 0
	v_mbcnt_hi_u32_b32 v20, s39, v20
	s_bcnt1_i32_b64 s40, s[0:1]
	v_cmp_eq_u32_e64 s[2:3], 0, v20
                                        ; implicit-def: $vgpr43
	s_and_saveexec_b64 s[36:37], s[2:3]
; %bb.21:                               ;   in Loop: Header=BB90_17 Depth=2
	s_bcnt1_i32_b64 s2, s[38:39]
	s_mul_i32 s2, s40, s2
	v_mov_b32_e32 v43, s2
	ds_add_rtn_u32 v43, v11, v43 offset:4112
; %bb.22:                               ;   in Loop: Header=BB90_17 Depth=2
	s_or_b64 exec, exec, s[36:37]
	s_waitcnt lgkmcnt(0)
	v_readfirstlane_b32 s2, v43
	s_nop 1
	v_mov_b32_e32 v43, s2
	v_mad_u32_u24 v20, s40, v20, v43
.LBB90_23:                              ;   in Loop: Header=BB90_17 Depth=2
	s_or_b64 exec, exec, s[34:35]
	ds_bpermute_b32 v20, v9, v20
	s_and_b64 s[2:3], exec, vcc
	s_or_b64 s[30:31], s[2:3], s[30:31]
	s_and_saveexec_b64 s[2:3], s[0:1]
	s_cbranch_execz .LBB90_16
; %bb.24:                               ;   in Loop: Header=BB90_17 Depth=2
	v_and_b32_e32 v45, s0, v14
	v_and_b32_e32 v43, s1, v1
	v_bcnt_u32_b32 v45, v45, 0
	v_bcnt_u32_b32 v43, v43, v45
	v_lshlrev_b32_e32 v43, 2, v43
	s_waitcnt lgkmcnt(0)
	v_lshl_add_u32 v20, v20, 2, v43
	ds_write_b32 v20, v4
	s_branch .LBB90_16
.LBB90_25:                              ;   in Loop: Header=BB90_11 Depth=1
	s_mov_b64 s[26:27], -1
	s_mov_b64 s[0:1], 0
.LBB90_26:                              ;   in Loop: Header=BB90_11 Depth=1
	s_and_b64 vcc, exec, s[26:27]
	s_cbranch_vccz .LBB90_55
.LBB90_27:                              ;   in Loop: Header=BB90_11 Depth=1
	s_and_saveexec_b64 s[2:3], s[24:25]
	s_cbranch_execz .LBB90_52
; %bb.28:                               ;   in Loop: Header=BB90_11 Depth=1
	v_readlane_b32 s0, v70, 20
	v_readlane_b32 s1, v70, 21
	s_nop 4
	global_load_ushort v2, v11, s[0:1]
	global_load_dword v19, v[12:13], off
	v_mov_b32_e32 v3, v0
	s_waitcnt vmcnt(1)
	v_readfirstlane_b32 s36, v2
	v_add_u32_e32 v2, v0, v2
	v_cmp_gt_u32_e32 vcc, s64, v2
	s_and_saveexec_b64 s[26:27], vcc
	s_cbranch_execz .LBB90_51
; %bb.29:                               ;   in Loop: Header=BB90_11 Depth=1
	s_mov_b64 s[0:1], 0
	s_mul_i32 s37, s66, s36
                                        ; implicit-def: $vgpr3
                                        ; implicit-def: $vgpr20
                                        ; implicit-def: $vgpr4
                                        ; implicit-def: $vgpr5
	s_mov_b64 s[28:29], exec
	v_readlane_b32 s30, v70, 22
	v_readlane_b32 s31, v70, 23
	s_and_b64 s[30:31], s[28:29], s[30:31]
	s_xor_b64 s[28:29], s[30:31], s[28:29]
	s_mov_b64 exec, s[30:31]
	s_cbranch_execnz .LBB90_35
; %bb.30:                               ;   in Loop: Header=BB90_11 Depth=1
	s_andn2_saveexec_b64 s[28:29], s[28:29]
	s_cbranch_execnz .LBB90_46
.LBB90_31:                              ;   in Loop: Header=BB90_11 Depth=1
	s_or_b64 exec, exec, s[28:29]
	s_and_saveexec_b64 s[28:29], s[0:1]
	s_cbranch_execnz .LBB90_47
	s_branch .LBB90_50
.LBB90_32:                              ;   in Loop: Header=BB90_11 Depth=1
	s_or_b64 exec, exec, s[28:29]
	s_waitcnt lgkmcnt(0)
	s_barrier
	s_and_saveexec_b64 s[0:1], s[22:23]
	s_cbranch_execz .LBB90_34
; %bb.33:                               ;   in Loop: Header=BB90_11 Depth=1
	ds_read_b32 v2, v11 offset:4112
	s_waitcnt lgkmcnt(0)
	ds_write_b32 v11, v2 offset:4104
.LBB90_34:                              ;   in Loop: Header=BB90_11 Depth=1
	s_or_b64 exec, exec, s[0:1]
	s_waitcnt lgkmcnt(0)
	s_barrier
	s_mov_b64 s[0:1], -1
	s_and_b64 vcc, exec, s[26:27]
	s_cbranch_vccnz .LBB90_27
	s_branch .LBB90_55
.LBB90_35:                              ;   in Loop: Header=BB90_11 Depth=1
	v_cvt_f32_u32_e32 v3, s36
	v_add_u32_e32 v4, s36, v2
	v_max_u32_e32 v4, s64, v4
	s_lshl_b32 s0, s36, 1
	v_rcp_iflag_f32_e32 v3, v3
	v_sub_u32_e32 v4, v4, v0
	v_cmp_ne_u32_e32 vcc, s0, v4
	s_sub_i32 s1, 0, s36
	v_mul_f32_e32 v3, 0x4f7ffffe, v3
	v_cvt_u32_f32_e32 v3, v3
	v_cndmask_b32_e64 v5, 0, 1, vcc
	v_or_b32_e32 v5, s0, v5
	v_sub_u32_e32 v4, v4, v5
	v_mul_lo_u32 v5, s1, v3
	v_mul_hi_u32 v5, v3, v5
	v_add_u32_e32 v3, v3, v5
	v_mul_hi_u32 v3, v4, v3
	v_mul_lo_u32 v5, v3, s36
	v_sub_u32_e32 v4, v4, v5
	v_add_u32_e32 v5, 1, v3
	v_cmp_le_u32_e64 s[0:1], s36, v4
	s_nop 1
	v_cndmask_b32_e64 v3, v3, v5, s[0:1]
	v_subrev_u32_e32 v5, s36, v4
	v_cndmask_b32_e64 v4, v4, v5, s[0:1]
	v_add_u32_e32 v5, 1, v3
	v_cmp_le_u32_e64 s[0:1], s36, v4
	v_mul_lo_u32 v4, s66, v2
	s_nop 0
	v_cndmask_b32_e64 v3, v3, v5, s[0:1]
	v_addc_co_u32_e32 v3, vcc, 0, v3, vcc
	s_abs_i32 s0, s37
	v_mul_hi_u32 v5, s0, v3
	v_mul_lo_u32 v3, s0, v3
	s_not_b32 s0, s37
	s_ashr_i32 s0, s0, 31
	s_cmp_eq_u32 s36, 1
	v_cmp_eq_u32_e32 vcc, 0, v5
	v_xor_b32_e32 v4, s0, v4
	s_cselect_b64 s[30:31], -1, 0
	v_cmp_le_u32_e64 s[0:1], v3, v4
	s_and_b64 s[30:31], vcc, s[30:31]
	s_and_b64 s[34:35], s[30:31], s[0:1]
	s_mov_b64 s[30:31], -1
	v_mov_b32_e32 v4, v0
                                        ; implicit-def: $vgpr3
	s_and_saveexec_b64 s[0:1], s[34:35]
	s_cbranch_execz .LBB90_45
; %bb.36:                               ;   in Loop: Header=BB90_11 Depth=1
	v_add_u32_e32 v3, 1, v2
	v_mov_b32_e32 v10, 0
	v_mov_b64_e32 v[4:5], v[2:3]
	s_mov_b64 s[30:31], exec
	v_readlane_b32 s34, v70, 24
	v_readlane_b32 s35, v70, 25
	s_and_b64 s[34:35], s[30:31], s[34:35]
	s_mov_b64 exec, s[34:35]
	s_cbranch_execz .LBB90_40
; %bb.37:                               ;   in Loop: Header=BB90_11 Depth=1
	s_mov_b32 s38, 0
	s_mov_b64 s[34:35], 0
	v_mov_b32_e32 v20, v27
	v_mov_b32_e32 v43, v15
	v_mov_b64_e32 v[4:5], v[2:3]
.LBB90_38:                              ;   Parent Loop BB90_11 Depth=1
                                        ; =>  This Inner Loop Header: Depth=2
	v_mul_lo_u32 v10, v4, s66
	v_lshl_add_u64 v[46:47], v[10:11], 2, v[6:7]
	global_load_dword v3, v[46:47], off
	v_add_u32_e32 v10, 2, v4
	v_mul_lo_u32 v46, v5, s9
	v_mov_b32_e32 v47, v11
	v_add_u32_e32 v45, 2, v5
	v_add_u32_e32 v64, 4, v4
	;; [unrolled: 1-line block ×4, first 2 shown]
	v_mul_lo_u32 v10, v10, s66
	v_mov_b32_e32 v49, v11
	v_add_u32_e32 v50, 4, v5
	v_add_u32_e32 v65, 6, v4
	;; [unrolled: 1-line block ×3, first 2 shown]
	v_mov_b32_e32 v55, v11
	v_mov_b32_e32 v57, v11
	v_add_u32_e32 v58, 12, v5
	v_lshl_add_u64 v[46:47], v[46:47], 2, v[6:7]
	v_mul_lo_u32 v48, v45, s9
	v_mul_lo_u32 v54, v54, s9
	;; [unrolled: 1-line block ×3, first 2 shown]
	v_lshl_add_u64 v[62:63], v[10:11], 2, v[6:7]
	v_mul_lo_u32 v10, v64, s66
	v_mov_b32_e32 v51, v11
	v_mov_b32_e32 v53, v11
	v_add_u32_e32 v66, 8, v4
	v_mov_b32_e32 v59, v11
	v_mul_lo_u32 v50, v50, s9
	v_mul_lo_u32 v52, v52, s9
	;; [unrolled: 1-line block ×3, first 2 shown]
	v_lshl_add_u64 v[48:49], v[48:49], 2, v[6:7]
	v_lshl_add_u64 v[54:55], v[54:55], 2, v[6:7]
	;; [unrolled: 1-line block ×3, first 2 shown]
	global_load_dword v45, v[46:47], off
	v_lshl_add_u64 v[46:47], v[10:11], 2, v[6:7]
	v_mul_lo_u32 v10, v65, s66
	v_add_u32_e32 v67, 10, v4
	v_lshl_add_u64 v[50:51], v[50:51], 2, v[6:7]
	v_lshl_add_u64 v[52:53], v[52:53], 2, v[6:7]
	;; [unrolled: 1-line block ×3, first 2 shown]
	global_load_dword v62, v[62:63], off
	s_nop 0
	global_load_dword v63, v[48:49], off
	global_load_dword v64, v[50:51], off
	global_load_dword v65, v[52:53], off
	s_nop 0
	global_load_dword v54, v[54:55], off
	s_nop 0
	global_load_dword v55, v[56:57], off
	s_nop 0
	global_load_dword v56, v[58:59], off
	v_lshl_add_u64 v[48:49], v[10:11], 2, v[6:7]
	v_mul_lo_u32 v10, v66, s66
	v_add_u32_e32 v68, 12, v4
	global_load_dword v57, v[48:49], off
	global_load_dword v58, v[46:47], off
	v_lshl_add_u64 v[46:47], v[10:11], 2, v[6:7]
	v_mul_lo_u32 v10, v67, s66
	v_add_u32_e32 v69, 14, v4
	v_add_u32_e32 v60, 14, v5
	v_lshl_add_u64 v[48:49], v[10:11], 2, v[6:7]
	v_mul_lo_u32 v10, v68, s66
	v_mov_b32_e32 v61, v11
	v_mul_lo_u32 v60, v60, s9
	v_lshl_add_u64 v[50:51], v[10:11], 2, v[6:7]
	v_mul_lo_u32 v10, v69, s66
	v_lshl_add_u64 v[60:61], v[60:61], 2, v[6:7]
	v_lshl_add_u64 v[52:53], v[10:11], 2, v[6:7]
	global_load_dword v52, v[52:53], off
	v_add_u32_e32 v20, -8, v20
	s_add_i32 s38, s38, 16
	v_cmp_eq_u32_e32 vcc, 0, v20
	v_add_u32_e32 v5, 16, v5
	v_add_u32_e32 v4, 16, v4
	v_mov_b32_e32 v10, s38
	s_or_b64 s[34:35], vcc, s[34:35]
	s_waitcnt vmcnt(11)
	ds_write2_b32 v43, v19, v3 offset1:1
	global_load_dword v19, v[60:61], off
	global_load_dword v3, v[50:51], off
	s_nop 0
	global_load_dword v48, v[48:49], off
	s_nop 0
	global_load_dword v46, v[46:47], off
	s_waitcnt vmcnt(13)
	ds_write2_b32 v43, v45, v62 offset0:2 offset1:3
	s_waitcnt vmcnt(5)
	ds_write2_b32 v43, v63, v58 offset0:4 offset1:5
	ds_write2_b32 v43, v64, v57 offset0:6 offset1:7
	s_waitcnt vmcnt(4)
	ds_write2_b32 v43, v56, v52 offset0:14 offset1:15
	s_waitcnt vmcnt(0)
	ds_write2_b32 v43, v65, v46 offset0:8 offset1:9
	ds_write2_b32 v43, v54, v48 offset0:10 offset1:11
	;; [unrolled: 1-line block ×3, first 2 shown]
	v_add_u32_e32 v43, 64, v43
	s_andn2_b64 exec, exec, s[34:35]
	s_cbranch_execnz .LBB90_38
; %bb.39:                               ;   in Loop: Header=BB90_11 Depth=1
	s_or_b64 exec, exec, s[34:35]
.LBB90_40:                              ;   in Loop: Header=BB90_11 Depth=1
	s_or_b64 exec, exec, s[30:31]
	s_mov_b64 s[30:31], exec
	v_readlane_b32 s34, v70, 26
	v_readlane_b32 s35, v70, 27
	s_and_b64 s[34:35], s[30:31], s[34:35]
	s_mov_b64 exec, s[34:35]
	s_cbranch_execz .LBB90_44
; %bb.41:                               ;   in Loop: Header=BB90_11 Depth=1
	v_lshl_add_u32 v3, v10, 2, v15
	s_mov_b64 s[34:35], 0
	v_mov_b32_e32 v20, v29
.LBB90_42:                              ;   Parent Loop BB90_11 Depth=1
                                        ; =>  This Inner Loop Header: Depth=2
	v_mul_lo_u32 v10, v4, s66
	v_mul_lo_u32 v46, v5, s9
	v_mov_b32_e32 v47, v11
	v_lshl_add_u64 v[48:49], v[10:11], 2, v[6:7]
	v_lshl_add_u64 v[46:47], v[46:47], 2, v[6:7]
	global_load_dword v43, v[48:49], off
	global_load_dword v10, v[46:47], off
	v_add_u32_e32 v20, -8, v20
	v_cmp_eq_u32_e32 vcc, 0, v20
	v_add_u32_e32 v5, 2, v5
	v_add_u32_e32 v4, 2, v4
	s_or_b64 s[34:35], vcc, s[34:35]
	s_waitcnt vmcnt(1)
	ds_write2_b32 v3, v19, v43 offset1:1
	v_add_u32_e32 v3, 8, v3
	s_waitcnt vmcnt(0)
	v_mov_b32_e32 v19, v10
	s_andn2_b64 exec, exec, s[34:35]
	s_cbranch_execnz .LBB90_42
; %bb.43:                               ;   in Loop: Header=BB90_11 Depth=1
	s_or_b64 exec, exec, s[34:35]
	v_mov_b32_e32 v19, v10
.LBB90_44:                              ;   in Loop: Header=BB90_11 Depth=1
	s_or_b64 exec, exec, s[30:31]
	v_readlane_b32 s30, v70, 28
	v_add_u32_e32 v2, v2, v25
	v_readlane_b32 s31, v70, 29
	v_add_u32_e32 v3, -1, v2
	s_orn2_b64 s[30:31], s[30:31], exec
	v_mov_b32_e32 v4, v26
.LBB90_45:                              ;   in Loop: Header=BB90_11 Depth=1
	s_or_b64 exec, exec, s[0:1]
	v_mov_b32_e32 v5, s37
	s_and_b64 s[0:1], s[30:31], exec
	s_waitcnt vmcnt(0)
	v_mov_b32_e32 v20, v19
	s_andn2_saveexec_b64 s[28:29], s[28:29]
	s_cbranch_execz .LBB90_31
.LBB90_46:                              ;   in Loop: Header=BB90_11 Depth=1
	v_mov_b32_e32 v5, s37
	s_or_b64 s[0:1], s[0:1], exec
	s_waitcnt vmcnt(0)
	v_mov_b32_e32 v20, v19
	v_mov_b32_e32 v4, v0
	s_or_b64 exec, exec, s[28:29]
	s_and_saveexec_b64 s[28:29], s[0:1]
	s_cbranch_execz .LBB90_50
.LBB90_47:                              ;   in Loop: Header=BB90_11 Depth=1
	s_sub_i32 s30, 0, s36
	v_mul_lo_u32 v10, s66, v2
	s_mov_b64 s[0:1], 0
.LBB90_48:                              ;   Parent Loop BB90_11 Depth=1
                                        ; =>  This Inner Loop Header: Depth=2
	v_lshl_add_u64 v[46:47], v[10:11], 2, v[6:7]
	global_load_dword v19, v[46:47], off
	v_mov_b32_e32 v3, v2
	v_lshlrev_b32_e32 v2, 2, v4
	ds_write_b32 v2, v20
	v_add_u32_e32 v2, s36, v3
	v_cmp_le_u32_e32 vcc, s64, v2
	v_add_u32_e32 v10, v10, v5
	v_mov_b32_e32 v4, v3
	s_or_b64 s[0:1], vcc, s[0:1]
	s_waitcnt vmcnt(0)
	v_mov_b32_e32 v20, v19
	s_andn2_b64 exec, exec, s[0:1]
	s_cbranch_execnz .LBB90_48
; %bb.49:                               ;   in Loop: Header=BB90_11 Depth=1
	s_or_b64 exec, exec, s[0:1]
	v_add_u32_e32 v3, s30, v2
.LBB90_50:                              ;   in Loop: Header=BB90_11 Depth=1
	s_or_b64 exec, exec, s[28:29]
.LBB90_51:                              ;   in Loop: Header=BB90_11 Depth=1
	s_or_b64 exec, exec, s[26:27]
	v_lshlrev_b32_e32 v2, 2, v3
	s_waitcnt vmcnt(0)
	ds_write_b32 v2, v19
.LBB90_52:                              ;   in Loop: Header=BB90_11 Depth=1
	s_or_b64 exec, exec, s[2:3]
	s_waitcnt lgkmcnt(0)
	s_barrier
	s_and_saveexec_b64 s[0:1], s[22:23]
; %bb.53:                               ;   in Loop: Header=BB90_11 Depth=1
	ds_write_b32 v11, v44 offset:4104
; %bb.54:                               ;   in Loop: Header=BB90_11 Depth=1
	s_or_b64 exec, exec, s[0:1]
	s_mov_b64 s[0:1], -1
	s_waitcnt lgkmcnt(0)
	s_barrier
.LBB90_55:                              ;   in Loop: Header=BB90_11 Depth=1
	s_mov_b32 s76, 0
	s_and_b64 vcc, exec, s[0:1]
	s_cbranch_vccz .LBB90_57
; %bb.56:                               ;   in Loop: Header=BB90_11 Depth=1
	ds_read_b32 v2, v11 offset:4104
	s_waitcnt lgkmcnt(0)
	v_readfirstlane_b32 s76, v2
.LBB90_57:                              ;   in Loop: Header=BB90_11 Depth=1
	s_cmp_lt_i32 s76, 1
	s_mov_b64 s[0:1], -1
                                        ; implicit-def: $vgpr5
	s_cbranch_scc1 .LBB90_67
; %bb.58:                               ;   in Loop: Header=BB90_11 Depth=1
	s_and_b64 vcc, exec, s[0:1]
	s_cbranch_vccnz .LBB90_78
.LBB90_59:                              ;   in Loop: Header=BB90_11 Depth=1
	v_lshlrev_b32_e32 v19, 6, v40
	s_and_saveexec_b64 s[0:1], s[4:5]
.LBB90_60:                              ;   in Loop: Header=BB90_11 Depth=1
	v_lshl_add_u32 v10, v19, 2, v24
	ds_write_b128 v10, v[2:5]
.LBB90_61:                              ;   in Loop: Header=BB90_11 Depth=1
	s_or_b64 exec, exec, s[0:1]
	s_waitcnt lgkmcnt(0)
	s_barrier
	s_and_saveexec_b64 s[0:1], s[86:87]
	s_cbranch_execz .LBB90_95
; %bb.62:                               ;   in Loop: Header=BB90_11 Depth=1
	v_add_u32_e32 v4, v19, v22
	s_andn2_b64 vcc, exec, s[90:91]
	v_mov_b32_e32 v2, 0
	s_cbranch_vccnz .LBB90_94
; %bb.63:                               ;   in Loop: Header=BB90_11 Depth=1
	v_readlane_b32 s2, v70, 30
	v_readlane_b32 s3, v70, 31
	s_andn2_b64 vcc, exec, s[2:3]
	s_cbranch_vccnz .LBB90_87
; %bb.64:                               ;   in Loop: Header=BB90_11 Depth=1
	v_readlane_b32 s2, v70, 32
	v_readlane_b32 s3, v70, 33
	s_andn2_b64 vcc, exec, s[2:3]
	v_lshl_add_u32 v5, v4, 2, v39
	s_cbranch_vccnz .LBB90_88
; %bb.65:                               ;   in Loop: Header=BB90_11 Depth=1
	s_mov_b32 s3, 1
	s_mov_b32 s2, 0
	v_mov_b32_e32 v2, 0
	v_mov_b32_e32 v3, 0
	v_readlane_b32 s26, v70, 34
.LBB90_66:                              ;   Parent Loop BB90_11 Depth=1
                                        ; =>  This Inner Loop Header: Depth=2
	v_lshl_add_u32 v10, s2, 4, v5
	v_lshl_add_u32 v20, s3, 4, v5
	ds_read2_b32 v[46:47], v10 offset1:8
	ds_read2_b32 v[48:49], v20 offset1:8
	ds_read2_b32 v[50:51], v10 offset0:16 offset1:24
	ds_read2_b32 v[52:53], v20 offset0:16 offset1:24
	;; [unrolled: 1-line block ×6, first 2 shown]
	s_waitcnt lgkmcnt(7)
	v_add3_u32 v2, v46, v2, v47
	s_waitcnt lgkmcnt(6)
	v_add3_u32 v3, v48, v3, v49
	;; [unrolled: 2-line block ×3, first 2 shown]
	v_add3_u32 v2, v50, v2, v51
	s_add_i32 s3, s3, 16
	s_add_i32 s2, s2, 16
	s_add_i32 s26, s26, -8
	s_waitcnt lgkmcnt(3)
	v_add3_u32 v2, v54, v2, v55
	s_waitcnt lgkmcnt(2)
	v_add3_u32 v3, v56, v3, v57
	s_cmp_lg_u32 s26, 0
	s_waitcnt lgkmcnt(0)
	v_add3_u32 v3, v60, v3, v61
	v_add3_u32 v2, v58, v2, v59
	s_cbranch_scc1 .LBB90_66
	s_branch .LBB90_89
.LBB90_67:                              ;   in Loop: Header=BB90_11 Depth=1
	v_mov_b32_e32 v2, 0
	v_mov_b32_e32 v3, 0
	;; [unrolled: 1-line block ×4, first 2 shown]
	s_and_saveexec_b64 s[52:53], s[16:17]
	s_cbranch_execz .LBB90_71
; %bb.68:                               ;   in Loop: Header=BB90_11 Depth=1
	s_mov_b32 s56, 0
	s_mov_b64 s[54:55], 0
	s_mov_b32 s57, 0
	s_mov_b32 s58, 0
	;; [unrolled: 1-line block ×4, first 2 shown]
	v_mov_b32_e32 v19, v15
.LBB90_69:                              ;   Parent Loop BB90_11 Depth=1
                                        ; =>  This Inner Loop Header: Depth=2
	v_add_u32_e32 v10, s56, v33
	v_lshl_add_u64 v[2:3], v[10:11], 2, v[6:7]
	v_add_u32_e32 v10, s56, v30
	global_load_dword v4, v[2:3], off
	v_lshl_add_u64 v[2:3], v[10:11], 2, v[6:7]
	v_add_u32_e32 v10, s56, v31
	global_load_dword v5, v[2:3], off
	v_lshl_add_u64 v[2:3], v[10:11], 2, v[6:7]
	global_load_dword v20, v[2:3], off
	v_add_u32_e32 v10, s56, v32
	v_lshl_add_u64 v[2:3], v[10:11], 2, v[6:7]
	global_load_dword v2, v[2:3], off
	v_add_u32_e32 v19, s96, v19
	v_cmp_le_u32_e32 vcc, s81, v19
	s_add_i32 s56, s56, s92
	s_waitcnt vmcnt(3)
	v_xor_b32_e32 v3, 0x80000000, v4
	v_bitop3_b32 v4, v4, v41, s8 bitop3:0x48
	v_bfe_u32 v3, v3, v38, 2
	v_cmp_eq_u32_e64 s[0:1], v4, v34
	s_waitcnt vmcnt(2)
	v_bitop3_b32 v4, v5, v41, s8 bitop3:0x48
	v_cmp_eq_u32_e64 s[26:27], 0, v3
	v_xor_b32_e32 v10, 0x80000000, v5
	s_waitcnt vmcnt(1)
	v_xor_b32_e32 v5, 0x80000000, v20
	v_cmp_eq_u32_e64 s[2:3], v4, v34
	v_bitop3_b32 v4, v20, v41, s8 bitop3:0x48
	v_cmp_eq_u32_e64 s[28:29], 1, v3
	s_and_b64 s[26:27], s[0:1], s[26:27]
	v_bfe_u32 v10, v10, v38, 2
	v_cmp_eq_u32_e64 s[30:31], 2, v3
	v_cmp_eq_u32_e64 s[36:37], v4, v34
	v_bfe_u32 v4, v5, v38, 2
	v_cndmask_b32_e64 v5, 0, 1, s[26:27]
	s_and_b64 s[26:27], s[0:1], s[28:29]
	v_cmp_eq_u32_e64 s[34:35], 3, v3
	v_cmp_eq_u32_e64 s[38:39], 0, v10
	;; [unrolled: 1-line block ×5, first 2 shown]
	v_cndmask_b32_e64 v10, 0, 1, s[26:27]
	s_and_b64 s[26:27], s[0:1], s[30:31]
	s_waitcnt vmcnt(0)
	v_xor_b32_e32 v3, 0x80000000, v2
	v_bitop3_b32 v2, v2, v41, s8 bitop3:0x48
	v_cndmask_b32_e64 v20, 0, 1, s[26:27]
	s_and_b64 s[0:1], s[0:1], s[34:35]
	v_cmp_eq_u32_e64 s[26:27], 0, v4
	v_cmp_eq_u32_e64 s[28:29], 1, v4
	s_and_b64 s[38:39], s[2:3], s[38:39]
	s_and_b64 s[40:41], s[2:3], s[40:41]
	;; [unrolled: 1-line block ×3, first 2 shown]
	v_cndmask_b32_e64 v43, 0, 1, s[0:1]
	v_cmp_eq_u32_e64 s[0:1], v2, v34
	v_bfe_u32 v2, v3, v38, 2
	v_cmp_eq_u32_e64 s[30:31], 2, v4
	v_cmp_eq_u32_e64 s[34:35], 3, v4
	v_cmp_ne_u32_e64 s[46:47], 0, v5
	v_cndmask_b32_e64 v3, 0, 1, s[38:39]
	v_cndmask_b32_e64 v4, 0, 1, s[40:41]
	;; [unrolled: 1-line block ×3, first 2 shown]
	s_and_b64 s[2:3], s[2:3], s[44:45]
	s_and_b64 s[26:27], s[36:37], s[26:27]
	;; [unrolled: 1-line block ×3, first 2 shown]
	v_cmp_ne_u32_e64 s[38:39], 0, v10
	v_cmp_ne_u32_e64 s[40:41], 0, v20
	;; [unrolled: 1-line block ×3, first 2 shown]
	v_cndmask_b32_e64 v10, 0, 1, s[2:3]
	v_cmp_eq_u32_e64 s[2:3], 0, v2
	v_cmp_eq_u32_e64 s[44:45], 1, v2
	;; [unrolled: 1-line block ×4, first 2 shown]
	s_bcnt1_i32_b64 s61, s[46:47]
	v_cmp_ne_u32_e64 s[46:47], 0, v3
	v_cndmask_b32_e64 v2, 0, 1, s[26:27]
	v_cmp_ne_u32_e64 s[26:27], 0, v4
	v_cndmask_b32_e64 v3, 0, 1, s[28:29]
	v_cmp_ne_u32_e64 s[28:29], 0, v5
	s_and_b64 s[30:31], s[36:37], s[30:31]
	s_and_b64 s[34:35], s[36:37], s[34:35]
	s_bcnt1_i32_b64 s38, s[38:39]
	s_bcnt1_i32_b64 s39, s[40:41]
	v_cndmask_b32_e64 v4, 0, 1, s[30:31]
	s_bcnt1_i32_b64 s40, s[42:43]
	v_cmp_ne_u32_e64 s[30:31], 0, v10
	v_cndmask_b32_e64 v5, 0, 1, s[34:35]
	s_and_b64 s[2:3], s[0:1], s[2:3]
	s_bcnt1_i32_b64 s41, s[26:27]
	s_and_b64 s[26:27], s[0:1], s[44:45]
	s_bcnt1_i32_b64 s42, s[28:29]
	s_and_b64 s[28:29], s[0:1], s[48:49]
	s_and_b64 s[0:1], s[0:1], s[50:51]
	s_bcnt1_i32_b64 s36, s[46:47]
	v_cmp_ne_u32_e64 s[34:35], 0, v2
	v_cndmask_b32_e64 v2, 0, 1, s[2:3]
	s_add_i32 s37, s60, s61
	v_cmp_ne_u32_e64 s[2:3], 0, v3
	v_cndmask_b32_e64 v3, 0, 1, s[26:27]
	s_add_i32 s38, s59, s38
	v_cmp_ne_u32_e64 s[26:27], 0, v4
	v_cndmask_b32_e64 v4, 0, 1, s[28:29]
	s_add_i32 s39, s58, s39
	s_bcnt1_i32_b64 s30, s[30:31]
	v_cmp_ne_u32_e64 s[28:29], 0, v5
	v_cndmask_b32_e64 v5, 0, 1, s[0:1]
	s_add_i32 s31, s57, s40
	s_bcnt1_i32_b64 s34, s[34:35]
	v_cmp_ne_u32_e64 s[0:1], 0, v2
	s_add_i32 s35, s37, s36
	s_bcnt1_i32_b64 s36, s[2:3]
	v_cmp_ne_u32_e64 s[2:3], 0, v3
	;; [unrolled: 3-line block ×4, first 2 shown]
	s_add_i32 s30, s31, s30
	s_bcnt1_i32_b64 s0, s[0:1]
	s_add_i32 s1, s35, s34
	s_bcnt1_i32_b64 s2, s[2:3]
	;; [unrolled: 2-line block ×4, first 2 shown]
	s_add_i32 s29, s30, s40
	s_add_i32 s60, s1, s0
	;; [unrolled: 1-line block ×5, first 2 shown]
	s_or_b64 s[54:55], vcc, s[54:55]
	v_mov_b32_e32 v2, s60
	v_mov_b32_e32 v3, s59
	;; [unrolled: 1-line block ×4, first 2 shown]
	s_andn2_b64 exec, exec, s[54:55]
	s_cbranch_execnz .LBB90_69
; %bb.70:                               ;   in Loop: Header=BB90_11 Depth=1
	s_or_b64 exec, exec, s[54:55]
.LBB90_71:                              ;   in Loop: Header=BB90_11 Depth=1
	s_or_b64 exec, exec, s[52:53]
	s_and_saveexec_b64 s[2:3], s[18:19]
	s_cbranch_execz .LBB90_77
; %bb.72:                               ;   in Loop: Header=BB90_11 Depth=1
	global_load_dword v43, v[16:17], off
	s_mov_b64 s[26:27], 0
	v_mov_b32_e32 v10, v35
	v_mov_b32_e32 v19, v28
	s_branch .LBB90_74
.LBB90_73:                              ;   in Loop: Header=BB90_74 Depth=2
	s_or_b64 exec, exec, s[28:29]
	s_waitcnt vmcnt(0)
	v_xor_b32_e32 v45, 0x80000000, v43
	v_bitop3_b32 v43, v43, v41, s8 bitop3:0x48
	s_and_b64 s[0:1], exec, vcc
	v_cmp_eq_u32_e32 vcc, v43, v34
	v_bfe_u32 v43, v45, v38, 2
	s_or_b64 s[26:27], s[0:1], s[26:27]
	v_cmp_eq_u32_e64 s[0:1], 0, v43
	s_and_b64 s[0:1], vcc, s[0:1]
	v_add_u32_e32 v10, s65, v10
	v_cndmask_b32_e64 v45, 0, 1, s[0:1]
	v_cmp_ne_u32_e64 s[0:1], 0, v45
	s_bcnt1_i32_b64 s0, s[0:1]
	s_nop 0
	v_add_u32_e32 v2, s0, v2
	v_cmp_eq_u32_e64 s[0:1], 1, v43
	s_and_b64 s[0:1], vcc, s[0:1]
	s_nop 0
	v_cndmask_b32_e64 v45, 0, 1, s[0:1]
	v_cmp_ne_u32_e64 s[0:1], 0, v45
	s_bcnt1_i32_b64 s0, s[0:1]
	s_nop 0
	v_add_u32_e32 v3, s0, v3
	v_cmp_eq_u32_e64 s[0:1], 2, v43
	s_and_b64 s[0:1], vcc, s[0:1]
	s_nop 0
	;; [unrolled: 8-line block ×3, first 2 shown]
	v_cndmask_b32_e64 v43, 0, 1, s[0:1]
	v_cmp_ne_u32_e32 vcc, 0, v43
	s_bcnt1_i32_b64 s0, vcc
	v_add_u32_e32 v5, s0, v5
	v_mov_b32_e32 v43, v20
	s_andn2_b64 exec, exec, s[26:27]
	s_cbranch_execz .LBB90_76
.LBB90_74:                              ;   Parent Loop BB90_11 Depth=1
                                        ; =>  This Inner Loop Header: Depth=2
	v_add_u32_e32 v19, s67, v19
	v_cmp_gt_u32_e64 s[0:1], s64, v19
	v_cmp_le_u32_e32 vcc, s64, v19
	v_mov_b32_e32 v20, 0
	s_and_saveexec_b64 s[28:29], s[0:1]
	s_cbranch_execz .LBB90_73
; %bb.75:                               ;   in Loop: Header=BB90_74 Depth=2
	v_lshl_add_u64 v[46:47], v[10:11], 2, v[6:7]
	global_load_dword v20, v[46:47], off
	s_branch .LBB90_73
.LBB90_76:                              ;   in Loop: Header=BB90_11 Depth=1
	s_or_b64 exec, exec, s[26:27]
.LBB90_77:                              ;   in Loop: Header=BB90_11 Depth=1
	s_or_b64 exec, exec, s[2:3]
	s_branch .LBB90_59
.LBB90_78:                              ;   in Loop: Header=BB90_11 Depth=1
	s_mul_hi_u32 s0, s76, s80
	s_mul_i32 s0, s0, s96
	s_sub_i32 s0, s76, s0
	s_sub_i32 s1, s0, s96
	s_cmp_ge_u32 s0, s96
	s_cselect_b32 s0, s1, s0
	s_sub_i32 s1, s0, s96
	s_cmp_ge_u32 s0, s96
	s_cselect_b32 s0, s1, s0
	s_sub_i32 s77, s76, s0
	v_cmp_gt_u32_e32 vcc, s77, v15
	v_mov_b32_e32 v2, 0
	v_mov_b32_e32 v3, 0
	;; [unrolled: 1-line block ×4, first 2 shown]
	s_and_saveexec_b64 s[72:73], vcc
	s_cbranch_execz .LBB90_82
; %bb.79:                               ;   in Loop: Header=BB90_11 Depth=1
	s_mov_b32 s94, 0
	s_mov_b64 s[74:75], 0
	v_mov_b32_e32 v10, v36
	s_mov_b32 s95, 0
	s_mov_b32 s78, 0
	;; [unrolled: 1-line block ×3, first 2 shown]
	v_mov_b32_e32 v19, v15
.LBB90_80:                              ;   Parent Loop BB90_11 Depth=1
                                        ; =>  This Inner Loop Header: Depth=2
	ds_read_b128 v[2:5], v10
	v_add_u32_e32 v19, s96, v19
	v_cmp_le_u32_e32 vcc, s77, v19
	v_add_u32_e32 v10, s93, v10
	s_waitcnt lgkmcnt(0)
	v_xor_b32_e32 v20, 0x80000000, v2
	v_bitop3_b32 v2, v2, v41, s8 bitop3:0x48
	v_xor_b32_e32 v43, 0x80000000, v3
	v_bitop3_b32 v3, v3, v41, s8 bitop3:0x48
	v_cmp_eq_u32_e64 s[0:1], v2, v34
	v_bfe_u32 v2, v20, v38, 2
	v_xor_b32_e32 v45, 0x80000000, v4
	v_bitop3_b32 v4, v4, v41, s8 bitop3:0x48
	v_cmp_eq_u32_e64 s[2:3], v3, v34
	v_bfe_u32 v3, v43, v38, 2
	v_cmp_eq_u32_e64 s[30:31], 0, v2
	v_xor_b32_e32 v46, 0x80000000, v5
	v_bitop3_b32 v5, v5, v41, s8 bitop3:0x48
	v_cmp_eq_u32_e64 s[26:27], v4, v34
	v_bfe_u32 v4, v45, v38, 2
	v_cmp_eq_u32_e64 s[34:35], 0, v3
	s_and_b64 s[30:31], s[0:1], s[30:31]
	v_cmp_eq_u32_e64 s[28:29], v5, v34
	v_bfe_u32 v5, v46, v38, 2
	v_cmp_eq_u32_e64 s[36:37], 0, v4
	v_cmp_eq_u32_e64 s[40:41], 1, v2
	v_cmp_eq_u32_e64 s[48:49], 2, v2
	v_cmp_eq_u32_e64 s[56:57], 3, v2
	v_cndmask_b32_e64 v2, 0, 1, s[30:31]
	s_and_b64 s[30:31], s[2:3], s[34:35]
	v_cmp_eq_u32_e64 s[38:39], 0, v5
	v_cmp_eq_u32_e64 s[42:43], 1, v3
	;; [unrolled: 1-line block ×4, first 2 shown]
	v_cndmask_b32_e64 v3, 0, 1, s[30:31]
	s_and_b64 s[30:31], s[26:27], s[36:37]
	v_cmp_eq_u32_e64 s[44:45], 1, v4
	v_cmp_eq_u32_e64 s[52:53], 2, v4
	v_cmp_eq_u32_e64 s[60:61], 3, v4
	v_cndmask_b32_e64 v4, 0, 1, s[30:31]
	s_and_b64 s[30:31], s[28:29], s[38:39]
	v_cmp_eq_u32_e64 s[46:47], 1, v5
	v_cmp_eq_u32_e64 s[54:55], 2, v5
	;; [unrolled: 1-line block ×3, first 2 shown]
	v_cndmask_b32_e64 v5, 0, 1, s[30:31]
	s_and_b64 s[30:31], s[0:1], s[40:41]
	v_cndmask_b32_e64 v20, 0, 1, s[30:31]
	s_and_b64 s[30:31], s[2:3], s[42:43]
	v_cndmask_b32_e64 v43, 0, 1, s[30:31]
	s_and_b64 s[30:31], s[26:27], s[44:45]
	v_cndmask_b32_e64 v45, 0, 1, s[30:31]
	s_and_b64 s[30:31], s[28:29], s[46:47]
	v_cndmask_b32_e64 v46, 0, 1, s[30:31]
	s_and_b64 s[30:31], s[0:1], s[48:49]
	s_and_b64 s[0:1], s[0:1], s[56:57]
	v_cndmask_b32_e64 v47, 0, 1, s[30:31]
	s_and_b64 s[30:31], s[2:3], s[50:51]
	v_cndmask_b32_e64 v51, 0, 1, s[0:1]
	;; [unrolled: 2-line block ×7, first 2 shown]
	v_cndmask_b32_e64 v54, 0, 1, s[0:1]
	v_cmp_ne_u32_e64 s[0:1], 0, v2
	v_cmp_ne_u32_e64 s[2:3], 0, v3
	v_cmp_ne_u32_e64 s[26:27], 0, v4
	v_cmp_ne_u32_e64 s[28:29], 0, v5
	v_cmp_ne_u32_e64 s[30:31], 0, v20
	v_cmp_ne_u32_e64 s[36:37], 0, v45
	v_cmp_ne_u32_e64 s[40:41], 0, v47
	v_cmp_ne_u32_e64 s[48:49], 0, v51
	v_cmp_ne_u32_e64 s[34:35], 0, v43
	v_cmp_ne_u32_e64 s[42:43], 0, v48
	v_cmp_ne_u32_e64 s[50:51], 0, v52
	s_bcnt1_i32_b64 s0, s[0:1]
	s_bcnt1_i32_b64 s1, s[2:3]
	;; [unrolled: 1-line block ×8, first 2 shown]
	v_cmp_ne_u32_e64 s[38:39], 0, v46
	v_cmp_ne_u32_e64 s[44:45], 0, v49
	;; [unrolled: 1-line block ×3, first 2 shown]
	s_bcnt1_i32_b64 s27, s[34:35]
	s_bcnt1_i32_b64 s31, s[42:43]
	;; [unrolled: 1-line block ×3, first 2 shown]
	s_add_i32 s0, s79, s0
	s_add_i32 s26, s78, s26
	;; [unrolled: 1-line block ×4, first 2 shown]
	v_cmp_ne_u32_e64 s[46:47], 0, v50
	v_cmp_ne_u32_e64 s[54:55], 0, v54
	s_bcnt1_i32_b64 s29, s[38:39]
	s_bcnt1_i32_b64 s34, s[44:45]
	;; [unrolled: 1-line block ×3, first 2 shown]
	s_add_i32 s0, s0, s1
	s_add_i32 s1, s26, s27
	;; [unrolled: 1-line block ×4, first 2 shown]
	s_bcnt1_i32_b64 s35, s[46:47]
	s_bcnt1_i32_b64 s39, s[54:55]
	s_add_i32 s0, s0, s2
	s_add_i32 s1, s1, s28
	;; [unrolled: 1-line block ×8, first 2 shown]
	s_or_b64 s[74:75], vcc, s[74:75]
	v_mov_b32_e32 v2, s79
	v_mov_b32_e32 v3, s78
	;; [unrolled: 1-line block ×4, first 2 shown]
	s_andn2_b64 exec, exec, s[74:75]
	s_cbranch_execnz .LBB90_80
; %bb.81:                               ;   in Loop: Header=BB90_11 Depth=1
	s_or_b64 exec, exec, s[74:75]
.LBB90_82:                              ;   in Loop: Header=BB90_11 Depth=1
	s_or_b64 exec, exec, s[72:73]
	v_add_u32_e32 v10, s77, v0
	v_cmp_gt_u32_e32 vcc, s76, v10
	s_and_saveexec_b64 s[34:35], vcc
	s_cbranch_execz .LBB90_86
; %bb.83:                               ;   in Loop: Header=BB90_11 Depth=1
	v_lshlrev_b32_e32 v19, 2, v10
	s_mov_b64 s[36:37], 0
.LBB90_84:                              ;   Parent Loop BB90_11 Depth=1
                                        ; =>  This Inner Loop Header: Depth=2
	ds_read_b32 v20, v19
	v_add_u32_e32 v10, s67, v10
	v_cmp_le_u32_e32 vcc, s76, v10
	v_add_u32_e32 v19, s96, v19
	s_waitcnt lgkmcnt(0)
	v_xor_b32_e32 v43, 0x80000000, v20
	v_bitop3_b32 v20, v20, v41, s8 bitop3:0x48
	v_cmp_eq_u32_e64 s[0:1], v20, v34
	v_bfe_u32 v20, v43, v38, 2
	v_cmp_eq_u32_e64 s[2:3], 0, v20
	v_cmp_eq_u32_e64 s[26:27], 1, v20
	s_and_b64 s[2:3], s[0:1], s[2:3]
	v_cmp_eq_u32_e64 s[28:29], 2, v20
	v_cmp_eq_u32_e64 s[30:31], 3, v20
	v_cndmask_b32_e64 v20, 0, 1, s[2:3]
	s_and_b64 s[2:3], s[0:1], s[26:27]
	v_cndmask_b32_e64 v43, 0, 1, s[2:3]
	s_and_b64 s[2:3], s[0:1], s[28:29]
	s_and_b64 s[0:1], s[0:1], s[30:31]
	v_cndmask_b32_e64 v45, 0, 1, s[2:3]
	v_cndmask_b32_e64 v46, 0, 1, s[0:1]
	v_cmp_ne_u32_e64 s[0:1], 0, v20
	v_cmp_ne_u32_e64 s[2:3], 0, v43
	;; [unrolled: 1-line block ×4, first 2 shown]
	s_bcnt1_i32_b64 s0, s[0:1]
	s_bcnt1_i32_b64 s1, s[2:3]
	;; [unrolled: 1-line block ×4, first 2 shown]
	v_add_u32_e32 v2, s0, v2
	v_add_u32_e32 v3, s1, v3
	;; [unrolled: 1-line block ×3, first 2 shown]
	s_or_b64 s[36:37], vcc, s[36:37]
	v_add_u32_e32 v5, s3, v5
	s_andn2_b64 exec, exec, s[36:37]
	s_cbranch_execnz .LBB90_84
; %bb.85:                               ;   in Loop: Header=BB90_11 Depth=1
	s_or_b64 exec, exec, s[36:37]
.LBB90_86:                              ;   in Loop: Header=BB90_11 Depth=1
	s_or_b64 exec, exec, s[34:35]
	v_lshlrev_b32_e32 v19, 6, v40
	s_and_saveexec_b64 s[0:1], s[4:5]
	s_cbranch_execnz .LBB90_60
	s_branch .LBB90_61
.LBB90_87:                              ;   in Loop: Header=BB90_11 Depth=1
	v_mov_b32_e32 v2, 0
	s_mov_b32 s26, 0
	s_cbranch_execnz .LBB90_92
	s_branch .LBB90_94
.LBB90_88:                              ;   in Loop: Header=BB90_11 Depth=1
	v_mov_b32_e32 v10, v11
	s_mov_b32 s2, 0
	v_mov_b64_e32 v[2:3], v[10:11]
	s_mov_b32 s3, 1
.LBB90_89:                              ;   in Loop: Header=BB90_11 Depth=1
	v_readlane_b32 s26, v70, 36
	v_readlane_b32 s27, v70, 37
	s_andn2_b64 vcc, exec, s[26:27]
	v_readlane_b32 s26, v70, 35
	s_cbranch_vccnz .LBB90_91
.LBB90_90:                              ;   Parent Loop BB90_11 Depth=1
                                        ; =>  This Inner Loop Header: Depth=2
	v_lshl_add_u32 v10, s2, 4, v5
	v_lshl_add_u32 v20, s3, 4, v5
	ds_read_b32 v20, v20
	ds_read_b32 v10, v10
	s_add_i32 s3, s3, 2
	s_add_i32 s2, s2, 2
	s_add_i32 s26, s26, -1
	s_cmp_lg_u32 s26, 0
	s_waitcnt lgkmcnt(1)
	v_add_u32_e32 v3, v20, v3
	s_waitcnt lgkmcnt(0)
	v_add_u32_e32 v2, v10, v2
	s_cbranch_scc1 .LBB90_90
.LBB90_91:                              ;   in Loop: Header=BB90_11 Depth=1
	v_readlane_b32 s2, v70, 40
	v_add_u32_e32 v2, v2, v3
	v_readlane_b32 s26, v70, 39
	v_readlane_b32 s3, v70, 41
	s_and_b64 vcc, exec, s[2:3]
	s_cbranch_vccz .LBB90_94
.LBB90_92:                              ;   in Loop: Header=BB90_11 Depth=1
	v_lshlrev_b32_e32 v3, 8, v40
	s_lshl_b32 s2, s26, 4
	v_add_u32_e32 v3, s2, v3
	v_readlane_b32 s2, v70, 38
	v_add_u32_e32 v3, v37, v3
	s_sub_i32 s2, s2, s26
.LBB90_93:                              ;   Parent Loop BB90_11 Depth=1
                                        ; =>  This Inner Loop Header: Depth=2
	ds_read_b32 v5, v3
	s_add_i32 s2, s2, -1
	v_add_u32_e32 v3, 16, v3
	s_cmp_eq_u32 s2, 0
	s_waitcnt lgkmcnt(0)
	v_add_u32_e32 v2, v5, v2
	s_cbranch_scc0 .LBB90_93
.LBB90_94:                              ;   in Loop: Header=BB90_11 Depth=1
	v_lshlrev_b32_e32 v3, 2, v4
	ds_write_b32 v3, v2 offset:3072
.LBB90_95:                              ;   in Loop: Header=BB90_11 Depth=1
	s_or_b64 exec, exec, s[0:1]
	v_lshlrev_b32_e32 v2, 2, v19
	s_waitcnt lgkmcnt(0)
	s_barrier
	ds_read_b128 v[2:5], v2 offset:3072
	v_cmp_eq_u32_e32 vcc, 1, v42
	s_mov_b64 s[2:3], -1
	s_mov_b64 s[34:35], -1
                                        ; implicit-def: $sgpr30_sgpr31
                                        ; implicit-def: $sgpr28_sgpr29
	s_waitcnt lgkmcnt(0)
	v_readfirstlane_b32 s46, v2
	s_cmp_eq_u32 s46, 1
	v_lshlrev_b32_e64 v2, v38, 3
	s_cselect_b64 s[0:1], -1, 0
	v_readfirstlane_b32 s50, v3
	v_readfirstlane_b32 s58, v4
	;; [unrolled: 1-line block ×3, first 2 shown]
	v_not_b32_e32 v4, v2
	s_and_b64 s[26:27], s[0:1], vcc
	s_and_saveexec_b64 s[0:1], s[26:27]
	s_cbranch_execz .LBB90_121
; %bb.96:                               ;   in Loop: Header=BB90_11 Depth=1
	ds_read_b32 v3, v11 offset:4104
	s_waitcnt lgkmcnt(0)
	s_barrier
	v_readfirstlane_b32 s47, v3
	s_and_saveexec_b64 s[28:29], s[6:7]
; %bb.97:                               ;   in Loop: Header=BB90_11 Depth=1
	ds_write_b32 v23, v11
; %bb.98:                               ;   in Loop: Header=BB90_11 Depth=1
	s_or_b64 exec, exec, s[28:29]
	v_and_b32_e32 v34, v34, v4
	v_or_b32_e32 v41, v41, v2
	s_mov_b64 s[28:29], -1
	s_mov_b64 s[30:31], 0
	s_cmp_eq_u32 s47, 0
	s_mov_b64 s[34:35], 0
	s_mov_b64 s[36:37], -1
	s_waitcnt lgkmcnt(0)
	s_barrier
                                        ; implicit-def: $vgpr21
	s_cbranch_scc1 .LBB90_109
; %bb.99:                               ;   in Loop: Header=BB90_11 Depth=1
	s_add_i32 s34, s47, s97
	s_mul_hi_u32 s35, s34, s98
	s_mul_i32 s35, s35, s67
	s_sub_i32 s35, s34, s35
	s_sub_i32 s36, s35, s67
	s_cmp_ge_u32 s35, s67
	s_cselect_b32 s35, s36, s35
	s_sub_i32 s36, s35, s67
	s_cmp_ge_u32 s35, s67
	s_cselect_b32 s35, s36, s35
	s_sub_i32 s48, s34, s35
	v_cmp_gt_u32_e32 vcc, s48, v0
	s_mov_b64 s[36:37], 0
	s_mov_b64 s[34:35], 0
                                        ; implicit-def: $vgpr21
	s_and_saveexec_b64 s[38:39], vcc
	s_cbranch_execz .LBB90_108
; %bb.100:                              ;   in Loop: Header=BB90_11 Depth=1
	v_mov_b32_e32 v3, v15
	v_mov_b32_e32 v5, v0
                                        ; implicit-def: $sgpr40_sgpr41
	s_branch .LBB90_103
.LBB90_101:                             ;   in Loop: Header=BB90_103 Depth=2
	s_or_b64 exec, exec, s[42:43]
	s_waitcnt lgkmcnt(0)
	s_barrier
	ds_read_b64 v[20:21], v11 offset:3072
	s_mov_b64 s[42:43], -1
	s_mov_b64 s[44:45], -1
	s_waitcnt lgkmcnt(0)
	s_barrier
	v_cmp_ne_u32_e32 vcc, 0, v20
	s_cbranch_vccz .LBB90_106
.LBB90_102:                             ;   in Loop: Header=BB90_103 Depth=2
	s_and_b64 s[42:43], exec, s[42:43]
	s_or_b64 s[34:35], s[42:43], s[34:35]
	s_andn2_b64 s[40:41], s[40:41], exec
	s_and_b64 s[42:43], s[44:45], exec
	s_or_b64 s[40:41], s[40:41], s[42:43]
	s_andn2_b64 exec, exec, s[34:35]
	s_cbranch_execz .LBB90_107
.LBB90_103:                             ;   Parent Loop BB90_11 Depth=1
                                        ; =>  This Inner Loop Header: Depth=2
	v_cmp_gt_u32_e32 vcc, s47, v5
	s_and_saveexec_b64 s[42:43], vcc
	s_cbranch_execz .LBB90_101
; %bb.104:                              ;   in Loop: Header=BB90_103 Depth=2
	ds_read_b32 v19, v3
	s_waitcnt lgkmcnt(0)
	v_bitop3_b32 v10, v19, v41, s8 bitop3:0x48
	v_cmp_eq_u32_e32 vcc, v10, v34
	s_and_b64 exec, exec, vcc
	s_cbranch_execz .LBB90_101
; %bb.105:                              ;   in Loop: Header=BB90_103 Depth=2
	ds_write_b64 v11, v[18:19] offset:3072
	s_branch .LBB90_101
.LBB90_106:                             ;   in Loop: Header=BB90_103 Depth=2
	v_add_u32_e32 v5, s67, v5
	v_cmp_le_u32_e32 vcc, s48, v5
	v_add_u32_e32 v3, s96, v3
	s_mov_b64 s[44:45], 0
	s_orn2_b64 s[42:43], vcc, exec
	s_branch .LBB90_102
.LBB90_107:                             ;   in Loop: Header=BB90_11 Depth=1
	s_or_b64 exec, exec, s[34:35]
	s_and_b64 s[34:35], s[40:41], exec
.LBB90_108:                             ;   in Loop: Header=BB90_11 Depth=1
	s_or_b64 exec, exec, s[38:39]
.LBB90_109:                             ;   in Loop: Header=BB90_11 Depth=1
	s_and_b64 vcc, exec, s[36:37]
	s_cbranch_vccz .LBB90_120
; %bb.110:                              ;   in Loop: Header=BB90_11 Depth=1
                                        ; implicit-def: $vgpr21
	s_and_saveexec_b64 s[28:29], s[20:21]
	s_cbranch_execz .LBB90_119
; %bb.111:                              ;   in Loop: Header=BB90_11 Depth=1
	s_mov_b64 s[30:31], 0
	v_mov_b32_e32 v10, v8
	v_mov_b32_e32 v3, v0
                                        ; implicit-def: $sgpr36_sgpr37
	s_branch .LBB90_114
.LBB90_112:                             ;   in Loop: Header=BB90_114 Depth=2
	s_or_b64 exec, exec, s[38:39]
	s_waitcnt lgkmcnt(0)
	s_barrier
	ds_read_b64 v[20:21], v11 offset:3072
	s_mov_b64 s[38:39], -1
	s_mov_b64 s[40:41], -1
	s_waitcnt lgkmcnt(0)
	s_barrier
	v_cmp_ne_u32_e32 vcc, 0, v20
	s_cbranch_vccz .LBB90_117
.LBB90_113:                             ;   in Loop: Header=BB90_114 Depth=2
	s_and_b64 s[38:39], exec, s[38:39]
	s_or_b64 s[30:31], s[38:39], s[30:31]
	s_andn2_b64 s[36:37], s[36:37], exec
	s_and_b64 s[38:39], s[40:41], exec
	s_or_b64 s[36:37], s[36:37], s[38:39]
	s_andn2_b64 exec, exec, s[30:31]
	s_cbranch_execz .LBB90_118
.LBB90_114:                             ;   Parent Loop BB90_11 Depth=1
                                        ; =>  This Inner Loop Header: Depth=2
	v_cmp_gt_u32_e32 vcc, s64, v3
	s_and_saveexec_b64 s[38:39], vcc
	s_cbranch_execz .LBB90_112
; %bb.115:                              ;   in Loop: Header=BB90_114 Depth=2
	v_lshl_add_u64 v[20:21], v[10:11], 2, v[6:7]
	global_load_dword v19, v[20:21], off
	s_waitcnt vmcnt(0)
	v_bitop3_b32 v5, v19, v41, s8 bitop3:0x48
	v_cmp_eq_u32_e32 vcc, v5, v34
	s_and_b64 exec, exec, vcc
	s_cbranch_execz .LBB90_112
; %bb.116:                              ;   in Loop: Header=BB90_114 Depth=2
	ds_write_b64 v11, v[18:19] offset:3072
	s_branch .LBB90_112
.LBB90_117:                             ;   in Loop: Header=BB90_114 Depth=2
	v_add_u32_e32 v3, s67, v3
	v_cmp_le_u32_e32 vcc, s99, v3
	v_add_u32_e32 v10, s65, v10
	s_mov_b64 s[40:41], 0
	s_orn2_b64 s[38:39], vcc, exec
	s_branch .LBB90_113
.LBB90_118:                             ;   in Loop: Header=BB90_11 Depth=1
	s_or_b64 exec, exec, s[30:31]
	s_andn2_b64 s[30:31], s[34:35], exec
	s_and_b64 s[34:35], s[36:37], exec
	s_or_b64 s[34:35], s[30:31], s[34:35]
.LBB90_119:                             ;   in Loop: Header=BB90_11 Depth=1
	s_or_b64 exec, exec, s[28:29]
	s_mov_b64 s[28:29], 0
	s_mov_b64 s[30:31], -1
.LBB90_120:                             ;   in Loop: Header=BB90_11 Depth=1
	s_orn2_b64 s[34:35], s[34:35], exec
.LBB90_121:                             ;   in Loop: Header=BB90_11 Depth=1
	s_or_b64 exec, exec, s[0:1]
	s_andn2_b64 s[0:1], s[84:85], exec
	s_and_b64 s[30:31], s[30:31], exec
	s_or_b64 s[84:85], s[0:1], s[30:31]
	s_andn2_b64 s[0:1], s[82:83], exec
	s_and_b64 s[28:29], s[28:29], exec
	s_andn2_b64 s[14:15], s[14:15], exec
	s_or_b64 s[82:83], s[0:1], s[28:29]
                                        ; implicit-def: $vgpr5
	s_and_saveexec_b64 s[0:1], s[34:35]
	s_cbranch_execz .LBB90_10
; %bb.122:                              ;   in Loop: Header=BB90_11 Depth=1
	s_xor_b64 s[28:29], s[26:27], -1
	s_mov_b64 s[26:27], 0
	v_mov_b32_e32 v5, 1
	v_mov_b32_e32 v3, 1
	s_and_saveexec_b64 s[2:3], s[28:29]
	s_cbranch_execz .LBB90_131
; %bb.123:                              ;   in Loop: Header=BB90_11 Depth=1
	v_cmp_ge_u32_e32 vcc, s46, v42
	s_and_saveexec_b64 s[26:27], vcc
	s_xor_b64 s[26:27], exec, s[26:27]
	s_cbranch_execz .LBB90_128
; %bb.124:                              ;   in Loop: Header=BB90_11 Depth=1
	ds_read_b32 v3, v11 offset:4104
	v_and_b32_e32 v34, v34, v4
	v_or_b32_e32 v41, v41, v2
	s_waitcnt lgkmcnt(0)
	v_cmp_ne_u32_e32 vcc, 0, v3
	s_cbranch_vccnz .LBB90_128
; %bb.125:                              ;   in Loop: Header=BB90_11 Depth=1
	s_and_saveexec_b64 s[28:29], s[22:23]
; %bb.126:                              ;   in Loop: Header=BB90_11 Depth=1
	v_mov_b32_e32 v3, s46
	ds_write_b32 v11, v3 offset:4108
; %bb.127:                              ;   in Loop: Header=BB90_11 Depth=1
	s_or_b64 exec, exec, s[28:29]
	s_waitcnt lgkmcnt(0)
	s_barrier
.LBB90_128:                             ;   in Loop: Header=BB90_11 Depth=1
	s_or_saveexec_b64 s[26:27], s[26:27]
	s_mov_b64 s[28:29], 0
	v_mov_b32_e32 v3, 8
	s_xor_b64 exec, exec, s[26:27]
; %bb.129:                              ;   in Loop: Header=BB90_11 Depth=1
	s_mov_b64 s[28:29], exec
	v_subrev_u32_e32 v42, s46, v42
	v_mov_b32_e32 v3, 0
; %bb.130:                              ;   in Loop: Header=BB90_11 Depth=1
	s_or_b64 exec, exec, s[26:27]
	s_and_b64 s[26:27], s[28:29], exec
	v_mov_b32_e32 v5, v42
.LBB90_131:                             ;   in Loop: Header=BB90_11 Depth=1
	s_or_b64 exec, exec, s[2:3]
	s_mov_b64 s[2:3], -1
	s_mov_b64 s[34:35], -1
                                        ; implicit-def: $sgpr28_sgpr29
                                        ; implicit-def: $sgpr30_sgpr31
	s_and_saveexec_b64 s[36:37], s[26:27]
	s_xor_b64 s[26:27], exec, s[36:37]
	s_cbranch_execz .LBB90_248
; %bb.132:                              ;   in Loop: Header=BB90_11 Depth=1
	s_cmp_eq_u32 s50, 1
	s_cselect_b64 s[28:29], -1, 0
	v_cmp_eq_u32_e32 vcc, 1, v5
	s_and_b64 s[36:37], s[28:29], vcc
	s_mov_b64 s[38:39], -1
                                        ; implicit-def: $sgpr30_sgpr31
                                        ; implicit-def: $sgpr28_sgpr29
	s_and_saveexec_b64 s[34:35], s[36:37]
	s_cbranch_execz .LBB90_158
; %bb.133:                              ;   in Loop: Header=BB90_11 Depth=1
	ds_read_b32 v10, v11 offset:4104
	s_waitcnt lgkmcnt(0)
	s_barrier
	v_readfirstlane_b32 s51, v10
	s_and_saveexec_b64 s[28:29], s[6:7]
; %bb.134:                              ;   in Loop: Header=BB90_11 Depth=1
	ds_write_b32 v23, v11
; %bb.135:                              ;   in Loop: Header=BB90_11 Depth=1
	s_or_b64 exec, exec, s[28:29]
	v_and_b32_e32 v10, v34, v4
	v_lshl_or_b32 v34, 1, v38, v10
	v_or_b32_e32 v41, v41, v2
	s_mov_b64 s[28:29], -1
	s_mov_b64 s[30:31], 0
	s_cmp_eq_u32 s51, 0
	s_mov_b64 s[38:39], 0
	s_mov_b64 s[40:41], -1
	s_waitcnt lgkmcnt(0)
	s_barrier
                                        ; implicit-def: $vgpr21
	s_cbranch_scc1 .LBB90_146
; %bb.136:                              ;   in Loop: Header=BB90_11 Depth=1
	s_add_i32 s38, s51, s97
	s_mul_hi_u32 s39, s38, s98
	s_mul_i32 s39, s39, s67
	s_sub_i32 s39, s38, s39
	s_sub_i32 s40, s39, s67
	s_cmp_ge_u32 s39, s67
	s_cselect_b32 s39, s40, s39
	s_sub_i32 s40, s39, s67
	s_cmp_ge_u32 s39, s67
	s_cselect_b32 s39, s40, s39
	s_sub_i32 s52, s38, s39
	v_cmp_gt_u32_e32 vcc, s52, v0
	s_mov_b64 s[40:41], 0
	s_mov_b64 s[38:39], 0
                                        ; implicit-def: $vgpr21
	s_and_saveexec_b64 s[42:43], vcc
	s_cbranch_execz .LBB90_145
; %bb.137:                              ;   in Loop: Header=BB90_11 Depth=1
	v_mov_b32_e32 v10, v15
	v_mov_b32_e32 v42, v0
                                        ; implicit-def: $sgpr44_sgpr45
	s_branch .LBB90_140
.LBB90_138:                             ;   in Loop: Header=BB90_140 Depth=2
	s_or_b64 exec, exec, s[46:47]
	s_waitcnt lgkmcnt(0)
	s_barrier
	ds_read_b64 v[20:21], v11 offset:3072
	s_mov_b64 s[46:47], -1
	s_mov_b64 s[48:49], -1
	s_waitcnt lgkmcnt(0)
	s_barrier
	v_cmp_ne_u32_e32 vcc, 0, v20
	s_cbranch_vccz .LBB90_143
.LBB90_139:                             ;   in Loop: Header=BB90_140 Depth=2
	s_and_b64 s[46:47], exec, s[46:47]
	s_or_b64 s[38:39], s[46:47], s[38:39]
	s_andn2_b64 s[44:45], s[44:45], exec
	s_and_b64 s[46:47], s[48:49], exec
	s_or_b64 s[44:45], s[44:45], s[46:47]
	s_andn2_b64 exec, exec, s[38:39]
	s_cbranch_execz .LBB90_144
.LBB90_140:                             ;   Parent Loop BB90_11 Depth=1
                                        ; =>  This Inner Loop Header: Depth=2
	v_cmp_gt_u32_e32 vcc, s51, v42
	s_and_saveexec_b64 s[46:47], vcc
	s_cbranch_execz .LBB90_138
; %bb.141:                              ;   in Loop: Header=BB90_140 Depth=2
	ds_read_b32 v19, v10
	s_waitcnt lgkmcnt(0)
	v_bitop3_b32 v20, v19, v41, s8 bitop3:0x48
	v_cmp_eq_u32_e32 vcc, v20, v34
	s_and_b64 exec, exec, vcc
	s_cbranch_execz .LBB90_138
; %bb.142:                              ;   in Loop: Header=BB90_140 Depth=2
	ds_write_b64 v11, v[18:19] offset:3072
	s_branch .LBB90_138
.LBB90_143:                             ;   in Loop: Header=BB90_140 Depth=2
	v_add_u32_e32 v42, s67, v42
	v_cmp_le_u32_e32 vcc, s52, v42
	v_add_u32_e32 v10, s96, v10
	s_mov_b64 s[48:49], 0
	s_orn2_b64 s[46:47], vcc, exec
	s_branch .LBB90_139
.LBB90_144:                             ;   in Loop: Header=BB90_11 Depth=1
	s_or_b64 exec, exec, s[38:39]
	s_and_b64 s[38:39], s[44:45], exec
.LBB90_145:                             ;   in Loop: Header=BB90_11 Depth=1
	s_or_b64 exec, exec, s[42:43]
.LBB90_146:                             ;   in Loop: Header=BB90_11 Depth=1
	s_and_b64 vcc, exec, s[40:41]
	s_cbranch_vccz .LBB90_157
; %bb.147:                              ;   in Loop: Header=BB90_11 Depth=1
                                        ; implicit-def: $vgpr21
	s_and_saveexec_b64 s[28:29], s[20:21]
	s_cbranch_execz .LBB90_156
; %bb.148:                              ;   in Loop: Header=BB90_11 Depth=1
	s_mov_b64 s[30:31], 0
	v_mov_b32_e32 v10, v8
	v_mov_b32_e32 v42, v0
                                        ; implicit-def: $sgpr40_sgpr41
	s_branch .LBB90_151
.LBB90_149:                             ;   in Loop: Header=BB90_151 Depth=2
	s_or_b64 exec, exec, s[42:43]
	s_waitcnt lgkmcnt(0)
	s_barrier
	ds_read_b64 v[20:21], v11 offset:3072
	s_mov_b64 s[42:43], -1
	s_mov_b64 s[44:45], -1
	s_waitcnt lgkmcnt(0)
	s_barrier
	v_cmp_eq_u32_e32 vcc, 0, v20
	s_cbranch_vccnz .LBB90_154
.LBB90_150:                             ;   in Loop: Header=BB90_151 Depth=2
	s_and_b64 s[42:43], exec, s[42:43]
	s_or_b64 s[30:31], s[42:43], s[30:31]
	s_andn2_b64 s[40:41], s[40:41], exec
	s_and_b64 s[42:43], s[44:45], exec
	s_or_b64 s[40:41], s[40:41], s[42:43]
	s_andn2_b64 exec, exec, s[30:31]
	s_cbranch_execz .LBB90_155
.LBB90_151:                             ;   Parent Loop BB90_11 Depth=1
                                        ; =>  This Inner Loop Header: Depth=2
	v_cmp_gt_u32_e32 vcc, s64, v42
	s_and_saveexec_b64 s[42:43], vcc
	s_cbranch_execz .LBB90_149
; %bb.152:                              ;   in Loop: Header=BB90_151 Depth=2
	v_lshl_add_u64 v[20:21], v[10:11], 2, v[6:7]
	global_load_dword v19, v[20:21], off
	s_waitcnt vmcnt(0)
	v_bitop3_b32 v20, v19, v41, s8 bitop3:0x48
	v_cmp_eq_u32_e32 vcc, v20, v34
	s_and_b64 exec, exec, vcc
	s_cbranch_execz .LBB90_149
; %bb.153:                              ;   in Loop: Header=BB90_151 Depth=2
	ds_write_b64 v11, v[18:19] offset:3072
	s_branch .LBB90_149
.LBB90_154:                             ;   in Loop: Header=BB90_151 Depth=2
	v_add_u32_e32 v42, s67, v42
	v_cmp_le_u32_e32 vcc, s99, v42
	v_add_u32_e32 v10, s65, v10
	s_mov_b64 s[44:45], 0
	s_orn2_b64 s[42:43], vcc, exec
	s_branch .LBB90_150
.LBB90_155:                             ;   in Loop: Header=BB90_11 Depth=1
	s_or_b64 exec, exec, s[30:31]
	s_andn2_b64 s[30:31], s[38:39], exec
	s_and_b64 s[38:39], s[40:41], exec
	s_or_b64 s[38:39], s[30:31], s[38:39]
.LBB90_156:                             ;   in Loop: Header=BB90_11 Depth=1
	s_or_b64 exec, exec, s[28:29]
	s_mov_b64 s[28:29], 0
	s_mov_b64 s[30:31], -1
.LBB90_157:                             ;   in Loop: Header=BB90_11 Depth=1
	s_orn2_b64 s[38:39], s[38:39], exec
.LBB90_158:                             ;   in Loop: Header=BB90_11 Depth=1
	s_or_b64 exec, exec, s[34:35]
	s_mov_b64 s[40:41], 0
	s_and_saveexec_b64 s[34:35], s[38:39]
	s_cbranch_execz .LBB90_247
; %bb.159:                              ;   in Loop: Header=BB90_11 Depth=1
	s_xor_b64 s[38:39], s[36:37], -1
	s_mov_b64 s[44:45], 0
	v_mov_b32_e32 v42, 1
	v_mov_b32_e32 v3, 1
	s_and_saveexec_b64 s[36:37], s[38:39]
	s_cbranch_execz .LBB90_168
; %bb.160:                              ;   in Loop: Header=BB90_11 Depth=1
	v_cmp_ge_u32_e32 vcc, s50, v5
	s_and_saveexec_b64 s[38:39], vcc
	s_xor_b64 s[38:39], exec, s[38:39]
	s_cbranch_execz .LBB90_165
; %bb.161:                              ;   in Loop: Header=BB90_11 Depth=1
	ds_read_b32 v3, v11 offset:4104
	v_and_b32_e32 v10, v34, v4
	v_lshl_or_b32 v34, 1, v38, v10
	v_or_b32_e32 v41, v41, v2
	s_waitcnt lgkmcnt(0)
	v_cmp_ne_u32_e32 vcc, 0, v3
	s_cbranch_vccnz .LBB90_165
; %bb.162:                              ;   in Loop: Header=BB90_11 Depth=1
	s_and_saveexec_b64 s[40:41], s[22:23]
; %bb.163:                              ;   in Loop: Header=BB90_11 Depth=1
	v_mov_b32_e32 v3, s50
	ds_write_b32 v11, v3 offset:4108
; %bb.164:                              ;   in Loop: Header=BB90_11 Depth=1
	s_or_b64 exec, exec, s[40:41]
	s_waitcnt lgkmcnt(0)
	s_barrier
.LBB90_165:                             ;   in Loop: Header=BB90_11 Depth=1
	s_or_saveexec_b64 s[38:39], s[38:39]
	s_mov_b64 s[40:41], 0
	v_mov_b32_e32 v3, 8
	s_xor_b64 exec, exec, s[38:39]
; %bb.166:                              ;   in Loop: Header=BB90_11 Depth=1
	s_mov_b64 s[40:41], exec
	v_subrev_u32_e32 v5, s50, v5
	v_mov_b32_e32 v3, 0
; %bb.167:                              ;   in Loop: Header=BB90_11 Depth=1
	s_or_b64 exec, exec, s[38:39]
	s_and_b64 s[44:45], s[40:41], exec
	v_mov_b32_e32 v42, v5
.LBB90_168:                             ;   in Loop: Header=BB90_11 Depth=1
	s_or_b64 exec, exec, s[36:37]
	s_mov_b64 s[42:43], -1
                                        ; implicit-def: $sgpr38_sgpr39
                                        ; implicit-def: $sgpr40_sgpr41
	s_and_saveexec_b64 s[36:37], s[44:45]
	s_cbranch_execz .LBB90_246
; %bb.169:                              ;   in Loop: Header=BB90_11 Depth=1
	s_cmp_eq_u32 s58, 1
	s_cselect_b64 s[38:39], -1, 0
	v_cmp_eq_u32_e32 vcc, 1, v42
	s_and_b64 s[44:45], s[38:39], vcc
	s_mov_b64 s[46:47], -1
                                        ; implicit-def: $sgpr40_sgpr41
                                        ; implicit-def: $sgpr38_sgpr39
	s_and_saveexec_b64 s[42:43], s[44:45]
	s_cbranch_execz .LBB90_195
; %bb.170:                              ;   in Loop: Header=BB90_11 Depth=1
	ds_read_b32 v5, v11 offset:4104
	s_waitcnt lgkmcnt(0)
	s_barrier
	v_readfirstlane_b32 s59, v5
	s_and_saveexec_b64 s[38:39], s[6:7]
; %bb.171:                              ;   in Loop: Header=BB90_11 Depth=1
	ds_write_b32 v23, v11
; %bb.172:                              ;   in Loop: Header=BB90_11 Depth=1
	s_or_b64 exec, exec, s[38:39]
	v_and_b32_e32 v5, v34, v4
	v_lshl_or_b32 v34, 2, v38, v5
	v_or_b32_e32 v41, v41, v2
	s_mov_b64 s[38:39], -1
	s_mov_b64 s[40:41], 0
	s_cmp_eq_u32 s59, 0
	s_mov_b64 s[46:47], 0
	s_mov_b64 s[48:49], -1
	s_waitcnt lgkmcnt(0)
	s_barrier
                                        ; implicit-def: $vgpr21
	s_cbranch_scc1 .LBB90_183
; %bb.173:                              ;   in Loop: Header=BB90_11 Depth=1
	s_add_i32 s46, s59, s97
	s_mul_hi_u32 s47, s46, s98
	s_mul_i32 s47, s47, s67
	s_sub_i32 s47, s46, s47
	s_sub_i32 s48, s47, s67
	s_cmp_ge_u32 s47, s67
	s_cselect_b32 s47, s48, s47
	s_sub_i32 s48, s47, s67
	s_cmp_ge_u32 s47, s67
	s_cselect_b32 s47, s48, s47
	s_sub_i32 s60, s46, s47
	v_cmp_gt_u32_e32 vcc, s60, v0
	s_mov_b64 s[48:49], 0
	s_mov_b64 s[46:47], 0
                                        ; implicit-def: $vgpr21
	s_and_saveexec_b64 s[50:51], vcc
	s_cbranch_execz .LBB90_182
; %bb.174:                              ;   in Loop: Header=BB90_11 Depth=1
	v_mov_b32_e32 v5, v15
	v_mov_b32_e32 v10, v0
                                        ; implicit-def: $sgpr52_sgpr53
	s_branch .LBB90_177
.LBB90_175:                             ;   in Loop: Header=BB90_177 Depth=2
	s_or_b64 exec, exec, s[54:55]
	s_waitcnt lgkmcnt(0)
	s_barrier
	ds_read_b64 v[20:21], v11 offset:3072
	s_mov_b64 s[54:55], -1
	s_mov_b64 s[56:57], -1
	s_waitcnt lgkmcnt(0)
	s_barrier
	v_cmp_ne_u32_e32 vcc, 0, v20
	s_cbranch_vccz .LBB90_180
.LBB90_176:                             ;   in Loop: Header=BB90_177 Depth=2
	s_and_b64 s[54:55], exec, s[54:55]
	s_or_b64 s[46:47], s[54:55], s[46:47]
	s_andn2_b64 s[52:53], s[52:53], exec
	s_and_b64 s[54:55], s[56:57], exec
	s_or_b64 s[52:53], s[52:53], s[54:55]
	s_andn2_b64 exec, exec, s[46:47]
	s_cbranch_execz .LBB90_181
.LBB90_177:                             ;   Parent Loop BB90_11 Depth=1
                                        ; =>  This Inner Loop Header: Depth=2
	v_cmp_gt_u32_e32 vcc, s59, v10
	s_and_saveexec_b64 s[54:55], vcc
	s_cbranch_execz .LBB90_175
; %bb.178:                              ;   in Loop: Header=BB90_177 Depth=2
	ds_read_b32 v19, v5
	s_waitcnt lgkmcnt(0)
	v_bitop3_b32 v20, v19, v41, s8 bitop3:0x48
	v_cmp_eq_u32_e32 vcc, v20, v34
	s_and_b64 exec, exec, vcc
	s_cbranch_execz .LBB90_175
; %bb.179:                              ;   in Loop: Header=BB90_177 Depth=2
	ds_write_b64 v11, v[18:19] offset:3072
	s_branch .LBB90_175
.LBB90_180:                             ;   in Loop: Header=BB90_177 Depth=2
	v_add_u32_e32 v10, s67, v10
	v_cmp_le_u32_e32 vcc, s60, v10
	v_add_u32_e32 v5, s96, v5
	s_mov_b64 s[56:57], 0
	s_orn2_b64 s[54:55], vcc, exec
	s_branch .LBB90_176
.LBB90_181:                             ;   in Loop: Header=BB90_11 Depth=1
	s_or_b64 exec, exec, s[46:47]
	s_and_b64 s[46:47], s[52:53], exec
.LBB90_182:                             ;   in Loop: Header=BB90_11 Depth=1
	s_or_b64 exec, exec, s[50:51]
.LBB90_183:                             ;   in Loop: Header=BB90_11 Depth=1
	s_and_b64 vcc, exec, s[48:49]
	s_cbranch_vccz .LBB90_194
; %bb.184:                              ;   in Loop: Header=BB90_11 Depth=1
                                        ; implicit-def: $vgpr21
	s_and_saveexec_b64 s[38:39], s[20:21]
	s_cbranch_execz .LBB90_193
; %bb.185:                              ;   in Loop: Header=BB90_11 Depth=1
	s_mov_b64 s[40:41], 0
	v_mov_b32_e32 v10, v8
	v_mov_b32_e32 v5, v0
                                        ; implicit-def: $sgpr48_sgpr49
	s_branch .LBB90_188
.LBB90_186:                             ;   in Loop: Header=BB90_188 Depth=2
	s_or_b64 exec, exec, s[50:51]
	s_waitcnt lgkmcnt(0)
	s_barrier
	ds_read_b64 v[20:21], v11 offset:3072
	s_mov_b64 s[50:51], -1
	s_mov_b64 s[52:53], -1
	s_waitcnt lgkmcnt(0)
	s_barrier
	v_cmp_eq_u32_e32 vcc, 0, v20
	s_cbranch_vccnz .LBB90_191
.LBB90_187:                             ;   in Loop: Header=BB90_188 Depth=2
	s_and_b64 s[50:51], exec, s[50:51]
	s_or_b64 s[40:41], s[50:51], s[40:41]
	s_andn2_b64 s[48:49], s[48:49], exec
	s_and_b64 s[50:51], s[52:53], exec
	s_or_b64 s[48:49], s[48:49], s[50:51]
	s_andn2_b64 exec, exec, s[40:41]
	s_cbranch_execz .LBB90_192
.LBB90_188:                             ;   Parent Loop BB90_11 Depth=1
                                        ; =>  This Inner Loop Header: Depth=2
	v_cmp_gt_u32_e32 vcc, s64, v5
	s_and_saveexec_b64 s[50:51], vcc
	s_cbranch_execz .LBB90_186
; %bb.189:                              ;   in Loop: Header=BB90_188 Depth=2
	v_lshl_add_u64 v[20:21], v[10:11], 2, v[6:7]
	global_load_dword v19, v[20:21], off
	s_waitcnt vmcnt(0)
	v_bitop3_b32 v20, v19, v41, s8 bitop3:0x48
	v_cmp_eq_u32_e32 vcc, v20, v34
	s_and_b64 exec, exec, vcc
	s_cbranch_execz .LBB90_186
; %bb.190:                              ;   in Loop: Header=BB90_188 Depth=2
	ds_write_b64 v11, v[18:19] offset:3072
	s_branch .LBB90_186
.LBB90_191:                             ;   in Loop: Header=BB90_188 Depth=2
	v_add_u32_e32 v5, s67, v5
	v_cmp_le_u32_e32 vcc, s99, v5
	v_add_u32_e32 v10, s65, v10
	s_mov_b64 s[52:53], 0
	s_orn2_b64 s[50:51], vcc, exec
	s_branch .LBB90_187
.LBB90_192:                             ;   in Loop: Header=BB90_11 Depth=1
	s_or_b64 exec, exec, s[40:41]
	s_andn2_b64 s[40:41], s[46:47], exec
	s_and_b64 s[46:47], s[48:49], exec
	s_or_b64 s[46:47], s[40:41], s[46:47]
.LBB90_193:                             ;   in Loop: Header=BB90_11 Depth=1
	s_or_b64 exec, exec, s[38:39]
	s_mov_b64 s[38:39], 0
	s_mov_b64 s[40:41], -1
.LBB90_194:                             ;   in Loop: Header=BB90_11 Depth=1
	s_orn2_b64 s[46:47], s[46:47], exec
.LBB90_195:                             ;   in Loop: Header=BB90_11 Depth=1
	s_or_b64 exec, exec, s[42:43]
	s_mov_b64 s[48:49], 0
	s_and_saveexec_b64 s[42:43], s[46:47]
	s_cbranch_execz .LBB90_245
; %bb.196:                              ;   in Loop: Header=BB90_11 Depth=1
	s_xor_b64 s[46:47], s[44:45], -1
	s_mov_b64 s[52:53], 0
	v_mov_b32_e32 v5, 1
	v_mov_b32_e32 v3, 1
	s_and_saveexec_b64 s[44:45], s[46:47]
	s_cbranch_execz .LBB90_205
; %bb.197:                              ;   in Loop: Header=BB90_11 Depth=1
	v_cmp_ge_u32_e32 vcc, s58, v42
	s_and_saveexec_b64 s[46:47], vcc
	s_xor_b64 s[46:47], exec, s[46:47]
	s_cbranch_execz .LBB90_202
; %bb.198:                              ;   in Loop: Header=BB90_11 Depth=1
	ds_read_b32 v3, v11 offset:4104
	v_and_b32_e32 v4, v34, v4
	v_lshl_or_b32 v34, 2, v38, v4
	v_or_b32_e32 v41, v41, v2
	s_waitcnt lgkmcnt(0)
	v_cmp_ne_u32_e32 vcc, 0, v3
	s_cbranch_vccnz .LBB90_202
; %bb.199:                              ;   in Loop: Header=BB90_11 Depth=1
	s_and_saveexec_b64 s[48:49], s[22:23]
; %bb.200:                              ;   in Loop: Header=BB90_11 Depth=1
	v_mov_b32_e32 v3, s58
	ds_write_b32 v11, v3 offset:4108
; %bb.201:                              ;   in Loop: Header=BB90_11 Depth=1
	s_or_b64 exec, exec, s[48:49]
	s_waitcnt lgkmcnt(0)
	s_barrier
.LBB90_202:                             ;   in Loop: Header=BB90_11 Depth=1
	s_or_saveexec_b64 s[46:47], s[46:47]
	s_mov_b64 s[48:49], 0
	v_mov_b32_e32 v3, 8
	s_xor_b64 exec, exec, s[46:47]
; %bb.203:                              ;   in Loop: Header=BB90_11 Depth=1
	s_mov_b64 s[48:49], exec
	v_subrev_u32_e32 v42, s58, v42
	v_mov_b32_e32 v3, 0
; %bb.204:                              ;   in Loop: Header=BB90_11 Depth=1
	s_or_b64 exec, exec, s[46:47]
	s_and_b64 s[52:53], s[48:49], exec
	v_mov_b32_e32 v5, v42
.LBB90_205:                             ;   in Loop: Header=BB90_11 Depth=1
	s_or_b64 exec, exec, s[44:45]
	s_mov_b64 s[50:51], -1
                                        ; implicit-def: $sgpr48_sgpr49
                                        ; implicit-def: $sgpr46_sgpr47
	s_and_saveexec_b64 s[44:45], s[52:53]
	s_cbranch_execz .LBB90_244
; %bb.206:                              ;   in Loop: Header=BB90_11 Depth=1
	s_cmp_eq_u32 s74, 1
	s_cselect_b64 s[46:47], -1, 0
	v_cmp_eq_u32_e32 vcc, 1, v5
	s_and_b64 s[50:51], s[46:47], vcc
	s_mov_b64 s[54:55], -1
                                        ; implicit-def: $sgpr48_sgpr49
                                        ; implicit-def: $sgpr46_sgpr47
	s_and_saveexec_b64 s[52:53], s[50:51]
	s_cbranch_execz .LBB90_232
; %bb.207:                              ;   in Loop: Header=BB90_11 Depth=1
	ds_read_b32 v4, v11 offset:4104
	s_waitcnt lgkmcnt(0)
	s_barrier
	v_readfirstlane_b32 s75, v4
	s_and_saveexec_b64 s[46:47], s[6:7]
; %bb.208:                              ;   in Loop: Header=BB90_11 Depth=1
	ds_write_b32 v23, v11
; %bb.209:                              ;   in Loop: Header=BB90_11 Depth=1
	s_or_b64 exec, exec, s[46:47]
	v_or_b32_e32 v34, v34, v2
	v_or_b32_e32 v41, v41, v2
	s_mov_b64 s[46:47], -1
	s_mov_b64 s[48:49], 0
	s_cmp_eq_u32 s75, 0
	s_mov_b64 s[54:55], 0
	s_mov_b64 s[56:57], -1
	s_waitcnt lgkmcnt(0)
	s_barrier
                                        ; implicit-def: $vgpr21
	s_cbranch_scc1 .LBB90_220
; %bb.210:                              ;   in Loop: Header=BB90_11 Depth=1
	s_add_i32 s54, s75, s97
	s_mul_hi_u32 s55, s54, s98
	s_mul_i32 s55, s55, s67
	s_sub_i32 s55, s54, s55
	s_sub_i32 s56, s55, s67
	s_cmp_ge_u32 s55, s67
	s_cselect_b32 s55, s56, s55
	s_sub_i32 s56, s55, s67
	s_cmp_ge_u32 s55, s67
	s_cselect_b32 s55, s56, s55
	s_sub_i32 s76, s54, s55
	v_cmp_gt_u32_e32 vcc, s76, v0
	s_mov_b64 s[56:57], 0
	s_mov_b64 s[54:55], 0
                                        ; implicit-def: $vgpr21
	s_and_saveexec_b64 s[58:59], vcc
	s_cbranch_execz .LBB90_219
; %bb.211:                              ;   in Loop: Header=BB90_11 Depth=1
	v_mov_b32_e32 v4, v15
	v_mov_b32_e32 v10, v0
                                        ; implicit-def: $sgpr60_sgpr61
	s_branch .LBB90_214
.LBB90_212:                             ;   in Loop: Header=BB90_214 Depth=2
	s_or_b64 exec, exec, s[62:63]
	s_waitcnt lgkmcnt(0)
	s_barrier
	ds_read_b64 v[20:21], v11 offset:3072
	s_mov_b64 s[62:63], -1
	s_mov_b64 s[72:73], -1
	s_waitcnt lgkmcnt(0)
	s_barrier
	v_cmp_ne_u32_e32 vcc, 0, v20
	s_cbranch_vccz .LBB90_217
.LBB90_213:                             ;   in Loop: Header=BB90_214 Depth=2
	s_and_b64 s[62:63], exec, s[62:63]
	s_or_b64 s[54:55], s[62:63], s[54:55]
	s_andn2_b64 s[60:61], s[60:61], exec
	s_and_b64 s[62:63], s[72:73], exec
	s_or_b64 s[60:61], s[60:61], s[62:63]
	s_andn2_b64 exec, exec, s[54:55]
	s_cbranch_execz .LBB90_218
.LBB90_214:                             ;   Parent Loop BB90_11 Depth=1
                                        ; =>  This Inner Loop Header: Depth=2
	v_cmp_gt_u32_e32 vcc, s75, v10
	s_and_saveexec_b64 s[62:63], vcc
	s_cbranch_execz .LBB90_212
; %bb.215:                              ;   in Loop: Header=BB90_214 Depth=2
	ds_read_b32 v19, v4
	s_waitcnt lgkmcnt(0)
	v_bitop3_b32 v20, v19, v41, s8 bitop3:0x48
	v_cmp_eq_u32_e32 vcc, v20, v34
	s_and_b64 exec, exec, vcc
	s_cbranch_execz .LBB90_212
; %bb.216:                              ;   in Loop: Header=BB90_214 Depth=2
	ds_write_b64 v11, v[18:19] offset:3072
	s_branch .LBB90_212
.LBB90_217:                             ;   in Loop: Header=BB90_214 Depth=2
	v_add_u32_e32 v10, s67, v10
	v_cmp_le_u32_e32 vcc, s76, v10
	v_add_u32_e32 v4, s96, v4
	s_mov_b64 s[72:73], 0
	s_orn2_b64 s[62:63], vcc, exec
	s_branch .LBB90_213
.LBB90_218:                             ;   in Loop: Header=BB90_11 Depth=1
	s_or_b64 exec, exec, s[54:55]
	s_and_b64 s[54:55], s[60:61], exec
.LBB90_219:                             ;   in Loop: Header=BB90_11 Depth=1
	s_or_b64 exec, exec, s[58:59]
.LBB90_220:                             ;   in Loop: Header=BB90_11 Depth=1
	s_and_b64 vcc, exec, s[56:57]
	s_cbranch_vccz .LBB90_231
; %bb.221:                              ;   in Loop: Header=BB90_11 Depth=1
                                        ; implicit-def: $vgpr21
	s_and_saveexec_b64 s[46:47], s[20:21]
	s_cbranch_execz .LBB90_230
; %bb.222:                              ;   in Loop: Header=BB90_11 Depth=1
	s_mov_b64 s[48:49], 0
	v_mov_b32_e32 v10, v8
	v_mov_b32_e32 v4, v0
                                        ; implicit-def: $sgpr56_sgpr57
	s_branch .LBB90_225
.LBB90_223:                             ;   in Loop: Header=BB90_225 Depth=2
	s_or_b64 exec, exec, s[58:59]
	s_waitcnt lgkmcnt(0)
	s_barrier
	ds_read_b64 v[20:21], v11 offset:3072
	s_mov_b64 s[58:59], -1
	s_mov_b64 s[60:61], -1
	s_waitcnt lgkmcnt(0)
	s_barrier
	v_cmp_eq_u32_e32 vcc, 0, v20
	s_cbranch_vccnz .LBB90_228
.LBB90_224:                             ;   in Loop: Header=BB90_225 Depth=2
	s_and_b64 s[58:59], exec, s[58:59]
	s_or_b64 s[48:49], s[58:59], s[48:49]
	s_andn2_b64 s[56:57], s[56:57], exec
	s_and_b64 s[58:59], s[60:61], exec
	s_or_b64 s[56:57], s[56:57], s[58:59]
	s_andn2_b64 exec, exec, s[48:49]
	s_cbranch_execz .LBB90_229
.LBB90_225:                             ;   Parent Loop BB90_11 Depth=1
                                        ; =>  This Inner Loop Header: Depth=2
	v_cmp_gt_u32_e32 vcc, s64, v4
	s_and_saveexec_b64 s[58:59], vcc
	s_cbranch_execz .LBB90_223
; %bb.226:                              ;   in Loop: Header=BB90_225 Depth=2
	v_lshl_add_u64 v[20:21], v[10:11], 2, v[6:7]
	global_load_dword v19, v[20:21], off
	s_waitcnt vmcnt(0)
	v_bitop3_b32 v20, v19, v41, s8 bitop3:0x48
	v_cmp_eq_u32_e32 vcc, v20, v34
	s_and_b64 exec, exec, vcc
	s_cbranch_execz .LBB90_223
; %bb.227:                              ;   in Loop: Header=BB90_225 Depth=2
	ds_write_b64 v11, v[18:19] offset:3072
	s_branch .LBB90_223
.LBB90_228:                             ;   in Loop: Header=BB90_225 Depth=2
	v_add_u32_e32 v4, s67, v4
	v_cmp_le_u32_e32 vcc, s99, v4
	v_add_u32_e32 v10, s65, v10
	s_mov_b64 s[60:61], 0
	s_orn2_b64 s[58:59], vcc, exec
	s_branch .LBB90_224
.LBB90_229:                             ;   in Loop: Header=BB90_11 Depth=1
	s_or_b64 exec, exec, s[48:49]
	s_andn2_b64 s[48:49], s[54:55], exec
	s_and_b64 s[54:55], s[56:57], exec
	s_or_b64 s[54:55], s[48:49], s[54:55]
.LBB90_230:                             ;   in Loop: Header=BB90_11 Depth=1
	s_or_b64 exec, exec, s[46:47]
	s_mov_b64 s[46:47], 0
	s_mov_b64 s[48:49], -1
.LBB90_231:                             ;   in Loop: Header=BB90_11 Depth=1
	s_orn2_b64 s[54:55], s[54:55], exec
.LBB90_232:                             ;   in Loop: Header=BB90_11 Depth=1
	s_or_b64 exec, exec, s[52:53]
	s_mov_b64 s[56:57], 0
	s_and_saveexec_b64 s[52:53], s[54:55]
	s_cbranch_execz .LBB90_243
; %bb.233:                              ;   in Loop: Header=BB90_11 Depth=1
	s_xor_b64 s[54:55], s[50:51], -1
	v_mov_b32_e32 v3, 1
	v_mov_b32_e32 v4, 1
	s_and_saveexec_b64 s[50:51], s[54:55]
	s_cbranch_execz .LBB90_242
; %bb.234:                              ;   in Loop: Header=BB90_11 Depth=1
	v_cmp_ge_u32_e32 vcc, s74, v5
	s_and_saveexec_b64 s[54:55], vcc
	s_xor_b64 s[54:55], exec, s[54:55]
	s_cbranch_execz .LBB90_239
; %bb.235:                              ;   in Loop: Header=BB90_11 Depth=1
	ds_read_b32 v3, v11 offset:4104
	v_or_b32_e32 v34, v34, v2
	v_or_b32_e32 v41, v41, v2
	s_waitcnt lgkmcnt(0)
	v_cmp_ne_u32_e32 vcc, 0, v3
	s_cbranch_vccnz .LBB90_239
; %bb.236:                              ;   in Loop: Header=BB90_11 Depth=1
	s_and_saveexec_b64 s[56:57], s[22:23]
; %bb.237:                              ;   in Loop: Header=BB90_11 Depth=1
	v_mov_b32_e32 v2, s74
	ds_write_b32 v11, v2 offset:4108
; %bb.238:                              ;   in Loop: Header=BB90_11 Depth=1
	s_or_b64 exec, exec, s[56:57]
	s_waitcnt lgkmcnt(0)
	s_barrier
.LBB90_239:                             ;   in Loop: Header=BB90_11 Depth=1
	s_andn2_saveexec_b64 s[54:55], s[54:55]
; %bb.240:                              ;   in Loop: Header=BB90_11 Depth=1
	v_subrev_u32_e32 v5, s74, v5
; %bb.241:                              ;   in Loop: Header=BB90_11 Depth=1
	s_or_b64 exec, exec, s[54:55]
	v_mov_b32_e32 v3, 8
	v_mov_b32_e32 v4, v5
.LBB90_242:                             ;   in Loop: Header=BB90_11 Depth=1
	s_or_b64 exec, exec, s[50:51]
	s_mov_b64 s[56:57], exec
	v_mov_b32_e32 v5, v4
.LBB90_243:                             ;   in Loop: Header=BB90_11 Depth=1
	s_or_b64 exec, exec, s[52:53]
	s_orn2_b64 s[50:51], s[56:57], exec
.LBB90_244:                             ;   in Loop: Header=BB90_11 Depth=1
	s_or_b64 exec, exec, s[44:45]
	s_andn2_b64 s[40:41], s[40:41], exec
	s_and_b64 s[44:45], s[48:49], exec
	s_or_b64 s[40:41], s[40:41], s[44:45]
	s_andn2_b64 s[38:39], s[38:39], exec
	s_and_b64 s[44:45], s[46:47], exec
	s_or_b64 s[38:39], s[38:39], s[44:45]
	s_and_b64 s[48:49], s[50:51], exec
	v_mov_b32_e32 v42, v5
.LBB90_245:                             ;   in Loop: Header=BB90_11 Depth=1
	s_or_b64 exec, exec, s[42:43]
	s_orn2_b64 s[42:43], s[48:49], exec
.LBB90_246:                             ;   in Loop: Header=BB90_11 Depth=1
	s_or_b64 exec, exec, s[36:37]
	s_andn2_b64 s[30:31], s[30:31], exec
	s_and_b64 s[36:37], s[40:41], exec
	s_or_b64 s[30:31], s[30:31], s[36:37]
	s_andn2_b64 s[28:29], s[28:29], exec
	s_and_b64 s[36:37], s[38:39], exec
	s_or_b64 s[28:29], s[28:29], s[36:37]
	s_and_b64 s[40:41], s[42:43], exec
	v_mov_b32_e32 v5, v42
.LBB90_247:                             ;   in Loop: Header=BB90_11 Depth=1
	s_or_b64 exec, exec, s[34:35]
	s_orn2_b64 s[34:35], s[40:41], exec
.LBB90_248:                             ;   in Loop: Header=BB90_11 Depth=1
	s_or_b64 exec, exec, s[26:27]
	s_mov_b64 s[36:37], 0
	s_and_saveexec_b64 s[26:27], s[34:35]
	s_xor_b64 s[26:27], exec, s[26:27]
	s_cbranch_execz .LBB90_9
; %bb.249:                              ;   in Loop: Header=BB90_11 Depth=1
	v_and_b32_e32 v2, 7, v3
	v_cmp_eq_u32_e32 vcc, 0, v2
	s_mov_b64 s[2:3], -1
	s_mov_b64 s[34:35], -1
	s_and_saveexec_b64 s[36:37], vcc
	s_cbranch_execz .LBB90_8
; %bb.250:                              ;   in Loop: Header=BB90_11 Depth=1
	v_add_u32_e32 v2, -2, v38
	v_cmp_eq_u32_e32 vcc, 0, v38
	v_xor_b32_e32 v40, 1, v40
	s_xor_b64 s[34:35], exec, -1
	s_orn2_b64 s[2:3], vcc, exec
	v_mov_b32_e32 v38, v2
	s_branch .LBB90_8
.LBB90_251:
	s_or_b64 exec, exec, s[68:69]
	s_xor_b64 s[6:7], s[12:13], -1
	s_xor_b64 s[0:1], s[70:71], -1
	;; [unrolled: 1-line block ×3, first 2 shown]
	s_mov_b64 s[2:3], 0
	s_and_saveexec_b64 s[8:9], s[0:1]
	s_xor_b64 s[0:1], exec, s[8:9]
	s_cbranch_execnz .LBB90_256
; %bb.252:
	s_andn2_saveexec_b64 s[0:1], s[0:1]
	s_cbranch_execnz .LBB90_269
.LBB90_253:
	s_or_b64 exec, exec, s[0:1]
	s_and_saveexec_b64 s[0:1], s[2:3]
.LBB90_254:
	; divergent unreachable
.LBB90_255:
	s_endpgm
.LBB90_256:
	s_and_saveexec_b64 s[2:3], s[6:7]
	s_xor_b64 s[2:3], exec, s[2:3]
	s_cbranch_execz .LBB90_267
; %bb.257:
	s_and_saveexec_b64 s[6:7], s[4:5]
	s_xor_b64 s[4:5], exec, s[6:7]
; %bb.258:
	v_xor_b32_e32 v21, 0x80000000, v34
; %bb.259:
	s_or_b64 exec, exec, s[4:5]
	v_readlane_b32 s8, v70, 1
	v_readlane_b32 s9, v70, 2
	;; [unrolled: 1-line block ×3, first 2 shown]
	s_mul_i32 s4, s10, s9
	v_readlane_b32 s9, v70, 18
	s_mul_i32 s5, s9, s8
	s_sub_i32 s5, s10, s5
	s_sub_i32 s4, s33, s4
	s_add_i32 s6, s9, 1
	s_sub_i32 s7, s5, s8
	s_cmp_ge_u32 s5, s8
	s_cselect_b32 s6, s6, s9
	s_cselect_b32 s5, s7, s5
	s_add_i32 s7, s6, 1
	s_cmp_ge_u32 s5, s8
	s_cselect_b32 s5, s7, s6
	v_readlane_b32 s12, v70, 10
	s_mul_i32 s6, s5, s8
	v_readlane_b32 s13, v70, 11
	v_readlane_b32 s14, v70, 12
	s_sub_i32 s6, s10, s6
	s_mul_i32 s4, s4, s14
	s_mul_i32 s6, s6, s13
	s_add_i32 s4, s6, s4
	s_mul_i32 s5, s5, s12
	s_add_i32 s4, s4, s5
	s_mov_b32 s5, 0
	s_lshl_b64 s[4:5], s[4:5], 2
	v_readlane_b32 s6, v70, 16
	v_readlane_b32 s7, v70, 17
	s_add_u32 s4, s6, s4
	s_addc_u32 s5, s7, s5
	v_mov_b32_e32 v9, 0
	v_readlane_b32 s15, v70, 13
	global_store_dword v9, v21, s[4:5]
	s_and_saveexec_b64 s[4:5], s[24:25]
	s_cbranch_execz .LBB90_266
; %bb.260:
	s_mov_b64 s[6:7], 0
                                        ; implicit-def: $sgpr8_sgpr9
                                        ; implicit-def: $sgpr12_sgpr13
                                        ; implicit-def: $sgpr10_sgpr11
	s_branch .LBB90_262
.LBB90_261:                             ;   in Loop: Header=BB90_262 Depth=1
	s_or_b64 exec, exec, s[14:15]
	s_and_b64 s[14:15], exec, s[12:13]
	s_or_b64 s[6:7], s[14:15], s[6:7]
	s_andn2_b64 s[8:9], s[8:9], exec
	s_and_b64 s[14:15], s[10:11], exec
	s_or_b64 s[8:9], s[8:9], s[14:15]
	s_andn2_b64 exec, exec, s[6:7]
	s_cbranch_execz .LBB90_264
.LBB90_262:                             ; =>This Inner Loop Header: Depth=1
	v_lshl_add_u64 v[2:3], v[8:9], 2, v[6:7]
	global_load_dword v1, v[2:3], off
	v_mov_b32_e32 v2, v0
	s_or_b64 s[10:11], s[10:11], exec
	s_or_b64 s[12:13], s[12:13], exec
                                        ; implicit-def: $vgpr0
	s_waitcnt vmcnt(0)
	v_cmp_ne_u32_e32 vcc, v1, v21
	s_and_saveexec_b64 s[14:15], vcc
	s_cbranch_execz .LBB90_261
; %bb.263:                              ;   in Loop: Header=BB90_262 Depth=1
	v_add_u32_e32 v0, s67, v2
	v_cmp_le_u32_e32 vcc, s64, v0
	s_andn2_b64 s[12:13], s[12:13], exec
	s_and_b64 s[16:17], vcc, exec
	v_add_u32_e32 v8, s65, v8
	s_andn2_b64 s[10:11], s[10:11], exec
	s_or_b64 s[12:13], s[12:13], s[16:17]
	s_branch .LBB90_261
.LBB90_264:
	s_or_b64 exec, exec, s[6:7]
	s_and_saveexec_b64 s[6:7], s[8:9]
	s_xor_b64 s[6:7], exec, s[6:7]
	s_cbranch_execz .LBB90_266
; %bb.265:
	v_readlane_b32 s10, v70, 4
	v_readlane_b32 s11, v70, 5
	v_readlane_b32 s12, v70, 3
	s_mul_i32 s6, s12, s11
	v_readlane_b32 s11, v70, 19
	s_mul_i32 s7, s11, s10
	s_sub_i32 s7, s12, s7
	s_sub_i32 s6, s33, s6
	s_add_i32 s8, s11, 1
	s_sub_i32 s9, s7, s10
	s_cmp_ge_u32 s7, s10
	s_cselect_b32 s8, s8, s11
	s_cselect_b32 s7, s9, s7
	s_add_i32 s9, s8, 1
	s_cmp_ge_u32 s7, s10
	s_cselect_b32 s7, s9, s8
	v_readlane_b32 s16, v70, 6
	s_mul_i32 s8, s7, s10
	v_readlane_b32 s17, v70, 7
	v_readlane_b32 s18, v70, 8
	s_sub_i32 s8, s12, s8
	s_mul_i32 s6, s6, s18
	s_mul_i32 s8, s8, s17
	s_add_i32 s6, s8, s6
	s_mul_i32 s7, s7, s16
	s_add_i32 s6, s6, s7
	s_mov_b32 s7, 0
	s_lshl_b64 s[6:7], s[6:7], 3
	v_readlane_b32 s8, v70, 14
	v_readlane_b32 s9, v70, 15
	s_add_u32 s6, s8, s6
	s_addc_u32 s7, s9, s7
	v_mov_b32_e32 v3, 0
	v_readlane_b32 s19, v70, 9
	global_store_dwordx2 v3, v[2:3], s[6:7]
.LBB90_266:
	s_or_b64 exec, exec, s[4:5]
.LBB90_267:
	s_or_saveexec_b64 s[2:3], s[2:3]
	s_mov_b64 s[4:5], 0
	s_xor_b64 exec, exec, s[2:3]
	s_cbranch_execnz .LBB90_270
.LBB90_268:
	s_or_b64 exec, exec, s[2:3]
	s_and_b64 s[2:3], s[4:5], exec
	s_andn2_saveexec_b64 s[0:1], s[0:1]
	s_cbranch_execz .LBB90_253
.LBB90_269:
	s_or_b64 s[2:3], s[2:3], exec
	s_trap 2
	s_or_b64 exec, exec, s[0:1]
	s_and_saveexec_b64 s[0:1], s[2:3]
	s_cbranch_execnz .LBB90_254
	s_branch .LBB90_255
.LBB90_270:
	s_mov_b64 s[4:5], exec
	s_trap 2
	s_branch .LBB90_268
	.section	.rodata,"a",@progbits
	.p2align	6, 0x0
	.amdhsa_kernel _ZN2at6native12_GLOBAL__N_112gatherMedianIijLi3EEEvNS_4cuda6detail10TensorInfoIT_T0_EENS5_IlS7_EENS5_IKS6_S7_EES7_S7_S7_b
		.amdhsa_group_segment_fixed_size 4120
		.amdhsa_private_segment_fixed_size 0
		.amdhsa_kernarg_size 920
		.amdhsa_user_sgpr_count 2
		.amdhsa_user_sgpr_dispatch_ptr 0
		.amdhsa_user_sgpr_queue_ptr 0
		.amdhsa_user_sgpr_kernarg_segment_ptr 1
		.amdhsa_user_sgpr_dispatch_id 0
		.amdhsa_user_sgpr_kernarg_preload_length 0
		.amdhsa_user_sgpr_kernarg_preload_offset 0
		.amdhsa_user_sgpr_private_segment_size 0
		.amdhsa_uses_dynamic_stack 0
		.amdhsa_enable_private_segment 0
		.amdhsa_system_sgpr_workgroup_id_x 1
		.amdhsa_system_sgpr_workgroup_id_y 1
		.amdhsa_system_sgpr_workgroup_id_z 1
		.amdhsa_system_sgpr_workgroup_info 0
		.amdhsa_system_vgpr_workitem_id 0
		.amdhsa_next_free_vgpr 71
		.amdhsa_next_free_sgpr 100
		.amdhsa_accum_offset 72
		.amdhsa_reserve_vcc 1
		.amdhsa_float_round_mode_32 0
		.amdhsa_float_round_mode_16_64 0
		.amdhsa_float_denorm_mode_32 3
		.amdhsa_float_denorm_mode_16_64 3
		.amdhsa_dx10_clamp 1
		.amdhsa_ieee_mode 1
		.amdhsa_fp16_overflow 0
		.amdhsa_tg_split 0
		.amdhsa_exception_fp_ieee_invalid_op 0
		.amdhsa_exception_fp_denorm_src 0
		.amdhsa_exception_fp_ieee_div_zero 0
		.amdhsa_exception_fp_ieee_overflow 0
		.amdhsa_exception_fp_ieee_underflow 0
		.amdhsa_exception_fp_ieee_inexact 0
		.amdhsa_exception_int_div_zero 0
	.end_amdhsa_kernel
	.section	.text._ZN2at6native12_GLOBAL__N_112gatherMedianIijLi3EEEvNS_4cuda6detail10TensorInfoIT_T0_EENS5_IlS7_EENS5_IKS6_S7_EES7_S7_S7_b,"axG",@progbits,_ZN2at6native12_GLOBAL__N_112gatherMedianIijLi3EEEvNS_4cuda6detail10TensorInfoIT_T0_EENS5_IlS7_EENS5_IKS6_S7_EES7_S7_S7_b,comdat
.Lfunc_end90:
	.size	_ZN2at6native12_GLOBAL__N_112gatherMedianIijLi3EEEvNS_4cuda6detail10TensorInfoIT_T0_EENS5_IlS7_EENS5_IKS6_S7_EES7_S7_S7_b, .Lfunc_end90-_ZN2at6native12_GLOBAL__N_112gatherMedianIijLi3EEEvNS_4cuda6detail10TensorInfoIT_T0_EENS5_IlS7_EENS5_IKS6_S7_EES7_S7_S7_b
                                        ; -- End function
	.set _ZN2at6native12_GLOBAL__N_112gatherMedianIijLi3EEEvNS_4cuda6detail10TensorInfoIT_T0_EENS5_IlS7_EENS5_IKS6_S7_EES7_S7_S7_b.num_vgpr, 71
	.set _ZN2at6native12_GLOBAL__N_112gatherMedianIijLi3EEEvNS_4cuda6detail10TensorInfoIT_T0_EENS5_IlS7_EENS5_IKS6_S7_EES7_S7_S7_b.num_agpr, 0
	.set _ZN2at6native12_GLOBAL__N_112gatherMedianIijLi3EEEvNS_4cuda6detail10TensorInfoIT_T0_EENS5_IlS7_EENS5_IKS6_S7_EES7_S7_S7_b.numbered_sgpr, 100
	.set _ZN2at6native12_GLOBAL__N_112gatherMedianIijLi3EEEvNS_4cuda6detail10TensorInfoIT_T0_EENS5_IlS7_EENS5_IKS6_S7_EES7_S7_S7_b.num_named_barrier, 0
	.set _ZN2at6native12_GLOBAL__N_112gatherMedianIijLi3EEEvNS_4cuda6detail10TensorInfoIT_T0_EENS5_IlS7_EENS5_IKS6_S7_EES7_S7_S7_b.private_seg_size, 0
	.set _ZN2at6native12_GLOBAL__N_112gatherMedianIijLi3EEEvNS_4cuda6detail10TensorInfoIT_T0_EENS5_IlS7_EENS5_IKS6_S7_EES7_S7_S7_b.uses_vcc, 1
	.set _ZN2at6native12_GLOBAL__N_112gatherMedianIijLi3EEEvNS_4cuda6detail10TensorInfoIT_T0_EENS5_IlS7_EENS5_IKS6_S7_EES7_S7_S7_b.uses_flat_scratch, 0
	.set _ZN2at6native12_GLOBAL__N_112gatherMedianIijLi3EEEvNS_4cuda6detail10TensorInfoIT_T0_EENS5_IlS7_EENS5_IKS6_S7_EES7_S7_S7_b.has_dyn_sized_stack, 0
	.set _ZN2at6native12_GLOBAL__N_112gatherMedianIijLi3EEEvNS_4cuda6detail10TensorInfoIT_T0_EENS5_IlS7_EENS5_IKS6_S7_EES7_S7_S7_b.has_recursion, 0
	.set _ZN2at6native12_GLOBAL__N_112gatherMedianIijLi3EEEvNS_4cuda6detail10TensorInfoIT_T0_EENS5_IlS7_EENS5_IKS6_S7_EES7_S7_S7_b.has_indirect_call, 0
	.section	.AMDGPU.csdata,"",@progbits
; Kernel info:
; codeLenInByte = 10856
; TotalNumSgprs: 106
; NumVgprs: 71
; NumAgprs: 0
; TotalNumVgprs: 71
; ScratchSize: 0
; MemoryBound: 0
; FloatMode: 240
; IeeeMode: 1
; LDSByteSize: 4120 bytes/workgroup (compile time only)
; SGPRBlocks: 13
; VGPRBlocks: 8
; NumSGPRsForWavesPerEU: 106
; NumVGPRsForWavesPerEU: 71
; AccumOffset: 72
; Occupancy: 7
; WaveLimiterHint : 1
; COMPUTE_PGM_RSRC2:SCRATCH_EN: 0
; COMPUTE_PGM_RSRC2:USER_SGPR: 2
; COMPUTE_PGM_RSRC2:TRAP_HANDLER: 0
; COMPUTE_PGM_RSRC2:TGID_X_EN: 1
; COMPUTE_PGM_RSRC2:TGID_Y_EN: 1
; COMPUTE_PGM_RSRC2:TGID_Z_EN: 1
; COMPUTE_PGM_RSRC2:TIDIG_COMP_CNT: 0
; COMPUTE_PGM_RSRC3_GFX90A:ACCUM_OFFSET: 17
; COMPUTE_PGM_RSRC3_GFX90A:TG_SPLIT: 0
	.section	.text._ZN2at6native12_GLOBAL__N_112gatherMedianIijLin1EEEvNS_4cuda6detail10TensorInfoIT_T0_EENS5_IlS7_EENS5_IKS6_S7_EES7_S7_S7_b,"axG",@progbits,_ZN2at6native12_GLOBAL__N_112gatherMedianIijLin1EEEvNS_4cuda6detail10TensorInfoIT_T0_EENS5_IlS7_EENS5_IKS6_S7_EES7_S7_S7_b,comdat
	.globl	_ZN2at6native12_GLOBAL__N_112gatherMedianIijLin1EEEvNS_4cuda6detail10TensorInfoIT_T0_EENS5_IlS7_EENS5_IKS6_S7_EES7_S7_S7_b ; -- Begin function _ZN2at6native12_GLOBAL__N_112gatherMedianIijLin1EEEvNS_4cuda6detail10TensorInfoIT_T0_EENS5_IlS7_EENS5_IKS6_S7_EES7_S7_S7_b
	.p2align	8
	.type	_ZN2at6native12_GLOBAL__N_112gatherMedianIijLin1EEEvNS_4cuda6detail10TensorInfoIT_T0_EENS5_IlS7_EENS5_IKS6_S7_EES7_S7_S7_b,@function
_ZN2at6native12_GLOBAL__N_112gatherMedianIijLin1EEEvNS_4cuda6detail10TensorInfoIT_T0_EENS5_IlS7_EENS5_IKS6_S7_EES7_S7_S7_b: ; @_ZN2at6native12_GLOBAL__N_112gatherMedianIijLin1EEEvNS_4cuda6detail10TensorInfoIT_T0_EENS5_IlS7_EENS5_IKS6_S7_EES7_S7_S7_b
; %bb.0:
	s_load_dwordx2 s[10:11], s[0:1], 0x298
	s_load_dwordx4 s[64:67], s[0:1], 0x288
	s_add_u32 s8, s0, 0x298
	s_addc_u32 s9, s1, 0
	s_waitcnt lgkmcnt(0)
	s_mul_i32 s4, s11, s4
	s_add_i32 s3, s4, s3
	s_mul_i32 s3, s3, s10
	s_add_i32 s3, s3, s2
	s_cmp_ge_u32 s3, s65
	s_cbranch_scc1 .LBB91_264
; %bb.1:
	s_load_dword s4, s[0:1], 0xd0
	s_mov_b32 s69, 0
	s_mov_b32 s33, s3
	s_waitcnt lgkmcnt(0)
	s_cmp_lt_i32 s4, 2
	s_cbranch_scc1 .LBB91_4
; %bb.2:
	s_add_i32 s68, s4, -1
	s_add_i32 s6, s4, 1
	s_lshl_b64 s[4:5], s[68:69], 2
	s_add_u32 s4, s0, s4
	s_addc_u32 s5, s1, s5
	s_add_u32 s4, s4, 8
	s_addc_u32 s5, s5, 0
	s_mov_b32 s33, s3
.LBB91_3:                               ; =>This Inner Loop Header: Depth=1
	s_load_dword s7, s[4:5], 0x0
	s_load_dword s12, s[4:5], 0x64
	s_mov_b32 s11, s33
	s_waitcnt lgkmcnt(0)
	v_cvt_f32_u32_e32 v1, s7
	s_sub_i32 s13, 0, s7
	v_rcp_iflag_f32_e32 v1, v1
	s_nop 0
	v_mul_f32_e32 v1, 0x4f7ffffe, v1
	v_cvt_u32_f32_e32 v1, v1
	s_nop 0
	v_readfirstlane_b32 s14, v1
	s_mul_i32 s13, s13, s14
	s_mul_hi_u32 s13, s14, s13
	s_add_i32 s14, s14, s13
	s_mul_hi_u32 s13, s33, s14
	s_mul_i32 s14, s13, s7
	s_sub_i32 s14, s33, s14
	s_add_i32 s15, s13, 1
	s_sub_i32 s16, s14, s7
	s_cmp_ge_u32 s14, s7
	s_cselect_b32 s13, s15, s13
	s_cselect_b32 s14, s16, s14
	s_add_i32 s15, s13, 1
	s_cmp_ge_u32 s14, s7
	s_cselect_b32 s33, s15, s13
	s_mul_i32 s7, s33, s7
	s_sub_i32 s7, s11, s7
	s_mul_i32 s7, s12, s7
	s_add_i32 s6, s6, -1
	s_add_i32 s69, s7, s69
	s_add_u32 s4, s4, -4
	s_addc_u32 s5, s5, -1
	s_cmp_gt_u32 s6, 2
	s_cbranch_scc1 .LBB91_3
.LBB91_4:
	s_load_dword s6, s[0:1], 0x1a8
	s_add_u32 s4, s0, 0xd8
	s_addc_u32 s5, s1, 0
	s_mov_b32 s71, 0
	s_mov_b32 s65, s3
	s_waitcnt lgkmcnt(0)
	s_cmp_lt_i32 s6, 2
	s_cbranch_scc1 .LBB91_7
; %bb.5:
	s_add_i32 s70, s6, -1
	s_add_i32 s11, s6, 1
	s_lshl_b64 s[6:7], s[70:71], 2
	s_add_u32 s6, s4, s6
	s_addc_u32 s7, s5, s7
	s_add_u32 s6, s6, 8
	s_addc_u32 s7, s7, 0
	s_mov_b32 s65, s3
.LBB91_6:                               ; =>This Inner Loop Header: Depth=1
	s_load_dword s12, s[6:7], 0x0
	s_load_dword s14, s[6:7], 0x64
	s_mov_b32 s13, s65
	s_waitcnt lgkmcnt(0)
	v_cvt_f32_u32_e32 v1, s12
	s_sub_i32 s15, 0, s12
	v_rcp_iflag_f32_e32 v1, v1
	s_nop 0
	v_mul_f32_e32 v1, 0x4f7ffffe, v1
	v_cvt_u32_f32_e32 v1, v1
	s_nop 0
	v_readfirstlane_b32 s16, v1
	s_mul_i32 s15, s15, s16
	s_mul_hi_u32 s15, s16, s15
	s_add_i32 s16, s16, s15
	s_mul_hi_u32 s15, s65, s16
	s_mul_i32 s16, s15, s12
	s_sub_i32 s16, s65, s16
	s_add_i32 s17, s15, 1
	s_sub_i32 s18, s16, s12
	s_cmp_ge_u32 s16, s12
	s_cselect_b32 s15, s17, s15
	s_cselect_b32 s16, s18, s16
	s_add_i32 s17, s15, 1
	s_cmp_ge_u32 s16, s12
	s_cselect_b32 s65, s17, s15
	s_mul_i32 s12, s65, s12
	s_sub_i32 s12, s13, s12
	s_mul_i32 s12, s14, s12
	s_add_i32 s11, s11, -1
	s_add_i32 s71, s12, s71
	s_add_u32 s6, s6, -4
	s_addc_u32 s7, s7, -1
	s_cmp_gt_u32 s11, 2
	s_cbranch_scc1 .LBB91_6
.LBB91_7:
	s_load_dword s6, s[0:1], 0x6c
	s_load_dword s12, s[0:1], 0x280
                                        ; implicit-def: $vgpr70 : SGPR spill to VGPR lane
	v_mov_b32_e32 v2, s3
	v_mov_b32_e32 v1, 0
	s_waitcnt lgkmcnt(0)
	v_writelane_b32 v70, s6, 0
	s_add_u32 s6, s0, 0x1b0
	s_addc_u32 s7, s1, 0
	s_cmp_lt_i32 s12, 2
	s_cbranch_scc1 .LBB91_10
; %bb.8:
	s_add_i32 s11, s12, 1
	s_add_i32 s12, s12, -1
	s_mov_b32 s13, 0
	s_lshl_b64 s[12:13], s[12:13], 2
	s_add_u32 s6, s6, s12
	s_addc_u32 s7, s7, s13
	s_add_u32 s6, s6, 8
	s_addc_u32 s7, s7, 0
	v_mov_b32_e32 v2, s3
	v_mov_b32_e32 v1, 0
.LBB91_9:                               ; =>This Inner Loop Header: Depth=1
	s_load_dword s3, s[6:7], 0x0
	s_load_dword s12, s[6:7], 0x64
	v_mov_b32_e32 v3, v2
	s_add_i32 s11, s11, -1
	s_waitcnt lgkmcnt(0)
	v_cvt_f32_u32_e32 v2, s3
	s_sub_i32 s13, 0, s3
	s_add_u32 s6, s6, -4
	s_addc_u32 s7, s7, -1
	v_rcp_iflag_f32_e32 v2, v2
	s_cmp_gt_u32 s11, 2
	v_mul_f32_e32 v2, 0x4f7ffffe, v2
	v_cvt_u32_f32_e32 v2, v2
	v_mul_lo_u32 v4, s13, v2
	v_mul_hi_u32 v4, v2, v4
	v_add_u32_e32 v2, v2, v4
	v_mul_hi_u32 v2, v3, v2
	v_mul_lo_u32 v4, v2, s3
	v_sub_u32_e32 v4, v3, v4
	v_add_u32_e32 v5, 1, v2
	v_subrev_u32_e32 v6, s3, v4
	v_cmp_le_u32_e32 vcc, s3, v4
	s_nop 1
	v_cndmask_b32_e32 v2, v2, v5, vcc
	v_cndmask_b32_e32 v4, v4, v6, vcc
	v_add_u32_e32 v5, 1, v2
	v_cmp_le_u32_e32 vcc, s3, v4
	s_nop 1
	v_cndmask_b32_e32 v2, v2, v5, vcc
	v_mul_lo_u32 v4, v2, s3
	v_sub_u32_e32 v3, v3, v4
	v_mul_lo_u32 v3, s12, v3
	v_add_u32_e32 v1, v3, v1
	s_cbranch_scc1 .LBB91_9
.LBB91_10:
	s_load_dword s3, s[4:5], 0x6c
	v_cmp_eq_u32_e64 s[22:23], 0, v0
	s_waitcnt lgkmcnt(0)
	v_writelane_b32 v70, s3, 1
	s_and_saveexec_b64 s[4:5], s[22:23]
; %bb.11:
	v_mov_b32_e32 v4, 0
	v_mov_b32_e32 v5, v4
	ds_write_b64 v4, v[4:5] offset:4096
; %bb.12:
	s_or_b64 exec, exec, s[4:5]
	v_mov_b32_e32 v3, 0
	s_waitcnt lgkmcnt(0)
	s_barrier
	s_barrier
	ds_read_b64 v[4:5], v3 offset:4096
	s_bitcmp1_b32 s67, 0
	s_cselect_b64 s[6:7], -1, 0
	s_mov_b32 s3, s64
	s_waitcnt lgkmcnt(0)
	v_readfirstlane_b32 s4, v4
	v_readfirstlane_b32 s5, v5
	s_nop 1
	v_cmp_lt_i64_e64 s[12:13], s[4:5], 1
	s_or_b64 s[6:7], s[6:7], s[12:13]
	s_andn2_b64 vcc, exec, s[6:7]
	s_cbranch_vccnz .LBB91_14
; %bb.13:
	s_not_b64 s[4:5], s[4:5]
	s_add_u32 s3, s4, s64
	s_addc_u32 s5, s5, 0
	s_lshr_b32 s4, s5, 31
	s_add_u32 s4, s3, s4
	s_addc_u32 s5, s5, 0
	s_lshr_b64 s[4:5], s[4:5], 1
	s_add_i32 s3, s4, 1
.LBB91_14:
	s_load_dwordx2 s[4:5], s[0:1], 0x0
	s_waitcnt lgkmcnt(0)
	v_writelane_b32 v70, s4, 2
	s_nop 1
	v_writelane_b32 v70, s5, 3
	s_load_dwordx2 s[4:5], s[0:1], 0xd8
	s_waitcnt lgkmcnt(0)
	v_writelane_b32 v70, s4, 4
	s_nop 1
	v_writelane_b32 v70, s5, 5
	s_load_dword s6, s[0:1], 0x21c
	s_load_dwordx2 s[4:5], s[0:1], 0x1b0
	s_and_saveexec_b64 s[0:1], s[22:23]
	s_cbranch_execz .LBB91_16
; %bb.15:
	v_mov_b32_e32 v4, 0
	v_mov_b32_e32 v5, s64
	ds_write_b32 v4, v4 offset:4112
	ds_write_b64 v4, v[4:5] offset:4104
.LBB91_16:
	s_or_b64 exec, exec, s[0:1]
	s_waitcnt lgkmcnt(0)
	s_barrier
	s_load_dword s11, s[8:9], 0xc
	v_mul_lo_u32 v2, s6, v2
	v_add_u32_e32 v10, v2, v1
	v_cmp_gt_u32_e64 s[0:1], s64, v0
	v_mbcnt_lo_u32_b32 v1, -1, 0
	s_waitcnt lgkmcnt(0)
	s_and_b32 s67, s11, 0xffff
	v_writelane_b32 v70, s0, 6
	v_mbcnt_hi_u32_b32 v22, -1, v1
	v_cmp_gt_u32_e32 vcc, 64, v0
	v_writelane_b32 v70, s1, 7
	v_cmp_gt_i32_e64 s[0:1], 4, v22
	s_add_i32 s68, s67, -1
	v_mov_b32_e32 v11, 0
	s_lshl_b32 s70, s67, 2
	s_and_b64 s[78:79], vcc, s[0:1]
	s_add_i32 s0, s68, s64
	v_lshlrev_b64 v[2:3], 2, v[10:11]
	s_cmpk_gt_u32 s64, 0x300
	v_lshl_add_u64 v[6:7], s[4:5], 0, v[2:3]
	s_cselect_b64 s[80:81], -1, 0
	s_cmp_gt_u32 s67, 63
	v_lshlrev_b64 v[2:3], v22, -1
	s_cselect_b64 s[82:83], -1, 0
	v_not_b32_e32 v14, v2
	v_lshrrev_b32_e32 v2, 2, v0
	s_cmp_lt_u32 s2, s10
	v_and_b32_e32 v2, 0xf0, v2
	s_cselect_b32 s1, 12, 18
	v_or_b32_e32 v24, 0xc00, v2
	s_add_u32 s8, s8, s1
	v_add_u32_e32 v2, 2, v0
	s_addc_u32 s9, s9, 0
	v_max_u32_e32 v2, s64, v2
	v_writelane_b32 v70, s8, 8
	v_xad_u32 v2, v0, -1, v2
	v_not_b32_e32 v1, v3
	v_writelane_b32 v70, s9, 9
	v_add_u32_e32 v3, -2, v2
	s_bfe_u32 s9, s11, 0xa0006
	v_cmp_lt_u32_e64 s[10:11], 29, v2
	v_lshrrev_b32_e32 v5, 1, v3
	v_add_u32_e32 v5, 1, v5
	v_writelane_b32 v70, s10, 10
	v_and_b32_e32 v18, 7, v5
	s_add_i32 s1, s9, -2
	v_writelane_b32 v70, s11, 11
	v_cmp_lt_u32_e64 s[10:11], 13, v3
	s_lshr_b32 s2, s1, 1
	v_and_b32_e32 v25, -2, v2
	v_writelane_b32 v70, s10, 12
	s_add_i32 s2, s2, 1
	s_cmpk_gt_u32 s67, 0x7f
	v_writelane_b32 v70, s11, 13
	v_cmp_ne_u32_e64 s[10:11], 0, v18
	v_lshlrev_b32_e32 v15, 2, v0
	v_mul_lo_u32 v8, s66, v0
	v_writelane_b32 v70, s10, 14
	v_mov_b32_e32 v9, v11
	v_lshlrev_b32_e32 v4, 2, v22
	v_writelane_b32 v70, s11, 15
	v_cmp_ne_u32_e64 s[10:11], v2, v25
	v_cvt_f32_u32_e32 v2, s70
	s_mul_i32 s88, s66, s67
	v_writelane_b32 v70, s10, 16
	v_cmp_eq_u32_e64 s[4:5], 0, v22
	v_rcp_iflag_f32_e32 v2, v2
	v_writelane_b32 v70, s11, 17
	s_cselect_b64 s[10:11], -1, 0
	v_writelane_b32 v70, s10, 18
	v_mul_f32_e32 v2, 0x4f7ffffe, v2
	v_cvt_u32_f32_e32 v2, v2
	v_writelane_b32 v70, s11, 19
	s_and_b32 s10, s9, 0x3fe
	s_and_b32 s11, s2, 7
	s_cmp_gt_u32 s1, 13
	s_cselect_b64 s[12:13], -1, 0
	v_writelane_b32 v70, s12, 20
	s_and_b32 s1, s2, -8
	s_cmp_lg_u32 s11, 0
	v_writelane_b32 v70, s13, 21
	v_writelane_b32 v70, s1, 22
	;; [unrolled: 1-line block ×3, first 2 shown]
	s_cselect_b64 s[12:13], -1, 0
	v_writelane_b32 v70, s12, 24
	s_cmp_lg_u32 s10, s9
	v_readfirstlane_b32 s2, v2
	v_writelane_b32 v70, s13, 25
	v_writelane_b32 v70, s9, 26
	v_cvt_f32_u32_e32 v2, s67
	v_writelane_b32 v70, s10, 27
	s_cselect_b64 s[10:11], -1, 0
	s_sub_i32 s1, 0, s70
	s_mul_i32 s1, s1, s2
	s_mul_hi_u32 s1, s2, s1
	s_add_i32 s91, s2, s1
	v_rcp_iflag_f32_e32 v2, v2
	s_mul_hi_u32 s1, s64, s91
	s_mul_i32 s1, s1, s70
	s_sub_i32 s1, s64, s1
	s_sub_i32 s2, s1, s70
	v_mul_f32_e32 v2, 0x4f7ffffe, v2
	s_cmp_ge_u32 s1, s70
	v_cvt_u32_f32_e32 v2, v2
	s_cselect_b32 s1, s2, s1
	s_sub_i32 s2, s1, s70
	s_cmp_ge_u32 s1, s70
	s_cselect_b32 s1, s2, s1
	s_sub_i32 s2, 0, s67
	v_readfirstlane_b32 s9, v2
	s_mul_i32 s2, s2, s9
	s_mul_hi_u32 s2, s9, s2
	s_add_i32 s93, s9, s2
	s_mul_hi_u32 s2, s0, s93
	s_mul_i32 s2, s2, s67
	s_sub_i32 s2, s0, s2
	s_sub_i32 s92, s64, s1
	;; [unrolled: 1-line block ×3, first 2 shown]
	s_cmp_ge_u32 s2, s67
	s_cselect_b32 s2, s9, s2
	s_sub_i32 s9, s2, s67
	s_cmp_ge_u32 s2, s67
	v_mul_lo_u32 v2, s66, v15
	s_cselect_b32 s2, s9, s2
	v_add_u32_e32 v30, s66, v2
	v_or_b32_e32 v2, 2, v15
	s_sub_i32 s9, s0, s2
	v_mul_lo_u32 v31, s66, v2
	v_or_b32_e32 v2, 3, v15
	s_add_i32 s0, s67, s64
	v_writelane_b32 v70, s10, 28
	v_add_u32_e32 v28, s92, v0
	v_mul_lo_u32 v32, s66, v2
	v_add_u32_e32 v2, s0, v0
	v_writelane_b32 v70, s11, 29
	v_mul_lo_u32 v10, v28, s66
	v_cmp_gt_u32_e64 s[10:11], s9, v0
	v_subrev_u32_e32 v2, s1, v2
	v_cmp_gt_u32_e64 s[6:7], 2, v0
	v_add_u32_e32 v23, 0xc00, v15
	v_lshl_add_u64 v[12:13], v[8:9], 2, v[6:7]
	v_and_b32_e32 v9, 0x100, v4
	v_add_u32_e32 v26, v0, v25
	s_mov_b32 s8, s66
	v_and_b32_e32 v27, -8, v5
	v_cmp_gt_u32_e64 s[16:17], s92, v15
	v_cmp_gt_u32_e64 s[18:19], s64, v28
	v_lshl_add_u64 v[16:17], v[10:11], 2, v[6:7]
	v_writelane_b32 v70, s10, 30
	v_lshlrev_b32_e32 v29, 3, v18
	s_lshl_b32 s90, s88, 2
	v_lshlrev_b32_e32 v33, 2, v8
	v_mul_lo_u32 v35, s66, v2
	v_lshlrev_b32_e32 v36, 4, v0
	s_lshl_b32 s84, s67, 4
	v_or_b32_e32 v37, 0xc00, v4
	s_mov_b64 s[94:95], 0
	v_mov_b32_e32 v38, 30
	v_mov_b32_e32 v42, s3
	s_brev_b32 s85, 1
	v_mov_b32_e32 v44, s64
	v_mov_b32_e32 v18, 1
	;; [unrolled: 1-line block ×7, first 2 shown]
	v_writelane_b32 v70, s11, 31
                                        ; implicit-def: $sgpr96_sgpr97
                                        ; implicit-def: $sgpr72_sgpr73
                                        ; implicit-def: $sgpr98_sgpr99
                                        ; implicit-def: $sgpr12_sgpr13
                                        ; implicit-def: $sgpr14_sgpr15
                                        ; implicit-def: $sgpr10_sgpr11
	s_branch .LBB91_20
.LBB91_17:                              ;   in Loop: Header=BB91_20 Depth=1
	s_or_b64 exec, exec, s[36:37]
	s_and_b64 s[36:37], s[34:35], exec
	s_andn2_b64 s[30:31], s[30:31], exec
	s_andn2_b64 s[28:29], s[28:29], exec
	s_orn2_b64 s[2:3], s[2:3], exec
.LBB91_18:                              ;   in Loop: Header=BB91_20 Depth=1
	s_or_b64 exec, exec, s[26:27]
	s_andn2_b64 s[10:11], s[10:11], exec
	s_and_b64 s[20:21], s[36:37], exec
	s_or_b64 s[10:11], s[10:11], s[20:21]
	s_andn2_b64 s[14:15], s[14:15], exec
	s_and_b64 s[20:21], s[30:31], exec
	s_or_b64 s[14:15], s[14:15], s[20:21]
	;; [unrolled: 3-line block ×3, first 2 shown]
	s_orn2_b64 s[2:3], s[2:3], exec
.LBB91_19:                              ;   in Loop: Header=BB91_20 Depth=1
	s_or_b64 exec, exec, s[0:1]
	s_and_b64 s[0:1], exec, s[2:3]
	s_or_b64 s[94:95], s[0:1], s[94:95]
	s_andn2_b64 s[0:1], s[98:99], exec
	s_and_b64 s[2:3], s[10:11], exec
	s_or_b64 s[98:99], s[0:1], s[2:3]
	s_andn2_b64 s[0:1], s[72:73], exec
	s_and_b64 s[2:3], s[14:15], exec
	s_or_b64 s[72:73], s[0:1], s[2:3]
	s_andn2_b64 s[0:1], s[96:97], exec
	s_and_b64 s[2:3], s[12:13], exec
	s_or_b64 s[96:97], s[0:1], s[2:3]
	v_mov_b32_e32 v42, v5
	s_andn2_b64 exec, exec, s[94:95]
	s_cbranch_execz .LBB91_260
.LBB91_20:                              ; =>This Loop Header: Depth=1
                                        ;     Child Loop BB91_26 Depth 2
                                        ;     Child Loop BB91_47 Depth 2
	;; [unrolled: 1-line block ×19, first 2 shown]
	ds_read_b64 v[2:3], v11 offset:4104
	s_waitcnt lgkmcnt(0)
	v_readfirstlane_b32 s89, v2
	s_cmp_lg_u32 s89, 0
	s_cbranch_scc1 .LBB91_66
; %bb.21:                               ;   in Loop: Header=BB91_20 Depth=1
	s_and_b64 vcc, exec, s[80:81]
	s_cbranch_vccz .LBB91_34
; %bb.22:                               ;   in Loop: Header=BB91_20 Depth=1
	s_movk_i32 s0, 0x301
	v_cmp_gt_u32_e32 vcc, s0, v3
	s_mov_b64 s[26:27], 0
	s_mov_b64 s[0:1], 0
	s_cbranch_vccz .LBB91_35
; %bb.23:                               ;   in Loop: Header=BB91_20 Depth=1
	s_mov_b64 s[28:29], exec
	v_readlane_b32 s0, v70, 6
	v_readlane_b32 s1, v70, 7
	s_and_b64 s[0:1], s[28:29], s[0:1]
	s_mov_b64 exec, s[0:1]
	s_cbranch_execz .LBB91_41
; %bb.24:                               ;   in Loop: Header=BB91_20 Depth=1
	v_readlane_b32 s0, v70, 8
	v_readlane_b32 s1, v70, 9
	s_nop 4
	global_load_ushort v2, v11, s[0:1]
	global_load_dword v4, v[12:13], off
	s_mov_b64 s[30:31], 0
	s_waitcnt vmcnt(1)
	v_add_u32_e32 v5, v0, v2
	v_mul_lo_u32 v3, s66, v2
	v_mul_lo_u32 v10, s66, v5
	v_mov_b32_e32 v5, v0
	s_branch .LBB91_26
.LBB91_25:                              ;   in Loop: Header=BB91_26 Depth=2
	s_or_b64 exec, exec, s[2:3]
	v_add_u32_e32 v10, v10, v3
	v_mov_b32_e32 v4, v19
	s_andn2_b64 exec, exec, s[30:31]
	s_cbranch_execz .LBB91_41
.LBB91_26:                              ;   Parent Loop BB91_20 Depth=1
                                        ; =>  This Inner Loop Header: Depth=2
	v_add_u32_e32 v5, v5, v2
	v_cmp_gt_u32_e64 s[0:1], s64, v5
	v_cmp_le_u32_e32 vcc, s64, v5
	s_waitcnt lgkmcnt(0)
	v_mov_b32_e32 v20, 0
	v_mov_b32_e32 v19, 0
	s_and_saveexec_b64 s[2:3], s[0:1]
	s_cbranch_execz .LBB91_28
; %bb.27:                               ;   in Loop: Header=BB91_26 Depth=2
	v_lshl_add_u64 v[46:47], v[10:11], 2, v[6:7]
	global_load_dword v19, v[46:47], off
.LBB91_28:                              ;   in Loop: Header=BB91_26 Depth=2
	s_or_b64 exec, exec, s[2:3]
	s_waitcnt vmcnt(0)
	v_bitop3_b32 v43, v4, v41, s85 bitop3:0x48
	v_cmp_eq_u32_e64 s[0:1], v43, v34
	s_cmp_lg_u64 s[0:1], 0
	s_cselect_b64 s[2:3], -1, 0
	s_and_b64 s[2:3], s[4:5], s[2:3]
	s_and_saveexec_b64 s[34:35], s[2:3]
	s_cbranch_execz .LBB91_32
; %bb.29:                               ;   in Loop: Header=BB91_26 Depth=2
	s_mov_b64 s[38:39], exec
	v_mbcnt_lo_u32_b32 v20, s38, 0
	v_mbcnt_hi_u32_b32 v20, s39, v20
	s_bcnt1_i32_b64 s20, s[0:1]
	v_cmp_eq_u32_e64 s[2:3], 0, v20
                                        ; implicit-def: $vgpr43
	s_and_saveexec_b64 s[36:37], s[2:3]
; %bb.30:                               ;   in Loop: Header=BB91_26 Depth=2
	s_bcnt1_i32_b64 s2, s[38:39]
	s_mul_i32 s2, s20, s2
	v_mov_b32_e32 v43, s2
	ds_add_rtn_u32 v43, v11, v43 offset:4112
; %bb.31:                               ;   in Loop: Header=BB91_26 Depth=2
	s_or_b64 exec, exec, s[36:37]
	s_waitcnt lgkmcnt(0)
	v_readfirstlane_b32 s2, v43
	s_nop 1
	v_mov_b32_e32 v43, s2
	v_mad_u32_u24 v20, s20, v20, v43
.LBB91_32:                              ;   in Loop: Header=BB91_26 Depth=2
	s_or_b64 exec, exec, s[34:35]
	ds_bpermute_b32 v20, v9, v20
	s_and_b64 s[2:3], exec, vcc
	s_or_b64 s[30:31], s[2:3], s[30:31]
	s_and_saveexec_b64 s[2:3], s[0:1]
	s_cbranch_execz .LBB91_25
; %bb.33:                               ;   in Loop: Header=BB91_26 Depth=2
	v_and_b32_e32 v45, s0, v14
	v_and_b32_e32 v43, s1, v1
	v_bcnt_u32_b32 v45, v45, 0
	v_bcnt_u32_b32 v43, v43, v45
	v_lshlrev_b32_e32 v43, 2, v43
	s_waitcnt lgkmcnt(0)
	v_lshl_add_u32 v20, v20, 2, v43
	ds_write_b32 v20, v4
	s_branch .LBB91_25
.LBB91_34:                              ;   in Loop: Header=BB91_20 Depth=1
	s_mov_b64 s[26:27], -1
	s_mov_b64 s[0:1], 0
.LBB91_35:                              ;   in Loop: Header=BB91_20 Depth=1
	s_and_b64 vcc, exec, s[26:27]
	s_cbranch_vccz .LBB91_64
.LBB91_36:                              ;   in Loop: Header=BB91_20 Depth=1
	s_mov_b64 s[2:3], exec
	v_readlane_b32 s0, v70, 6
	v_readlane_b32 s1, v70, 7
	s_and_b64 s[0:1], s[2:3], s[0:1]
	s_mov_b64 exec, s[0:1]
	s_cbranch_execz .LBB91_61
; %bb.37:                               ;   in Loop: Header=BB91_20 Depth=1
	v_readlane_b32 s0, v70, 8
	v_readlane_b32 s1, v70, 9
	s_nop 4
	global_load_ushort v2, v11, s[0:1]
	global_load_dword v19, v[12:13], off
	v_mov_b32_e32 v3, v0
	s_waitcnt vmcnt(1)
	v_readfirstlane_b32 s36, v2
	v_add_u32_e32 v2, v0, v2
	v_cmp_gt_u32_e32 vcc, s64, v2
	s_and_saveexec_b64 s[26:27], vcc
	s_cbranch_execz .LBB91_60
; %bb.38:                               ;   in Loop: Header=BB91_20 Depth=1
	s_mov_b64 s[0:1], 0
	s_mul_i32 s37, s66, s36
                                        ; implicit-def: $vgpr3
                                        ; implicit-def: $vgpr20
                                        ; implicit-def: $vgpr4
                                        ; implicit-def: $vgpr5
	s_mov_b64 s[20:21], exec
	v_readlane_b32 s24, v70, 10
	v_readlane_b32 s25, v70, 11
	s_and_b64 s[24:25], s[20:21], s[24:25]
	s_xor_b64 s[28:29], s[24:25], s[20:21]
	s_mov_b64 exec, s[24:25]
	s_cbranch_execnz .LBB91_44
; %bb.39:                               ;   in Loop: Header=BB91_20 Depth=1
	s_andn2_saveexec_b64 s[28:29], s[28:29]
	s_cbranch_execnz .LBB91_55
.LBB91_40:                              ;   in Loop: Header=BB91_20 Depth=1
	s_or_b64 exec, exec, s[28:29]
	s_and_saveexec_b64 s[28:29], s[0:1]
	s_cbranch_execnz .LBB91_56
	s_branch .LBB91_59
.LBB91_41:                              ;   in Loop: Header=BB91_20 Depth=1
	s_or_b64 exec, exec, s[28:29]
	s_waitcnt lgkmcnt(0)
	s_barrier
	s_and_saveexec_b64 s[0:1], s[22:23]
	s_cbranch_execz .LBB91_43
; %bb.42:                               ;   in Loop: Header=BB91_20 Depth=1
	ds_read_b32 v2, v11 offset:4112
	s_waitcnt lgkmcnt(0)
	ds_write_b32 v11, v2 offset:4104
.LBB91_43:                              ;   in Loop: Header=BB91_20 Depth=1
	s_or_b64 exec, exec, s[0:1]
	s_waitcnt lgkmcnt(0)
	s_barrier
	s_mov_b64 s[0:1], -1
	s_and_b64 vcc, exec, s[26:27]
	s_cbranch_vccnz .LBB91_36
	s_branch .LBB91_64
.LBB91_44:                              ;   in Loop: Header=BB91_20 Depth=1
	v_cvt_f32_u32_e32 v3, s36
	v_add_u32_e32 v4, s36, v2
	v_max_u32_e32 v4, s64, v4
	s_lshl_b32 s0, s36, 1
	v_rcp_iflag_f32_e32 v3, v3
	v_sub_u32_e32 v4, v4, v0
	v_cmp_ne_u32_e32 vcc, s0, v4
	s_sub_i32 s1, 0, s36
	v_mul_f32_e32 v3, 0x4f7ffffe, v3
	v_cvt_u32_f32_e32 v3, v3
	v_cndmask_b32_e64 v5, 0, 1, vcc
	v_or_b32_e32 v5, s0, v5
	v_sub_u32_e32 v4, v4, v5
	v_mul_lo_u32 v5, s1, v3
	v_mul_hi_u32 v5, v3, v5
	v_add_u32_e32 v3, v3, v5
	v_mul_hi_u32 v3, v4, v3
	v_mul_lo_u32 v5, v3, s36
	v_sub_u32_e32 v4, v4, v5
	v_add_u32_e32 v5, 1, v3
	v_cmp_le_u32_e64 s[0:1], s36, v4
	s_mov_b64 s[30:31], -1
	s_nop 0
	v_cndmask_b32_e64 v3, v3, v5, s[0:1]
	v_subrev_u32_e32 v5, s36, v4
	v_cndmask_b32_e64 v4, v4, v5, s[0:1]
	v_add_u32_e32 v5, 1, v3
	v_cmp_le_u32_e64 s[0:1], s36, v4
	v_mul_lo_u32 v4, s66, v2
	s_nop 0
	v_cndmask_b32_e64 v3, v3, v5, s[0:1]
	v_addc_co_u32_e32 v3, vcc, 0, v3, vcc
	s_abs_i32 s0, s37
	v_mul_hi_u32 v5, s0, v3
	v_mul_lo_u32 v3, s0, v3
	s_not_b32 s0, s37
	s_ashr_i32 s0, s0, 31
	s_cmp_eq_u32 s36, 1
	v_cmp_eq_u32_e32 vcc, 0, v5
	v_xor_b32_e32 v4, s0, v4
	s_cselect_b64 s[20:21], -1, 0
	v_cmp_le_u32_e64 s[0:1], v3, v4
	s_and_b64 s[20:21], vcc, s[20:21]
	s_and_b64 s[20:21], s[20:21], s[0:1]
	v_mov_b32_e32 v4, v0
                                        ; implicit-def: $vgpr3
	s_and_saveexec_b64 s[0:1], s[20:21]
	s_cbranch_execz .LBB91_54
; %bb.45:                               ;   in Loop: Header=BB91_20 Depth=1
	v_add_u32_e32 v3, 1, v2
	v_mov_b32_e32 v10, 0
	v_mov_b64_e32 v[4:5], v[2:3]
	s_mov_b64 s[30:31], exec
	v_readlane_b32 s20, v70, 12
	v_readlane_b32 s21, v70, 13
	s_and_b64 s[20:21], s[30:31], s[20:21]
	s_mov_b64 exec, s[20:21]
	s_cbranch_execz .LBB91_49
; %bb.46:                               ;   in Loop: Header=BB91_20 Depth=1
	s_mov_b32 s20, 0
	s_mov_b64 s[34:35], 0
	v_mov_b32_e32 v20, v27
	v_mov_b32_e32 v43, v15
	v_mov_b64_e32 v[4:5], v[2:3]
.LBB91_47:                              ;   Parent Loop BB91_20 Depth=1
                                        ; =>  This Inner Loop Header: Depth=2
	v_mul_lo_u32 v10, v4, s66
	v_lshl_add_u64 v[46:47], v[10:11], 2, v[6:7]
	global_load_dword v3, v[46:47], off
	v_add_u32_e32 v10, 2, v4
	v_mul_lo_u32 v46, v5, s8
	v_mov_b32_e32 v47, v11
	v_add_u32_e32 v45, 2, v5
	v_add_u32_e32 v64, 4, v4
	;; [unrolled: 1-line block ×4, first 2 shown]
	v_mul_lo_u32 v10, v10, s66
	v_mov_b32_e32 v49, v11
	v_add_u32_e32 v50, 4, v5
	v_add_u32_e32 v65, 6, v4
	;; [unrolled: 1-line block ×3, first 2 shown]
	v_mov_b32_e32 v55, v11
	v_mov_b32_e32 v57, v11
	v_add_u32_e32 v58, 12, v5
	v_lshl_add_u64 v[46:47], v[46:47], 2, v[6:7]
	v_mul_lo_u32 v48, v45, s8
	v_mul_lo_u32 v54, v54, s8
	;; [unrolled: 1-line block ×3, first 2 shown]
	v_lshl_add_u64 v[62:63], v[10:11], 2, v[6:7]
	v_mul_lo_u32 v10, v64, s66
	v_mov_b32_e32 v51, v11
	v_mov_b32_e32 v53, v11
	v_add_u32_e32 v66, 8, v4
	v_mov_b32_e32 v59, v11
	v_mul_lo_u32 v50, v50, s8
	v_mul_lo_u32 v52, v52, s8
	;; [unrolled: 1-line block ×3, first 2 shown]
	v_lshl_add_u64 v[48:49], v[48:49], 2, v[6:7]
	v_lshl_add_u64 v[54:55], v[54:55], 2, v[6:7]
	;; [unrolled: 1-line block ×3, first 2 shown]
	global_load_dword v45, v[46:47], off
	v_lshl_add_u64 v[46:47], v[10:11], 2, v[6:7]
	v_mul_lo_u32 v10, v65, s66
	v_add_u32_e32 v67, 10, v4
	v_lshl_add_u64 v[50:51], v[50:51], 2, v[6:7]
	v_lshl_add_u64 v[52:53], v[52:53], 2, v[6:7]
	;; [unrolled: 1-line block ×3, first 2 shown]
	global_load_dword v62, v[62:63], off
	s_nop 0
	global_load_dword v63, v[48:49], off
	global_load_dword v64, v[50:51], off
	;; [unrolled: 1-line block ×3, first 2 shown]
	s_nop 0
	global_load_dword v54, v[54:55], off
	s_nop 0
	global_load_dword v55, v[56:57], off
	;; [unrolled: 2-line block ×3, first 2 shown]
	v_lshl_add_u64 v[48:49], v[10:11], 2, v[6:7]
	v_mul_lo_u32 v10, v66, s66
	v_add_u32_e32 v68, 12, v4
	global_load_dword v57, v[48:49], off
	global_load_dword v58, v[46:47], off
	v_lshl_add_u64 v[46:47], v[10:11], 2, v[6:7]
	v_mul_lo_u32 v10, v67, s66
	v_add_u32_e32 v69, 14, v4
	v_add_u32_e32 v60, 14, v5
	v_lshl_add_u64 v[48:49], v[10:11], 2, v[6:7]
	v_mul_lo_u32 v10, v68, s66
	v_mov_b32_e32 v61, v11
	v_mul_lo_u32 v60, v60, s8
	v_lshl_add_u64 v[50:51], v[10:11], 2, v[6:7]
	v_mul_lo_u32 v10, v69, s66
	v_lshl_add_u64 v[60:61], v[60:61], 2, v[6:7]
	v_lshl_add_u64 v[52:53], v[10:11], 2, v[6:7]
	global_load_dword v52, v[52:53], off
	v_add_u32_e32 v20, -8, v20
	s_add_i32 s20, s20, 16
	v_cmp_eq_u32_e32 vcc, 0, v20
	v_add_u32_e32 v5, 16, v5
	v_add_u32_e32 v4, 16, v4
	v_mov_b32_e32 v10, s20
	s_or_b64 s[34:35], vcc, s[34:35]
	s_waitcnt vmcnt(11)
	ds_write2_b32 v43, v19, v3 offset1:1
	global_load_dword v19, v[60:61], off
	global_load_dword v3, v[50:51], off
	s_nop 0
	global_load_dword v48, v[48:49], off
	s_nop 0
	global_load_dword v46, v[46:47], off
	s_waitcnt vmcnt(13)
	ds_write2_b32 v43, v45, v62 offset0:2 offset1:3
	s_waitcnt vmcnt(5)
	ds_write2_b32 v43, v63, v58 offset0:4 offset1:5
	ds_write2_b32 v43, v64, v57 offset0:6 offset1:7
	s_waitcnt vmcnt(4)
	ds_write2_b32 v43, v56, v52 offset0:14 offset1:15
	s_waitcnt vmcnt(0)
	ds_write2_b32 v43, v65, v46 offset0:8 offset1:9
	ds_write2_b32 v43, v54, v48 offset0:10 offset1:11
	;; [unrolled: 1-line block ×3, first 2 shown]
	v_add_u32_e32 v43, 64, v43
	s_andn2_b64 exec, exec, s[34:35]
	s_cbranch_execnz .LBB91_47
; %bb.48:                               ;   in Loop: Header=BB91_20 Depth=1
	s_or_b64 exec, exec, s[34:35]
.LBB91_49:                              ;   in Loop: Header=BB91_20 Depth=1
	s_or_b64 exec, exec, s[30:31]
	s_mov_b64 s[30:31], exec
	v_readlane_b32 s20, v70, 14
	v_readlane_b32 s21, v70, 15
	s_and_b64 s[20:21], s[30:31], s[20:21]
	s_mov_b64 exec, s[20:21]
	s_cbranch_execz .LBB91_53
; %bb.50:                               ;   in Loop: Header=BB91_20 Depth=1
	v_lshl_add_u32 v3, v10, 2, v15
	s_mov_b64 s[34:35], 0
	v_mov_b32_e32 v20, v29
.LBB91_51:                              ;   Parent Loop BB91_20 Depth=1
                                        ; =>  This Inner Loop Header: Depth=2
	v_mul_lo_u32 v10, v4, s66
	v_mul_lo_u32 v46, v5, s8
	v_mov_b32_e32 v47, v11
	v_lshl_add_u64 v[48:49], v[10:11], 2, v[6:7]
	v_lshl_add_u64 v[46:47], v[46:47], 2, v[6:7]
	global_load_dword v43, v[48:49], off
	global_load_dword v10, v[46:47], off
	v_add_u32_e32 v20, -8, v20
	v_cmp_eq_u32_e32 vcc, 0, v20
	v_add_u32_e32 v5, 2, v5
	v_add_u32_e32 v4, 2, v4
	s_or_b64 s[34:35], vcc, s[34:35]
	s_waitcnt vmcnt(1)
	ds_write2_b32 v3, v19, v43 offset1:1
	v_add_u32_e32 v3, 8, v3
	s_waitcnt vmcnt(0)
	v_mov_b32_e32 v19, v10
	s_andn2_b64 exec, exec, s[34:35]
	s_cbranch_execnz .LBB91_51
; %bb.52:                               ;   in Loop: Header=BB91_20 Depth=1
	s_or_b64 exec, exec, s[34:35]
	v_mov_b32_e32 v19, v10
.LBB91_53:                              ;   in Loop: Header=BB91_20 Depth=1
	s_or_b64 exec, exec, s[30:31]
	v_readlane_b32 s20, v70, 16
	v_add_u32_e32 v2, v2, v25
	v_readlane_b32 s21, v70, 17
	v_add_u32_e32 v3, -1, v2
	s_orn2_b64 s[30:31], s[20:21], exec
	v_mov_b32_e32 v4, v26
.LBB91_54:                              ;   in Loop: Header=BB91_20 Depth=1
	s_or_b64 exec, exec, s[0:1]
	v_mov_b32_e32 v5, s37
	s_and_b64 s[0:1], s[30:31], exec
	s_waitcnt vmcnt(0)
	v_mov_b32_e32 v20, v19
	s_andn2_saveexec_b64 s[28:29], s[28:29]
	s_cbranch_execz .LBB91_40
.LBB91_55:                              ;   in Loop: Header=BB91_20 Depth=1
	v_mov_b32_e32 v5, s37
	s_or_b64 s[0:1], s[0:1], exec
	s_waitcnt vmcnt(0)
	v_mov_b32_e32 v20, v19
	v_mov_b32_e32 v4, v0
	s_or_b64 exec, exec, s[28:29]
	s_and_saveexec_b64 s[28:29], s[0:1]
	s_cbranch_execz .LBB91_59
.LBB91_56:                              ;   in Loop: Header=BB91_20 Depth=1
	s_sub_i32 s20, 0, s36
	v_mul_lo_u32 v10, s66, v2
	s_mov_b64 s[0:1], 0
.LBB91_57:                              ;   Parent Loop BB91_20 Depth=1
                                        ; =>  This Inner Loop Header: Depth=2
	v_lshl_add_u64 v[46:47], v[10:11], 2, v[6:7]
	global_load_dword v19, v[46:47], off
	v_mov_b32_e32 v3, v2
	v_lshlrev_b32_e32 v2, 2, v4
	ds_write_b32 v2, v20
	v_add_u32_e32 v2, s36, v3
	v_cmp_le_u32_e32 vcc, s64, v2
	v_add_u32_e32 v10, v10, v5
	v_mov_b32_e32 v4, v3
	s_or_b64 s[0:1], vcc, s[0:1]
	s_waitcnt vmcnt(0)
	v_mov_b32_e32 v20, v19
	s_andn2_b64 exec, exec, s[0:1]
	s_cbranch_execnz .LBB91_57
; %bb.58:                               ;   in Loop: Header=BB91_20 Depth=1
	s_or_b64 exec, exec, s[0:1]
	v_add_u32_e32 v3, s20, v2
.LBB91_59:                              ;   in Loop: Header=BB91_20 Depth=1
	s_or_b64 exec, exec, s[28:29]
.LBB91_60:                              ;   in Loop: Header=BB91_20 Depth=1
	s_or_b64 exec, exec, s[26:27]
	v_lshlrev_b32_e32 v2, 2, v3
	s_waitcnt vmcnt(0)
	ds_write_b32 v2, v19
.LBB91_61:                              ;   in Loop: Header=BB91_20 Depth=1
	s_or_b64 exec, exec, s[2:3]
	s_waitcnt lgkmcnt(0)
	s_barrier
	s_and_saveexec_b64 s[0:1], s[22:23]
; %bb.62:                               ;   in Loop: Header=BB91_20 Depth=1
	ds_write_b32 v11, v44 offset:4104
; %bb.63:                               ;   in Loop: Header=BB91_20 Depth=1
	s_or_b64 exec, exec, s[0:1]
	s_mov_b64 s[0:1], -1
	s_waitcnt lgkmcnt(0)
	s_barrier
.LBB91_64:                              ;   in Loop: Header=BB91_20 Depth=1
	s_mov_b32 s89, 0
	s_and_b64 vcc, exec, s[0:1]
	s_cbranch_vccz .LBB91_66
; %bb.65:                               ;   in Loop: Header=BB91_20 Depth=1
	ds_read_b32 v2, v11 offset:4104
	s_waitcnt lgkmcnt(0)
	v_readfirstlane_b32 s89, v2
.LBB91_66:                              ;   in Loop: Header=BB91_20 Depth=1
	s_cmp_lt_i32 s89, 1
	s_mov_b64 s[0:1], -1
                                        ; implicit-def: $vgpr5
	s_cbranch_scc1 .LBB91_76
; %bb.67:                               ;   in Loop: Header=BB91_20 Depth=1
	s_and_b64 vcc, exec, s[0:1]
	s_cbranch_vccnz .LBB91_87
.LBB91_68:                              ;   in Loop: Header=BB91_20 Depth=1
	v_lshlrev_b32_e32 v19, 6, v40
	s_and_saveexec_b64 s[0:1], s[4:5]
.LBB91_69:                              ;   in Loop: Header=BB91_20 Depth=1
	v_lshl_add_u32 v10, v19, 2, v24
	ds_write_b128 v10, v[2:5]
.LBB91_70:                              ;   in Loop: Header=BB91_20 Depth=1
	s_or_b64 exec, exec, s[0:1]
	s_waitcnt lgkmcnt(0)
	s_barrier
	s_and_saveexec_b64 s[0:1], s[78:79]
	s_cbranch_execz .LBB91_104
; %bb.71:                               ;   in Loop: Header=BB91_20 Depth=1
	v_add_u32_e32 v4, v19, v22
	s_andn2_b64 vcc, exec, s[82:83]
	v_mov_b32_e32 v2, 0
	s_cbranch_vccnz .LBB91_103
; %bb.72:                               ;   in Loop: Header=BB91_20 Depth=1
	v_readlane_b32 s2, v70, 18
	v_readlane_b32 s3, v70, 19
	s_andn2_b64 vcc, exec, s[2:3]
	s_cbranch_vccnz .LBB91_96
; %bb.73:                               ;   in Loop: Header=BB91_20 Depth=1
	v_readlane_b32 s2, v70, 20
	v_readlane_b32 s3, v70, 21
	s_andn2_b64 vcc, exec, s[2:3]
	v_lshl_add_u32 v5, v4, 2, v39
	s_cbranch_vccnz .LBB91_97
; %bb.74:                               ;   in Loop: Header=BB91_20 Depth=1
	s_mov_b32 s3, 1
	s_mov_b32 s2, 0
	v_mov_b32_e32 v2, 0
	v_mov_b32_e32 v3, 0
	v_readlane_b32 s20, v70, 22
.LBB91_75:                              ;   Parent Loop BB91_20 Depth=1
                                        ; =>  This Inner Loop Header: Depth=2
	v_lshl_add_u32 v10, s2, 4, v5
	v_lshl_add_u32 v20, s3, 4, v5
	ds_read2_b32 v[46:47], v10 offset1:8
	ds_read2_b32 v[48:49], v20 offset1:8
	ds_read2_b32 v[50:51], v10 offset0:16 offset1:24
	ds_read2_b32 v[52:53], v20 offset0:16 offset1:24
	;; [unrolled: 1-line block ×6, first 2 shown]
	s_waitcnt lgkmcnt(7)
	v_add3_u32 v2, v46, v2, v47
	s_waitcnt lgkmcnt(6)
	v_add3_u32 v3, v48, v3, v49
	s_waitcnt lgkmcnt(4)
	v_add3_u32 v3, v52, v3, v53
	v_add3_u32 v2, v50, v2, v51
	s_add_i32 s3, s3, 16
	s_add_i32 s2, s2, 16
	s_add_i32 s20, s20, -8
	s_waitcnt lgkmcnt(3)
	v_add3_u32 v2, v54, v2, v55
	s_waitcnt lgkmcnt(2)
	v_add3_u32 v3, v56, v3, v57
	s_cmp_lg_u32 s20, 0
	s_waitcnt lgkmcnt(0)
	v_add3_u32 v3, v60, v3, v61
	v_add3_u32 v2, v58, v2, v59
	s_cbranch_scc1 .LBB91_75
	s_branch .LBB91_98
.LBB91_76:                              ;   in Loop: Header=BB91_20 Depth=1
	v_mov_b32_e32 v2, 0
	v_mov_b32_e32 v3, 0
	;; [unrolled: 1-line block ×4, first 2 shown]
	s_and_saveexec_b64 s[52:53], s[16:17]
	s_cbranch_execz .LBB91_80
; %bb.77:                               ;   in Loop: Header=BB91_20 Depth=1
	s_mov_b32 s56, 0
	s_mov_b64 s[54:55], 0
	s_mov_b32 s57, 0
	s_mov_b32 s58, 0
	;; [unrolled: 1-line block ×4, first 2 shown]
	v_mov_b32_e32 v19, v15
.LBB91_78:                              ;   Parent Loop BB91_20 Depth=1
                                        ; =>  This Inner Loop Header: Depth=2
	v_add_u32_e32 v10, s56, v33
	v_lshl_add_u64 v[2:3], v[10:11], 2, v[6:7]
	v_add_u32_e32 v10, s56, v30
	global_load_dword v4, v[2:3], off
	v_lshl_add_u64 v[2:3], v[10:11], 2, v[6:7]
	v_add_u32_e32 v10, s56, v31
	global_load_dword v5, v[2:3], off
	v_lshl_add_u64 v[2:3], v[10:11], 2, v[6:7]
	global_load_dword v20, v[2:3], off
	v_add_u32_e32 v10, s56, v32
	v_lshl_add_u64 v[2:3], v[10:11], 2, v[6:7]
	global_load_dword v2, v[2:3], off
	v_add_u32_e32 v19, s70, v19
	v_cmp_le_u32_e32 vcc, s92, v19
	s_add_i32 s56, s56, s90
	s_waitcnt vmcnt(3)
	v_xor_b32_e32 v3, 0x80000000, v4
	v_bitop3_b32 v4, v4, v41, s85 bitop3:0x48
	v_bfe_u32 v3, v3, v38, 2
	v_cmp_eq_u32_e64 s[0:1], v4, v34
	s_waitcnt vmcnt(2)
	v_bitop3_b32 v4, v5, v41, s85 bitop3:0x48
	v_cmp_eq_u32_e64 s[26:27], 0, v3
	v_xor_b32_e32 v10, 0x80000000, v5
	s_waitcnt vmcnt(1)
	v_xor_b32_e32 v5, 0x80000000, v20
	v_cmp_eq_u32_e64 s[2:3], v4, v34
	v_bitop3_b32 v4, v20, v41, s85 bitop3:0x48
	v_cmp_eq_u32_e64 s[28:29], 1, v3
	s_and_b64 s[20:21], s[0:1], s[26:27]
	v_bfe_u32 v10, v10, v38, 2
	v_cmp_eq_u32_e64 s[30:31], 2, v3
	v_cmp_eq_u32_e64 s[36:37], v4, v34
	v_bfe_u32 v4, v5, v38, 2
	v_cndmask_b32_e64 v5, 0, 1, s[20:21]
	s_and_b64 s[20:21], s[0:1], s[28:29]
	v_cmp_eq_u32_e64 s[34:35], 3, v3
	v_cmp_eq_u32_e64 s[38:39], 0, v10
	;; [unrolled: 1-line block ×5, first 2 shown]
	v_cndmask_b32_e64 v10, 0, 1, s[20:21]
	s_and_b64 s[20:21], s[0:1], s[30:31]
	s_waitcnt vmcnt(0)
	v_xor_b32_e32 v3, 0x80000000, v2
	v_bitop3_b32 v2, v2, v41, s85 bitop3:0x48
	v_cndmask_b32_e64 v20, 0, 1, s[20:21]
	s_and_b64 s[0:1], s[0:1], s[34:35]
	s_and_b64 s[20:21], s[2:3], s[38:39]
	v_cndmask_b32_e64 v43, 0, 1, s[0:1]
	v_cmp_eq_u32_e64 s[0:1], v2, v34
	v_bfe_u32 v2, v3, v38, 2
	v_cndmask_b32_e64 v3, 0, 1, s[20:21]
	s_and_b64 s[20:21], s[2:3], s[40:41]
	v_cmp_eq_u32_e64 s[26:27], 0, v4
	v_cmp_eq_u32_e64 s[28:29], 1, v4
	;; [unrolled: 1-line block ×4, first 2 shown]
	v_cndmask_b32_e64 v4, 0, 1, s[20:21]
	s_and_b64 s[20:21], s[2:3], s[42:43]
	v_cmp_ne_u32_e64 s[46:47], 0, v5
	v_cndmask_b32_e64 v5, 0, 1, s[20:21]
	s_and_b64 s[2:3], s[2:3], s[44:45]
	s_and_b64 s[20:21], s[36:37], s[26:27]
	v_cmp_ne_u32_e64 s[38:39], 0, v10
	v_cndmask_b32_e64 v10, 0, 1, s[2:3]
	v_cmp_eq_u32_e64 s[2:3], 0, v2
	v_cmp_eq_u32_e64 s[44:45], 1, v2
	;; [unrolled: 1-line block ×4, first 2 shown]
	v_cndmask_b32_e64 v2, 0, 1, s[20:21]
	s_and_b64 s[20:21], s[36:37], s[28:29]
	s_bcnt1_i32_b64 s24, s[46:47]
	v_cmp_ne_u32_e64 s[46:47], 0, v3
	v_cndmask_b32_e64 v3, 0, 1, s[20:21]
	s_and_b64 s[20:21], s[36:37], s[30:31]
	v_cmp_ne_u32_e64 s[26:27], 0, v4
	v_cndmask_b32_e64 v4, 0, 1, s[20:21]
	s_and_b64 s[20:21], s[36:37], s[34:35]
	v_cmp_ne_u32_e64 s[40:41], 0, v20
	v_cmp_ne_u32_e64 s[42:43], 0, v43
	;; [unrolled: 1-line block ×3, first 2 shown]
	v_cndmask_b32_e64 v5, 0, 1, s[20:21]
	s_and_b64 s[2:3], s[0:1], s[2:3]
	s_and_b64 s[20:21], s[0:1], s[44:45]
	s_bcnt1_i32_b64 s25, s[38:39]
	s_bcnt1_i32_b64 s38, s[40:41]
	;; [unrolled: 1-line block ×3, first 2 shown]
	v_cmp_ne_u32_e64 s[30:31], 0, v10
	v_cmp_ne_u32_e64 s[34:35], 0, v2
	v_cndmask_b32_e64 v2, 0, 1, s[2:3]
	v_cmp_ne_u32_e64 s[2:3], 0, v3
	v_cndmask_b32_e64 v3, 0, 1, s[20:21]
	s_and_b64 s[20:21], s[0:1], s[48:49]
	s_and_b64 s[0:1], s[0:1], s[50:51]
	s_bcnt1_i32_b64 s36, s[46:47]
	s_add_i32 s24, s60, s24
	s_bcnt1_i32_b64 s37, s[26:27]
	s_add_i32 s25, s59, s25
	s_bcnt1_i32_b64 s40, s[28:29]
	v_cmp_ne_u32_e64 s[26:27], 0, v4
	v_cndmask_b32_e64 v4, 0, 1, s[20:21]
	s_add_i32 s20, s58, s38
	s_bcnt1_i32_b64 s21, s[30:31]
	v_cmp_ne_u32_e64 s[28:29], 0, v5
	v_cndmask_b32_e64 v5, 0, 1, s[0:1]
	s_add_i32 s30, s57, s39
	s_bcnt1_i32_b64 s31, s[34:35]
	v_cmp_ne_u32_e64 s[0:1], 0, v2
	s_add_i32 s24, s24, s36
	s_bcnt1_i32_b64 s34, s[2:3]
	v_cmp_ne_u32_e64 s[2:3], 0, v3
	;; [unrolled: 3-line block ×4, first 2 shown]
	s_add_i32 s21, s30, s21
	s_bcnt1_i32_b64 s0, s[0:1]
	s_add_i32 s1, s24, s31
	s_bcnt1_i32_b64 s2, s[2:3]
	;; [unrolled: 2-line block ×4, first 2 shown]
	s_add_i32 s21, s21, s36
	s_add_i32 s60, s1, s0
	;; [unrolled: 1-line block ×5, first 2 shown]
	s_or_b64 s[54:55], vcc, s[54:55]
	v_mov_b32_e32 v2, s60
	v_mov_b32_e32 v3, s59
	;; [unrolled: 1-line block ×4, first 2 shown]
	s_andn2_b64 exec, exec, s[54:55]
	s_cbranch_execnz .LBB91_78
; %bb.79:                               ;   in Loop: Header=BB91_20 Depth=1
	s_or_b64 exec, exec, s[54:55]
.LBB91_80:                              ;   in Loop: Header=BB91_20 Depth=1
	s_or_b64 exec, exec, s[52:53]
	s_and_saveexec_b64 s[2:3], s[18:19]
	s_cbranch_execz .LBB91_86
; %bb.81:                               ;   in Loop: Header=BB91_20 Depth=1
	global_load_dword v43, v[16:17], off
	s_mov_b64 s[26:27], 0
	v_mov_b32_e32 v10, v35
	v_mov_b32_e32 v19, v28
	s_branch .LBB91_83
.LBB91_82:                              ;   in Loop: Header=BB91_83 Depth=2
	s_or_b64 exec, exec, s[28:29]
	s_waitcnt vmcnt(0)
	v_xor_b32_e32 v45, 0x80000000, v43
	v_bitop3_b32 v43, v43, v41, s85 bitop3:0x48
	s_and_b64 s[0:1], exec, vcc
	v_cmp_eq_u32_e32 vcc, v43, v34
	v_bfe_u32 v43, v45, v38, 2
	s_or_b64 s[26:27], s[0:1], s[26:27]
	v_cmp_eq_u32_e64 s[0:1], 0, v43
	s_and_b64 s[0:1], vcc, s[0:1]
	v_add_u32_e32 v10, s88, v10
	v_cndmask_b32_e64 v45, 0, 1, s[0:1]
	v_cmp_ne_u32_e64 s[0:1], 0, v45
	s_bcnt1_i32_b64 s0, s[0:1]
	s_nop 0
	v_add_u32_e32 v2, s0, v2
	v_cmp_eq_u32_e64 s[0:1], 1, v43
	s_and_b64 s[0:1], vcc, s[0:1]
	s_nop 0
	v_cndmask_b32_e64 v45, 0, 1, s[0:1]
	v_cmp_ne_u32_e64 s[0:1], 0, v45
	s_bcnt1_i32_b64 s0, s[0:1]
	s_nop 0
	v_add_u32_e32 v3, s0, v3
	v_cmp_eq_u32_e64 s[0:1], 2, v43
	s_and_b64 s[0:1], vcc, s[0:1]
	s_nop 0
	;; [unrolled: 8-line block ×3, first 2 shown]
	v_cndmask_b32_e64 v43, 0, 1, s[0:1]
	v_cmp_ne_u32_e32 vcc, 0, v43
	s_bcnt1_i32_b64 s0, vcc
	v_add_u32_e32 v5, s0, v5
	v_mov_b32_e32 v43, v20
	s_andn2_b64 exec, exec, s[26:27]
	s_cbranch_execz .LBB91_85
.LBB91_83:                              ;   Parent Loop BB91_20 Depth=1
                                        ; =>  This Inner Loop Header: Depth=2
	v_add_u32_e32 v19, s67, v19
	v_cmp_gt_u32_e64 s[0:1], s64, v19
	v_cmp_le_u32_e32 vcc, s64, v19
	v_mov_b32_e32 v20, 0
	s_and_saveexec_b64 s[28:29], s[0:1]
	s_cbranch_execz .LBB91_82
; %bb.84:                               ;   in Loop: Header=BB91_83 Depth=2
	v_lshl_add_u64 v[46:47], v[10:11], 2, v[6:7]
	global_load_dword v20, v[46:47], off
	s_branch .LBB91_82
.LBB91_85:                              ;   in Loop: Header=BB91_20 Depth=1
	s_or_b64 exec, exec, s[26:27]
.LBB91_86:                              ;   in Loop: Header=BB91_20 Depth=1
	s_or_b64 exec, exec, s[2:3]
	s_branch .LBB91_68
.LBB91_87:                              ;   in Loop: Header=BB91_20 Depth=1
	s_mul_hi_u32 s0, s89, s91
	s_mul_i32 s0, s0, s70
	s_sub_i32 s0, s89, s0
	s_sub_i32 s1, s0, s70
	s_cmp_ge_u32 s0, s70
	s_cselect_b32 s0, s1, s0
	s_sub_i32 s1, s0, s70
	s_cmp_ge_u32 s0, s70
	s_cselect_b32 s0, s1, s0
	s_sub_i32 s86, s89, s0
	v_cmp_gt_u32_e32 vcc, s86, v15
	v_mov_b32_e32 v2, 0
	v_mov_b32_e32 v3, 0
	;; [unrolled: 1-line block ×4, first 2 shown]
	s_and_saveexec_b64 s[74:75], vcc
	s_cbranch_execz .LBB91_91
; %bb.88:                               ;   in Loop: Header=BB91_20 Depth=1
	s_mov_b32 s87, 0
	s_mov_b64 s[76:77], 0
	v_mov_b32_e32 v10, v36
	s_mov_b32 s24, 0
	s_mov_b32 s25, 0
	;; [unrolled: 1-line block ×3, first 2 shown]
	v_mov_b32_e32 v19, v15
.LBB91_89:                              ;   Parent Loop BB91_20 Depth=1
                                        ; =>  This Inner Loop Header: Depth=2
	ds_read_b128 v[2:5], v10
	v_add_u32_e32 v19, s70, v19
	v_cmp_le_u32_e32 vcc, s86, v19
	v_add_u32_e32 v10, s84, v10
	s_waitcnt lgkmcnt(0)
	v_xor_b32_e32 v20, 0x80000000, v2
	v_bitop3_b32 v2, v2, v41, s85 bitop3:0x48
	v_xor_b32_e32 v43, 0x80000000, v3
	v_bitop3_b32 v3, v3, v41, s85 bitop3:0x48
	v_cmp_eq_u32_e64 s[0:1], v2, v34
	v_bfe_u32 v2, v20, v38, 2
	v_xor_b32_e32 v45, 0x80000000, v4
	v_bitop3_b32 v4, v4, v41, s85 bitop3:0x48
	v_cmp_eq_u32_e64 s[2:3], v3, v34
	v_bfe_u32 v3, v43, v38, 2
	v_cmp_eq_u32_e64 s[30:31], 0, v2
	v_xor_b32_e32 v46, 0x80000000, v5
	v_bitop3_b32 v5, v5, v41, s85 bitop3:0x48
	v_cmp_eq_u32_e64 s[26:27], v4, v34
	v_bfe_u32 v4, v45, v38, 2
	v_cmp_eq_u32_e64 s[34:35], 0, v3
	s_and_b64 s[30:31], s[0:1], s[30:31]
	v_cmp_eq_u32_e64 s[28:29], v5, v34
	v_bfe_u32 v5, v46, v38, 2
	v_cmp_eq_u32_e64 s[36:37], 0, v4
	v_cmp_eq_u32_e64 s[40:41], 1, v2
	;; [unrolled: 1-line block ×4, first 2 shown]
	v_cndmask_b32_e64 v2, 0, 1, s[30:31]
	s_and_b64 s[30:31], s[2:3], s[34:35]
	v_cmp_eq_u32_e64 s[38:39], 0, v5
	v_cmp_eq_u32_e64 s[42:43], 1, v3
	v_cmp_eq_u32_e64 s[50:51], 2, v3
	v_cmp_eq_u32_e64 s[58:59], 3, v3
	v_cndmask_b32_e64 v3, 0, 1, s[30:31]
	s_and_b64 s[30:31], s[26:27], s[36:37]
	v_cmp_eq_u32_e64 s[44:45], 1, v4
	v_cmp_eq_u32_e64 s[52:53], 2, v4
	;; [unrolled: 1-line block ×3, first 2 shown]
	v_cndmask_b32_e64 v4, 0, 1, s[30:31]
	s_and_b64 s[30:31], s[28:29], s[38:39]
	v_cmp_eq_u32_e64 s[46:47], 1, v5
	v_cmp_eq_u32_e64 s[54:55], 2, v5
	;; [unrolled: 1-line block ×3, first 2 shown]
	v_cndmask_b32_e64 v5, 0, 1, s[30:31]
	s_and_b64 s[30:31], s[0:1], s[40:41]
	v_cndmask_b32_e64 v20, 0, 1, s[30:31]
	s_and_b64 s[30:31], s[2:3], s[42:43]
	;; [unrolled: 2-line block ×5, first 2 shown]
	s_and_b64 s[0:1], s[0:1], s[56:57]
	v_cndmask_b32_e64 v47, 0, 1, s[30:31]
	s_and_b64 s[30:31], s[2:3], s[50:51]
	v_cndmask_b32_e64 v51, 0, 1, s[0:1]
	;; [unrolled: 2-line block ×7, first 2 shown]
	v_cndmask_b32_e64 v54, 0, 1, s[0:1]
	v_cmp_ne_u32_e64 s[0:1], 0, v2
	v_cmp_ne_u32_e64 s[2:3], 0, v3
	;; [unrolled: 1-line block ×11, first 2 shown]
	s_bcnt1_i32_b64 s0, s[0:1]
	s_bcnt1_i32_b64 s1, s[2:3]
	;; [unrolled: 1-line block ×8, first 2 shown]
	v_cmp_ne_u32_e64 s[44:45], 0, v49
	v_cmp_ne_u32_e64 s[52:53], 0, v53
	s_bcnt1_i32_b64 s27, s[36:37]
	s_bcnt1_i32_b64 s30, s[42:43]
	;; [unrolled: 1-line block ×3, first 2 shown]
	s_add_i32 s0, s20, s0
	s_add_i32 s20, s25, s21
	;; [unrolled: 1-line block ×4, first 2 shown]
	v_cmp_ne_u32_e64 s[38:39], 0, v46
	v_cmp_ne_u32_e64 s[46:47], 0, v50
	;; [unrolled: 1-line block ×3, first 2 shown]
	s_bcnt1_i32_b64 s31, s[44:45]
	s_bcnt1_i32_b64 s37, s[52:53]
	s_add_i32 s0, s0, s1
	s_add_i32 s1, s20, s26
	s_add_i32 s20, s21, s30
	s_add_i32 s21, s24, s36
	s_bcnt1_i32_b64 s28, s[38:39]
	s_bcnt1_i32_b64 s34, s[46:47]
	;; [unrolled: 1-line block ×3, first 2 shown]
	s_add_i32 s0, s0, s2
	s_add_i32 s1, s1, s27
	;; [unrolled: 1-line block ×8, first 2 shown]
	s_or_b64 s[76:77], vcc, s[76:77]
	v_mov_b32_e32 v2, s20
	v_mov_b32_e32 v3, s25
	;; [unrolled: 1-line block ×4, first 2 shown]
	s_andn2_b64 exec, exec, s[76:77]
	s_cbranch_execnz .LBB91_89
; %bb.90:                               ;   in Loop: Header=BB91_20 Depth=1
	s_or_b64 exec, exec, s[76:77]
.LBB91_91:                              ;   in Loop: Header=BB91_20 Depth=1
	s_or_b64 exec, exec, s[74:75]
	v_add_u32_e32 v10, s86, v0
	v_cmp_gt_u32_e32 vcc, s89, v10
	s_and_saveexec_b64 s[34:35], vcc
	s_cbranch_execz .LBB91_95
; %bb.92:                               ;   in Loop: Header=BB91_20 Depth=1
	v_lshlrev_b32_e32 v19, 2, v10
	s_mov_b64 s[36:37], 0
.LBB91_93:                              ;   Parent Loop BB91_20 Depth=1
                                        ; =>  This Inner Loop Header: Depth=2
	ds_read_b32 v20, v19
	v_add_u32_e32 v10, s67, v10
	v_cmp_le_u32_e32 vcc, s89, v10
	v_add_u32_e32 v19, s70, v19
	s_waitcnt lgkmcnt(0)
	v_xor_b32_e32 v43, 0x80000000, v20
	v_bitop3_b32 v20, v20, v41, s85 bitop3:0x48
	v_cmp_eq_u32_e64 s[0:1], v20, v34
	v_bfe_u32 v20, v43, v38, 2
	v_cmp_eq_u32_e64 s[2:3], 0, v20
	v_cmp_eq_u32_e64 s[26:27], 1, v20
	s_and_b64 s[2:3], s[0:1], s[2:3]
	v_cmp_eq_u32_e64 s[28:29], 2, v20
	v_cmp_eq_u32_e64 s[30:31], 3, v20
	v_cndmask_b32_e64 v20, 0, 1, s[2:3]
	s_and_b64 s[2:3], s[0:1], s[26:27]
	v_cndmask_b32_e64 v43, 0, 1, s[2:3]
	s_and_b64 s[2:3], s[0:1], s[28:29]
	s_and_b64 s[0:1], s[0:1], s[30:31]
	v_cndmask_b32_e64 v45, 0, 1, s[2:3]
	v_cndmask_b32_e64 v46, 0, 1, s[0:1]
	v_cmp_ne_u32_e64 s[0:1], 0, v20
	v_cmp_ne_u32_e64 s[2:3], 0, v43
	v_cmp_ne_u32_e64 s[26:27], 0, v45
	v_cmp_ne_u32_e64 s[28:29], 0, v46
	s_bcnt1_i32_b64 s0, s[0:1]
	s_bcnt1_i32_b64 s1, s[2:3]
	;; [unrolled: 1-line block ×4, first 2 shown]
	v_add_u32_e32 v2, s0, v2
	v_add_u32_e32 v3, s1, v3
	;; [unrolled: 1-line block ×3, first 2 shown]
	s_or_b64 s[36:37], vcc, s[36:37]
	v_add_u32_e32 v5, s3, v5
	s_andn2_b64 exec, exec, s[36:37]
	s_cbranch_execnz .LBB91_93
; %bb.94:                               ;   in Loop: Header=BB91_20 Depth=1
	s_or_b64 exec, exec, s[36:37]
.LBB91_95:                              ;   in Loop: Header=BB91_20 Depth=1
	s_or_b64 exec, exec, s[34:35]
	v_lshlrev_b32_e32 v19, 6, v40
	s_and_saveexec_b64 s[0:1], s[4:5]
	s_cbranch_execnz .LBB91_69
	s_branch .LBB91_70
.LBB91_96:                              ;   in Loop: Header=BB91_20 Depth=1
	v_mov_b32_e32 v2, 0
	s_mov_b32 s20, 0
	s_cbranch_execnz .LBB91_101
	s_branch .LBB91_103
.LBB91_97:                              ;   in Loop: Header=BB91_20 Depth=1
	v_mov_b32_e32 v10, v11
	s_mov_b32 s2, 0
	v_mov_b64_e32 v[2:3], v[10:11]
	s_mov_b32 s3, 1
.LBB91_98:                              ;   in Loop: Header=BB91_20 Depth=1
	v_readlane_b32 s20, v70, 24
	v_readlane_b32 s21, v70, 25
	s_andn2_b64 vcc, exec, s[20:21]
	v_readlane_b32 s20, v70, 23
	s_cbranch_vccnz .LBB91_100
.LBB91_99:                              ;   Parent Loop BB91_20 Depth=1
                                        ; =>  This Inner Loop Header: Depth=2
	v_lshl_add_u32 v10, s2, 4, v5
	v_lshl_add_u32 v20, s3, 4, v5
	ds_read_b32 v20, v20
	ds_read_b32 v10, v10
	s_add_i32 s3, s3, 2
	s_add_i32 s2, s2, 2
	s_add_i32 s20, s20, -1
	s_cmp_lg_u32 s20, 0
	s_waitcnt lgkmcnt(1)
	v_add_u32_e32 v3, v20, v3
	s_waitcnt lgkmcnt(0)
	v_add_u32_e32 v2, v10, v2
	s_cbranch_scc1 .LBB91_99
.LBB91_100:                             ;   in Loop: Header=BB91_20 Depth=1
	v_readlane_b32 s2, v70, 28
	v_add_u32_e32 v2, v2, v3
	v_readlane_b32 s20, v70, 27
	v_readlane_b32 s3, v70, 29
	s_and_b64 vcc, exec, s[2:3]
	s_cbranch_vccz .LBB91_103
.LBB91_101:                             ;   in Loop: Header=BB91_20 Depth=1
	v_lshlrev_b32_e32 v3, 8, v40
	s_lshl_b32 s2, s20, 4
	v_add_u32_e32 v3, s2, v3
	v_readlane_b32 s2, v70, 26
	v_add_u32_e32 v3, v37, v3
	s_sub_i32 s2, s2, s20
.LBB91_102:                             ;   Parent Loop BB91_20 Depth=1
                                        ; =>  This Inner Loop Header: Depth=2
	ds_read_b32 v5, v3
	s_add_i32 s2, s2, -1
	v_add_u32_e32 v3, 16, v3
	s_cmp_eq_u32 s2, 0
	s_waitcnt lgkmcnt(0)
	v_add_u32_e32 v2, v5, v2
	s_cbranch_scc0 .LBB91_102
.LBB91_103:                             ;   in Loop: Header=BB91_20 Depth=1
	v_lshlrev_b32_e32 v3, 2, v4
	ds_write_b32 v3, v2 offset:3072
.LBB91_104:                             ;   in Loop: Header=BB91_20 Depth=1
	s_or_b64 exec, exec, s[0:1]
	v_lshlrev_b32_e32 v2, 2, v19
	s_waitcnt lgkmcnt(0)
	s_barrier
	ds_read_b128 v[2:5], v2 offset:3072
	v_cmp_eq_u32_e32 vcc, 1, v42
	s_mov_b64 s[2:3], -1
	s_mov_b64 s[34:35], -1
                                        ; implicit-def: $sgpr30_sgpr31
                                        ; implicit-def: $sgpr28_sgpr29
	s_waitcnt lgkmcnt(0)
	v_readfirstlane_b32 s46, v2
	s_cmp_eq_u32 s46, 1
	v_lshlrev_b32_e64 v2, v38, 3
	s_cselect_b64 s[0:1], -1, 0
	v_readfirstlane_b32 s50, v3
	v_readfirstlane_b32 s58, v4
	v_readfirstlane_b32 s76, v5
	v_not_b32_e32 v4, v2
	s_and_b64 s[26:27], s[0:1], vcc
	s_and_saveexec_b64 s[0:1], s[26:27]
	s_cbranch_execz .LBB91_130
; %bb.105:                              ;   in Loop: Header=BB91_20 Depth=1
	ds_read_b32 v3, v11 offset:4104
	s_waitcnt lgkmcnt(0)
	s_barrier
	v_readfirstlane_b32 s20, v3
	s_and_saveexec_b64 s[28:29], s[6:7]
; %bb.106:                              ;   in Loop: Header=BB91_20 Depth=1
	ds_write_b32 v23, v11
; %bb.107:                              ;   in Loop: Header=BB91_20 Depth=1
	s_or_b64 exec, exec, s[28:29]
	v_and_b32_e32 v34, v34, v4
	v_or_b32_e32 v41, v41, v2
	s_mov_b64 s[28:29], -1
	s_mov_b64 s[30:31], 0
	s_cmp_eq_u32 s20, 0
	s_mov_b64 s[34:35], 0
	s_mov_b64 s[36:37], -1
	s_waitcnt lgkmcnt(0)
	s_barrier
                                        ; implicit-def: $vgpr21
	s_cbranch_scc1 .LBB91_118
; %bb.108:                              ;   in Loop: Header=BB91_20 Depth=1
	s_add_i32 s21, s20, s68
	s_mul_hi_u32 s24, s21, s93
	s_mul_i32 s24, s24, s67
	s_sub_i32 s24, s21, s24
	s_sub_i32 s25, s24, s67
	s_cmp_ge_u32 s24, s67
	s_cselect_b32 s24, s25, s24
	s_sub_i32 s25, s24, s67
	s_cmp_ge_u32 s24, s67
	s_cselect_b32 s24, s25, s24
	s_sub_i32 s21, s21, s24
	v_cmp_gt_u32_e32 vcc, s21, v0
	s_mov_b64 s[36:37], 0
                                        ; implicit-def: $vgpr21
	s_and_saveexec_b64 s[38:39], vcc
	s_cbranch_execz .LBB91_117
; %bb.109:                              ;   in Loop: Header=BB91_20 Depth=1
	v_mov_b32_e32 v3, v15
	v_mov_b32_e32 v5, v0
                                        ; implicit-def: $sgpr40_sgpr41
	s_branch .LBB91_112
.LBB91_110:                             ;   in Loop: Header=BB91_112 Depth=2
	s_or_b64 exec, exec, s[42:43]
	s_waitcnt lgkmcnt(0)
	s_barrier
	ds_read_b64 v[20:21], v11 offset:3072
	s_mov_b64 s[42:43], -1
	s_mov_b64 s[44:45], -1
	s_waitcnt lgkmcnt(0)
	s_barrier
	v_cmp_ne_u32_e32 vcc, 0, v20
	s_cbranch_vccz .LBB91_115
.LBB91_111:                             ;   in Loop: Header=BB91_112 Depth=2
	s_and_b64 s[24:25], exec, s[42:43]
	s_or_b64 s[34:35], s[24:25], s[34:35]
	s_andn2_b64 s[24:25], s[40:41], exec
	s_and_b64 s[40:41], s[44:45], exec
	s_or_b64 s[40:41], s[24:25], s[40:41]
	s_andn2_b64 exec, exec, s[34:35]
	s_cbranch_execz .LBB91_116
.LBB91_112:                             ;   Parent Loop BB91_20 Depth=1
                                        ; =>  This Inner Loop Header: Depth=2
	v_cmp_gt_u32_e32 vcc, s20, v5
	s_and_saveexec_b64 s[42:43], vcc
	s_cbranch_execz .LBB91_110
; %bb.113:                              ;   in Loop: Header=BB91_112 Depth=2
	ds_read_b32 v19, v3
	s_waitcnt lgkmcnt(0)
	v_bitop3_b32 v10, v19, v41, s85 bitop3:0x48
	v_cmp_eq_u32_e32 vcc, v10, v34
	s_and_b64 exec, exec, vcc
	s_cbranch_execz .LBB91_110
; %bb.114:                              ;   in Loop: Header=BB91_112 Depth=2
	ds_write_b64 v11, v[18:19] offset:3072
	s_branch .LBB91_110
.LBB91_115:                             ;   in Loop: Header=BB91_112 Depth=2
	v_add_u32_e32 v5, s67, v5
	v_cmp_le_u32_e32 vcc, s21, v5
	v_add_u32_e32 v3, s70, v3
	s_mov_b64 s[44:45], 0
	s_orn2_b64 s[42:43], vcc, exec
	s_branch .LBB91_111
.LBB91_116:                             ;   in Loop: Header=BB91_20 Depth=1
	s_or_b64 exec, exec, s[34:35]
	s_and_b64 s[34:35], s[40:41], exec
.LBB91_117:                             ;   in Loop: Header=BB91_20 Depth=1
	s_or_b64 exec, exec, s[38:39]
.LBB91_118:                             ;   in Loop: Header=BB91_20 Depth=1
	s_and_b64 vcc, exec, s[36:37]
	s_cbranch_vccz .LBB91_129
; %bb.119:                              ;   in Loop: Header=BB91_20 Depth=1
                                        ; implicit-def: $vgpr21
	s_mov_b64 s[28:29], exec
	v_readlane_b32 s20, v70, 30
	v_readlane_b32 s21, v70, 31
	s_and_b64 s[20:21], s[28:29], s[20:21]
	s_mov_b64 exec, s[20:21]
	s_cbranch_execz .LBB91_128
; %bb.120:                              ;   in Loop: Header=BB91_20 Depth=1
	s_mov_b64 s[30:31], 0
	v_mov_b32_e32 v10, v8
	v_mov_b32_e32 v3, v0
                                        ; implicit-def: $sgpr36_sgpr37
	s_branch .LBB91_123
.LBB91_121:                             ;   in Loop: Header=BB91_123 Depth=2
	s_or_b64 exec, exec, s[38:39]
	s_waitcnt lgkmcnt(0)
	s_barrier
	ds_read_b64 v[20:21], v11 offset:3072
	s_mov_b64 s[38:39], -1
	s_mov_b64 s[40:41], -1
	s_waitcnt lgkmcnt(0)
	s_barrier
	v_cmp_ne_u32_e32 vcc, 0, v20
	s_cbranch_vccz .LBB91_126
.LBB91_122:                             ;   in Loop: Header=BB91_123 Depth=2
	s_and_b64 s[20:21], exec, s[38:39]
	s_or_b64 s[30:31], s[20:21], s[30:31]
	s_andn2_b64 s[20:21], s[36:37], exec
	s_and_b64 s[24:25], s[40:41], exec
	s_or_b64 s[36:37], s[20:21], s[24:25]
	s_andn2_b64 exec, exec, s[30:31]
	s_cbranch_execz .LBB91_127
.LBB91_123:                             ;   Parent Loop BB91_20 Depth=1
                                        ; =>  This Inner Loop Header: Depth=2
	v_cmp_gt_u32_e32 vcc, s64, v3
	s_and_saveexec_b64 s[38:39], vcc
	s_cbranch_execz .LBB91_121
; %bb.124:                              ;   in Loop: Header=BB91_123 Depth=2
	v_lshl_add_u64 v[20:21], v[10:11], 2, v[6:7]
	global_load_dword v19, v[20:21], off
	s_waitcnt vmcnt(0)
	v_bitop3_b32 v5, v19, v41, s85 bitop3:0x48
	v_cmp_eq_u32_e32 vcc, v5, v34
	s_and_b64 exec, exec, vcc
	s_cbranch_execz .LBB91_121
; %bb.125:                              ;   in Loop: Header=BB91_123 Depth=2
	ds_write_b64 v11, v[18:19] offset:3072
	s_branch .LBB91_121
.LBB91_126:                             ;   in Loop: Header=BB91_123 Depth=2
	v_add_u32_e32 v3, s67, v3
	v_cmp_le_u32_e32 vcc, s9, v3
	v_add_u32_e32 v10, s88, v10
	s_mov_b64 s[40:41], 0
	s_orn2_b64 s[38:39], vcc, exec
	s_branch .LBB91_122
.LBB91_127:                             ;   in Loop: Header=BB91_20 Depth=1
	s_or_b64 exec, exec, s[30:31]
	s_andn2_b64 s[20:21], s[34:35], exec
	s_and_b64 s[24:25], s[36:37], exec
	s_or_b64 s[34:35], s[20:21], s[24:25]
.LBB91_128:                             ;   in Loop: Header=BB91_20 Depth=1
	s_or_b64 exec, exec, s[28:29]
	s_mov_b64 s[28:29], 0
	s_mov_b64 s[30:31], -1
.LBB91_129:                             ;   in Loop: Header=BB91_20 Depth=1
	s_orn2_b64 s[34:35], s[34:35], exec
.LBB91_130:                             ;   in Loop: Header=BB91_20 Depth=1
	s_or_b64 exec, exec, s[0:1]
	s_andn2_b64 s[0:1], s[14:15], exec
	s_and_b64 s[14:15], s[30:31], exec
	s_or_b64 s[14:15], s[0:1], s[14:15]
	s_andn2_b64 s[0:1], s[12:13], exec
	s_and_b64 s[12:13], s[28:29], exec
	s_andn2_b64 s[10:11], s[10:11], exec
	s_or_b64 s[12:13], s[0:1], s[12:13]
                                        ; implicit-def: $vgpr5
	s_and_saveexec_b64 s[0:1], s[34:35]
	s_cbranch_execz .LBB91_19
; %bb.131:                              ;   in Loop: Header=BB91_20 Depth=1
	s_xor_b64 s[20:21], s[26:27], -1
	s_mov_b64 s[26:27], 0
	v_mov_b32_e32 v5, 1
	v_mov_b32_e32 v3, 1
	s_and_saveexec_b64 s[2:3], s[20:21]
	s_cbranch_execz .LBB91_140
; %bb.132:                              ;   in Loop: Header=BB91_20 Depth=1
	v_cmp_ge_u32_e32 vcc, s46, v42
	s_and_saveexec_b64 s[20:21], vcc
	s_xor_b64 s[26:27], exec, s[20:21]
	s_cbranch_execz .LBB91_137
; %bb.133:                              ;   in Loop: Header=BB91_20 Depth=1
	ds_read_b32 v3, v11 offset:4104
	v_and_b32_e32 v34, v34, v4
	v_or_b32_e32 v41, v41, v2
	s_waitcnt lgkmcnt(0)
	v_cmp_ne_u32_e32 vcc, 0, v3
	s_cbranch_vccnz .LBB91_137
; %bb.134:                              ;   in Loop: Header=BB91_20 Depth=1
	s_and_saveexec_b64 s[28:29], s[22:23]
; %bb.135:                              ;   in Loop: Header=BB91_20 Depth=1
	v_mov_b32_e32 v3, s46
	ds_write_b32 v11, v3 offset:4108
; %bb.136:                              ;   in Loop: Header=BB91_20 Depth=1
	s_or_b64 exec, exec, s[28:29]
	s_waitcnt lgkmcnt(0)
	s_barrier
.LBB91_137:                             ;   in Loop: Header=BB91_20 Depth=1
	s_or_saveexec_b64 s[26:27], s[26:27]
	s_mov_b64 s[28:29], 0
	v_mov_b32_e32 v3, 8
	s_xor_b64 exec, exec, s[26:27]
; %bb.138:                              ;   in Loop: Header=BB91_20 Depth=1
	s_mov_b64 s[28:29], exec
	v_subrev_u32_e32 v42, s46, v42
	v_mov_b32_e32 v3, 0
; %bb.139:                              ;   in Loop: Header=BB91_20 Depth=1
	s_or_b64 exec, exec, s[26:27]
	s_and_b64 s[26:27], s[28:29], exec
	v_mov_b32_e32 v5, v42
.LBB91_140:                             ;   in Loop: Header=BB91_20 Depth=1
	s_or_b64 exec, exec, s[2:3]
	s_mov_b64 s[2:3], -1
	s_mov_b64 s[34:35], -1
                                        ; implicit-def: $sgpr28_sgpr29
                                        ; implicit-def: $sgpr30_sgpr31
	s_and_saveexec_b64 s[20:21], s[26:27]
	s_xor_b64 s[26:27], exec, s[20:21]
	s_cbranch_execz .LBB91_257
; %bb.141:                              ;   in Loop: Header=BB91_20 Depth=1
	s_cmp_eq_u32 s50, 1
	s_cselect_b64 s[20:21], -1, 0
	v_cmp_eq_u32_e32 vcc, 1, v5
	s_and_b64 s[36:37], s[20:21], vcc
	s_mov_b64 s[38:39], -1
                                        ; implicit-def: $sgpr30_sgpr31
                                        ; implicit-def: $sgpr28_sgpr29
	s_and_saveexec_b64 s[34:35], s[36:37]
	s_cbranch_execz .LBB91_167
; %bb.142:                              ;   in Loop: Header=BB91_20 Depth=1
	ds_read_b32 v10, v11 offset:4104
	s_waitcnt lgkmcnt(0)
	s_barrier
	v_readfirstlane_b32 s20, v10
	s_and_saveexec_b64 s[28:29], s[6:7]
; %bb.143:                              ;   in Loop: Header=BB91_20 Depth=1
	ds_write_b32 v23, v11
; %bb.144:                              ;   in Loop: Header=BB91_20 Depth=1
	s_or_b64 exec, exec, s[28:29]
	v_and_b32_e32 v10, v34, v4
	v_lshl_or_b32 v34, 1, v38, v10
	v_or_b32_e32 v41, v41, v2
	s_mov_b64 s[28:29], -1
	s_mov_b64 s[30:31], 0
	s_cmp_eq_u32 s20, 0
	s_mov_b64 s[38:39], 0
	s_mov_b64 s[40:41], -1
	s_waitcnt lgkmcnt(0)
	s_barrier
                                        ; implicit-def: $vgpr21
	s_cbranch_scc1 .LBB91_155
; %bb.145:                              ;   in Loop: Header=BB91_20 Depth=1
	s_add_i32 s21, s20, s68
	s_mul_hi_u32 s24, s21, s93
	s_mul_i32 s24, s24, s67
	s_sub_i32 s24, s21, s24
	s_sub_i32 s25, s24, s67
	s_cmp_ge_u32 s24, s67
	s_cselect_b32 s24, s25, s24
	s_sub_i32 s25, s24, s67
	s_cmp_ge_u32 s24, s67
	s_cselect_b32 s24, s25, s24
	s_sub_i32 s21, s21, s24
	v_cmp_gt_u32_e32 vcc, s21, v0
	s_mov_b64 s[40:41], 0
                                        ; implicit-def: $vgpr21
	s_and_saveexec_b64 s[42:43], vcc
	s_cbranch_execz .LBB91_154
; %bb.146:                              ;   in Loop: Header=BB91_20 Depth=1
	v_mov_b32_e32 v10, v15
	v_mov_b32_e32 v42, v0
                                        ; implicit-def: $sgpr44_sgpr45
	s_branch .LBB91_149
.LBB91_147:                             ;   in Loop: Header=BB91_149 Depth=2
	s_or_b64 exec, exec, s[46:47]
	s_waitcnt lgkmcnt(0)
	s_barrier
	ds_read_b64 v[20:21], v11 offset:3072
	s_mov_b64 s[46:47], -1
	s_mov_b64 s[48:49], -1
	s_waitcnt lgkmcnt(0)
	s_barrier
	v_cmp_ne_u32_e32 vcc, 0, v20
	s_cbranch_vccz .LBB91_152
.LBB91_148:                             ;   in Loop: Header=BB91_149 Depth=2
	s_and_b64 s[24:25], exec, s[46:47]
	s_or_b64 s[38:39], s[24:25], s[38:39]
	s_andn2_b64 s[24:25], s[44:45], exec
	s_and_b64 s[44:45], s[48:49], exec
	s_or_b64 s[44:45], s[24:25], s[44:45]
	s_andn2_b64 exec, exec, s[38:39]
	s_cbranch_execz .LBB91_153
.LBB91_149:                             ;   Parent Loop BB91_20 Depth=1
                                        ; =>  This Inner Loop Header: Depth=2
	v_cmp_gt_u32_e32 vcc, s20, v42
	s_and_saveexec_b64 s[46:47], vcc
	s_cbranch_execz .LBB91_147
; %bb.150:                              ;   in Loop: Header=BB91_149 Depth=2
	ds_read_b32 v19, v10
	s_waitcnt lgkmcnt(0)
	v_bitop3_b32 v20, v19, v41, s85 bitop3:0x48
	v_cmp_eq_u32_e32 vcc, v20, v34
	s_and_b64 exec, exec, vcc
	s_cbranch_execz .LBB91_147
; %bb.151:                              ;   in Loop: Header=BB91_149 Depth=2
	ds_write_b64 v11, v[18:19] offset:3072
	s_branch .LBB91_147
.LBB91_152:                             ;   in Loop: Header=BB91_149 Depth=2
	v_add_u32_e32 v42, s67, v42
	v_cmp_le_u32_e32 vcc, s21, v42
	v_add_u32_e32 v10, s70, v10
	s_mov_b64 s[48:49], 0
	s_orn2_b64 s[46:47], vcc, exec
	s_branch .LBB91_148
.LBB91_153:                             ;   in Loop: Header=BB91_20 Depth=1
	s_or_b64 exec, exec, s[38:39]
	s_and_b64 s[38:39], s[44:45], exec
.LBB91_154:                             ;   in Loop: Header=BB91_20 Depth=1
	s_or_b64 exec, exec, s[42:43]
.LBB91_155:                             ;   in Loop: Header=BB91_20 Depth=1
	s_and_b64 vcc, exec, s[40:41]
	s_cbranch_vccz .LBB91_166
; %bb.156:                              ;   in Loop: Header=BB91_20 Depth=1
                                        ; implicit-def: $vgpr21
	s_mov_b64 s[28:29], exec
	v_readlane_b32 s20, v70, 30
	v_readlane_b32 s21, v70, 31
	s_and_b64 s[20:21], s[28:29], s[20:21]
	s_mov_b64 exec, s[20:21]
	s_cbranch_execz .LBB91_165
; %bb.157:                              ;   in Loop: Header=BB91_20 Depth=1
	s_mov_b64 s[30:31], 0
	v_mov_b32_e32 v10, v8
	v_mov_b32_e32 v42, v0
                                        ; implicit-def: $sgpr40_sgpr41
	s_branch .LBB91_160
.LBB91_158:                             ;   in Loop: Header=BB91_160 Depth=2
	s_or_b64 exec, exec, s[42:43]
	s_waitcnt lgkmcnt(0)
	s_barrier
	ds_read_b64 v[20:21], v11 offset:3072
	s_mov_b64 s[42:43], -1
	s_mov_b64 s[44:45], -1
	s_waitcnt lgkmcnt(0)
	s_barrier
	v_cmp_eq_u32_e32 vcc, 0, v20
	s_cbranch_vccnz .LBB91_163
.LBB91_159:                             ;   in Loop: Header=BB91_160 Depth=2
	s_and_b64 s[20:21], exec, s[42:43]
	s_or_b64 s[30:31], s[20:21], s[30:31]
	s_andn2_b64 s[20:21], s[40:41], exec
	s_and_b64 s[24:25], s[44:45], exec
	s_or_b64 s[40:41], s[20:21], s[24:25]
	s_andn2_b64 exec, exec, s[30:31]
	s_cbranch_execz .LBB91_164
.LBB91_160:                             ;   Parent Loop BB91_20 Depth=1
                                        ; =>  This Inner Loop Header: Depth=2
	v_cmp_gt_u32_e32 vcc, s64, v42
	s_and_saveexec_b64 s[42:43], vcc
	s_cbranch_execz .LBB91_158
; %bb.161:                              ;   in Loop: Header=BB91_160 Depth=2
	v_lshl_add_u64 v[20:21], v[10:11], 2, v[6:7]
	global_load_dword v19, v[20:21], off
	s_waitcnt vmcnt(0)
	v_bitop3_b32 v20, v19, v41, s85 bitop3:0x48
	v_cmp_eq_u32_e32 vcc, v20, v34
	s_and_b64 exec, exec, vcc
	s_cbranch_execz .LBB91_158
; %bb.162:                              ;   in Loop: Header=BB91_160 Depth=2
	ds_write_b64 v11, v[18:19] offset:3072
	s_branch .LBB91_158
.LBB91_163:                             ;   in Loop: Header=BB91_160 Depth=2
	v_add_u32_e32 v42, s67, v42
	v_cmp_le_u32_e32 vcc, s9, v42
	v_add_u32_e32 v10, s88, v10
	s_mov_b64 s[44:45], 0
	s_orn2_b64 s[42:43], vcc, exec
	s_branch .LBB91_159
.LBB91_164:                             ;   in Loop: Header=BB91_20 Depth=1
	s_or_b64 exec, exec, s[30:31]
	s_andn2_b64 s[20:21], s[38:39], exec
	s_and_b64 s[24:25], s[40:41], exec
	s_or_b64 s[38:39], s[20:21], s[24:25]
.LBB91_165:                             ;   in Loop: Header=BB91_20 Depth=1
	s_or_b64 exec, exec, s[28:29]
	s_mov_b64 s[28:29], 0
	s_mov_b64 s[30:31], -1
.LBB91_166:                             ;   in Loop: Header=BB91_20 Depth=1
	s_orn2_b64 s[38:39], s[38:39], exec
.LBB91_167:                             ;   in Loop: Header=BB91_20 Depth=1
	s_or_b64 exec, exec, s[34:35]
	s_mov_b64 s[40:41], 0
	s_and_saveexec_b64 s[34:35], s[38:39]
	s_cbranch_execz .LBB91_256
; %bb.168:                              ;   in Loop: Header=BB91_20 Depth=1
	s_xor_b64 s[20:21], s[36:37], -1
	s_mov_b64 s[44:45], 0
	v_mov_b32_e32 v42, 1
	v_mov_b32_e32 v3, 1
	s_and_saveexec_b64 s[36:37], s[20:21]
	s_cbranch_execz .LBB91_177
; %bb.169:                              ;   in Loop: Header=BB91_20 Depth=1
	v_cmp_ge_u32_e32 vcc, s50, v5
	s_and_saveexec_b64 s[20:21], vcc
	s_xor_b64 s[38:39], exec, s[20:21]
	s_cbranch_execz .LBB91_174
; %bb.170:                              ;   in Loop: Header=BB91_20 Depth=1
	ds_read_b32 v3, v11 offset:4104
	v_and_b32_e32 v10, v34, v4
	v_lshl_or_b32 v34, 1, v38, v10
	v_or_b32_e32 v41, v41, v2
	s_waitcnt lgkmcnt(0)
	v_cmp_ne_u32_e32 vcc, 0, v3
	s_cbranch_vccnz .LBB91_174
; %bb.171:                              ;   in Loop: Header=BB91_20 Depth=1
	s_and_saveexec_b64 s[40:41], s[22:23]
; %bb.172:                              ;   in Loop: Header=BB91_20 Depth=1
	v_mov_b32_e32 v3, s50
	ds_write_b32 v11, v3 offset:4108
; %bb.173:                              ;   in Loop: Header=BB91_20 Depth=1
	s_or_b64 exec, exec, s[40:41]
	s_waitcnt lgkmcnt(0)
	s_barrier
.LBB91_174:                             ;   in Loop: Header=BB91_20 Depth=1
	s_or_saveexec_b64 s[38:39], s[38:39]
	s_mov_b64 s[40:41], 0
	v_mov_b32_e32 v3, 8
	s_xor_b64 exec, exec, s[38:39]
; %bb.175:                              ;   in Loop: Header=BB91_20 Depth=1
	s_mov_b64 s[40:41], exec
	v_subrev_u32_e32 v5, s50, v5
	v_mov_b32_e32 v3, 0
; %bb.176:                              ;   in Loop: Header=BB91_20 Depth=1
	s_or_b64 exec, exec, s[38:39]
	s_and_b64 s[44:45], s[40:41], exec
	v_mov_b32_e32 v42, v5
.LBB91_177:                             ;   in Loop: Header=BB91_20 Depth=1
	s_or_b64 exec, exec, s[36:37]
	s_mov_b64 s[42:43], -1
                                        ; implicit-def: $sgpr38_sgpr39
                                        ; implicit-def: $sgpr40_sgpr41
	s_and_saveexec_b64 s[36:37], s[44:45]
	s_cbranch_execz .LBB91_255
; %bb.178:                              ;   in Loop: Header=BB91_20 Depth=1
	s_cmp_eq_u32 s58, 1
	s_cselect_b64 s[20:21], -1, 0
	v_cmp_eq_u32_e32 vcc, 1, v42
	s_and_b64 s[44:45], s[20:21], vcc
	s_mov_b64 s[46:47], -1
                                        ; implicit-def: $sgpr40_sgpr41
                                        ; implicit-def: $sgpr38_sgpr39
	s_and_saveexec_b64 s[42:43], s[44:45]
	s_cbranch_execz .LBB91_204
; %bb.179:                              ;   in Loop: Header=BB91_20 Depth=1
	ds_read_b32 v5, v11 offset:4104
	s_waitcnt lgkmcnt(0)
	s_barrier
	v_readfirstlane_b32 s20, v5
	s_and_saveexec_b64 s[38:39], s[6:7]
; %bb.180:                              ;   in Loop: Header=BB91_20 Depth=1
	ds_write_b32 v23, v11
; %bb.181:                              ;   in Loop: Header=BB91_20 Depth=1
	s_or_b64 exec, exec, s[38:39]
	v_and_b32_e32 v5, v34, v4
	v_lshl_or_b32 v34, 2, v38, v5
	v_or_b32_e32 v41, v41, v2
	s_mov_b64 s[38:39], -1
	s_mov_b64 s[40:41], 0
	s_cmp_eq_u32 s20, 0
	s_mov_b64 s[46:47], 0
	s_mov_b64 s[48:49], -1
	s_waitcnt lgkmcnt(0)
	s_barrier
                                        ; implicit-def: $vgpr21
	s_cbranch_scc1 .LBB91_192
; %bb.182:                              ;   in Loop: Header=BB91_20 Depth=1
	s_add_i32 s21, s20, s68
	s_mul_hi_u32 s24, s21, s93
	s_mul_i32 s24, s24, s67
	s_sub_i32 s24, s21, s24
	s_sub_i32 s25, s24, s67
	s_cmp_ge_u32 s24, s67
	s_cselect_b32 s24, s25, s24
	s_sub_i32 s25, s24, s67
	s_cmp_ge_u32 s24, s67
	s_cselect_b32 s24, s25, s24
	s_sub_i32 s21, s21, s24
	v_cmp_gt_u32_e32 vcc, s21, v0
	s_mov_b64 s[48:49], 0
                                        ; implicit-def: $vgpr21
	s_and_saveexec_b64 s[50:51], vcc
	s_cbranch_execz .LBB91_191
; %bb.183:                              ;   in Loop: Header=BB91_20 Depth=1
	v_mov_b32_e32 v5, v15
	v_mov_b32_e32 v10, v0
                                        ; implicit-def: $sgpr52_sgpr53
	s_branch .LBB91_186
.LBB91_184:                             ;   in Loop: Header=BB91_186 Depth=2
	s_or_b64 exec, exec, s[54:55]
	s_waitcnt lgkmcnt(0)
	s_barrier
	ds_read_b64 v[20:21], v11 offset:3072
	s_mov_b64 s[54:55], -1
	s_mov_b64 s[56:57], -1
	s_waitcnt lgkmcnt(0)
	s_barrier
	v_cmp_ne_u32_e32 vcc, 0, v20
	s_cbranch_vccz .LBB91_189
.LBB91_185:                             ;   in Loop: Header=BB91_186 Depth=2
	s_and_b64 s[24:25], exec, s[54:55]
	s_or_b64 s[46:47], s[24:25], s[46:47]
	s_andn2_b64 s[24:25], s[52:53], exec
	s_and_b64 s[52:53], s[56:57], exec
	s_or_b64 s[52:53], s[24:25], s[52:53]
	s_andn2_b64 exec, exec, s[46:47]
	s_cbranch_execz .LBB91_190
.LBB91_186:                             ;   Parent Loop BB91_20 Depth=1
                                        ; =>  This Inner Loop Header: Depth=2
	v_cmp_gt_u32_e32 vcc, s20, v10
	s_and_saveexec_b64 s[54:55], vcc
	s_cbranch_execz .LBB91_184
; %bb.187:                              ;   in Loop: Header=BB91_186 Depth=2
	ds_read_b32 v19, v5
	s_waitcnt lgkmcnt(0)
	v_bitop3_b32 v20, v19, v41, s85 bitop3:0x48
	v_cmp_eq_u32_e32 vcc, v20, v34
	s_and_b64 exec, exec, vcc
	s_cbranch_execz .LBB91_184
; %bb.188:                              ;   in Loop: Header=BB91_186 Depth=2
	ds_write_b64 v11, v[18:19] offset:3072
	s_branch .LBB91_184
.LBB91_189:                             ;   in Loop: Header=BB91_186 Depth=2
	v_add_u32_e32 v10, s67, v10
	v_cmp_le_u32_e32 vcc, s21, v10
	v_add_u32_e32 v5, s70, v5
	s_mov_b64 s[56:57], 0
	s_orn2_b64 s[54:55], vcc, exec
	s_branch .LBB91_185
.LBB91_190:                             ;   in Loop: Header=BB91_20 Depth=1
	s_or_b64 exec, exec, s[46:47]
	s_and_b64 s[46:47], s[52:53], exec
.LBB91_191:                             ;   in Loop: Header=BB91_20 Depth=1
	s_or_b64 exec, exec, s[50:51]
.LBB91_192:                             ;   in Loop: Header=BB91_20 Depth=1
	s_and_b64 vcc, exec, s[48:49]
	s_cbranch_vccz .LBB91_203
; %bb.193:                              ;   in Loop: Header=BB91_20 Depth=1
                                        ; implicit-def: $vgpr21
	s_mov_b64 s[38:39], exec
	v_readlane_b32 s20, v70, 30
	v_readlane_b32 s21, v70, 31
	s_and_b64 s[20:21], s[38:39], s[20:21]
	s_mov_b64 exec, s[20:21]
	s_cbranch_execz .LBB91_202
; %bb.194:                              ;   in Loop: Header=BB91_20 Depth=1
	s_mov_b64 s[40:41], 0
	v_mov_b32_e32 v10, v8
	v_mov_b32_e32 v5, v0
                                        ; implicit-def: $sgpr48_sgpr49
	s_branch .LBB91_197
.LBB91_195:                             ;   in Loop: Header=BB91_197 Depth=2
	s_or_b64 exec, exec, s[50:51]
	s_waitcnt lgkmcnt(0)
	s_barrier
	ds_read_b64 v[20:21], v11 offset:3072
	s_mov_b64 s[50:51], -1
	s_mov_b64 s[52:53], -1
	s_waitcnt lgkmcnt(0)
	s_barrier
	v_cmp_eq_u32_e32 vcc, 0, v20
	s_cbranch_vccnz .LBB91_200
.LBB91_196:                             ;   in Loop: Header=BB91_197 Depth=2
	s_and_b64 s[20:21], exec, s[50:51]
	s_or_b64 s[40:41], s[20:21], s[40:41]
	s_andn2_b64 s[20:21], s[48:49], exec
	s_and_b64 s[24:25], s[52:53], exec
	s_or_b64 s[48:49], s[20:21], s[24:25]
	s_andn2_b64 exec, exec, s[40:41]
	s_cbranch_execz .LBB91_201
.LBB91_197:                             ;   Parent Loop BB91_20 Depth=1
                                        ; =>  This Inner Loop Header: Depth=2
	v_cmp_gt_u32_e32 vcc, s64, v5
	s_and_saveexec_b64 s[50:51], vcc
	s_cbranch_execz .LBB91_195
; %bb.198:                              ;   in Loop: Header=BB91_197 Depth=2
	v_lshl_add_u64 v[20:21], v[10:11], 2, v[6:7]
	global_load_dword v19, v[20:21], off
	s_waitcnt vmcnt(0)
	v_bitop3_b32 v20, v19, v41, s85 bitop3:0x48
	v_cmp_eq_u32_e32 vcc, v20, v34
	s_and_b64 exec, exec, vcc
	s_cbranch_execz .LBB91_195
; %bb.199:                              ;   in Loop: Header=BB91_197 Depth=2
	ds_write_b64 v11, v[18:19] offset:3072
	s_branch .LBB91_195
.LBB91_200:                             ;   in Loop: Header=BB91_197 Depth=2
	v_add_u32_e32 v5, s67, v5
	v_cmp_le_u32_e32 vcc, s9, v5
	v_add_u32_e32 v10, s88, v10
	s_mov_b64 s[52:53], 0
	s_orn2_b64 s[50:51], vcc, exec
	s_branch .LBB91_196
.LBB91_201:                             ;   in Loop: Header=BB91_20 Depth=1
	s_or_b64 exec, exec, s[40:41]
	s_andn2_b64 s[20:21], s[46:47], exec
	s_and_b64 s[24:25], s[48:49], exec
	s_or_b64 s[46:47], s[20:21], s[24:25]
.LBB91_202:                             ;   in Loop: Header=BB91_20 Depth=1
	s_or_b64 exec, exec, s[38:39]
	s_mov_b64 s[38:39], 0
	s_mov_b64 s[40:41], -1
.LBB91_203:                             ;   in Loop: Header=BB91_20 Depth=1
	s_orn2_b64 s[46:47], s[46:47], exec
.LBB91_204:                             ;   in Loop: Header=BB91_20 Depth=1
	s_or_b64 exec, exec, s[42:43]
	s_mov_b64 s[48:49], 0
	s_and_saveexec_b64 s[42:43], s[46:47]
	s_cbranch_execz .LBB91_254
; %bb.205:                              ;   in Loop: Header=BB91_20 Depth=1
	s_xor_b64 s[20:21], s[44:45], -1
	s_mov_b64 s[52:53], 0
	v_mov_b32_e32 v5, 1
	v_mov_b32_e32 v3, 1
	s_and_saveexec_b64 s[44:45], s[20:21]
	s_cbranch_execz .LBB91_214
; %bb.206:                              ;   in Loop: Header=BB91_20 Depth=1
	v_cmp_ge_u32_e32 vcc, s58, v42
	s_and_saveexec_b64 s[20:21], vcc
	s_xor_b64 s[46:47], exec, s[20:21]
	s_cbranch_execz .LBB91_211
; %bb.207:                              ;   in Loop: Header=BB91_20 Depth=1
	ds_read_b32 v3, v11 offset:4104
	v_and_b32_e32 v4, v34, v4
	v_lshl_or_b32 v34, 2, v38, v4
	v_or_b32_e32 v41, v41, v2
	s_waitcnt lgkmcnt(0)
	v_cmp_ne_u32_e32 vcc, 0, v3
	s_cbranch_vccnz .LBB91_211
; %bb.208:                              ;   in Loop: Header=BB91_20 Depth=1
	s_and_saveexec_b64 s[48:49], s[22:23]
; %bb.209:                              ;   in Loop: Header=BB91_20 Depth=1
	v_mov_b32_e32 v3, s58
	ds_write_b32 v11, v3 offset:4108
; %bb.210:                              ;   in Loop: Header=BB91_20 Depth=1
	s_or_b64 exec, exec, s[48:49]
	s_waitcnt lgkmcnt(0)
	s_barrier
.LBB91_211:                             ;   in Loop: Header=BB91_20 Depth=1
	s_or_saveexec_b64 s[46:47], s[46:47]
	s_mov_b64 s[48:49], 0
	v_mov_b32_e32 v3, 8
	s_xor_b64 exec, exec, s[46:47]
; %bb.212:                              ;   in Loop: Header=BB91_20 Depth=1
	s_mov_b64 s[48:49], exec
	v_subrev_u32_e32 v42, s58, v42
	v_mov_b32_e32 v3, 0
; %bb.213:                              ;   in Loop: Header=BB91_20 Depth=1
	s_or_b64 exec, exec, s[46:47]
	s_and_b64 s[52:53], s[48:49], exec
	v_mov_b32_e32 v5, v42
.LBB91_214:                             ;   in Loop: Header=BB91_20 Depth=1
	s_or_b64 exec, exec, s[44:45]
	s_mov_b64 s[50:51], -1
                                        ; implicit-def: $sgpr48_sgpr49
                                        ; implicit-def: $sgpr46_sgpr47
	s_and_saveexec_b64 s[44:45], s[52:53]
	s_cbranch_execz .LBB91_253
; %bb.215:                              ;   in Loop: Header=BB91_20 Depth=1
	s_cmp_eq_u32 s76, 1
	s_cselect_b64 s[20:21], -1, 0
	v_cmp_eq_u32_e32 vcc, 1, v5
	s_and_b64 s[50:51], s[20:21], vcc
	s_mov_b64 s[54:55], -1
                                        ; implicit-def: $sgpr48_sgpr49
                                        ; implicit-def: $sgpr46_sgpr47
	s_and_saveexec_b64 s[52:53], s[50:51]
	s_cbranch_execz .LBB91_241
; %bb.216:                              ;   in Loop: Header=BB91_20 Depth=1
	ds_read_b32 v4, v11 offset:4104
	s_waitcnt lgkmcnt(0)
	s_barrier
	v_readfirstlane_b32 s20, v4
	s_and_saveexec_b64 s[46:47], s[6:7]
; %bb.217:                              ;   in Loop: Header=BB91_20 Depth=1
	ds_write_b32 v23, v11
; %bb.218:                              ;   in Loop: Header=BB91_20 Depth=1
	s_or_b64 exec, exec, s[46:47]
	v_or_b32_e32 v34, v34, v2
	v_or_b32_e32 v41, v41, v2
	s_mov_b64 s[46:47], -1
	s_mov_b64 s[48:49], 0
	s_cmp_eq_u32 s20, 0
	s_mov_b64 s[54:55], 0
	s_mov_b64 s[56:57], -1
	s_waitcnt lgkmcnt(0)
	s_barrier
                                        ; implicit-def: $vgpr21
	s_cbranch_scc1 .LBB91_229
; %bb.219:                              ;   in Loop: Header=BB91_20 Depth=1
	s_add_i32 s21, s20, s68
	s_mul_hi_u32 s24, s21, s93
	s_mul_i32 s24, s24, s67
	s_sub_i32 s24, s21, s24
	s_sub_i32 s25, s24, s67
	s_cmp_ge_u32 s24, s67
	s_cselect_b32 s24, s25, s24
	s_sub_i32 s25, s24, s67
	s_cmp_ge_u32 s24, s67
	s_cselect_b32 s24, s25, s24
	s_sub_i32 s21, s21, s24
	v_cmp_gt_u32_e32 vcc, s21, v0
	s_mov_b64 s[56:57], 0
                                        ; implicit-def: $vgpr21
	s_and_saveexec_b64 s[58:59], vcc
	s_cbranch_execz .LBB91_228
; %bb.220:                              ;   in Loop: Header=BB91_20 Depth=1
	v_mov_b32_e32 v4, v15
	v_mov_b32_e32 v10, v0
                                        ; implicit-def: $sgpr60_sgpr61
	s_branch .LBB91_223
.LBB91_221:                             ;   in Loop: Header=BB91_223 Depth=2
	s_or_b64 exec, exec, s[62:63]
	s_waitcnt lgkmcnt(0)
	s_barrier
	ds_read_b64 v[20:21], v11 offset:3072
	s_mov_b64 s[62:63], -1
	s_mov_b64 s[74:75], -1
	s_waitcnt lgkmcnt(0)
	s_barrier
	v_cmp_ne_u32_e32 vcc, 0, v20
	s_cbranch_vccz .LBB91_226
.LBB91_222:                             ;   in Loop: Header=BB91_223 Depth=2
	s_and_b64 s[24:25], exec, s[62:63]
	s_or_b64 s[54:55], s[24:25], s[54:55]
	s_andn2_b64 s[24:25], s[60:61], exec
	s_and_b64 s[60:61], s[74:75], exec
	s_or_b64 s[60:61], s[24:25], s[60:61]
	s_andn2_b64 exec, exec, s[54:55]
	s_cbranch_execz .LBB91_227
.LBB91_223:                             ;   Parent Loop BB91_20 Depth=1
                                        ; =>  This Inner Loop Header: Depth=2
	v_cmp_gt_u32_e32 vcc, s20, v10
	s_and_saveexec_b64 s[62:63], vcc
	s_cbranch_execz .LBB91_221
; %bb.224:                              ;   in Loop: Header=BB91_223 Depth=2
	ds_read_b32 v19, v4
	s_waitcnt lgkmcnt(0)
	v_bitop3_b32 v20, v19, v41, s85 bitop3:0x48
	v_cmp_eq_u32_e32 vcc, v20, v34
	s_and_b64 exec, exec, vcc
	s_cbranch_execz .LBB91_221
; %bb.225:                              ;   in Loop: Header=BB91_223 Depth=2
	ds_write_b64 v11, v[18:19] offset:3072
	s_branch .LBB91_221
.LBB91_226:                             ;   in Loop: Header=BB91_223 Depth=2
	v_add_u32_e32 v10, s67, v10
	v_cmp_le_u32_e32 vcc, s21, v10
	v_add_u32_e32 v4, s70, v4
	s_mov_b64 s[74:75], 0
	s_orn2_b64 s[62:63], vcc, exec
	s_branch .LBB91_222
.LBB91_227:                             ;   in Loop: Header=BB91_20 Depth=1
	s_or_b64 exec, exec, s[54:55]
	s_and_b64 s[54:55], s[60:61], exec
.LBB91_228:                             ;   in Loop: Header=BB91_20 Depth=1
	s_or_b64 exec, exec, s[58:59]
.LBB91_229:                             ;   in Loop: Header=BB91_20 Depth=1
	s_and_b64 vcc, exec, s[56:57]
	s_cbranch_vccz .LBB91_240
; %bb.230:                              ;   in Loop: Header=BB91_20 Depth=1
                                        ; implicit-def: $vgpr21
	s_mov_b64 s[46:47], exec
	v_readlane_b32 s20, v70, 30
	v_readlane_b32 s21, v70, 31
	s_and_b64 s[20:21], s[46:47], s[20:21]
	s_mov_b64 exec, s[20:21]
	s_cbranch_execz .LBB91_239
; %bb.231:                              ;   in Loop: Header=BB91_20 Depth=1
	s_mov_b64 s[48:49], 0
	v_mov_b32_e32 v10, v8
	v_mov_b32_e32 v4, v0
                                        ; implicit-def: $sgpr56_sgpr57
	s_branch .LBB91_234
.LBB91_232:                             ;   in Loop: Header=BB91_234 Depth=2
	s_or_b64 exec, exec, s[58:59]
	s_waitcnt lgkmcnt(0)
	s_barrier
	ds_read_b64 v[20:21], v11 offset:3072
	s_mov_b64 s[58:59], -1
	s_mov_b64 s[60:61], -1
	s_waitcnt lgkmcnt(0)
	s_barrier
	v_cmp_eq_u32_e32 vcc, 0, v20
	s_cbranch_vccnz .LBB91_237
.LBB91_233:                             ;   in Loop: Header=BB91_234 Depth=2
	s_and_b64 s[20:21], exec, s[58:59]
	s_or_b64 s[48:49], s[20:21], s[48:49]
	s_andn2_b64 s[20:21], s[56:57], exec
	s_and_b64 s[24:25], s[60:61], exec
	s_or_b64 s[56:57], s[20:21], s[24:25]
	s_andn2_b64 exec, exec, s[48:49]
	s_cbranch_execz .LBB91_238
.LBB91_234:                             ;   Parent Loop BB91_20 Depth=1
                                        ; =>  This Inner Loop Header: Depth=2
	v_cmp_gt_u32_e32 vcc, s64, v4
	s_and_saveexec_b64 s[58:59], vcc
	s_cbranch_execz .LBB91_232
; %bb.235:                              ;   in Loop: Header=BB91_234 Depth=2
	v_lshl_add_u64 v[20:21], v[10:11], 2, v[6:7]
	global_load_dword v19, v[20:21], off
	s_waitcnt vmcnt(0)
	v_bitop3_b32 v20, v19, v41, s85 bitop3:0x48
	v_cmp_eq_u32_e32 vcc, v20, v34
	s_and_b64 exec, exec, vcc
	s_cbranch_execz .LBB91_232
; %bb.236:                              ;   in Loop: Header=BB91_234 Depth=2
	ds_write_b64 v11, v[18:19] offset:3072
	s_branch .LBB91_232
.LBB91_237:                             ;   in Loop: Header=BB91_234 Depth=2
	v_add_u32_e32 v4, s67, v4
	v_cmp_le_u32_e32 vcc, s9, v4
	v_add_u32_e32 v10, s88, v10
	s_mov_b64 s[60:61], 0
	s_orn2_b64 s[58:59], vcc, exec
	s_branch .LBB91_233
.LBB91_238:                             ;   in Loop: Header=BB91_20 Depth=1
	s_or_b64 exec, exec, s[48:49]
	s_andn2_b64 s[20:21], s[54:55], exec
	s_and_b64 s[24:25], s[56:57], exec
	s_or_b64 s[54:55], s[20:21], s[24:25]
.LBB91_239:                             ;   in Loop: Header=BB91_20 Depth=1
	s_or_b64 exec, exec, s[46:47]
	s_mov_b64 s[46:47], 0
	s_mov_b64 s[48:49], -1
.LBB91_240:                             ;   in Loop: Header=BB91_20 Depth=1
	s_orn2_b64 s[54:55], s[54:55], exec
.LBB91_241:                             ;   in Loop: Header=BB91_20 Depth=1
	s_or_b64 exec, exec, s[52:53]
	s_mov_b64 s[56:57], 0
	s_and_saveexec_b64 s[52:53], s[54:55]
	s_cbranch_execz .LBB91_252
; %bb.242:                              ;   in Loop: Header=BB91_20 Depth=1
	s_xor_b64 s[20:21], s[50:51], -1
	v_mov_b32_e32 v3, 1
	v_mov_b32_e32 v4, 1
	s_and_saveexec_b64 s[50:51], s[20:21]
	s_cbranch_execz .LBB91_251
; %bb.243:                              ;   in Loop: Header=BB91_20 Depth=1
	v_cmp_ge_u32_e32 vcc, s76, v5
	s_and_saveexec_b64 s[20:21], vcc
	s_xor_b64 s[54:55], exec, s[20:21]
	s_cbranch_execz .LBB91_248
; %bb.244:                              ;   in Loop: Header=BB91_20 Depth=1
	ds_read_b32 v3, v11 offset:4104
	v_or_b32_e32 v34, v34, v2
	v_or_b32_e32 v41, v41, v2
	s_waitcnt lgkmcnt(0)
	v_cmp_ne_u32_e32 vcc, 0, v3
	s_cbranch_vccnz .LBB91_248
; %bb.245:                              ;   in Loop: Header=BB91_20 Depth=1
	s_and_saveexec_b64 s[56:57], s[22:23]
; %bb.246:                              ;   in Loop: Header=BB91_20 Depth=1
	v_mov_b32_e32 v2, s76
	ds_write_b32 v11, v2 offset:4108
; %bb.247:                              ;   in Loop: Header=BB91_20 Depth=1
	s_or_b64 exec, exec, s[56:57]
	s_waitcnt lgkmcnt(0)
	s_barrier
.LBB91_248:                             ;   in Loop: Header=BB91_20 Depth=1
	s_andn2_saveexec_b64 s[54:55], s[54:55]
; %bb.249:                              ;   in Loop: Header=BB91_20 Depth=1
	v_subrev_u32_e32 v5, s76, v5
; %bb.250:                              ;   in Loop: Header=BB91_20 Depth=1
	s_or_b64 exec, exec, s[54:55]
	v_mov_b32_e32 v3, 8
	v_mov_b32_e32 v4, v5
.LBB91_251:                             ;   in Loop: Header=BB91_20 Depth=1
	s_or_b64 exec, exec, s[50:51]
	s_mov_b64 s[56:57], exec
	v_mov_b32_e32 v5, v4
.LBB91_252:                             ;   in Loop: Header=BB91_20 Depth=1
	s_or_b64 exec, exec, s[52:53]
	s_orn2_b64 s[50:51], s[56:57], exec
.LBB91_253:                             ;   in Loop: Header=BB91_20 Depth=1
	s_or_b64 exec, exec, s[44:45]
	s_andn2_b64 s[20:21], s[40:41], exec
	s_and_b64 s[24:25], s[48:49], exec
	s_or_b64 s[40:41], s[20:21], s[24:25]
	s_andn2_b64 s[20:21], s[38:39], exec
	s_and_b64 s[24:25], s[46:47], exec
	s_or_b64 s[38:39], s[20:21], s[24:25]
	s_and_b64 s[48:49], s[50:51], exec
	v_mov_b32_e32 v42, v5
.LBB91_254:                             ;   in Loop: Header=BB91_20 Depth=1
	s_or_b64 exec, exec, s[42:43]
	s_orn2_b64 s[42:43], s[48:49], exec
.LBB91_255:                             ;   in Loop: Header=BB91_20 Depth=1
	s_or_b64 exec, exec, s[36:37]
	s_andn2_b64 s[20:21], s[30:31], exec
	s_and_b64 s[24:25], s[40:41], exec
	s_or_b64 s[30:31], s[20:21], s[24:25]
	s_andn2_b64 s[20:21], s[28:29], exec
	s_and_b64 s[24:25], s[38:39], exec
	s_or_b64 s[28:29], s[20:21], s[24:25]
	s_and_b64 s[40:41], s[42:43], exec
	v_mov_b32_e32 v5, v42
.LBB91_256:                             ;   in Loop: Header=BB91_20 Depth=1
	s_or_b64 exec, exec, s[34:35]
	s_orn2_b64 s[34:35], s[40:41], exec
.LBB91_257:                             ;   in Loop: Header=BB91_20 Depth=1
	s_or_b64 exec, exec, s[26:27]
	s_mov_b64 s[36:37], 0
	s_and_saveexec_b64 s[20:21], s[34:35]
	s_xor_b64 s[26:27], exec, s[20:21]
	s_cbranch_execz .LBB91_18
; %bb.258:                              ;   in Loop: Header=BB91_20 Depth=1
	v_and_b32_e32 v2, 7, v3
	v_cmp_eq_u32_e32 vcc, 0, v2
	s_mov_b64 s[2:3], -1
	s_mov_b64 s[34:35], -1
	s_and_saveexec_b64 s[36:37], vcc
	s_cbranch_execz .LBB91_17
; %bb.259:                              ;   in Loop: Header=BB91_20 Depth=1
	v_add_u32_e32 v2, -2, v38
	v_cmp_eq_u32_e32 vcc, 0, v38
	v_xor_b32_e32 v40, 1, v40
	s_xor_b64 s[34:35], exec, -1
	s_orn2_b64 s[2:3], vcc, exec
	v_mov_b32_e32 v38, v2
	s_branch .LBB91_17
.LBB91_260:
	s_or_b64 exec, exec, s[94:95]
	s_xor_b64 s[6:7], s[72:73], -1
	s_xor_b64 s[0:1], s[96:97], -1
	;; [unrolled: 1-line block ×3, first 2 shown]
	s_mov_b64 s[2:3], 0
	s_and_saveexec_b64 s[8:9], s[0:1]
	s_xor_b64 s[0:1], exec, s[8:9]
	s_cbranch_execnz .LBB91_265
; %bb.261:
	s_andn2_saveexec_b64 s[0:1], s[0:1]
	s_cbranch_execnz .LBB91_278
.LBB91_262:
	s_or_b64 exec, exec, s[0:1]
	s_and_saveexec_b64 s[0:1], s[2:3]
.LBB91_263:
	; divergent unreachable
.LBB91_264:
	s_endpgm
.LBB91_265:
	s_and_saveexec_b64 s[2:3], s[6:7]
	s_xor_b64 s[2:3], exec, s[2:3]
	s_cbranch_execz .LBB91_276
; %bb.266:
	s_and_saveexec_b64 s[6:7], s[4:5]
	s_xor_b64 s[4:5], exec, s[6:7]
; %bb.267:
	v_xor_b32_e32 v21, 0x80000000, v34
; %bb.268:
	s_or_b64 exec, exec, s[4:5]
	v_readlane_b32 s4, v70, 0
	s_mul_i32 s4, s4, s33
	s_add_i32 s4, s4, s69
	s_mov_b32 s5, 0
	s_lshl_b64 s[4:5], s[4:5], 2
	v_readlane_b32 s6, v70, 2
	v_readlane_b32 s7, v70, 3
	s_add_u32 s4, s6, s4
	s_addc_u32 s5, s7, s5
	v_mov_b32_e32 v9, 0
	global_store_dword v9, v21, s[4:5]
	s_mov_b64 s[4:5], exec
	v_readlane_b32 s6, v70, 6
	v_readlane_b32 s7, v70, 7
	s_and_b64 s[6:7], s[4:5], s[6:7]
	s_mov_b64 exec, s[6:7]
	s_cbranch_execz .LBB91_275
; %bb.269:
	s_mov_b64 s[6:7], 0
                                        ; implicit-def: $sgpr8_sgpr9
                                        ; implicit-def: $sgpr12_sgpr13
                                        ; implicit-def: $sgpr10_sgpr11
	s_branch .LBB91_271
.LBB91_270:                             ;   in Loop: Header=BB91_271 Depth=1
	s_or_b64 exec, exec, s[14:15]
	s_and_b64 s[14:15], exec, s[12:13]
	s_or_b64 s[6:7], s[14:15], s[6:7]
	s_andn2_b64 s[8:9], s[8:9], exec
	s_and_b64 s[14:15], s[10:11], exec
	s_or_b64 s[8:9], s[8:9], s[14:15]
	s_andn2_b64 exec, exec, s[6:7]
	s_cbranch_execz .LBB91_273
.LBB91_271:                             ; =>This Inner Loop Header: Depth=1
	v_lshl_add_u64 v[2:3], v[8:9], 2, v[6:7]
	global_load_dword v1, v[2:3], off
	v_mov_b32_e32 v2, v0
	s_or_b64 s[10:11], s[10:11], exec
	s_or_b64 s[12:13], s[12:13], exec
                                        ; implicit-def: $vgpr0
	s_waitcnt vmcnt(0)
	v_cmp_ne_u32_e32 vcc, v1, v21
	s_and_saveexec_b64 s[14:15], vcc
	s_cbranch_execz .LBB91_270
; %bb.272:                              ;   in Loop: Header=BB91_271 Depth=1
	v_add_u32_e32 v0, s67, v2
	v_cmp_le_u32_e32 vcc, s64, v0
	s_andn2_b64 s[12:13], s[12:13], exec
	s_and_b64 s[16:17], vcc, exec
	v_add_u32_e32 v8, s88, v8
	s_andn2_b64 s[10:11], s[10:11], exec
	s_or_b64 s[12:13], s[12:13], s[16:17]
	s_branch .LBB91_270
.LBB91_273:
	s_or_b64 exec, exec, s[6:7]
	s_and_saveexec_b64 s[6:7], s[8:9]
	s_xor_b64 s[6:7], exec, s[6:7]
	s_cbranch_execz .LBB91_275
; %bb.274:
	v_readlane_b32 s6, v70, 1
	s_mul_i32 s6, s6, s65
	s_add_i32 s6, s6, s71
	s_mov_b32 s7, 0
	s_lshl_b64 s[6:7], s[6:7], 3
	v_readlane_b32 s8, v70, 4
	v_readlane_b32 s9, v70, 5
	s_add_u32 s6, s8, s6
	s_addc_u32 s7, s9, s7
	v_mov_b32_e32 v3, 0
	global_store_dwordx2 v3, v[2:3], s[6:7]
.LBB91_275:
	s_or_b64 exec, exec, s[4:5]
.LBB91_276:
	s_or_saveexec_b64 s[2:3], s[2:3]
	s_mov_b64 s[4:5], 0
	s_xor_b64 exec, exec, s[2:3]
	s_cbranch_execnz .LBB91_279
.LBB91_277:
	s_or_b64 exec, exec, s[2:3]
	s_and_b64 s[2:3], s[4:5], exec
	s_andn2_saveexec_b64 s[0:1], s[0:1]
	s_cbranch_execz .LBB91_262
.LBB91_278:
	s_or_b64 s[2:3], s[2:3], exec
	s_trap 2
	s_or_b64 exec, exec, s[0:1]
	s_and_saveexec_b64 s[0:1], s[2:3]
	s_cbranch_execnz .LBB91_263
	s_branch .LBB91_264
.LBB91_279:
	s_mov_b64 s[4:5], exec
	s_trap 2
	s_branch .LBB91_277
	.section	.rodata,"a",@progbits
	.p2align	6, 0x0
	.amdhsa_kernel _ZN2at6native12_GLOBAL__N_112gatherMedianIijLin1EEEvNS_4cuda6detail10TensorInfoIT_T0_EENS5_IlS7_EENS5_IKS6_S7_EES7_S7_S7_b
		.amdhsa_group_segment_fixed_size 4120
		.amdhsa_private_segment_fixed_size 0
		.amdhsa_kernarg_size 920
		.amdhsa_user_sgpr_count 2
		.amdhsa_user_sgpr_dispatch_ptr 0
		.amdhsa_user_sgpr_queue_ptr 0
		.amdhsa_user_sgpr_kernarg_segment_ptr 1
		.amdhsa_user_sgpr_dispatch_id 0
		.amdhsa_user_sgpr_kernarg_preload_length 0
		.amdhsa_user_sgpr_kernarg_preload_offset 0
		.amdhsa_user_sgpr_private_segment_size 0
		.amdhsa_uses_dynamic_stack 0
		.amdhsa_enable_private_segment 0
		.amdhsa_system_sgpr_workgroup_id_x 1
		.amdhsa_system_sgpr_workgroup_id_y 1
		.amdhsa_system_sgpr_workgroup_id_z 1
		.amdhsa_system_sgpr_workgroup_info 0
		.amdhsa_system_vgpr_workitem_id 0
		.amdhsa_next_free_vgpr 71
		.amdhsa_next_free_sgpr 100
		.amdhsa_accum_offset 72
		.amdhsa_reserve_vcc 1
		.amdhsa_float_round_mode_32 0
		.amdhsa_float_round_mode_16_64 0
		.amdhsa_float_denorm_mode_32 3
		.amdhsa_float_denorm_mode_16_64 3
		.amdhsa_dx10_clamp 1
		.amdhsa_ieee_mode 1
		.amdhsa_fp16_overflow 0
		.amdhsa_tg_split 0
		.amdhsa_exception_fp_ieee_invalid_op 0
		.amdhsa_exception_fp_denorm_src 0
		.amdhsa_exception_fp_ieee_div_zero 0
		.amdhsa_exception_fp_ieee_overflow 0
		.amdhsa_exception_fp_ieee_underflow 0
		.amdhsa_exception_fp_ieee_inexact 0
		.amdhsa_exception_int_div_zero 0
	.end_amdhsa_kernel
	.section	.text._ZN2at6native12_GLOBAL__N_112gatherMedianIijLin1EEEvNS_4cuda6detail10TensorInfoIT_T0_EENS5_IlS7_EENS5_IKS6_S7_EES7_S7_S7_b,"axG",@progbits,_ZN2at6native12_GLOBAL__N_112gatherMedianIijLin1EEEvNS_4cuda6detail10TensorInfoIT_T0_EENS5_IlS7_EENS5_IKS6_S7_EES7_S7_S7_b,comdat
.Lfunc_end91:
	.size	_ZN2at6native12_GLOBAL__N_112gatherMedianIijLin1EEEvNS_4cuda6detail10TensorInfoIT_T0_EENS5_IlS7_EENS5_IKS6_S7_EES7_S7_S7_b, .Lfunc_end91-_ZN2at6native12_GLOBAL__N_112gatherMedianIijLin1EEEvNS_4cuda6detail10TensorInfoIT_T0_EENS5_IlS7_EENS5_IKS6_S7_EES7_S7_S7_b
                                        ; -- End function
	.set _ZN2at6native12_GLOBAL__N_112gatherMedianIijLin1EEEvNS_4cuda6detail10TensorInfoIT_T0_EENS5_IlS7_EENS5_IKS6_S7_EES7_S7_S7_b.num_vgpr, 71
	.set _ZN2at6native12_GLOBAL__N_112gatherMedianIijLin1EEEvNS_4cuda6detail10TensorInfoIT_T0_EENS5_IlS7_EENS5_IKS6_S7_EES7_S7_S7_b.num_agpr, 0
	.set _ZN2at6native12_GLOBAL__N_112gatherMedianIijLin1EEEvNS_4cuda6detail10TensorInfoIT_T0_EENS5_IlS7_EENS5_IKS6_S7_EES7_S7_S7_b.numbered_sgpr, 100
	.set _ZN2at6native12_GLOBAL__N_112gatherMedianIijLin1EEEvNS_4cuda6detail10TensorInfoIT_T0_EENS5_IlS7_EENS5_IKS6_S7_EES7_S7_S7_b.num_named_barrier, 0
	.set _ZN2at6native12_GLOBAL__N_112gatherMedianIijLin1EEEvNS_4cuda6detail10TensorInfoIT_T0_EENS5_IlS7_EENS5_IKS6_S7_EES7_S7_S7_b.private_seg_size, 0
	.set _ZN2at6native12_GLOBAL__N_112gatherMedianIijLin1EEEvNS_4cuda6detail10TensorInfoIT_T0_EENS5_IlS7_EENS5_IKS6_S7_EES7_S7_S7_b.uses_vcc, 1
	.set _ZN2at6native12_GLOBAL__N_112gatherMedianIijLin1EEEvNS_4cuda6detail10TensorInfoIT_T0_EENS5_IlS7_EENS5_IKS6_S7_EES7_S7_S7_b.uses_flat_scratch, 0
	.set _ZN2at6native12_GLOBAL__N_112gatherMedianIijLin1EEEvNS_4cuda6detail10TensorInfoIT_T0_EENS5_IlS7_EENS5_IKS6_S7_EES7_S7_S7_b.has_dyn_sized_stack, 0
	.set _ZN2at6native12_GLOBAL__N_112gatherMedianIijLin1EEEvNS_4cuda6detail10TensorInfoIT_T0_EENS5_IlS7_EENS5_IKS6_S7_EES7_S7_S7_b.has_recursion, 0
	.set _ZN2at6native12_GLOBAL__N_112gatherMedianIijLin1EEEvNS_4cuda6detail10TensorInfoIT_T0_EENS5_IlS7_EENS5_IKS6_S7_EES7_S7_S7_b.has_indirect_call, 0
	.section	.AMDGPU.csdata,"",@progbits
; Kernel info:
; codeLenInByte = 10816
; TotalNumSgprs: 106
; NumVgprs: 71
; NumAgprs: 0
; TotalNumVgprs: 71
; ScratchSize: 0
; MemoryBound: 0
; FloatMode: 240
; IeeeMode: 1
; LDSByteSize: 4120 bytes/workgroup (compile time only)
; SGPRBlocks: 13
; VGPRBlocks: 8
; NumSGPRsForWavesPerEU: 106
; NumVGPRsForWavesPerEU: 71
; AccumOffset: 72
; Occupancy: 7
; WaveLimiterHint : 1
; COMPUTE_PGM_RSRC2:SCRATCH_EN: 0
; COMPUTE_PGM_RSRC2:USER_SGPR: 2
; COMPUTE_PGM_RSRC2:TRAP_HANDLER: 0
; COMPUTE_PGM_RSRC2:TGID_X_EN: 1
; COMPUTE_PGM_RSRC2:TGID_Y_EN: 1
; COMPUTE_PGM_RSRC2:TGID_Z_EN: 1
; COMPUTE_PGM_RSRC2:TIDIG_COMP_CNT: 0
; COMPUTE_PGM_RSRC3_GFX90A:ACCUM_OFFSET: 17
; COMPUTE_PGM_RSRC3_GFX90A:TG_SPLIT: 0
	.section	.text._ZN2at6native12_GLOBAL__N_112gatherMedianIimLi1EEEvNS_4cuda6detail10TensorInfoIT_T0_EENS5_IlS7_EENS5_IKS6_S7_EES7_S7_S7_b,"axG",@progbits,_ZN2at6native12_GLOBAL__N_112gatherMedianIimLi1EEEvNS_4cuda6detail10TensorInfoIT_T0_EENS5_IlS7_EENS5_IKS6_S7_EES7_S7_S7_b,comdat
	.globl	_ZN2at6native12_GLOBAL__N_112gatherMedianIimLi1EEEvNS_4cuda6detail10TensorInfoIT_T0_EENS5_IlS7_EENS5_IKS6_S7_EES7_S7_S7_b ; -- Begin function _ZN2at6native12_GLOBAL__N_112gatherMedianIimLi1EEEvNS_4cuda6detail10TensorInfoIT_T0_EENS5_IlS7_EENS5_IKS6_S7_EES7_S7_S7_b
	.p2align	8
	.type	_ZN2at6native12_GLOBAL__N_112gatherMedianIimLi1EEEvNS_4cuda6detail10TensorInfoIT_T0_EENS5_IlS7_EENS5_IKS6_S7_EES7_S7_S7_b,@function
_ZN2at6native12_GLOBAL__N_112gatherMedianIimLi1EEEvNS_4cuda6detail10TensorInfoIT_T0_EENS5_IlS7_EENS5_IKS6_S7_EES7_S7_S7_b: ; @_ZN2at6native12_GLOBAL__N_112gatherMedianIimLi1EEEvNS_4cuda6detail10TensorInfoIT_T0_EENS5_IlS7_EENS5_IKS6_S7_EES7_S7_S7_b
; %bb.0:
	s_load_dwordx2 s[8:9], s[0:1], 0x500
	s_load_dwordx4 s[56:59], s[0:1], 0x4e0
	s_add_u32 s10, s0, 0x500
	s_addc_u32 s11, s1, 0
	s_mov_b32 s19, 0
	s_waitcnt lgkmcnt(0)
	s_mul_i32 s4, s9, s4
	s_add_i32 s3, s4, s3
	s_mul_i32 s3, s3, s8
	s_add_i32 s18, s3, s2
	v_mov_b64_e32 v[2:3], s[18:19]
	v_cmp_le_u64_e32 vcc, s[58:59], v[2:3]
	s_cbranch_vccnz .LBB92_277
; %bb.1:
	s_load_dwordx2 s[68:69], s[0:1], 0x4f0
	s_load_dwordx2 s[6:7], s[0:1], 0x410
	;; [unrolled: 1-line block ×3, first 2 shown]
	v_cmp_eq_u32_e64 s[14:15], 0, v0
	s_mov_b64 s[12:13], exec
                                        ; implicit-def: $vgpr62 : SGPR spill to VGPR lane
	s_nop 0
	v_writelane_b32 v62, s14, 0
	s_nop 1
	v_writelane_b32 v62, s15, 1
	s_and_b64 s[14:15], s[12:13], s[14:15]
	s_mov_b64 exec, s[14:15]
; %bb.2:
	v_mov_b32_e32 v2, 0
	v_mov_b32_e32 v3, v2
	ds_write_b64 v2, v[2:3] offset:5136
; %bb.3:
	s_or_b64 exec, exec, s[12:13]
	s_load_dwordx2 s[12:13], s[0:1], 0x270
	v_mov_b32_e32 v3, 0
	s_waitcnt lgkmcnt(0)
	s_barrier
	v_writelane_b32 v62, s12, 2
	s_barrier
	s_nop 0
	v_writelane_b32 v62, s13, 3
	s_load_dwordx2 s[12:13], s[0:1], 0x1a0
	s_waitcnt lgkmcnt(0)
	ds_read_b64 v[4:5], v3 offset:5136
	v_writelane_b32 v62, s12, 4
	s_nop 1
	v_writelane_b32 v62, s13, 5
	s_load_dwordx2 s[12:13], s[0:1], 0xd0
	s_waitcnt lgkmcnt(0)
	v_writelane_b32 v62, s12, 6
	s_nop 1
	v_writelane_b32 v62, s13, 7
	s_load_dwordx2 s[12:13], s[0:1], 0x0
	s_waitcnt lgkmcnt(0)
	v_writelane_b32 v62, s12, 8
	s_nop 1
	v_writelane_b32 v62, s13, 9
	v_readfirstlane_b32 s12, v4
	v_readfirstlane_b32 s13, v5
	s_mov_b64 s[14:15], exec
	v_readlane_b32 s16, v62, 0
	v_readlane_b32 s17, v62, 1
	s_and_b64 s[16:17], s[14:15], s[16:17]
	s_mov_b64 exec, s[16:17]
	s_cbranch_execz .LBB92_5
; %bb.4:
	v_mov_b32_e32 v4, s56
	v_mov_b32_e32 v5, s57
	;; [unrolled: 1-line block ×3, first 2 shown]
	ds_write_b32 v3, v3 offset:5144
	ds_write_b128 v3, v[2:5] offset:5120
.LBB92_5:
	s_or_b64 exec, exec, s[14:15]
	s_load_dword s3, s[0:1], 0x4f8
	v_cmp_lt_i64_e64 s[0:1], s[12:13], 1
	s_mul_i32 s7, s7, s18
	v_mov_b32_e32 v1, v3
	v_mbcnt_lo_u32_b32 v2, -1, 0
	s_waitcnt lgkmcnt(0)
	s_bitcmp1_b32 s3, 0
	s_cselect_b64 s[14:15], -1, 0
	s_not_b64 s[12:13], s[12:13]
	s_or_b64 s[0:1], s[14:15], s[0:1]
	s_add_u32 s12, s56, s12
	s_addc_u32 s13, s57, s13
	s_lshr_b64 s[12:13], s[12:13], 1
	s_add_u32 s3, s12, 1
	s_addc_u32 s9, s13, 0
	s_and_b64 s[0:1], s[0:1], exec
	s_mul_hi_u32 s0, s6, s18
	s_cselect_b32 s13, s9, s57
	s_cselect_b32 s12, s3, s56
	s_add_i32 s1, s0, s7
	s_mov_b32 s0, s18
	v_writelane_b32 v62, s0, 10
	v_mbcnt_hi_u32_b32 v38, -1, v2
	v_cmp_gt_u32_e32 vcc, 64, v0
	v_writelane_b32 v62, s1, 11
	s_mul_i32 s0, s6, s18
	s_lshl_b64 s[0:1], s[0:1], 2
	s_add_u32 s60, s4, s0
	s_addc_u32 s61, s5, s1
	v_cmp_gt_u64_e64 s[0:1], s[56:57], v[0:1]
	v_mov_b64_e32 v[4:5], 0x300
	s_nop 0
	v_writelane_b32 v62, s0, 12
	s_barrier
	s_nop 0
	v_writelane_b32 v62, s1, 13
	v_cmp_gt_i32_e64 s[0:1], 4, v38
	s_and_b64 s[72:73], vcc, s[0:1]
	v_cmp_gt_u32_e64 s[0:1], 2, v0
	v_mov_b32_e32 v9, -1
	v_not_b32_e32 v8, v0
	v_writelane_b32 v62, s0, 14
	v_lshlrev_b32_e32 v42, 4, v0
	s_mov_b32 s75, 0
	v_writelane_b32 v62, s1, 15
	v_cmp_gt_u64_e64 s[0:1], s[56:57], v[4:5]
	v_lshlrev_b32_e32 v14, 2, v0
	v_cmp_eq_u32_e64 s[4:5], 0, v38
	v_writelane_b32 v62, s0, 16
	v_add_u32_e32 v39, 0xc00, v14
	v_mov_b32_e32 v15, v3
	v_writelane_b32 v62, s1, 17
	v_mad_u64_u32 v[4:5], s[0:1], s68, v0, 0
	v_mov_b32_e32 v2, v5
	v_mad_u64_u32 v[6:7], s[0:1], s69, v0, v[2:3]
	s_load_dword s0, s[10:11], 0xc
	v_lshlrev_b32_e32 v2, 2, v38
	v_and_b32_e32 v40, 0x100, v2
	v_lshrrev_b32_e32 v2, 1, v0
	v_and_b32_e32 v2, 0x1e0, v2
	s_waitcnt lgkmcnt(0)
	s_and_b32 s70, s0, 0xffff
	s_bfe_u32 s0, s0, 0xa0006
	v_mov_b32_e32 v5, v6
	v_lshlrev_b64 v[6:7], v38, -1
	s_cmp_gt_u32 s70, 63
	v_or_b32_e32 v41, 0xc00, v2
	v_add_u32_e32 v2, 2, v0
	v_not_b32_e32 v16, v6
	s_cselect_b64 s[6:7], -1, 0
	s_add_u32 s3, s70, -1
	v_mov_b32_e32 v6, s57
	v_cmp_gt_u64_e32 vcc, s[56:57], v[2:3]
	v_not_b32_e32 v17, v7
	v_writelane_b32 v62, s6, 18
	s_addc_u32 s1, 0, -1
	v_cndmask_b32_e32 v7, 0, v6, vcc
	v_mov_b32_e32 v6, s56
	v_writelane_b32 v62, s7, 19
	s_add_u32 s33, s3, s56
	v_cndmask_b32_e32 v6, v2, v6, vcc
	v_writelane_b32 v62, s3, 20
	s_addc_u32 s83, s1, s57
	v_lshl_add_u64 v[6:7], v[6:7], 0, v[8:9]
	v_writelane_b32 v62, s1, 21
	s_cmp_lt_u32 s2, s8
	v_cmp_lt_u64_e64 s[2:3], 1, v[6:7]
	s_cselect_b32 s1, 12, 18
	v_and_b32_e32 v18, -2, v6
	v_writelane_b32 v62, s2, 22
	v_mov_b32_e32 v19, v7
	s_add_u32 s80, s10, s1
	v_writelane_b32 v62, s3, 23
	v_cmp_ne_u64_e64 s[2:3], v[6:7], v[18:19]
	s_addc_u32 s81, s11, 0
	s_add_i32 s1, s0, -1
	v_writelane_b32 v62, s2, 24
	s_and_b32 s1, s1, 0xffff
	v_or_b32_e32 v6, 12, v42
	v_writelane_b32 v62, s3, 25
	s_bfe_u32 s2, s70, 0x30006
	s_cmp_gt_u32 s1, 6
	s_cselect_b64 s[8:9], -1, 0
	v_writelane_b32 v62, s8, 26
	s_and_b32 s7, s0, 0x3f8
	s_cmp_lg_u32 s2, 0
	v_writelane_b32 v62, s9, 27
	v_writelane_b32 v62, s2, 28
	s_cselect_b64 s[0:1], -1, 0
	v_writelane_b32 v62, s0, 29
	v_lshl_add_u64 v[12:13], v[4:5], 2, s[60:61]
	s_mov_b32 s71, s75
	v_writelane_b32 v62, s1, 30
	s_lshl_b64 s[0:1], s[68:69], 2
	v_writelane_b32 v62, s0, 31
	v_lshl_add_u64 v[20:21], v[18:19], 0, v[0:1]
	s_mov_b32 s6, s68
	v_writelane_b32 v62, s1, 32
	v_mad_u64_u32 v[22:23], s[0:1], s68, v6, 0
	v_mov_b32_e32 v2, v23
	v_mad_u64_u32 v[6:7], s[0:1], s69, v6, v[2:3]
	v_mov_b32_e32 v23, v6
	v_or_b32_e32 v6, 8, v42
	v_mad_u64_u32 v[24:25], s[0:1], s68, v6, 0
	v_mov_b32_e32 v2, v25
	v_mad_u64_u32 v[6:7], s[0:1], s69, v6, v[2:3]
	v_mov_b32_e32 v25, v6
	v_or_b32_e32 v6, 4, v42
	v_mad_u64_u32 v[26:27], s[0:1], s68, v6, 0
	v_mov_b32_e32 v2, v27
	v_mad_u64_u32 v[6:7], s[0:1], s69, v6, v[2:3]
	s_mul_i32 s0, s69, s70
	s_mul_hi_u32 s1, s68, s70
	v_writelane_b32 v62, s72, 33
	v_mov_b32_e32 v2, 0xc00
	s_add_i32 s1, s1, s0
	s_mul_i32 s0, s68, s70
	v_writelane_b32 v62, s73, 34
	s_mov_b32 s55, s69
	s_lshl_b64 s[92:93], s[68:69], 4
	v_mov_b32_e32 v27, v6
	v_lshlrev_b64 v[28:29], 4, v[4:5]
	v_lshl_or_b32 v43, v38, 3, v2
	s_lshl_b32 s76, s70, 2
	s_lshl_b64 s[78:79], s[0:1], 2
	s_mov_b32 s84, 30
	s_mov_b64 s[94:95], 0
	v_mov_b64_e32 v[34:35], s[12:13]
	s_brev_b32 s77, 1
	v_mov_b64_e32 v[48:49], s[56:57]
	v_mov_b32_e32 v30, 1
	v_mov_b32_e32 v45, 0x4f800000
	;; [unrolled: 1-line block ×6, first 2 shown]
	v_writelane_b32 v62, s80, 35
	s_mov_b32 s85, s69
                                        ; implicit-def: $sgpr96_sgpr97
                                        ; implicit-def: $sgpr58_sgpr59
                                        ; implicit-def: $sgpr98_sgpr99
                                        ; implicit-def: $sgpr64_sgpr65
                                        ; implicit-def: $sgpr66_sgpr67
                                        ; implicit-def: $sgpr62_sgpr63
	s_nop 0
	v_writelane_b32 v62, s81, 36
	s_branch .LBB92_9
.LBB92_6:                               ;   in Loop: Header=BB92_9 Depth=1
	s_or_b64 exec, exec, s[12:13]
	s_and_b64 s[10:11], s[10:11], exec
	s_andn2_b64 s[22:23], s[22:23], exec
	s_andn2_b64 s[0:1], s[0:1], exec
	s_orn2_b64 s[16:17], s[8:9], exec
.LBB92_7:                               ;   in Loop: Header=BB92_9 Depth=1
	s_or_b64 exec, exec, s[2:3]
	s_andn2_b64 s[2:3], s[62:63], exec
	s_and_b64 s[8:9], s[10:11], exec
	s_or_b64 s[62:63], s[2:3], s[8:9]
	s_andn2_b64 s[2:3], s[66:67], exec
	s_and_b64 s[8:9], s[22:23], exec
	s_or_b64 s[66:67], s[2:3], s[8:9]
	;; [unrolled: 3-line block ×3, first 2 shown]
	s_orn2_b64 s[0:1], s[16:17], exec
.LBB92_8:                               ;   in Loop: Header=BB92_9 Depth=1
	s_or_b64 exec, exec, s[14:15]
	s_and_b64 s[0:1], exec, s[0:1]
	s_or_b64 s[94:95], s[0:1], s[94:95]
	s_andn2_b64 s[0:1], s[98:99], exec
	s_and_b64 s[2:3], s[62:63], exec
	s_or_b64 s[98:99], s[0:1], s[2:3]
	s_andn2_b64 s[0:1], s[58:59], exec
	s_and_b64 s[2:3], s[66:67], exec
	s_or_b64 s[58:59], s[0:1], s[2:3]
	s_andn2_b64 s[0:1], s[96:97], exec
	s_and_b64 s[2:3], s[64:65], exec
	s_or_b64 s[96:97], s[0:1], s[2:3]
	v_mov_b64_e32 v[34:35], v[8:9]
	s_andn2_b64 exec, exec, s[94:95]
	s_cbranch_execz .LBB92_273
.LBB92_9:                               ; =>This Loop Header: Depth=1
                                        ;     Child Loop BB92_15 Depth 2
                                        ;     Child Loop BB92_29 Depth 2
	;; [unrolled: 1-line block ×17, first 2 shown]
	ds_read_b128 v[4:7], v3 offset:5120
	s_waitcnt lgkmcnt(0)
	v_readfirstlane_b32 s13, v5
	v_readfirstlane_b32 s12, v4
	s_cmp_lg_u64 s[12:13], 0
	s_cbranch_scc1 .LBB92_42
; %bb.10:                               ;   in Loop: Header=BB92_9 Depth=1
	v_readlane_b32 s0, v62, 16
	v_readlane_b32 s1, v62, 17
	s_and_b64 vcc, exec, s[0:1]
	s_cbranch_vccz .LBB92_23
; %bb.11:                               ;   in Loop: Header=BB92_9 Depth=1
	s_mov_b64 s[0:1], 0x301
	v_cmp_gt_u64_e32 vcc, s[0:1], v[6:7]
	s_mov_b64 s[8:9], 0
	s_mov_b64 s[0:1], 0
	s_cbranch_vccz .LBB92_24
; %bb.12:                               ;   in Loop: Header=BB92_9 Depth=1
	s_mov_b64 s[10:11], exec
	v_readlane_b32 s0, v62, 12
	v_readlane_b32 s1, v62, 13
	s_and_b64 s[0:1], s[10:11], s[0:1]
	s_mov_b64 exec, s[0:1]
	s_cbranch_execz .LBB92_140
; %bb.13:                               ;   in Loop: Header=BB92_9 Depth=1
	global_load_ushort v6, v3, s[80:81]
	global_load_dword v8, v[12:13], off
	v_mov_b64_e32 v[4:5], s[60:61]
	v_readlane_b32 s14, v62, 31
	v_readlane_b32 s15, v62, 32
	s_mov_b64 s[12:13], 0
	s_waitcnt vmcnt(1)
	v_and_b32_e32 v2, 0xffff, v6
	v_readfirstlane_b32 s0, v6
	v_lshl_add_u64 v[6:7], v[0:1], 0, v[2:3]
	s_and_b32 s2, 0xffff, s0
	v_mad_u64_u32 v[4:5], s[0:1], s14, v6, v[4:5]
	v_mul_lo_u32 v7, s14, v7
	v_mul_lo_u32 v9, s15, v6
	s_mul_i32 s0, s15, s2
	s_mul_hi_u32 s1, s14, s2
	s_mul_i32 s14, s14, s2
	v_add3_u32 v5, v9, v5, v7
	s_add_i32 s15, s1, s0
	v_mov_b64_e32 v[6:7], v[0:1]
	s_branch .LBB92_15
.LBB92_14:                              ;   in Loop: Header=BB92_15 Depth=2
	s_or_b64 exec, exec, s[2:3]
	v_lshl_add_u64 v[4:5], v[4:5], 0, s[14:15]
	v_mov_b32_e32 v8, v9
	s_andn2_b64 exec, exec, s[12:13]
	s_cbranch_execz .LBB92_140
.LBB92_15:                              ;   Parent Loop BB92_9 Depth=1
                                        ; =>  This Inner Loop Header: Depth=2
	v_lshl_add_u64 v[6:7], v[6:7], 0, v[2:3]
	v_cmp_gt_u64_e64 s[0:1], s[56:57], v[6:7]
	v_cmp_le_u64_e32 vcc, s[56:57], v[6:7]
	s_waitcnt lgkmcnt(0)
	v_mov_b32_e32 v10, 0
	v_mov_b32_e32 v9, 0
	s_and_saveexec_b64 s[2:3], s[0:1]
	s_cbranch_execz .LBB92_17
; %bb.16:                               ;   in Loop: Header=BB92_15 Depth=2
	global_load_dword v9, v[4:5], off
.LBB92_17:                              ;   in Loop: Header=BB92_15 Depth=2
	s_or_b64 exec, exec, s[2:3]
	s_waitcnt vmcnt(0)
	v_bitop3_b32 v11, v8, v47, s77 bitop3:0x48
	v_cmp_eq_u32_e64 s[0:1], v11, v44
	s_cmp_lg_u64 s[0:1], 0
	s_cselect_b64 s[2:3], -1, 0
	s_and_b64 s[2:3], s[4:5], s[2:3]
	s_and_saveexec_b64 s[16:17], s[2:3]
	s_cbranch_execz .LBB92_21
; %bb.18:                               ;   in Loop: Header=BB92_15 Depth=2
	s_mov_b64 s[20:21], exec
	v_mbcnt_lo_u32_b32 v10, s20, 0
	v_mbcnt_hi_u32_b32 v10, s21, v10
	s_bcnt1_i32_b64 s22, s[0:1]
	v_cmp_eq_u32_e64 s[2:3], 0, v10
                                        ; implicit-def: $vgpr11
	s_and_saveexec_b64 s[18:19], s[2:3]
; %bb.19:                               ;   in Loop: Header=BB92_15 Depth=2
	s_bcnt1_i32_b64 s2, s[20:21]
	s_mul_i32 s2, s22, s2
	v_mov_b32_e32 v11, s2
	ds_add_rtn_u32 v11, v3, v11 offset:5144
; %bb.20:                               ;   in Loop: Header=BB92_15 Depth=2
	s_or_b64 exec, exec, s[18:19]
	s_waitcnt lgkmcnt(0)
	v_readfirstlane_b32 s2, v11
	s_nop 1
	v_mov_b32_e32 v11, s2
	v_mad_u32_u24 v10, s22, v10, v11
.LBB92_21:                              ;   in Loop: Header=BB92_15 Depth=2
	s_or_b64 exec, exec, s[16:17]
	ds_bpermute_b32 v10, v40, v10
	s_and_b64 s[2:3], exec, vcc
	s_or_b64 s[12:13], s[2:3], s[12:13]
	s_and_saveexec_b64 s[2:3], s[0:1]
	s_cbranch_execz .LBB92_14
; %bb.22:                               ;   in Loop: Header=BB92_15 Depth=2
	v_and_b32_e32 v31, s0, v16
	v_and_b32_e32 v11, s1, v17
	v_bcnt_u32_b32 v31, v31, 0
	v_bcnt_u32_b32 v11, v11, v31
	v_lshlrev_b32_e32 v11, 2, v11
	s_waitcnt lgkmcnt(0)
	v_lshl_add_u32 v10, v10, 2, v11
	ds_write_b32 v10, v8
	s_branch .LBB92_14
.LBB92_23:                              ;   in Loop: Header=BB92_9 Depth=1
	s_mov_b64 s[8:9], -1
	s_mov_b64 s[0:1], 0
.LBB92_24:                              ;   in Loop: Header=BB92_9 Depth=1
	s_and_b64 vcc, exec, s[8:9]
	s_cbranch_vccz .LBB92_40
.LBB92_25:                              ;   in Loop: Header=BB92_9 Depth=1
	s_mov_b64 s[0:1], exec
	v_readlane_b32 s2, v62, 12
	v_readlane_b32 s3, v62, 13
	s_and_b64 s[2:3], s[0:1], s[2:3]
	s_mov_b64 exec, s[2:3]
	s_cbranch_execz .LBB92_37
; %bb.26:                               ;   in Loop: Header=BB92_9 Depth=1
	global_load_ushort v2, v3, s[80:81]
	global_load_dword v10, v[12:13], off
	v_mov_b32_e32 v8, v0
	s_waitcnt vmcnt(1)
	v_readfirstlane_b32 s8, v2
	v_add_u32_sdwa v2, v2, v0 dst_sel:DWORD dst_unused:UNUSED_PAD src0_sel:WORD_0 src1_sel:DWORD
	v_cmp_gt_u64_e32 vcc, s[56:57], v[2:3]
	s_and_saveexec_b64 s[2:3], vcc
	s_cbranch_execz .LBB92_36
; %bb.27:                               ;   in Loop: Header=BB92_9 Depth=1
	s_and_b32 s74, s8, 0xffff
	s_cmp_eq_u32 s74, 1
	v_readlane_b32 s10, v62, 22
	s_cselect_b64 s[8:9], -1, 0
	v_readlane_b32 s11, v62, 23
	s_and_b64 s[12:13], s[10:11], s[8:9]
	s_mov_b64 s[10:11], -1
	v_mov_b64_e32 v[6:7], v[0:1]
	v_mov_b64_e32 v[4:5], v[2:3]
                                        ; implicit-def: $vgpr11
                                        ; implicit-def: $vgpr8_vgpr9
	s_and_saveexec_b64 s[8:9], s[12:13]
	s_cbranch_execz .LBB92_31
; %bb.28:                               ;   in Loop: Header=BB92_9 Depth=1
	v_lshl_add_u64 v[4:5], v[2:3], 0, 1
	v_mov_b64_e32 v[6:7], v[4:5]
	s_mov_b64 s[10:11], 0
	v_mov_b64_e32 v[8:9], v[18:19]
	v_mov_b32_e32 v31, v14
	v_mov_b64_e32 v[4:5], v[2:3]
.LBB92_29:                              ;   Parent Loop BB92_9 Depth=1
                                        ; =>  This Inner Loop Header: Depth=2
	v_mul_lo_u32 v52, v5, s68
	v_mul_lo_u32 v53, v4, s69
	v_mad_u64_u32 v[50:51], s[12:13], v4, s68, 0
	v_mul_lo_u32 v11, v7, s6
	v_mul_lo_u32 v32, v6, s55
	v_mad_u64_u32 v[36:37], s[12:13], v6, s6, 0
	v_add3_u32 v51, v51, v53, v52
	v_add3_u32 v37, v37, v32, v11
	v_lshl_add_u64 v[50:51], v[50:51], 2, s[60:61]
	v_lshl_add_u64 v[36:37], v[36:37], 2, s[60:61]
	global_load_dword v32, v[50:51], off
	global_load_dword v11, v[36:37], off
	v_lshl_add_u64 v[8:9], v[8:9], 0, -2
	v_cmp_eq_u64_e32 vcc, 0, v[8:9]
	v_lshl_add_u64 v[6:7], v[6:7], 0, 2
	v_lshl_add_u64 v[4:5], v[4:5], 0, 2
	s_or_b64 s[10:11], vcc, s[10:11]
	s_waitcnt vmcnt(1)
	ds_write2_b32 v31, v10, v32 offset1:1
	v_add_u32_e32 v31, 8, v31
	s_waitcnt vmcnt(0)
	v_mov_b32_e32 v10, v11
	s_andn2_b64 exec, exec, s[10:11]
	s_cbranch_execnz .LBB92_29
; %bb.30:                               ;   in Loop: Header=BB92_9 Depth=1
	s_or_b64 exec, exec, s[10:11]
	v_readlane_b32 s10, v62, 24
	v_lshl_add_u64 v[4:5], v[2:3], 0, v[18:19]
	v_readlane_b32 s11, v62, 25
	v_lshl_add_u64 v[8:9], v[4:5], 0, -1
	s_orn2_b64 s[10:11], s[10:11], exec
	v_mov_b32_e32 v10, v11
	v_mov_b64_e32 v[6:7], v[20:21]
.LBB92_31:                              ;   in Loop: Header=BB92_9 Depth=1
	s_or_b64 exec, exec, s[8:9]
	s_and_saveexec_b64 s[8:9], s[10:11]
	s_cbranch_execz .LBB92_35
; %bb.32:                               ;   in Loop: Header=BB92_9 Depth=1
	v_mov_b64_e32 v[8:9], s[60:61]
	v_readlane_b32 s16, v62, 31
	v_readlane_b32 s17, v62, 32
	s_sub_u32 s10, 0, s74
	v_mad_u64_u32 v[8:9], s[14:15], s16, v4, v[8:9]
	v_mul_lo_u32 v2, s16, v5
	v_mul_lo_u32 v7, s17, v4
	s_mul_i32 s14, s17, s74
	s_mul_hi_u32 s15, s16, s74
	s_mov_b64 s[12:13], 0
	s_subb_u32 s11, 0, 0
	v_add3_u32 v9, v7, v9, v2
	s_add_i32 s15, s15, s14
	s_mul_i32 s14, s16, s74
.LBB92_33:                              ;   Parent Loop BB92_9 Depth=1
                                        ; =>  This Inner Loop Header: Depth=2
	global_load_dword v11, v[8:9], off
	v_mov_b64_e32 v[36:37], v[4:5]
	v_lshl_add_u64 v[4:5], v[36:37], 0, s[74:75]
	v_lshlrev_b32_e32 v2, 2, v6
	v_cmp_le_u64_e32 vcc, s[56:57], v[4:5]
	v_lshl_add_u64 v[8:9], v[8:9], 0, s[14:15]
	s_waitcnt vmcnt(1)
	ds_write_b32 v2, v10
	v_mov_b64_e32 v[6:7], v[36:37]
	s_or_b64 s[12:13], vcc, s[12:13]
	s_waitcnt vmcnt(0)
	v_mov_b32_e32 v10, v11
	s_andn2_b64 exec, exec, s[12:13]
	s_cbranch_execnz .LBB92_33
; %bb.34:                               ;   in Loop: Header=BB92_9 Depth=1
	s_or_b64 exec, exec, s[12:13]
	v_lshl_add_u64 v[8:9], s[10:11], 0, v[4:5]
.LBB92_35:                              ;   in Loop: Header=BB92_9 Depth=1
	s_or_b64 exec, exec, s[8:9]
	s_waitcnt vmcnt(0)
	v_mov_b32_e32 v10, v11
.LBB92_36:                              ;   in Loop: Header=BB92_9 Depth=1
	s_or_b64 exec, exec, s[2:3]
	v_lshlrev_b32_e32 v2, 2, v8
	s_waitcnt vmcnt(0)
	ds_write_b32 v2, v10
.LBB92_37:                              ;   in Loop: Header=BB92_9 Depth=1
	s_or_b64 exec, exec, s[0:1]
	s_waitcnt lgkmcnt(0)
	s_barrier
	s_mov_b64 s[0:1], exec
	v_readlane_b32 s2, v62, 0
	v_readlane_b32 s3, v62, 1
	s_and_b64 s[2:3], s[0:1], s[2:3]
	s_mov_b64 exec, s[2:3]
; %bb.38:                               ;   in Loop: Header=BB92_9 Depth=1
	ds_write_b64 v3, v[48:49] offset:5120
; %bb.39:                               ;   in Loop: Header=BB92_9 Depth=1
	s_or_b64 exec, exec, s[0:1]
	s_mov_b64 s[0:1], -1
	s_waitcnt lgkmcnt(0)
	s_barrier
.LBB92_40:                              ;   in Loop: Header=BB92_9 Depth=1
	s_mov_b64 s[12:13], 0
	s_and_b64 vcc, exec, s[0:1]
	s_cbranch_vccz .LBB92_42
; %bb.41:                               ;   in Loop: Header=BB92_9 Depth=1
	ds_read_b64 v[4:5], v3 offset:5120
	s_waitcnt lgkmcnt(0)
	v_readfirstlane_b32 s12, v4
.LBB92_42:                              ;   in Loop: Header=BB92_9 Depth=1
	s_cmp_lt_i32 s12, 1
	s_mov_b64 s[0:1], -1
                                        ; implicit-def: $vgpr4_vgpr5
                                        ; implicit-def: $vgpr8_vgpr9
	s_cbranch_scc1 .LBB92_52
; %bb.43:                               ;   in Loop: Header=BB92_9 Depth=1
	s_and_b64 vcc, exec, s[0:1]
	s_cbranch_vccnz .LBB92_66
.LBB92_44:                              ;   in Loop: Header=BB92_9 Depth=1
	v_lshlrev_b32_e32 v2, 6, v46
	s_and_saveexec_b64 s[0:1], s[4:5]
	s_cbranch_execz .LBB92_46
.LBB92_45:                              ;   in Loop: Header=BB92_9 Depth=1
	v_lshl_add_u32 v31, v2, 3, v41
	ds_write_b128 v31, v[4:7]
	ds_write_b128 v31, v[8:11] offset:16
.LBB92_46:                              ;   in Loop: Header=BB92_9 Depth=1
	s_or_b64 exec, exec, s[0:1]
	s_waitcnt lgkmcnt(0)
	s_barrier
	s_and_saveexec_b64 s[0:1], s[72:73]
	s_cbranch_execz .LBB92_81
; %bb.47:                               ;   in Loop: Header=BB92_9 Depth=1
	v_readlane_b32 s2, v62, 18
	v_readlane_b32 s3, v62, 19
	s_andn2_b64 vcc, exec, s[2:3]
	v_mov_b64_e32 v[4:5], 0
	s_cbranch_vccnz .LBB92_80
; %bb.48:                               ;   in Loop: Header=BB92_9 Depth=1
	v_readlane_b32 s2, v62, 26
	v_readlane_b32 s3, v62, 27
	s_andn2_b64 vcc, exec, s[2:3]
	s_cbranch_vccnz .LBB92_76
; %bb.49:                               ;   in Loop: Header=BB92_9 Depth=1
	v_lshl_add_u32 v6, v46, 9, v43
	v_mov_b64_e32 v[4:5], 0
	s_mov_b32 s2, 0
.LBB92_50:                              ;   Parent Loop BB92_9 Depth=1
                                        ; =>  This Inner Loop Header: Depth=2
	ds_read2_b64 v[8:11], v6 offset1:4
	ds_read2_b64 v[50:53], v6 offset0:8 offset1:12
	ds_read2_b64 v[54:57], v6 offset0:16 offset1:20
	;; [unrolled: 1-line block ×3, first 2 shown]
	s_add_i32 s2, s2, 8
	s_waitcnt lgkmcnt(3)
	v_lshl_add_u64 v[4:5], v[8:9], 0, v[4:5]
	v_lshl_add_u64 v[4:5], v[10:11], 0, v[4:5]
	s_waitcnt lgkmcnt(2)
	v_lshl_add_u64 v[4:5], v[50:51], 0, v[4:5]
	v_lshl_add_u64 v[4:5], v[52:53], 0, v[4:5]
	;; [unrolled: 3-line block ×3, first 2 shown]
	s_waitcnt lgkmcnt(0)
	v_lshl_add_u64 v[4:5], v[58:59], 0, v[4:5]
	v_add_u32_e32 v6, 0x100, v6
	s_cmp_eq_u32 s7, s2
	v_lshl_add_u64 v[4:5], v[60:61], 0, v[4:5]
	s_cbranch_scc0 .LBB92_50
; %bb.51:                               ;   in Loop: Header=BB92_9 Depth=1
	s_mov_b32 s2, s7
	s_branch .LBB92_77
.LBB92_52:                              ;   in Loop: Header=BB92_9 Depth=1
	global_load_ushort v2, v3, s[80:81]
	s_mov_b32 s0, s75
	s_waitcnt vmcnt(0)
	v_readfirstlane_b32 s1, v2
	s_and_b32 s10, s1, 0xffff
	s_lshl_b32 s74, s10, 2
	s_mov_b32 s1, s57
	s_cmp_lg_u64 s[0:1], 0
	s_cbranch_scc0 .LBB92_75
; %bb.53:                               ;   in Loop: Header=BB92_9 Depth=1
	v_cvt_f32_u32_e32 v2, s74
	s_sub_u32 s2, 0, s74
	s_subb_u32 s3, 0, 0
	v_fmac_f32_e32 v2, 0, v45
	v_rcp_f32_e32 v2, v2
	s_nop 0
	v_mul_f32_e32 v2, 0x5f7ffffc, v2
	v_mul_f32_e32 v4, 0x2f800000, v2
	v_trunc_f32_e32 v4, v4
	v_fmac_f32_e32 v2, 0xcf800000, v4
	v_cvt_u32_f32_e32 v4, v4
	v_cvt_u32_f32_e32 v2, v2
	v_readfirstlane_b32 s8, v4
	v_readfirstlane_b32 s0, v2
	s_mul_i32 s1, s2, s8
	s_mul_hi_u32 s11, s2, s0
	s_mul_i32 s9, s3, s0
	s_add_i32 s1, s11, s1
	s_mul_i32 s13, s2, s0
	s_add_i32 s1, s1, s9
	s_mul_hi_u32 s11, s0, s13
	s_mul_i32 s14, s0, s1
	s_mul_hi_u32 s9, s0, s1
	s_add_u32 s11, s11, s14
	s_addc_u32 s9, 0, s9
	s_mul_hi_u32 s15, s8, s13
	s_mul_i32 s13, s8, s13
	s_add_u32 s11, s11, s13
	s_mul_hi_u32 s14, s8, s1
	s_addc_u32 s9, s9, s15
	s_addc_u32 s11, s14, 0
	s_mul_i32 s1, s8, s1
	s_add_u32 s1, s9, s1
	s_addc_u32 s9, 0, s11
	s_add_u32 s11, s0, s1
	s_cselect_b64 s[0:1], -1, 0
	s_cmp_lg_u64 s[0:1], 0
	s_addc_u32 s8, s8, s9
	s_mul_i32 s0, s2, s8
	s_mul_hi_u32 s1, s2, s11
	s_add_i32 s0, s1, s0
	s_mul_i32 s3, s3, s11
	s_add_i32 s0, s0, s3
	s_mul_i32 s2, s2, s11
	s_mul_hi_u32 s3, s8, s2
	s_mul_i32 s9, s8, s2
	s_mul_i32 s14, s11, s0
	s_mul_hi_u32 s2, s11, s2
	s_mul_hi_u32 s13, s11, s0
	s_add_u32 s2, s2, s14
	s_addc_u32 s13, 0, s13
	s_add_u32 s2, s2, s9
	s_mul_hi_u32 s1, s8, s0
	s_addc_u32 s2, s13, s3
	s_addc_u32 s1, s1, 0
	s_mul_i32 s0, s8, s0
	s_add_u32 s0, s2, s0
	s_addc_u32 s2, 0, s1
	s_add_u32 s3, s11, s0
	s_cselect_b64 s[0:1], -1, 0
	s_cmp_lg_u64 s[0:1], 0
	s_addc_u32 s0, s8, s2
	s_mul_i32 s2, s56, s0
	s_mul_hi_u32 s8, s56, s3
	s_mul_hi_u32 s1, s56, s0
	s_add_u32 s2, s8, s2
	s_addc_u32 s1, 0, s1
	s_mul_hi_u32 s9, s57, s3
	s_mul_i32 s3, s57, s3
	s_add_u32 s2, s2, s3
	s_mul_hi_u32 s8, s57, s0
	s_addc_u32 s1, s1, s9
	s_addc_u32 s2, s8, 0
	s_mul_i32 s0, s57, s0
	s_add_u32 s0, s1, s0
	s_addc_u32 s1, 0, s2
	s_mul_i32 s1, s74, s1
	s_mul_hi_u32 s2, s74, s0
	s_add_i32 s2, s2, s1
	s_mul_i32 s0, s74, s0
	s_sub_u32 s3, s56, s0
	s_cselect_b64 s[0:1], -1, 0
	s_cmp_lg_u64 s[0:1], 0
	s_subb_u32 s2, s57, s2
	s_sub_u32 s8, s3, s74
	s_cselect_b64 s[0:1], -1, 0
	s_cmp_lg_u64 s[0:1], 0
	s_subb_u32 s9, s2, 0
	;; [unrolled: 4-line block ×3, first 2 shown]
	s_cmp_ge_u32 s8, s74
	s_cselect_b32 s1, -1, 0
	s_cmp_eq_u32 s9, 0
	s_cselect_b32 s1, s1, -1
	s_cmp_lg_u32 s1, 0
	s_cselect_b32 s0, s0, s9
	s_cselect_b32 s8, s11, s8
	s_cmp_ge_u32 s3, s74
	s_cselect_b32 s1, -1, 0
	s_cmp_eq_u32 s2, 0
	s_cselect_b32 s1, s1, -1
	s_cmp_lg_u32 s1, 0
	s_cselect_b32 s1, s0, s2
	s_cselect_b32 s0, s8, s3
	s_cbranch_execnz .LBB92_55
.LBB92_54:                              ;   in Loop: Header=BB92_9 Depth=1
	v_cvt_f32_u32_e32 v2, s74
	s_sub_i32 s0, 0, s74
	v_rcp_iflag_f32_e32 v2, v2
	s_nop 0
	v_mul_f32_e32 v2, 0x4f7ffffe, v2
	v_cvt_u32_f32_e32 v2, v2
	s_nop 0
	v_readfirstlane_b32 s1, v2
	s_mul_i32 s0, s0, s1
	s_mul_hi_u32 s0, s1, s0
	s_add_i32 s1, s1, s0
	s_mul_hi_u32 s0, s56, s1
	s_mul_i32 s0, s0, s74
	s_sub_i32 s0, s56, s0
	s_sub_i32 s1, s0, s74
	s_cmp_ge_u32 s0, s74
	s_cselect_b32 s0, s1, s0
	s_sub_i32 s1, s0, s74
	s_cmp_ge_u32 s0, s74
	s_cselect_b32 s0, s1, s0
	s_mov_b32 s1, s75
.LBB92_55:                              ;   in Loop: Header=BB92_9 Depth=1
	s_sub_u32 s86, s56, s0
	s_subb_u32 s87, s57, s1
	s_mov_b32 s11, s75
	v_cmp_gt_u64_e32 vcc, s[86:87], v[14:15]
	v_mov_b64_e32 v[4:5], 0
	v_mov_b64_e32 v[6:7], 0
	v_mov_b64_e32 v[8:9], 0
	v_mov_b64_e32 v[10:11], 0
	s_and_saveexec_b64 s[88:89], vcc
	s_cbranch_execz .LBB92_59
; %bb.56:                               ;   in Loop: Header=BB92_9 Depth=1
	s_mul_i32 s0, s93, s10
	s_mul_hi_u32 s1, s92, s10
	s_add_i32 s13, s1, s0
	s_mov_b64 s[34:35], 0
	s_mov_b64 s[72:73], s[60:61]
	;; [unrolled: 1-line block ×6, first 2 shown]
	v_mov_b64_e32 v[36:37], v[14:15]
.LBB92_57:                              ;   Parent Loop BB92_9 Depth=1
                                        ; =>  This Inner Loop Header: Depth=2
	v_lshl_add_u64 v[4:5], s[72:73], 0, v[28:29]
	v_lshl_add_u64 v[6:7], s[72:73], 0, v[26:27]
	;; [unrolled: 1-line block ×4, first 2 shown]
	global_load_dword v2, v[4:5], off
	s_nop 0
	global_load_dword v4, v[6:7], off
	global_load_dword v5, v[8:9], off
	s_nop 0
	global_load_dword v6, v[10:11], off
	s_mul_i32 s82, s92, s10
	v_lshl_add_u64 v[36:37], v[36:37], 0, s[74:75]
	v_cmp_le_u64_e32 vcc, s[86:87], v[36:37]
	s_waitcnt vmcnt(3)
	v_xor_b32_e32 v7, 0x80000000, v2
	v_bitop3_b32 v2, v2, v47, s77 bitop3:0x48
	s_waitcnt vmcnt(2)
	v_xor_b32_e32 v8, 0x80000000, v4
	v_bitop3_b32 v4, v4, v47, s77 bitop3:0x48
	v_cmp_eq_u32_e64 s[0:1], v2, v44
	v_bfe_u32 v2, v7, s84, 2
	s_waitcnt vmcnt(1)
	v_xor_b32_e32 v9, 0x80000000, v5
	v_bitop3_b32 v5, v5, v47, s77 bitop3:0x48
	v_cmp_eq_u32_e64 s[2:3], v4, v44
	v_bfe_u32 v4, v8, s84, 2
	v_cmp_eq_u32_e64 s[18:19], 0, v2
	s_waitcnt vmcnt(0)
	v_xor_b32_e32 v10, 0x80000000, v6
	v_bitop3_b32 v6, v6, v47, s77 bitop3:0x48
	v_cmp_eq_u32_e64 s[16:17], v5, v44
	v_bfe_u32 v5, v9, s84, 2
	v_cmp_eq_u32_e64 s[20:21], 0, v4
	s_and_b64 s[18:19], s[0:1], s[18:19]
	v_cmp_eq_u32_e64 s[14:15], v6, v44
	v_bfe_u32 v6, v10, s84, 2
	v_cmp_eq_u32_e64 s[22:23], 0, v5
	v_cmp_eq_u32_e64 s[26:27], 1, v2
	;; [unrolled: 1-line block ×4, first 2 shown]
	v_cndmask_b32_e64 v2, 0, 1, s[18:19]
	s_and_b64 s[18:19], s[2:3], s[20:21]
	v_cmp_eq_u32_e64 s[24:25], 0, v6
	v_cmp_eq_u32_e64 s[28:29], 1, v4
	;; [unrolled: 1-line block ×4, first 2 shown]
	v_cndmask_b32_e64 v4, 0, 1, s[18:19]
	s_and_b64 s[18:19], s[16:17], s[22:23]
	v_cmp_eq_u32_e64 s[36:37], 1, v5
	v_cmp_eq_u32_e64 s[44:45], 2, v5
	;; [unrolled: 1-line block ×3, first 2 shown]
	v_cndmask_b32_e64 v5, 0, 1, s[18:19]
	s_and_b64 s[18:19], s[14:15], s[24:25]
	v_cmp_eq_u32_e64 s[38:39], 1, v6
	v_cmp_eq_u32_e64 s[46:47], 2, v6
	;; [unrolled: 1-line block ×3, first 2 shown]
	v_cndmask_b32_e64 v6, 0, 1, s[18:19]
	v_cmp_ne_u32_e64 s[18:19], 0, v2
	v_cmp_ne_u32_e64 s[20:21], 0, v4
	v_cmp_ne_u32_e64 s[22:23], 0, v5
	v_cmp_ne_u32_e64 s[24:25], 0, v6
	s_bcnt1_i32_b64 s18, s[18:19]
	s_bcnt1_i32_b64 s19, s[20:21]
	s_bcnt1_i32_b64 s20, s[22:23]
	s_bcnt1_i32_b64 s21, s[24:25]
	s_add_u32 s18, s18, s80
	s_addc_u32 s22, 0, s81
	s_add_u32 s18, s18, s19
	s_addc_u32 s19, s22, 0
	s_add_u32 s18, s18, s20
	s_addc_u32 s19, s19, 0
	s_add_u32 s80, s18, s21
	s_addc_u32 s81, s19, 0
	s_and_b64 s[18:19], s[0:1], s[26:27]
	v_cndmask_b32_e64 v2, 0, 1, s[18:19]
	s_and_b64 s[18:19], s[2:3], s[28:29]
	v_cndmask_b32_e64 v6, 0, 1, s[18:19]
	s_and_b64 s[18:19], s[16:17], s[36:37]
	v_cndmask_b32_e64 v7, 0, 1, s[18:19]
	s_and_b64 s[18:19], s[14:15], s[38:39]
	v_cndmask_b32_e64 v8, 0, 1, s[18:19]
	v_cmp_ne_u32_e64 s[18:19], 0, v2
	v_cmp_ne_u32_e64 s[20:21], 0, v6
	v_cmp_ne_u32_e64 s[22:23], 0, v7
	v_cmp_ne_u32_e64 s[24:25], 0, v8
	s_bcnt1_i32_b64 s18, s[18:19]
	s_bcnt1_i32_b64 s19, s[20:21]
	s_bcnt1_i32_b64 s20, s[22:23]
	s_bcnt1_i32_b64 s21, s[24:25]
	s_add_u32 s18, s18, s90
	s_addc_u32 s22, 0, s91
	s_add_u32 s18, s18, s19
	s_addc_u32 s19, s22, 0
	s_add_u32 s18, s18, s20
	s_addc_u32 s19, s19, 0
	s_add_u32 s90, s18, s21
	s_addc_u32 s91, s19, 0
	s_and_b64 s[18:19], s[0:1], s[40:41]
	v_cndmask_b32_e64 v2, 0, 1, s[18:19]
	s_and_b64 s[18:19], s[2:3], s[42:43]
	v_cndmask_b32_e64 v8, 0, 1, s[18:19]
	s_and_b64 s[18:19], s[16:17], s[44:45]
	v_cndmask_b32_e64 v9, 0, 1, s[18:19]
	s_and_b64 s[18:19], s[14:15], s[46:47]
	;; [unrolled: 24-line block ×3, first 2 shown]
	v_cndmask_b32_e64 v31, 0, 1, s[0:1]
	v_cmp_ne_u32_e64 s[0:1], 0, v2
	v_cmp_ne_u32_e64 s[2:3], 0, v10
	;; [unrolled: 1-line block ×4, first 2 shown]
	s_bcnt1_i32_b64 s0, s[0:1]
	s_bcnt1_i32_b64 s1, s[2:3]
	;; [unrolled: 1-line block ×4, first 2 shown]
	s_add_u32 s0, s0, s8
	s_addc_u32 s8, 0, s9
	s_add_u32 s0, s0, s1
	s_addc_u32 s1, s8, 0
	;; [unrolled: 2-line block ×5, first 2 shown]
	v_mov_b64_e32 v[4:5], s[80:81]
	v_mov_b64_e32 v[6:7], s[90:91]
	;; [unrolled: 1-line block ×3, first 2 shown]
	s_or_b64 s[34:35], vcc, s[34:35]
	v_mov_b64_e32 v[10:11], s[8:9]
	s_andn2_b64 exec, exec, s[34:35]
	s_cbranch_execnz .LBB92_57
; %bb.58:                               ;   in Loop: Header=BB92_9 Depth=1
	s_or_b64 exec, exec, s[34:35]
	v_readlane_b32 s72, v62, 33
	v_readlane_b32 s80, v62, 35
	;; [unrolled: 1-line block ×4, first 2 shown]
	s_mov_b32 s55, s85
.LBB92_59:                              ;   in Loop: Header=BB92_9 Depth=1
	s_or_b64 exec, exec, s[88:89]
	v_lshl_add_u64 v[36:37], s[86:87], 0, v[0:1]
	v_cmp_gt_u64_e32 vcc, s[56:57], v[36:37]
	s_and_saveexec_b64 s[2:3], vcc
	s_cbranch_execz .LBB92_65
; %bb.60:                               ;   in Loop: Header=BB92_9 Depth=1
	v_mul_lo_u32 v2, v37, s68
	v_mul_lo_u32 v31, v36, s69
	v_mad_u64_u32 v[50:51], s[0:1], v36, s68, 0
	v_add3_u32 v51, v51, v31, v2
	v_lshl_add_u64 v[50:51], v[50:51], 2, s[60:61]
	global_load_dword v31, v[50:51], off
	s_mov_b64 s[8:9], 0
	s_branch .LBB92_62
.LBB92_61:                              ;   in Loop: Header=BB92_62 Depth=2
	s_or_b64 exec, exec, s[14:15]
	s_waitcnt vmcnt(0)
	v_xor_b32_e32 v32, 0x80000000, v31
	v_bitop3_b32 v31, v31, v47, s77 bitop3:0x48
	s_and_b64 s[0:1], exec, vcc
	v_cmp_eq_u32_e32 vcc, v31, v44
	v_bfe_u32 v31, v32, s84, 2
	s_or_b64 s[8:9], s[0:1], s[8:9]
	v_cmp_eq_u32_e64 s[0:1], 0, v31
	s_and_b64 s[0:1], vcc, s[0:1]
	s_nop 0
	v_cndmask_b32_e64 v32, 0, 1, s[0:1]
	v_cmp_ne_u32_e64 s[0:1], 0, v32
	s_bcnt1_i32_b64 s74, s[0:1]
	v_cmp_eq_u32_e64 s[0:1], 1, v31
	s_and_b64 s[0:1], vcc, s[0:1]
	v_lshl_add_u64 v[4:5], s[74:75], 0, v[4:5]
	v_cndmask_b32_e64 v32, 0, 1, s[0:1]
	v_cmp_ne_u32_e64 s[0:1], 0, v32
	s_bcnt1_i32_b64 s74, s[0:1]
	v_cmp_eq_u32_e64 s[0:1], 2, v31
	s_and_b64 s[0:1], vcc, s[0:1]
	v_lshl_add_u64 v[6:7], s[74:75], 0, v[6:7]
	;; [unrolled: 6-line block ×3, first 2 shown]
	v_cndmask_b32_e64 v31, 0, 1, s[0:1]
	v_cmp_ne_u32_e32 vcc, 0, v31
	s_bcnt1_i32_b64 s74, vcc
	v_lshl_add_u64 v[10:11], s[74:75], 0, v[10:11]
	v_mov_b32_e32 v31, v2
	s_andn2_b64 exec, exec, s[8:9]
	s_cbranch_execz .LBB92_64
.LBB92_62:                              ;   Parent Loop BB92_9 Depth=1
                                        ; =>  This Inner Loop Header: Depth=2
	v_lshl_add_u64 v[36:37], v[36:37], 0, s[10:11]
	v_cmp_gt_u64_e64 s[0:1], s[56:57], v[36:37]
	v_cmp_le_u64_e32 vcc, s[56:57], v[36:37]
	v_mov_b32_e32 v2, 0
	s_and_saveexec_b64 s[14:15], s[0:1]
	s_cbranch_execz .LBB92_61
; %bb.63:                               ;   in Loop: Header=BB92_62 Depth=2
	v_mul_lo_u32 v2, v37, s68
	v_mul_lo_u32 v32, v36, s69
	v_mad_u64_u32 v[50:51], s[0:1], v36, s68, 0
	v_add3_u32 v51, v51, v32, v2
	v_lshl_add_u64 v[50:51], v[50:51], 2, s[60:61]
	global_load_dword v2, v[50:51], off
	s_branch .LBB92_61
.LBB92_64:                              ;   in Loop: Header=BB92_9 Depth=1
	s_or_b64 exec, exec, s[8:9]
.LBB92_65:                              ;   in Loop: Header=BB92_9 Depth=1
	s_or_b64 exec, exec, s[2:3]
	s_branch .LBB92_44
.LBB92_66:                              ;   in Loop: Header=BB92_9 Depth=1
	global_load_ushort v2, v3, s[80:81]
	v_mov_b64_e32 v[8:9], 0
	s_waitcnt vmcnt(0)
	v_readfirstlane_b32 s0, v2
	s_and_b32 s0, 0xffff, s0
	s_lshl_b32 s10, s0, 2
	v_cvt_f32_u32_e32 v4, s10
	s_sub_i32 s1, 0, s10
	v_rcp_iflag_f32_e32 v6, v4
	v_mov_b64_e32 v[4:5], 0
	v_mul_f32_e32 v6, 0x4f7ffffe, v6
	v_cvt_u32_f32_e32 v10, v6
	v_mov_b64_e32 v[6:7], 0
	v_readfirstlane_b32 s2, v10
	s_mul_i32 s1, s1, s2
	s_mul_hi_u32 s1, s2, s1
	s_add_i32 s2, s2, s1
	s_mul_hi_u32 s1, s12, s2
	s_mul_i32 s2, s1, s10
	s_sub_i32 s2, s12, s2
	s_add_i32 s3, s1, 1
	s_sub_i32 s8, s2, s10
	s_cmp_ge_u32 s2, s10
	s_cselect_b32 s1, s3, s1
	s_cselect_b32 s2, s8, s2
	s_add_i32 s3, s1, 1
	s_cmp_ge_u32 s2, s10
	s_cselect_b32 s1, s3, s1
	s_mul_hi_u32 s9, s0, s1
	s_mul_i32 s8, s0, s1
	s_lshl_b64 s[30:31], s[8:9], 2
	v_cmp_gt_u64_e32 vcc, s[30:31], v[14:15]
	v_mov_b64_e32 v[10:11], 0
	s_and_saveexec_b64 s[34:35], vcc
	s_cbranch_execz .LBB92_70
; %bb.67:                               ;   in Loop: Header=BB92_9 Depth=1
	s_mov_b32 s11, s75
	s_lshl_b32 s9, s0, 4
	s_mov_b64 s[72:73], 0
	v_mov_b32_e32 v31, v42
	s_mov_b64 s[80:81], 0
	s_mov_b64 s[86:87], 0
	;; [unrolled: 1-line block ×4, first 2 shown]
	v_mov_b64_e32 v[36:37], v[14:15]
.LBB92_68:                              ;   Parent Loop BB92_9 Depth=1
                                        ; =>  This Inner Loop Header: Depth=2
	ds_read_b128 v[4:7], v31
	v_lshl_add_u64 v[36:37], v[36:37], 0, s[10:11]
	v_cmp_le_u64_e32 vcc, s[30:31], v[36:37]
	v_add_u32_e32 v31, s9, v31
	s_waitcnt lgkmcnt(0)
	v_xor_b32_e32 v8, 0x80000000, v4
	v_bitop3_b32 v4, v4, v47, s77 bitop3:0x48
	v_xor_b32_e32 v9, 0x80000000, v5
	v_bitop3_b32 v5, v5, v47, s77 bitop3:0x48
	v_cmp_eq_u32_e64 s[20:21], v4, v44
	v_bfe_u32 v4, v8, s84, 2
	v_xor_b32_e32 v10, 0x80000000, v6
	v_bitop3_b32 v6, v6, v47, s77 bitop3:0x48
	v_cmp_eq_u32_e64 s[18:19], v5, v44
	v_bfe_u32 v5, v9, s84, 2
	v_cmp_eq_u32_e64 s[0:1], 0, v4
	v_xor_b32_e32 v11, 0x80000000, v7
	v_bitop3_b32 v7, v7, v47, s77 bitop3:0x48
	v_cmp_eq_u32_e64 s[16:17], v6, v44
	v_bfe_u32 v6, v10, s84, 2
	v_cmp_eq_u32_e64 s[2:3], 0, v5
	s_and_b64 s[0:1], s[20:21], s[0:1]
	v_cmp_eq_u32_e64 s[14:15], v7, v44
	v_bfe_u32 v7, v11, s84, 2
	v_cmp_eq_u32_e64 s[36:37], 0, v6
	v_cmp_eq_u32_e64 s[40:41], 1, v4
	;; [unrolled: 1-line block ×4, first 2 shown]
	v_cndmask_b32_e64 v4, 0, 1, s[0:1]
	s_and_b64 s[0:1], s[18:19], s[2:3]
	v_cmp_eq_u32_e64 s[38:39], 0, v7
	v_cmp_eq_u32_e64 s[42:43], 1, v5
	;; [unrolled: 1-line block ×4, first 2 shown]
	v_cndmask_b32_e64 v5, 0, 1, s[0:1]
	s_and_b64 s[0:1], s[16:17], s[36:37]
	v_cmp_eq_u32_e64 s[44:45], 1, v6
	v_cmp_eq_u32_e64 s[52:53], 2, v6
	;; [unrolled: 1-line block ×3, first 2 shown]
	v_cndmask_b32_e64 v6, 0, 1, s[0:1]
	s_and_b64 s[0:1], s[14:15], s[38:39]
	v_cmp_eq_u32_e64 s[46:47], 1, v7
	v_cmp_eq_u32_e64 s[54:55], 2, v7
	;; [unrolled: 1-line block ×3, first 2 shown]
	v_cndmask_b32_e64 v7, 0, 1, s[0:1]
	v_cmp_ne_u32_e64 s[0:1], 0, v4
	v_cmp_ne_u32_e64 s[2:3], 0, v5
	v_cmp_ne_u32_e64 s[36:37], 0, v6
	v_cmp_ne_u32_e64 s[38:39], 0, v7
	s_bcnt1_i32_b64 s0, s[0:1]
	s_bcnt1_i32_b64 s1, s[2:3]
	s_bcnt1_i32_b64 s2, s[36:37]
	s_bcnt1_i32_b64 s3, s[38:39]
	s_add_u32 s0, s0, s90
	s_addc_u32 s13, 0, s91
	s_add_u32 s0, s0, s1
	s_addc_u32 s1, s13, 0
	s_add_u32 s0, s0, s2
	s_addc_u32 s1, s1, 0
	s_add_u32 s90, s0, s3
	s_addc_u32 s91, s1, 0
	s_and_b64 s[0:1], s[20:21], s[40:41]
	v_cndmask_b32_e64 v6, 0, 1, s[0:1]
	s_and_b64 s[0:1], s[18:19], s[42:43]
	v_cndmask_b32_e64 v7, 0, 1, s[0:1]
	s_and_b64 s[0:1], s[16:17], s[44:45]
	v_cndmask_b32_e64 v8, 0, 1, s[0:1]
	s_and_b64 s[0:1], s[14:15], s[46:47]
	v_cndmask_b32_e64 v9, 0, 1, s[0:1]
	v_cmp_ne_u32_e64 s[0:1], 0, v6
	v_cmp_ne_u32_e64 s[2:3], 0, v7
	v_cmp_ne_u32_e64 s[36:37], 0, v8
	v_cmp_ne_u32_e64 s[38:39], 0, v9
	s_bcnt1_i32_b64 s0, s[0:1]
	s_bcnt1_i32_b64 s1, s[2:3]
	s_bcnt1_i32_b64 s2, s[36:37]
	s_bcnt1_i32_b64 s3, s[38:39]
	s_add_u32 s0, s0, s88
	s_addc_u32 s13, 0, s89
	s_add_u32 s0, s0, s1
	s_addc_u32 s1, s13, 0
	s_add_u32 s0, s0, s2
	s_addc_u32 s1, s1, 0
	s_add_u32 s88, s0, s3
	s_addc_u32 s89, s1, 0
	s_and_b64 s[0:1], s[20:21], s[48:49]
	v_cndmask_b32_e64 v8, 0, 1, s[0:1]
	s_and_b64 s[0:1], s[18:19], s[50:51]
	v_cndmask_b32_e64 v9, 0, 1, s[0:1]
	s_and_b64 s[0:1], s[16:17], s[52:53]
	v_cndmask_b32_e64 v10, 0, 1, s[0:1]
	s_and_b64 s[0:1], s[14:15], s[54:55]
	v_cndmask_b32_e64 v11, 0, 1, s[0:1]
	v_cmp_ne_u32_e64 s[0:1], 0, v8
	v_cmp_ne_u32_e64 s[2:3], 0, v9
	v_cmp_ne_u32_e64 s[36:37], 0, v10
	v_cmp_ne_u32_e64 s[38:39], 0, v11
	s_bcnt1_i32_b64 s0, s[0:1]
	s_bcnt1_i32_b64 s1, s[2:3]
	s_bcnt1_i32_b64 s2, s[36:37]
	s_bcnt1_i32_b64 s3, s[38:39]
	s_add_u32 s0, s0, s86
	s_addc_u32 s13, 0, s87
	s_add_u32 s0, s0, s1
	s_addc_u32 s1, s13, 0
	s_add_u32 s0, s0, s2
	s_addc_u32 s1, s1, 0
	s_add_u32 s86, s0, s3
	s_addc_u32 s87, s1, 0
	s_and_b64 s[0:1], s[20:21], s[28:29]
	v_cndmask_b32_e64 v10, 0, 1, s[0:1]
	s_and_b64 s[0:1], s[18:19], s[26:27]
	v_cndmask_b32_e64 v11, 0, 1, s[0:1]
	s_and_b64 s[0:1], s[16:17], s[24:25]
	v_cndmask_b32_e64 v32, 0, 1, s[0:1]
	s_and_b64 s[0:1], s[14:15], s[22:23]
	v_cndmask_b32_e64 v50, 0, 1, s[0:1]
	v_cmp_ne_u32_e64 s[0:1], 0, v10
	v_cmp_ne_u32_e64 s[2:3], 0, v11
	;; [unrolled: 1-line block ×4, first 2 shown]
	s_bcnt1_i32_b64 s0, s[0:1]
	s_bcnt1_i32_b64 s1, s[2:3]
	;; [unrolled: 1-line block ×4, first 2 shown]
	s_add_u32 s0, s0, s80
	s_addc_u32 s13, 0, s81
	s_add_u32 s0, s0, s1
	s_addc_u32 s1, s13, 0
	;; [unrolled: 2-line block ×4, first 2 shown]
	v_mov_b64_e32 v[4:5], s[90:91]
	v_mov_b64_e32 v[6:7], s[88:89]
	;; [unrolled: 1-line block ×3, first 2 shown]
	s_or_b64 s[72:73], vcc, s[72:73]
	v_mov_b64_e32 v[10:11], s[80:81]
	s_andn2_b64 exec, exec, s[72:73]
	s_cbranch_execnz .LBB92_68
; %bb.69:                               ;   in Loop: Header=BB92_9 Depth=1
	s_or_b64 exec, exec, s[72:73]
	v_readlane_b32 s72, v62, 33
	v_readlane_b32 s80, v62, 35
	;; [unrolled: 1-line block ×4, first 2 shown]
	s_mov_b32 s55, s85
.LBB92_70:                              ;   in Loop: Header=BB92_9 Depth=1
	s_or_b64 exec, exec, s[34:35]
	s_bitset0_b32 s12, 31
	s_mov_b32 s13, s75
	v_lshl_add_u64 v[36:37], s[30:31], 0, v[0:1]
	v_and_b32_e32 v2, 0xffff, v2
	v_cmp_gt_u64_e32 vcc, s[12:13], v[36:37]
	s_and_saveexec_b64 s[20:21], vcc
	s_cbranch_execz .LBB92_74
; %bb.71:                               ;   in Loop: Header=BB92_9 Depth=1
	v_lshl_add_u32 v31, s8, 4, v14
	s_mov_b64 s[8:9], 0
.LBB92_72:                              ;   Parent Loop BB92_9 Depth=1
                                        ; =>  This Inner Loop Header: Depth=2
	ds_read_b32 v32, v31
	v_lshl_add_u64 v[36:37], v[36:37], 0, v[2:3]
	v_cmp_le_u64_e32 vcc, s[12:13], v[36:37]
	v_add_u32_e32 v31, s10, v31
	s_waitcnt lgkmcnt(0)
	v_xor_b32_e32 v50, 0x80000000, v32
	v_bitop3_b32 v32, v32, v47, s77 bitop3:0x48
	v_cmp_eq_u32_e64 s[0:1], v32, v44
	v_bfe_u32 v32, v50, s84, 2
	v_cmp_eq_u32_e64 s[2:3], 0, v32
	v_cmp_eq_u32_e64 s[14:15], 1, v32
	s_and_b64 s[2:3], s[0:1], s[2:3]
	v_cmp_eq_u32_e64 s[16:17], 2, v32
	v_cmp_eq_u32_e64 s[18:19], 3, v32
	v_cndmask_b32_e64 v32, 0, 1, s[2:3]
	s_and_b64 s[2:3], s[0:1], s[14:15]
	v_cndmask_b32_e64 v50, 0, 1, s[2:3]
	s_and_b64 s[2:3], s[0:1], s[16:17]
	s_and_b64 s[0:1], s[0:1], s[18:19]
	v_cndmask_b32_e64 v52, 0, 1, s[0:1]
	v_cmp_ne_u32_e64 s[0:1], 0, v32
	v_cndmask_b32_e64 v51, 0, 1, s[2:3]
	v_cmp_ne_u32_e64 s[2:3], 0, v50
	s_bcnt1_i32_b64 s74, s[0:1]
	v_cmp_ne_u32_e64 s[14:15], 0, v51
	v_lshl_add_u64 v[4:5], s[74:75], 0, v[4:5]
	s_bcnt1_i32_b64 s74, s[2:3]
	v_cmp_ne_u32_e64 s[16:17], 0, v52
	v_lshl_add_u64 v[6:7], s[74:75], 0, v[6:7]
	s_bcnt1_i32_b64 s74, s[14:15]
	v_lshl_add_u64 v[8:9], s[74:75], 0, v[8:9]
	s_bcnt1_i32_b64 s74, s[16:17]
	s_or_b64 s[8:9], vcc, s[8:9]
	v_lshl_add_u64 v[10:11], s[74:75], 0, v[10:11]
	s_andn2_b64 exec, exec, s[8:9]
	s_cbranch_execnz .LBB92_72
; %bb.73:                               ;   in Loop: Header=BB92_9 Depth=1
	s_or_b64 exec, exec, s[8:9]
.LBB92_74:                              ;   in Loop: Header=BB92_9 Depth=1
	s_or_b64 exec, exec, s[20:21]
	v_lshlrev_b32_e32 v2, 6, v46
	s_and_saveexec_b64 s[0:1], s[4:5]
	s_cbranch_execnz .LBB92_45
	s_branch .LBB92_46
.LBB92_75:                              ;   in Loop: Header=BB92_9 Depth=1
                                        ; implicit-def: $sgpr0_sgpr1
	s_branch .LBB92_54
.LBB92_76:                              ;   in Loop: Header=BB92_9 Depth=1
	s_mov_b32 s2, 0
	v_mov_b64_e32 v[4:5], 0
.LBB92_77:                              ;   in Loop: Header=BB92_9 Depth=1
	v_readlane_b32 s8, v62, 29
	v_readlane_b32 s9, v62, 30
	s_andn2_b64 vcc, exec, s[8:9]
	s_cbranch_vccnz .LBB92_80
; %bb.78:                               ;   in Loop: Header=BB92_9 Depth=1
	v_lshlrev_b32_e32 v6, 9, v46
	s_lshl_b32 s2, s2, 5
	v_add_u32_e32 v6, s2, v6
	v_add_u32_e32 v6, v43, v6
	v_readlane_b32 s2, v62, 28
.LBB92_79:                              ;   Parent Loop BB92_9 Depth=1
                                        ; =>  This Inner Loop Header: Depth=2
	ds_read_b64 v[8:9], v6
	s_add_i32 s2, s2, -1
	v_add_u32_e32 v6, 32, v6
	s_cmp_lg_u32 s2, 0
	s_waitcnt lgkmcnt(0)
	v_lshl_add_u64 v[4:5], v[8:9], 0, v[4:5]
	s_cbranch_scc1 .LBB92_79
.LBB92_80:                              ;   in Loop: Header=BB92_9 Depth=1
	v_add_lshl_u32 v6, v2, v38, 3
	ds_write_b64 v6, v[4:5] offset:3072
.LBB92_81:                              ;   in Loop: Header=BB92_9 Depth=1
	s_or_b64 exec, exec, s[0:1]
	v_lshlrev_b32_e32 v2, 3, v2
	s_waitcnt lgkmcnt(0)
	s_barrier
	ds_read_b128 v[8:11], v2 offset:3088
	ds_read_b128 v[4:7], v2 offset:3072
	s_lshl_b32 s54, 3, s84
	v_cmp_eq_u64_e64 s[0:1], 1, v[34:35]
	s_not_b32 s48, s54
	s_waitcnt lgkmcnt(1)
	v_readfirstlane_b32 s20, v8
	s_waitcnt lgkmcnt(0)
	v_cmp_eq_u64_e32 vcc, 1, v[4:5]
	v_readfirstlane_b32 s21, v9
	v_readfirstlane_b32 s2, v10
	;; [unrolled: 1-line block ×3, first 2 shown]
	s_and_b64 s[10:11], vcc, s[0:1]
	s_mov_b64 s[0:1], -1
	s_mov_b64 s[16:17], -1
                                        ; implicit-def: $sgpr14_sgpr15
                                        ; implicit-def: $sgpr8_sgpr9
	s_and_saveexec_b64 s[12:13], s[10:11]
	s_cbranch_execz .LBB92_113
; %bb.82:                               ;   in Loop: Header=BB92_9 Depth=1
	ds_read_b64 v[8:9], v3 offset:5120
	s_waitcnt lgkmcnt(0)
	s_barrier
	v_readfirstlane_b32 s18, v8
	v_readfirstlane_b32 s19, v9
	s_mov_b64 s[8:9], exec
	v_readlane_b32 s14, v62, 14
	v_readlane_b32 s15, v62, 15
	s_and_b64 s[14:15], s[8:9], s[14:15]
	s_mov_b64 exec, s[14:15]
; %bb.83:                               ;   in Loop: Header=BB92_9 Depth=1
	ds_write_b32 v39, v3
; %bb.84:                               ;   in Loop: Header=BB92_9 Depth=1
	s_or_b64 exec, exec, s[8:9]
	v_and_b32_e32 v44, s48, v44
	v_or_b32_e32 v47, s54, v47
	s_mov_b64 s[8:9], -1
	s_mov_b64 s[14:15], 0
	s_cmp_eq_u64 s[18:19], 0
	s_mov_b64 s[16:17], 0
	s_mov_b64 s[22:23], -1
	s_waitcnt lgkmcnt(0)
	s_barrier
                                        ; implicit-def: $vgpr33
	s_cbranch_scc1 .LBB92_98
; %bb.85:                               ;   in Loop: Header=BB92_9 Depth=1
	v_readlane_b32 s16, v62, 20
	s_add_u32 s26, s18, s16
	v_readlane_b32 s16, v62, 21
	s_addc_u32 s17, s19, s16
	s_mov_b32 s16, s75
	s_cmp_lg_u64 s[16:17], 0
	s_cbranch_scc0 .LBB92_139
; %bb.86:                               ;   in Loop: Header=BB92_9 Depth=1
	v_cvt_f32_u32_e32 v2, s70
	s_sub_u32 s16, 0, s70
	s_subb_u32 s24, 0, 0
	v_fmac_f32_e32 v2, 0, v45
	v_rcp_f32_e32 v2, v2
	s_nop 0
	v_mul_f32_e32 v2, 0x5f7ffffc, v2
	v_mul_f32_e32 v8, 0x2f800000, v2
	v_trunc_f32_e32 v8, v8
	v_fmac_f32_e32 v2, 0xcf800000, v8
	v_cvt_u32_f32_e32 v8, v8
	v_cvt_u32_f32_e32 v2, v2
	v_readfirstlane_b32 s25, v8
	v_readfirstlane_b32 s22, v2
	s_mul_i32 s23, s16, s25
	s_mul_hi_u32 s28, s16, s22
	s_mul_i32 s27, s24, s22
	s_add_i32 s23, s28, s23
	s_mul_i32 s29, s16, s22
	s_add_i32 s23, s23, s27
	s_mul_hi_u32 s28, s22, s29
	s_mul_i32 s30, s22, s23
	s_mul_hi_u32 s27, s22, s23
	s_add_u32 s28, s28, s30
	s_addc_u32 s27, 0, s27
	s_mul_hi_u32 s31, s25, s29
	s_mul_i32 s29, s25, s29
	s_add_u32 s28, s28, s29
	s_mul_hi_u32 s30, s25, s23
	s_addc_u32 s27, s27, s31
	s_addc_u32 s28, s30, 0
	s_mul_i32 s23, s25, s23
	s_add_u32 s23, s27, s23
	s_addc_u32 s27, 0, s28
	s_add_u32 s28, s22, s23
	s_cselect_b64 s[22:23], -1, 0
	s_cmp_lg_u64 s[22:23], 0
	s_addc_u32 s25, s25, s27
	s_mul_i32 s22, s16, s25
	s_mul_hi_u32 s23, s16, s28
	s_add_i32 s22, s23, s22
	s_mul_i32 s24, s24, s28
	s_add_i32 s22, s22, s24
	s_mul_i32 s16, s16, s28
	s_mul_hi_u32 s24, s25, s16
	s_mul_i32 s27, s25, s16
	s_mul_i32 s30, s28, s22
	s_mul_hi_u32 s16, s28, s16
	s_mul_hi_u32 s29, s28, s22
	s_add_u32 s16, s16, s30
	s_addc_u32 s29, 0, s29
	s_add_u32 s16, s16, s27
	s_mul_hi_u32 s23, s25, s22
	s_addc_u32 s16, s29, s24
	s_addc_u32 s23, s23, 0
	s_mul_i32 s22, s25, s22
	s_add_u32 s16, s16, s22
	s_addc_u32 s24, 0, s23
	s_add_u32 s16, s28, s16
	s_cselect_b64 s[22:23], -1, 0
	s_cmp_lg_u64 s[22:23], 0
	s_addc_u32 s22, s25, s24
	s_mul_i32 s24, s26, s22
	s_mul_hi_u32 s25, s26, s16
	s_mul_hi_u32 s23, s26, s22
	s_add_u32 s24, s25, s24
	s_addc_u32 s23, 0, s23
	s_mul_hi_u32 s27, s17, s16
	s_mul_i32 s16, s17, s16
	s_add_u32 s16, s24, s16
	s_mul_hi_u32 s25, s17, s22
	s_addc_u32 s16, s23, s27
	s_addc_u32 s23, s25, 0
	s_mul_i32 s22, s17, s22
	s_add_u32 s16, s16, s22
	s_addc_u32 s22, 0, s23
	s_mul_i32 s22, s70, s22
	s_mul_hi_u32 s23, s70, s16
	s_add_i32 s24, s23, s22
	s_mul_i32 s16, s70, s16
	s_sub_u32 s16, s26, s16
	s_cselect_b64 s[22:23], -1, 0
	s_cmp_lg_u64 s[22:23], 0
	s_subb_u32 s24, s17, s24
	s_sub_u32 s25, s16, s70
	s_cselect_b64 s[22:23], -1, 0
	s_cmp_lg_u64 s[22:23], 0
	s_subb_u32 s27, s24, 0
	;; [unrolled: 4-line block ×3, first 2 shown]
	s_cmp_ge_u32 s25, s70
	s_cselect_b32 s23, -1, 0
	s_cmp_eq_u32 s27, 0
	s_cselect_b32 s23, s23, -1
	s_cmp_lg_u32 s23, 0
	s_cselect_b32 s22, s22, s27
	s_cselect_b32 s25, s28, s25
	s_cmp_ge_u32 s16, s70
	s_cselect_b32 s23, -1, 0
	s_cmp_eq_u32 s24, 0
	s_cselect_b32 s23, s23, -1
	s_cmp_lg_u32 s23, 0
	s_cselect_b32 s23, s22, s24
	s_cselect_b32 s22, s25, s16
	s_cbranch_execnz .LBB92_88
.LBB92_87:                              ;   in Loop: Header=BB92_9 Depth=1
	v_cvt_f32_u32_e32 v2, s70
	s_sub_i32 s16, 0, s70
	v_rcp_iflag_f32_e32 v2, v2
	s_nop 0
	v_mul_f32_e32 v2, 0x4f7ffffe, v2
	v_cvt_u32_f32_e32 v2, v2
	s_nop 0
	v_readfirstlane_b32 s22, v2
	s_mul_i32 s16, s16, s22
	s_mul_hi_u32 s16, s22, s16
	s_add_i32 s22, s22, s16
	s_mul_hi_u32 s16, s26, s22
	s_mul_i32 s16, s16, s70
	s_sub_i32 s16, s26, s16
	s_sub_i32 s22, s16, s70
	s_cmp_ge_u32 s16, s70
	s_cselect_b32 s16, s22, s16
	s_sub_i32 s22, s16, s70
	s_cmp_ge_u32 s16, s70
	s_cselect_b32 s74, s22, s16
	s_mov_b64 s[22:23], s[74:75]
.LBB92_88:                              ;   in Loop: Header=BB92_9 Depth=1
	s_sub_u32 s26, s26, s22
	s_subb_u32 s27, s17, s23
	v_cmp_gt_u64_e32 vcc, s[26:27], v[0:1]
	s_mov_b64 s[22:23], 0
	s_mov_b64 s[16:17], 0
                                        ; implicit-def: $vgpr33
	s_and_saveexec_b64 s[24:25], vcc
	s_cbranch_execz .LBB92_97
; %bb.89:                               ;   in Loop: Header=BB92_9 Depth=1
	v_mov_b32_e32 v2, v14
	v_mov_b64_e32 v[8:9], v[0:1]
                                        ; implicit-def: $sgpr28_sgpr29
	s_branch .LBB92_92
.LBB92_90:                              ;   in Loop: Header=BB92_92 Depth=2
	s_or_b64 exec, exec, s[30:31]
	s_waitcnt lgkmcnt(0)
	s_barrier
	ds_read_b64 v[32:33], v3 offset:3072
	s_mov_b64 s[30:31], -1
	s_mov_b64 s[34:35], -1
	s_waitcnt lgkmcnt(0)
	s_barrier
	v_cmp_ne_u32_e32 vcc, 0, v32
	s_cbranch_vccz .LBB92_95
.LBB92_91:                              ;   in Loop: Header=BB92_92 Depth=2
	s_and_b64 s[30:31], exec, s[30:31]
	s_or_b64 s[16:17], s[30:31], s[16:17]
	s_andn2_b64 s[28:29], s[28:29], exec
	s_and_b64 s[30:31], s[34:35], exec
	s_or_b64 s[28:29], s[28:29], s[30:31]
	s_andn2_b64 exec, exec, s[16:17]
	s_cbranch_execz .LBB92_96
.LBB92_92:                              ;   Parent Loop BB92_9 Depth=1
                                        ; =>  This Inner Loop Header: Depth=2
	v_cmp_gt_u64_e32 vcc, s[18:19], v[8:9]
	s_and_saveexec_b64 s[30:31], vcc
	s_cbranch_execz .LBB92_90
; %bb.93:                               ;   in Loop: Header=BB92_92 Depth=2
	ds_read_b32 v31, v2
	s_waitcnt lgkmcnt(0)
	v_bitop3_b32 v10, v31, v47, s77 bitop3:0x48
	v_cmp_eq_u32_e32 vcc, v10, v44
	s_and_b64 exec, exec, vcc
	s_cbranch_execz .LBB92_90
; %bb.94:                               ;   in Loop: Header=BB92_92 Depth=2
	ds_write_b64 v3, v[30:31] offset:3072
	s_branch .LBB92_90
.LBB92_95:                              ;   in Loop: Header=BB92_92 Depth=2
	v_lshl_add_u64 v[8:9], v[8:9], 0, s[70:71]
	v_cmp_le_u64_e32 vcc, s[26:27], v[8:9]
	v_add_u32_e32 v2, s76, v2
	s_mov_b64 s[34:35], 0
	s_orn2_b64 s[30:31], vcc, exec
	s_branch .LBB92_91
.LBB92_96:                              ;   in Loop: Header=BB92_9 Depth=1
	s_or_b64 exec, exec, s[16:17]
	s_and_b64 s[16:17], s[28:29], exec
.LBB92_97:                              ;   in Loop: Header=BB92_9 Depth=1
	s_or_b64 exec, exec, s[24:25]
.LBB92_98:                              ;   in Loop: Header=BB92_9 Depth=1
	s_and_b64 vcc, exec, s[22:23]
	s_cbranch_vccz .LBB92_112
; %bb.99:                               ;   in Loop: Header=BB92_9 Depth=1
	s_mov_b32 s82, s75
	s_cmp_lg_u64 s[82:83], 0
	s_cbranch_scc0 .LBB92_143
; %bb.100:                              ;   in Loop: Header=BB92_9 Depth=1
	v_cvt_f32_u32_e32 v2, s70
	s_sub_u32 s14, 0, s70
	s_subb_u32 s15, 0, 0
	v_fmac_f32_e32 v2, 0, v45
	v_rcp_f32_e32 v2, v2
	s_nop 0
	v_mul_f32_e32 v2, 0x5f7ffffc, v2
	v_mul_f32_e32 v8, 0x2f800000, v2
	v_trunc_f32_e32 v8, v8
	v_fmac_f32_e32 v2, 0xcf800000, v8
	v_cvt_u32_f32_e32 v8, v8
	v_cvt_u32_f32_e32 v2, v2
	v_readfirstlane_b32 s18, v8
	v_readfirstlane_b32 s8, v2
	s_mul_i32 s9, s14, s18
	s_mul_hi_u32 s22, s14, s8
	s_mul_i32 s19, s15, s8
	s_add_i32 s9, s22, s9
	s_mul_i32 s23, s14, s8
	s_add_i32 s9, s9, s19
	s_mul_hi_u32 s22, s8, s23
	s_mul_i32 s24, s8, s9
	s_mul_hi_u32 s19, s8, s9
	s_add_u32 s22, s22, s24
	s_addc_u32 s19, 0, s19
	s_mul_hi_u32 s25, s18, s23
	s_mul_i32 s23, s18, s23
	s_add_u32 s22, s22, s23
	s_mul_hi_u32 s24, s18, s9
	s_addc_u32 s19, s19, s25
	s_addc_u32 s22, s24, 0
	s_mul_i32 s9, s18, s9
	s_add_u32 s9, s19, s9
	s_addc_u32 s19, 0, s22
	s_add_u32 s22, s8, s9
	s_cselect_b64 s[8:9], -1, 0
	s_cmp_lg_u64 s[8:9], 0
	s_addc_u32 s18, s18, s19
	s_mul_i32 s8, s14, s18
	s_mul_hi_u32 s9, s14, s22
	s_add_i32 s8, s9, s8
	s_mul_i32 s15, s15, s22
	s_add_i32 s8, s8, s15
	s_mul_i32 s14, s14, s22
	s_mul_hi_u32 s15, s18, s14
	s_mul_i32 s19, s18, s14
	s_mul_i32 s24, s22, s8
	s_mul_hi_u32 s14, s22, s14
	s_mul_hi_u32 s23, s22, s8
	s_add_u32 s14, s14, s24
	s_addc_u32 s23, 0, s23
	s_add_u32 s14, s14, s19
	s_mul_hi_u32 s9, s18, s8
	s_addc_u32 s14, s23, s15
	s_addc_u32 s9, s9, 0
	s_mul_i32 s8, s18, s8
	s_add_u32 s8, s14, s8
	s_addc_u32 s14, 0, s9
	s_add_u32 s15, s22, s8
	s_cselect_b64 s[8:9], -1, 0
	s_cmp_lg_u64 s[8:9], 0
	s_addc_u32 s8, s18, s14
	s_mul_i32 s14, s33, s8
	s_mul_hi_u32 s18, s33, s15
	s_mul_hi_u32 s9, s33, s8
	s_add_u32 s14, s18, s14
	s_addc_u32 s9, 0, s9
	s_mul_hi_u32 s19, s83, s15
	s_mul_i32 s15, s83, s15
	s_add_u32 s14, s14, s15
	s_mul_hi_u32 s18, s83, s8
	s_addc_u32 s9, s9, s19
	s_addc_u32 s14, s18, 0
	s_mul_i32 s8, s83, s8
	s_add_u32 s8, s9, s8
	s_addc_u32 s9, 0, s14
	s_mul_i32 s9, s70, s9
	s_mul_hi_u32 s14, s70, s8
	s_add_i32 s14, s14, s9
	s_mul_i32 s8, s70, s8
	s_sub_u32 s15, s33, s8
	s_cselect_b64 s[8:9], -1, 0
	s_cmp_lg_u64 s[8:9], 0
	s_subb_u32 s14, s83, s14
	s_sub_u32 s18, s15, s70
	s_cselect_b64 s[8:9], -1, 0
	s_cmp_lg_u64 s[8:9], 0
	s_subb_u32 s19, s14, 0
	;; [unrolled: 4-line block ×3, first 2 shown]
	s_cmp_ge_u32 s18, s70
	s_cselect_b32 s9, -1, 0
	s_cmp_eq_u32 s19, 0
	s_cselect_b32 s9, s9, -1
	s_cmp_lg_u32 s9, 0
	s_cselect_b32 s8, s8, s19
	s_cselect_b32 s18, s22, s18
	s_cmp_ge_u32 s15, s70
	s_cselect_b32 s9, -1, 0
	s_cmp_eq_u32 s14, 0
	s_cselect_b32 s9, s9, -1
	s_cmp_lg_u32 s9, 0
	s_cselect_b32 s9, s8, s14
	s_cselect_b32 s8, s18, s15
	s_cbranch_execnz .LBB92_102
.LBB92_101:                             ;   in Loop: Header=BB92_9 Depth=1
	v_cvt_f32_u32_e32 v2, s70
	s_sub_i32 s8, 0, s70
	v_rcp_iflag_f32_e32 v2, v2
	s_nop 0
	v_mul_f32_e32 v2, 0x4f7ffffe, v2
	v_cvt_u32_f32_e32 v2, v2
	s_nop 0
	v_readfirstlane_b32 s9, v2
	s_mul_i32 s8, s8, s9
	s_mul_hi_u32 s8, s9, s8
	s_add_i32 s9, s9, s8
	s_mul_hi_u32 s8, s33, s9
	s_mul_i32 s8, s8, s70
	s_sub_i32 s8, s33, s8
	s_sub_i32 s9, s8, s70
	s_cmp_ge_u32 s8, s70
	s_cselect_b32 s8, s9, s8
	s_sub_i32 s9, s8, s70
	s_cmp_ge_u32 s8, s70
	s_cselect_b32 s74, s9, s8
	s_mov_b64 s[8:9], s[74:75]
.LBB92_102:                             ;   in Loop: Header=BB92_9 Depth=1
	s_sub_u32 s14, s33, s8
	s_subb_u32 s15, s83, s9
	v_cmp_gt_u64_e32 vcc, s[14:15], v[0:1]
                                        ; implicit-def: $vgpr33
	s_and_saveexec_b64 s[8:9], vcc
	s_cbranch_execz .LBB92_111
; %bb.103:                              ;   in Loop: Header=BB92_9 Depth=1
	s_mov_b64 s[18:19], 0
	v_mov_b64_e32 v[8:9], v[12:13]
	v_mov_b64_e32 v[10:11], v[0:1]
                                        ; implicit-def: $sgpr22_sgpr23
	s_branch .LBB92_106
.LBB92_104:                             ;   in Loop: Header=BB92_106 Depth=2
	s_or_b64 exec, exec, s[24:25]
	s_waitcnt lgkmcnt(0)
	s_barrier
	ds_read_b64 v[32:33], v3 offset:3072
	s_mov_b64 s[24:25], -1
	s_mov_b64 s[26:27], -1
	s_waitcnt lgkmcnt(0)
	s_barrier
	v_cmp_ne_u32_e32 vcc, 0, v32
	s_cbranch_vccz .LBB92_109
.LBB92_105:                             ;   in Loop: Header=BB92_106 Depth=2
	s_and_b64 s[24:25], exec, s[24:25]
	s_or_b64 s[18:19], s[24:25], s[18:19]
	s_andn2_b64 s[22:23], s[22:23], exec
	s_and_b64 s[24:25], s[26:27], exec
	s_or_b64 s[22:23], s[22:23], s[24:25]
	s_andn2_b64 exec, exec, s[18:19]
	s_cbranch_execz .LBB92_110
.LBB92_106:                             ;   Parent Loop BB92_9 Depth=1
                                        ; =>  This Inner Loop Header: Depth=2
	v_cmp_gt_u64_e32 vcc, s[56:57], v[10:11]
	s_and_saveexec_b64 s[24:25], vcc
	s_cbranch_execz .LBB92_104
; %bb.107:                              ;   in Loop: Header=BB92_106 Depth=2
	global_load_dword v31, v[8:9], off
	s_waitcnt vmcnt(0)
	v_bitop3_b32 v2, v31, v47, s77 bitop3:0x48
	v_cmp_eq_u32_e32 vcc, v2, v44
	s_and_b64 exec, exec, vcc
	s_cbranch_execz .LBB92_104
; %bb.108:                              ;   in Loop: Header=BB92_106 Depth=2
	ds_write_b64 v3, v[30:31] offset:3072
	s_branch .LBB92_104
.LBB92_109:                             ;   in Loop: Header=BB92_106 Depth=2
	v_lshl_add_u64 v[10:11], v[10:11], 0, s[70:71]
	v_cmp_le_u64_e32 vcc, s[14:15], v[10:11]
	v_lshl_add_u64 v[8:9], v[8:9], 0, s[78:79]
	s_mov_b64 s[26:27], 0
	s_orn2_b64 s[24:25], vcc, exec
	s_branch .LBB92_105
.LBB92_110:                             ;   in Loop: Header=BB92_9 Depth=1
	s_or_b64 exec, exec, s[18:19]
	s_andn2_b64 s[14:15], s[16:17], exec
	s_and_b64 s[16:17], s[22:23], exec
	s_or_b64 s[16:17], s[14:15], s[16:17]
.LBB92_111:                             ;   in Loop: Header=BB92_9 Depth=1
	s_or_b64 exec, exec, s[8:9]
	s_mov_b64 s[8:9], 0
	s_mov_b64 s[14:15], -1
.LBB92_112:                             ;   in Loop: Header=BB92_9 Depth=1
	s_orn2_b64 s[16:17], s[16:17], exec
.LBB92_113:                             ;   in Loop: Header=BB92_9 Depth=1
	s_or_b64 exec, exec, s[12:13]
	s_andn2_b64 s[12:13], s[66:67], exec
	s_and_b64 s[14:15], s[14:15], exec
	s_or_b64 s[66:67], s[12:13], s[14:15]
	s_andn2_b64 s[12:13], s[64:65], exec
	s_and_b64 s[8:9], s[8:9], exec
	s_andn2_b64 s[62:63], s[62:63], exec
	s_or_b64 s[64:65], s[12:13], s[8:9]
                                        ; implicit-def: $vgpr8_vgpr9
	s_and_saveexec_b64 s[14:15], s[16:17]
	s_cbranch_execz .LBB92_8
; %bb.114:                              ;   in Loop: Header=BB92_9 Depth=1
	s_xor_b64 s[8:9], s[10:11], -1
	v_mov_b32_e32 v2, 1
	s_mov_b64 s[10:11], 0
	v_mov_b64_e32 v[8:9], 1
	s_and_saveexec_b64 s[0:1], s[8:9]
	s_cbranch_execz .LBB92_123
; %bb.115:                              ;   in Loop: Header=BB92_9 Depth=1
	v_cmp_le_u64_e32 vcc, v[34:35], v[4:5]
	s_and_saveexec_b64 s[8:9], vcc
	s_xor_b64 s[8:9], exec, s[8:9]
	s_cbranch_execz .LBB92_120
; %bb.116:                              ;   in Loop: Header=BB92_9 Depth=1
	ds_read_b64 v[8:9], v3 offset:5120
	v_and_b32_e32 v44, s48, v44
	v_or_b32_e32 v47, s54, v47
	s_waitcnt lgkmcnt(0)
	v_cmp_ne_u64_e32 vcc, 0, v[8:9]
	s_cbranch_vccnz .LBB92_120
; %bb.117:                              ;   in Loop: Header=BB92_9 Depth=1
	s_mov_b64 s[10:11], exec
	v_readlane_b32 s12, v62, 0
	v_readlane_b32 s13, v62, 1
	s_and_b64 s[12:13], s[10:11], s[12:13]
	s_mov_b64 exec, s[12:13]
; %bb.118:                              ;   in Loop: Header=BB92_9 Depth=1
	ds_write_b64 v3, v[4:5] offset:5128
; %bb.119:                              ;   in Loop: Header=BB92_9 Depth=1
	s_or_b64 exec, exec, s[10:11]
	s_waitcnt lgkmcnt(0)
	s_barrier
.LBB92_120:                             ;   in Loop: Header=BB92_9 Depth=1
	s_or_saveexec_b64 s[8:9], s[8:9]
	s_mov_b64 s[10:11], 0
	v_mov_b32_e32 v2, 8
	s_xor_b64 exec, exec, s[8:9]
; %bb.121:                              ;   in Loop: Header=BB92_9 Depth=1
	v_sub_co_u32_e32 v34, vcc, v34, v4
	s_mov_b64 s[10:11], exec
	s_nop 0
	v_subb_co_u32_e32 v35, vcc, v35, v5, vcc
	v_mov_b32_e32 v2, 0
; %bb.122:                              ;   in Loop: Header=BB92_9 Depth=1
	s_or_b64 exec, exec, s[8:9]
	s_and_b64 s[10:11], s[10:11], exec
	v_mov_b64_e32 v[8:9], v[34:35]
.LBB92_123:                             ;   in Loop: Header=BB92_9 Depth=1
	s_or_b64 exec, exec, s[0:1]
	s_mov_b64 s[16:17], -1
	s_mov_b64 s[8:9], -1
                                        ; implicit-def: $sgpr0_sgpr1
                                        ; implicit-def: $sgpr22_sgpr23
	s_and_saveexec_b64 s[12:13], s[10:11]
	s_xor_b64 s[18:19], exec, s[12:13]
	s_cbranch_execz .LBB92_268
; %bb.124:                              ;   in Loop: Header=BB92_9 Depth=1
	v_cmp_eq_u64_e32 vcc, 1, v[6:7]
	v_cmp_eq_u64_e64 s[0:1], 1, v[8:9]
	s_and_b64 s[10:11], vcc, s[0:1]
                                        ; implicit-def: $sgpr22_sgpr23
                                        ; implicit-def: $sgpr0_sgpr1
	s_and_saveexec_b64 s[12:13], s[10:11]
	s_cbranch_execz .LBB92_161
; %bb.125:                              ;   in Loop: Header=BB92_9 Depth=1
	ds_read_b64 v[4:5], v3 offset:5120
	s_waitcnt lgkmcnt(0)
	s_barrier
	v_readfirstlane_b32 s24, v4
	v_readfirstlane_b32 s25, v5
	s_mov_b64 s[0:1], exec
	v_readlane_b32 s8, v62, 14
	v_readlane_b32 s9, v62, 15
	s_and_b64 s[8:9], s[0:1], s[8:9]
	s_mov_b64 exec, s[8:9]
; %bb.126:                              ;   in Loop: Header=BB92_9 Depth=1
	ds_write_b32 v39, v3
; %bb.127:                              ;   in Loop: Header=BB92_9 Depth=1
	s_or_b64 exec, exec, s[0:1]
	v_and_b32_e32 v4, s48, v44
	v_lshl_or_b32 v44, 1, s84, v4
	v_or_b32_e32 v47, s54, v47
	s_mov_b64 s[0:1], -1
	s_mov_b64 s[22:23], 0
	s_cmp_eq_u64 s[24:25], 0
	s_mov_b64 s[8:9], 0
	s_mov_b64 s[26:27], -1
	s_waitcnt lgkmcnt(0)
	s_barrier
                                        ; implicit-def: $vgpr33
	s_cbranch_scc1 .LBB92_146
; %bb.128:                              ;   in Loop: Header=BB92_9 Depth=1
	v_readlane_b32 s8, v62, 20
	s_add_u32 s30, s24, s8
	v_readlane_b32 s8, v62, 21
	s_addc_u32 s9, s25, s8
	s_mov_b32 s8, s75
	s_cmp_lg_u64 s[8:9], 0
	s_cbranch_scc0 .LBB92_188
; %bb.129:                              ;   in Loop: Header=BB92_9 Depth=1
	v_cvt_f32_u32_e32 v4, s70
	s_sub_u32 s8, 0, s70
	s_subb_u32 s28, 0, 0
	v_fmac_f32_e32 v4, 0, v45
	v_rcp_f32_e32 v4, v4
	s_nop 0
	v_mul_f32_e32 v4, 0x5f7ffffc, v4
	v_mul_f32_e32 v5, 0x2f800000, v4
	v_trunc_f32_e32 v5, v5
	v_fmac_f32_e32 v4, 0xcf800000, v5
	v_cvt_u32_f32_e32 v5, v5
	v_cvt_u32_f32_e32 v4, v4
	v_readfirstlane_b32 s29, v5
	v_readfirstlane_b32 s26, v4
	s_mul_i32 s27, s8, s29
	s_mul_hi_u32 s34, s8, s26
	s_mul_i32 s31, s28, s26
	s_add_i32 s27, s34, s27
	s_mul_i32 s35, s8, s26
	s_add_i32 s27, s27, s31
	s_mul_hi_u32 s34, s26, s35
	s_mul_i32 s36, s26, s27
	s_mul_hi_u32 s31, s26, s27
	s_add_u32 s34, s34, s36
	s_addc_u32 s31, 0, s31
	s_mul_hi_u32 s37, s29, s35
	s_mul_i32 s35, s29, s35
	s_add_u32 s34, s34, s35
	s_mul_hi_u32 s36, s29, s27
	s_addc_u32 s31, s31, s37
	s_addc_u32 s34, s36, 0
	s_mul_i32 s27, s29, s27
	s_add_u32 s27, s31, s27
	s_addc_u32 s31, 0, s34
	s_add_u32 s34, s26, s27
	s_cselect_b64 s[26:27], -1, 0
	s_cmp_lg_u64 s[26:27], 0
	s_addc_u32 s29, s29, s31
	s_mul_i32 s26, s8, s29
	s_mul_hi_u32 s27, s8, s34
	s_add_i32 s26, s27, s26
	s_mul_i32 s28, s28, s34
	s_add_i32 s26, s26, s28
	s_mul_i32 s8, s8, s34
	s_mul_hi_u32 s28, s29, s8
	s_mul_i32 s31, s29, s8
	s_mul_i32 s36, s34, s26
	s_mul_hi_u32 s8, s34, s8
	s_mul_hi_u32 s35, s34, s26
	s_add_u32 s8, s8, s36
	s_addc_u32 s35, 0, s35
	s_add_u32 s8, s8, s31
	s_mul_hi_u32 s27, s29, s26
	s_addc_u32 s8, s35, s28
	s_addc_u32 s27, s27, 0
	s_mul_i32 s26, s29, s26
	s_add_u32 s8, s8, s26
	s_addc_u32 s28, 0, s27
	s_add_u32 s8, s34, s8
	s_cselect_b64 s[26:27], -1, 0
	s_cmp_lg_u64 s[26:27], 0
	s_addc_u32 s26, s29, s28
	s_mul_i32 s28, s30, s26
	s_mul_hi_u32 s29, s30, s8
	s_mul_hi_u32 s27, s30, s26
	s_add_u32 s28, s29, s28
	s_addc_u32 s27, 0, s27
	s_mul_hi_u32 s31, s9, s8
	s_mul_i32 s8, s9, s8
	s_add_u32 s8, s28, s8
	s_mul_hi_u32 s29, s9, s26
	s_addc_u32 s8, s27, s31
	s_addc_u32 s27, s29, 0
	s_mul_i32 s26, s9, s26
	s_add_u32 s8, s8, s26
	s_addc_u32 s26, 0, s27
	s_mul_i32 s26, s70, s26
	s_mul_hi_u32 s27, s70, s8
	s_add_i32 s28, s27, s26
	s_mul_i32 s8, s70, s8
	s_sub_u32 s8, s30, s8
	s_cselect_b64 s[26:27], -1, 0
	s_cmp_lg_u64 s[26:27], 0
	s_subb_u32 s28, s9, s28
	s_sub_u32 s29, s8, s70
	s_cselect_b64 s[26:27], -1, 0
	s_cmp_lg_u64 s[26:27], 0
	s_subb_u32 s31, s28, 0
	;; [unrolled: 4-line block ×3, first 2 shown]
	s_cmp_ge_u32 s29, s70
	s_cselect_b32 s27, -1, 0
	s_cmp_eq_u32 s31, 0
	s_cselect_b32 s27, s27, -1
	s_cmp_lg_u32 s27, 0
	s_cselect_b32 s26, s26, s31
	s_cselect_b32 s29, s34, s29
	s_cmp_ge_u32 s8, s70
	s_cselect_b32 s27, -1, 0
	s_cmp_eq_u32 s28, 0
	s_cselect_b32 s27, s27, -1
	s_cmp_lg_u32 s27, 0
	s_cselect_b32 s27, s26, s28
	s_cselect_b32 s26, s29, s8
	s_cbranch_execnz .LBB92_131
.LBB92_130:                             ;   in Loop: Header=BB92_9 Depth=1
	v_cvt_f32_u32_e32 v4, s70
	s_sub_i32 s8, 0, s70
	v_rcp_iflag_f32_e32 v4, v4
	s_nop 0
	v_mul_f32_e32 v4, 0x4f7ffffe, v4
	v_cvt_u32_f32_e32 v4, v4
	s_nop 0
	v_readfirstlane_b32 s26, v4
	s_mul_i32 s8, s8, s26
	s_mul_hi_u32 s8, s26, s8
	s_add_i32 s26, s26, s8
	s_mul_hi_u32 s8, s30, s26
	s_mul_i32 s8, s8, s70
	s_sub_i32 s8, s30, s8
	s_sub_i32 s26, s8, s70
	s_cmp_ge_u32 s8, s70
	s_cselect_b32 s8, s26, s8
	s_sub_i32 s26, s8, s70
	s_cmp_ge_u32 s8, s70
	s_cselect_b32 s74, s26, s8
	s_mov_b64 s[26:27], s[74:75]
.LBB92_131:                             ;   in Loop: Header=BB92_9 Depth=1
	s_sub_u32 s30, s30, s26
	s_subb_u32 s31, s9, s27
	v_cmp_gt_u64_e32 vcc, s[30:31], v[0:1]
	s_mov_b64 s[26:27], 0
	s_mov_b64 s[8:9], 0
                                        ; implicit-def: $vgpr33
	s_and_saveexec_b64 s[28:29], vcc
	s_cbranch_execz .LBB92_145
; %bb.132:                              ;   in Loop: Header=BB92_9 Depth=1
	v_mov_b32_e32 v10, v14
	v_mov_b64_e32 v[4:5], v[0:1]
                                        ; implicit-def: $sgpr34_sgpr35
	s_branch .LBB92_135
.LBB92_133:                             ;   in Loop: Header=BB92_135 Depth=2
	s_or_b64 exec, exec, s[36:37]
	s_waitcnt lgkmcnt(0)
	s_barrier
	ds_read_b64 v[32:33], v3 offset:3072
	s_mov_b64 s[36:37], -1
	s_mov_b64 s[38:39], -1
	s_waitcnt lgkmcnt(0)
	s_barrier
	v_cmp_ne_u32_e32 vcc, 0, v32
	s_cbranch_vccz .LBB92_138
.LBB92_134:                             ;   in Loop: Header=BB92_135 Depth=2
	s_and_b64 s[36:37], exec, s[36:37]
	s_or_b64 s[8:9], s[36:37], s[8:9]
	s_andn2_b64 s[34:35], s[34:35], exec
	s_and_b64 s[36:37], s[38:39], exec
	s_or_b64 s[34:35], s[34:35], s[36:37]
	s_andn2_b64 exec, exec, s[8:9]
	s_cbranch_execz .LBB92_144
.LBB92_135:                             ;   Parent Loop BB92_9 Depth=1
                                        ; =>  This Inner Loop Header: Depth=2
	v_cmp_gt_u64_e32 vcc, s[24:25], v[4:5]
	s_and_saveexec_b64 s[36:37], vcc
	s_cbranch_execz .LBB92_133
; %bb.136:                              ;   in Loop: Header=BB92_135 Depth=2
	ds_read_b32 v31, v10
	s_waitcnt lgkmcnt(0)
	v_bitop3_b32 v11, v31, v47, s77 bitop3:0x48
	v_cmp_eq_u32_e32 vcc, v11, v44
	s_and_b64 exec, exec, vcc
	s_cbranch_execz .LBB92_133
; %bb.137:                              ;   in Loop: Header=BB92_135 Depth=2
	ds_write_b64 v3, v[30:31] offset:3072
	s_branch .LBB92_133
.LBB92_138:                             ;   in Loop: Header=BB92_135 Depth=2
	v_lshl_add_u64 v[4:5], v[4:5], 0, s[70:71]
	v_cmp_le_u64_e32 vcc, s[30:31], v[4:5]
	v_add_u32_e32 v10, s76, v10
	s_mov_b64 s[38:39], 0
	s_orn2_b64 s[36:37], vcc, exec
	s_branch .LBB92_134
.LBB92_139:                             ;   in Loop: Header=BB92_9 Depth=1
                                        ; implicit-def: $sgpr22_sgpr23
	s_branch .LBB92_87
.LBB92_140:                             ;   in Loop: Header=BB92_9 Depth=1
	s_or_b64 exec, exec, s[10:11]
	s_waitcnt lgkmcnt(0)
	s_barrier
	s_mov_b64 s[0:1], exec
	v_readlane_b32 s2, v62, 0
	v_readlane_b32 s3, v62, 1
	s_and_b64 s[2:3], s[0:1], s[2:3]
	s_mov_b64 exec, s[2:3]
	s_cbranch_execz .LBB92_142
; %bb.141:                              ;   in Loop: Header=BB92_9 Depth=1
	ds_read_b32 v4, v3 offset:5144
	s_waitcnt lgkmcnt(0)
	v_ashrrev_i32_e32 v5, 31, v4
	ds_write_b64 v3, v[4:5] offset:5120
.LBB92_142:                             ;   in Loop: Header=BB92_9 Depth=1
	s_or_b64 exec, exec, s[0:1]
	s_waitcnt lgkmcnt(0)
	s_barrier
	s_mov_b64 s[0:1], -1
	s_and_b64 vcc, exec, s[8:9]
	s_cbranch_vccnz .LBB92_25
	s_branch .LBB92_40
.LBB92_143:                             ;   in Loop: Header=BB92_9 Depth=1
                                        ; implicit-def: $sgpr8_sgpr9
	s_branch .LBB92_101
.LBB92_144:                             ;   in Loop: Header=BB92_9 Depth=1
	s_or_b64 exec, exec, s[8:9]
	s_and_b64 s[8:9], s[34:35], exec
.LBB92_145:                             ;   in Loop: Header=BB92_9 Depth=1
	s_or_b64 exec, exec, s[28:29]
.LBB92_146:                             ;   in Loop: Header=BB92_9 Depth=1
	s_and_b64 vcc, exec, s[26:27]
	s_cbranch_vccz .LBB92_160
; %bb.147:                              ;   in Loop: Header=BB92_9 Depth=1
	s_mov_b32 s82, s75
	s_cmp_lg_u64 s[82:83], 0
	s_cbranch_scc0 .LBB92_189
; %bb.148:                              ;   in Loop: Header=BB92_9 Depth=1
	v_cvt_f32_u32_e32 v4, s70
	s_sub_u32 s22, 0, s70
	s_subb_u32 s23, 0, 0
	v_fmac_f32_e32 v4, 0, v45
	v_rcp_f32_e32 v4, v4
	s_nop 0
	v_mul_f32_e32 v4, 0x5f7ffffc, v4
	v_mul_f32_e32 v5, 0x2f800000, v4
	v_trunc_f32_e32 v5, v5
	v_fmac_f32_e32 v4, 0xcf800000, v5
	v_cvt_u32_f32_e32 v5, v5
	v_cvt_u32_f32_e32 v4, v4
	v_readfirstlane_b32 s24, v5
	v_readfirstlane_b32 s0, v4
	s_mul_i32 s1, s22, s24
	s_mul_hi_u32 s26, s22, s0
	s_mul_i32 s25, s23, s0
	s_add_i32 s1, s26, s1
	s_mul_i32 s27, s22, s0
	s_add_i32 s1, s1, s25
	s_mul_hi_u32 s26, s0, s27
	s_mul_i32 s28, s0, s1
	s_mul_hi_u32 s25, s0, s1
	s_add_u32 s26, s26, s28
	s_addc_u32 s25, 0, s25
	s_mul_hi_u32 s29, s24, s27
	s_mul_i32 s27, s24, s27
	s_add_u32 s26, s26, s27
	s_mul_hi_u32 s28, s24, s1
	s_addc_u32 s25, s25, s29
	s_addc_u32 s26, s28, 0
	s_mul_i32 s1, s24, s1
	s_add_u32 s1, s25, s1
	s_addc_u32 s25, 0, s26
	s_add_u32 s26, s0, s1
	s_cselect_b64 s[0:1], -1, 0
	s_cmp_lg_u64 s[0:1], 0
	s_addc_u32 s24, s24, s25
	s_mul_i32 s0, s22, s24
	s_mul_hi_u32 s1, s22, s26
	s_add_i32 s0, s1, s0
	s_mul_i32 s23, s23, s26
	s_add_i32 s0, s0, s23
	s_mul_i32 s22, s22, s26
	s_mul_hi_u32 s23, s24, s22
	s_mul_i32 s25, s24, s22
	s_mul_i32 s28, s26, s0
	s_mul_hi_u32 s22, s26, s22
	s_mul_hi_u32 s27, s26, s0
	s_add_u32 s22, s22, s28
	s_addc_u32 s27, 0, s27
	s_add_u32 s22, s22, s25
	s_mul_hi_u32 s1, s24, s0
	s_addc_u32 s22, s27, s23
	s_addc_u32 s1, s1, 0
	s_mul_i32 s0, s24, s0
	s_add_u32 s0, s22, s0
	s_addc_u32 s22, 0, s1
	s_add_u32 s23, s26, s0
	s_cselect_b64 s[0:1], -1, 0
	s_cmp_lg_u64 s[0:1], 0
	s_addc_u32 s0, s24, s22
	s_mul_i32 s22, s33, s0
	s_mul_hi_u32 s24, s33, s23
	s_mul_hi_u32 s1, s33, s0
	s_add_u32 s22, s24, s22
	s_addc_u32 s1, 0, s1
	s_mul_hi_u32 s25, s83, s23
	s_mul_i32 s23, s83, s23
	s_add_u32 s22, s22, s23
	s_mul_hi_u32 s24, s83, s0
	s_addc_u32 s1, s1, s25
	s_addc_u32 s22, s24, 0
	s_mul_i32 s0, s83, s0
	s_add_u32 s0, s1, s0
	s_addc_u32 s1, 0, s22
	s_mul_i32 s1, s70, s1
	s_mul_hi_u32 s22, s70, s0
	s_add_i32 s22, s22, s1
	s_mul_i32 s0, s70, s0
	s_sub_u32 s23, s33, s0
	s_cselect_b64 s[0:1], -1, 0
	s_cmp_lg_u64 s[0:1], 0
	s_subb_u32 s22, s83, s22
	s_sub_u32 s24, s23, s70
	s_cselect_b64 s[0:1], -1, 0
	s_cmp_lg_u64 s[0:1], 0
	s_subb_u32 s25, s22, 0
	s_sub_u32 s26, s24, s70
	s_cselect_b64 s[0:1], -1, 0
	s_cmp_lg_u64 s[0:1], 0
	s_subb_u32 s0, s25, 0
	s_cmp_ge_u32 s24, s70
	s_cselect_b32 s1, -1, 0
	s_cmp_eq_u32 s25, 0
	s_cselect_b32 s1, s1, -1
	s_cmp_lg_u32 s1, 0
	s_cselect_b32 s0, s0, s25
	s_cselect_b32 s24, s26, s24
	s_cmp_ge_u32 s23, s70
	s_cselect_b32 s1, -1, 0
	s_cmp_eq_u32 s22, 0
	s_cselect_b32 s1, s1, -1
	s_cmp_lg_u32 s1, 0
	s_cselect_b32 s1, s0, s22
	s_cselect_b32 s0, s24, s23
	s_cbranch_execnz .LBB92_150
.LBB92_149:                             ;   in Loop: Header=BB92_9 Depth=1
	v_cvt_f32_u32_e32 v4, s70
	s_sub_i32 s0, 0, s70
	v_rcp_iflag_f32_e32 v4, v4
	s_nop 0
	v_mul_f32_e32 v4, 0x4f7ffffe, v4
	v_cvt_u32_f32_e32 v4, v4
	s_nop 0
	v_readfirstlane_b32 s1, v4
	s_mul_i32 s0, s0, s1
	s_mul_hi_u32 s0, s1, s0
	s_add_i32 s1, s1, s0
	s_mul_hi_u32 s0, s33, s1
	s_mul_i32 s0, s0, s70
	s_sub_i32 s0, s33, s0
	s_sub_i32 s1, s0, s70
	s_cmp_ge_u32 s0, s70
	s_cselect_b32 s0, s1, s0
	s_sub_i32 s1, s0, s70
	s_cmp_ge_u32 s0, s70
	s_cselect_b32 s74, s1, s0
	s_mov_b64 s[0:1], s[74:75]
.LBB92_150:                             ;   in Loop: Header=BB92_9 Depth=1
	s_sub_u32 s22, s33, s0
	s_subb_u32 s23, s83, s1
	v_cmp_gt_u64_e32 vcc, s[22:23], v[0:1]
                                        ; implicit-def: $vgpr33
	s_and_saveexec_b64 s[0:1], vcc
	s_cbranch_execz .LBB92_159
; %bb.151:                              ;   in Loop: Header=BB92_9 Depth=1
	s_mov_b64 s[24:25], 0
	v_mov_b64_e32 v[4:5], v[12:13]
	v_mov_b64_e32 v[10:11], v[0:1]
                                        ; implicit-def: $sgpr26_sgpr27
	s_branch .LBB92_154
.LBB92_152:                             ;   in Loop: Header=BB92_154 Depth=2
	s_or_b64 exec, exec, s[28:29]
	s_waitcnt lgkmcnt(0)
	s_barrier
	ds_read_b64 v[32:33], v3 offset:3072
	s_mov_b64 s[28:29], -1
	s_mov_b64 s[30:31], -1
	s_waitcnt lgkmcnt(0)
	s_barrier
	v_cmp_eq_u32_e32 vcc, 0, v32
	s_cbranch_vccnz .LBB92_157
.LBB92_153:                             ;   in Loop: Header=BB92_154 Depth=2
	s_and_b64 s[28:29], exec, s[28:29]
	s_or_b64 s[24:25], s[28:29], s[24:25]
	s_andn2_b64 s[26:27], s[26:27], exec
	s_and_b64 s[28:29], s[30:31], exec
	s_or_b64 s[26:27], s[26:27], s[28:29]
	s_andn2_b64 exec, exec, s[24:25]
	s_cbranch_execz .LBB92_158
.LBB92_154:                             ;   Parent Loop BB92_9 Depth=1
                                        ; =>  This Inner Loop Header: Depth=2
	v_cmp_gt_u64_e32 vcc, s[56:57], v[10:11]
	s_and_saveexec_b64 s[28:29], vcc
	s_cbranch_execz .LBB92_152
; %bb.155:                              ;   in Loop: Header=BB92_154 Depth=2
	global_load_dword v31, v[4:5], off
	s_waitcnt vmcnt(0)
	v_bitop3_b32 v32, v31, v47, s77 bitop3:0x48
	v_cmp_eq_u32_e32 vcc, v32, v44
	s_and_b64 exec, exec, vcc
	s_cbranch_execz .LBB92_152
; %bb.156:                              ;   in Loop: Header=BB92_154 Depth=2
	ds_write_b64 v3, v[30:31] offset:3072
	s_branch .LBB92_152
.LBB92_157:                             ;   in Loop: Header=BB92_154 Depth=2
	v_lshl_add_u64 v[10:11], v[10:11], 0, s[70:71]
	v_cmp_le_u64_e32 vcc, s[22:23], v[10:11]
	v_lshl_add_u64 v[4:5], v[4:5], 0, s[78:79]
	s_mov_b64 s[30:31], 0
	s_orn2_b64 s[28:29], vcc, exec
	s_branch .LBB92_153
.LBB92_158:                             ;   in Loop: Header=BB92_9 Depth=1
	s_or_b64 exec, exec, s[24:25]
	s_andn2_b64 s[8:9], s[8:9], exec
	s_and_b64 s[22:23], s[26:27], exec
	s_or_b64 s[8:9], s[8:9], s[22:23]
.LBB92_159:                             ;   in Loop: Header=BB92_9 Depth=1
	s_or_b64 exec, exec, s[0:1]
	s_mov_b64 s[0:1], 0
	s_mov_b64 s[22:23], -1
.LBB92_160:                             ;   in Loop: Header=BB92_9 Depth=1
	s_orn2_b64 s[8:9], s[8:9], exec
.LBB92_161:                             ;   in Loop: Header=BB92_9 Depth=1
	s_or_b64 exec, exec, s[12:13]
	s_mov_b64 s[12:13], 0
	s_and_saveexec_b64 s[24:25], s[8:9]
	s_cbranch_execz .LBB92_267
; %bb.162:                              ;   in Loop: Header=BB92_9 Depth=1
	s_xor_b64 s[12:13], s[10:11], -1
	v_mov_b32_e32 v2, 1
	s_mov_b64 s[10:11], 0
	v_mov_b64_e32 v[4:5], 1
	s_and_saveexec_b64 s[8:9], s[12:13]
	s_cbranch_execz .LBB92_172
; %bb.163:                              ;   in Loop: Header=BB92_9 Depth=1
	v_cmp_le_u64_e32 vcc, v[8:9], v[6:7]
	s_and_saveexec_b64 s[10:11], vcc
	s_xor_b64 s[10:11], exec, s[10:11]
	s_cbranch_execz .LBB92_169
; %bb.164:                              ;   in Loop: Header=BB92_9 Depth=1
	ds_read_b64 v[4:5], v3 offset:5120
	v_and_b32_e32 v2, s48, v44
	v_lshl_or_b32 v44, 1, s84, v2
	v_or_b32_e32 v47, s54, v47
	s_waitcnt lgkmcnt(0)
	v_cmp_ne_u64_e32 vcc, 0, v[4:5]
	s_cbranch_vccnz .LBB92_168
; %bb.165:                              ;   in Loop: Header=BB92_9 Depth=1
	s_mov_b64 s[12:13], exec
	v_readlane_b32 s26, v62, 0
	v_readlane_b32 s27, v62, 1
	s_and_b64 s[26:27], s[12:13], s[26:27]
	s_mov_b64 exec, s[26:27]
; %bb.166:                              ;   in Loop: Header=BB92_9 Depth=1
	ds_write_b64 v3, v[6:7] offset:5128
; %bb.167:                              ;   in Loop: Header=BB92_9 Depth=1
	s_or_b64 exec, exec, s[12:13]
	s_waitcnt lgkmcnt(0)
	s_barrier
.LBB92_168:                             ;   in Loop: Header=BB92_9 Depth=1
                                        ; implicit-def: $vgpr4_vgpr5_vgpr6_vgpr7
.LBB92_169:                             ;   in Loop: Header=BB92_9 Depth=1
	s_or_saveexec_b64 s[10:11], s[10:11]
	s_mov_b64 s[12:13], 0
	v_mov_b32_e32 v2, 8
	s_xor_b64 exec, exec, s[10:11]
; %bb.170:                              ;   in Loop: Header=BB92_9 Depth=1
	v_sub_co_u32_e32 v8, vcc, v8, v6
	s_mov_b64 s[12:13], exec
	s_nop 0
	v_subb_co_u32_e32 v9, vcc, v9, v7, vcc
	v_mov_b32_e32 v2, 0
; %bb.171:                              ;   in Loop: Header=BB92_9 Depth=1
	s_or_b64 exec, exec, s[10:11]
	s_and_b64 s[10:11], s[12:13], exec
	v_mov_b64_e32 v[4:5], v[8:9]
.LBB92_172:                             ;   in Loop: Header=BB92_9 Depth=1
	s_or_b64 exec, exec, s[8:9]
	s_mov_b64 s[8:9], -1
                                        ; implicit-def: $sgpr28_sgpr29
                                        ; implicit-def: $sgpr36_sgpr37
	s_and_saveexec_b64 s[26:27], s[10:11]
	s_cbranch_execz .LBB92_266
; %bb.173:                              ;   in Loop: Header=BB92_9 Depth=1
	s_cmp_eq_u64 s[20:21], 1
	s_cselect_b64 s[8:9], -1, 0
	v_cmp_eq_u64_e32 vcc, 1, v[4:5]
	s_and_b64 s[10:11], s[8:9], vcc
	s_mov_b64 s[8:9], -1
                                        ; implicit-def: $sgpr36_sgpr37
                                        ; implicit-def: $sgpr28_sgpr29
	s_and_saveexec_b64 s[12:13], s[10:11]
	s_cbranch_execz .LBB92_207
; %bb.174:                              ;   in Loop: Header=BB92_9 Depth=1
	ds_read_b64 v[6:7], v3 offset:5120
	s_waitcnt lgkmcnt(0)
	s_barrier
	v_readfirstlane_b32 s30, v6
	v_readfirstlane_b32 s31, v7
	s_mov_b64 s[8:9], exec
	v_readlane_b32 s28, v62, 14
	v_readlane_b32 s29, v62, 15
	s_and_b64 s[28:29], s[8:9], s[28:29]
	s_mov_b64 exec, s[28:29]
; %bb.175:                              ;   in Loop: Header=BB92_9 Depth=1
	ds_write_b32 v39, v3
; %bb.176:                              ;   in Loop: Header=BB92_9 Depth=1
	s_or_b64 exec, exec, s[8:9]
	v_and_b32_e32 v6, s48, v44
	v_lshl_or_b32 v44, 2, s84, v6
	v_or_b32_e32 v47, s54, v47
	s_mov_b64 s[28:29], -1
	s_mov_b64 s[36:37], 0
	s_cmp_eq_u64 s[30:31], 0
	s_mov_b64 s[8:9], 0
	s_mov_b64 s[34:35], -1
	s_waitcnt lgkmcnt(0)
	s_barrier
                                        ; implicit-def: $vgpr33
	s_cbranch_scc1 .LBB92_192
; %bb.177:                              ;   in Loop: Header=BB92_9 Depth=1
	v_readlane_b32 s8, v62, 20
	s_add_u32 s40, s30, s8
	v_readlane_b32 s8, v62, 21
	s_addc_u32 s9, s31, s8
	s_mov_b32 s8, s75
	s_cmp_lg_u64 s[8:9], 0
	s_cbranch_scc0 .LBB92_233
; %bb.178:                              ;   in Loop: Header=BB92_9 Depth=1
	v_cvt_f32_u32_e32 v6, s70
	s_sub_u32 s8, 0, s70
	s_subb_u32 s38, 0, 0
	v_fmac_f32_e32 v6, 0, v45
	v_rcp_f32_e32 v6, v6
	s_nop 0
	v_mul_f32_e32 v6, 0x5f7ffffc, v6
	v_mul_f32_e32 v7, 0x2f800000, v6
	v_trunc_f32_e32 v7, v7
	v_fmac_f32_e32 v6, 0xcf800000, v7
	v_cvt_u32_f32_e32 v7, v7
	v_cvt_u32_f32_e32 v6, v6
	v_readfirstlane_b32 s39, v7
	v_readfirstlane_b32 s34, v6
	s_mul_i32 s35, s8, s39
	s_mul_hi_u32 s42, s8, s34
	s_mul_i32 s41, s38, s34
	s_add_i32 s35, s42, s35
	s_mul_i32 s43, s8, s34
	s_add_i32 s35, s35, s41
	s_mul_hi_u32 s42, s34, s43
	s_mul_i32 s44, s34, s35
	s_mul_hi_u32 s41, s34, s35
	s_add_u32 s42, s42, s44
	s_addc_u32 s41, 0, s41
	s_mul_hi_u32 s45, s39, s43
	s_mul_i32 s43, s39, s43
	s_add_u32 s42, s42, s43
	s_mul_hi_u32 s44, s39, s35
	s_addc_u32 s41, s41, s45
	s_addc_u32 s42, s44, 0
	s_mul_i32 s35, s39, s35
	s_add_u32 s35, s41, s35
	s_addc_u32 s41, 0, s42
	s_add_u32 s42, s34, s35
	s_cselect_b64 s[34:35], -1, 0
	s_cmp_lg_u64 s[34:35], 0
	s_addc_u32 s39, s39, s41
	s_mul_i32 s34, s8, s39
	s_mul_hi_u32 s35, s8, s42
	s_add_i32 s34, s35, s34
	s_mul_i32 s38, s38, s42
	s_add_i32 s34, s34, s38
	s_mul_i32 s8, s8, s42
	s_mul_hi_u32 s38, s39, s8
	s_mul_i32 s41, s39, s8
	s_mul_i32 s44, s42, s34
	s_mul_hi_u32 s8, s42, s8
	s_mul_hi_u32 s43, s42, s34
	s_add_u32 s8, s8, s44
	s_addc_u32 s43, 0, s43
	s_add_u32 s8, s8, s41
	s_mul_hi_u32 s35, s39, s34
	s_addc_u32 s8, s43, s38
	s_addc_u32 s35, s35, 0
	s_mul_i32 s34, s39, s34
	s_add_u32 s8, s8, s34
	s_addc_u32 s38, 0, s35
	s_add_u32 s8, s42, s8
	s_cselect_b64 s[34:35], -1, 0
	s_cmp_lg_u64 s[34:35], 0
	s_addc_u32 s34, s39, s38
	s_mul_i32 s38, s40, s34
	s_mul_hi_u32 s39, s40, s8
	s_mul_hi_u32 s35, s40, s34
	s_add_u32 s38, s39, s38
	s_addc_u32 s35, 0, s35
	s_mul_hi_u32 s41, s9, s8
	s_mul_i32 s8, s9, s8
	s_add_u32 s8, s38, s8
	s_mul_hi_u32 s39, s9, s34
	s_addc_u32 s8, s35, s41
	s_addc_u32 s35, s39, 0
	s_mul_i32 s34, s9, s34
	s_add_u32 s8, s8, s34
	s_addc_u32 s34, 0, s35
	s_mul_i32 s34, s70, s34
	s_mul_hi_u32 s35, s70, s8
	s_add_i32 s38, s35, s34
	s_mul_i32 s8, s70, s8
	s_sub_u32 s8, s40, s8
	s_cselect_b64 s[34:35], -1, 0
	s_cmp_lg_u64 s[34:35], 0
	s_subb_u32 s38, s9, s38
	s_sub_u32 s39, s8, s70
	s_cselect_b64 s[34:35], -1, 0
	s_cmp_lg_u64 s[34:35], 0
	s_subb_u32 s41, s38, 0
	;; [unrolled: 4-line block ×3, first 2 shown]
	s_cmp_ge_u32 s39, s70
	s_cselect_b32 s35, -1, 0
	s_cmp_eq_u32 s41, 0
	s_cselect_b32 s35, s35, -1
	s_cmp_lg_u32 s35, 0
	s_cselect_b32 s34, s34, s41
	s_cselect_b32 s39, s42, s39
	s_cmp_ge_u32 s8, s70
	s_cselect_b32 s35, -1, 0
	s_cmp_eq_u32 s38, 0
	s_cselect_b32 s35, s35, -1
	s_cmp_lg_u32 s35, 0
	s_cselect_b32 s35, s34, s38
	s_cselect_b32 s34, s39, s8
	s_cbranch_execnz .LBB92_180
.LBB92_179:                             ;   in Loop: Header=BB92_9 Depth=1
	v_cvt_f32_u32_e32 v6, s70
	s_sub_i32 s8, 0, s70
	v_rcp_iflag_f32_e32 v6, v6
	s_nop 0
	v_mul_f32_e32 v6, 0x4f7ffffe, v6
	v_cvt_u32_f32_e32 v6, v6
	s_nop 0
	v_readfirstlane_b32 s34, v6
	s_mul_i32 s8, s8, s34
	s_mul_hi_u32 s8, s34, s8
	s_add_i32 s34, s34, s8
	s_mul_hi_u32 s8, s40, s34
	s_mul_i32 s8, s8, s70
	s_sub_i32 s8, s40, s8
	s_sub_i32 s34, s8, s70
	s_cmp_ge_u32 s8, s70
	s_cselect_b32 s8, s34, s8
	s_sub_i32 s34, s8, s70
	s_cmp_ge_u32 s8, s70
	s_cselect_b32 s74, s34, s8
	s_mov_b64 s[34:35], s[74:75]
.LBB92_180:                             ;   in Loop: Header=BB92_9 Depth=1
	s_sub_u32 s40, s40, s34
	s_subb_u32 s41, s9, s35
	v_cmp_gt_u64_e32 vcc, s[40:41], v[0:1]
	s_mov_b64 s[34:35], 0
	s_mov_b64 s[8:9], 0
                                        ; implicit-def: $vgpr33
	s_and_saveexec_b64 s[38:39], vcc
	s_cbranch_execz .LBB92_191
; %bb.181:                              ;   in Loop: Header=BB92_9 Depth=1
	v_mov_b32_e32 v8, v14
	v_mov_b64_e32 v[6:7], v[0:1]
                                        ; implicit-def: $sgpr42_sgpr43
	s_branch .LBB92_184
.LBB92_182:                             ;   in Loop: Header=BB92_184 Depth=2
	s_or_b64 exec, exec, s[44:45]
	s_waitcnt lgkmcnt(0)
	s_barrier
	ds_read_b64 v[32:33], v3 offset:3072
	s_mov_b64 s[44:45], -1
	s_mov_b64 s[46:47], -1
	s_waitcnt lgkmcnt(0)
	s_barrier
	v_cmp_ne_u32_e32 vcc, 0, v32
	s_cbranch_vccz .LBB92_187
.LBB92_183:                             ;   in Loop: Header=BB92_184 Depth=2
	s_and_b64 s[44:45], exec, s[44:45]
	s_or_b64 s[8:9], s[44:45], s[8:9]
	s_andn2_b64 s[42:43], s[42:43], exec
	s_and_b64 s[44:45], s[46:47], exec
	s_or_b64 s[42:43], s[42:43], s[44:45]
	s_andn2_b64 exec, exec, s[8:9]
	s_cbranch_execz .LBB92_190
.LBB92_184:                             ;   Parent Loop BB92_9 Depth=1
                                        ; =>  This Inner Loop Header: Depth=2
	v_cmp_gt_u64_e32 vcc, s[30:31], v[6:7]
	s_and_saveexec_b64 s[44:45], vcc
	s_cbranch_execz .LBB92_182
; %bb.185:                              ;   in Loop: Header=BB92_184 Depth=2
	ds_read_b32 v31, v8
	s_waitcnt lgkmcnt(0)
	v_bitop3_b32 v9, v31, v47, s77 bitop3:0x48
	v_cmp_eq_u32_e32 vcc, v9, v44
	s_and_b64 exec, exec, vcc
	s_cbranch_execz .LBB92_182
; %bb.186:                              ;   in Loop: Header=BB92_184 Depth=2
	ds_write_b64 v3, v[30:31] offset:3072
	s_branch .LBB92_182
.LBB92_187:                             ;   in Loop: Header=BB92_184 Depth=2
	v_lshl_add_u64 v[6:7], v[6:7], 0, s[70:71]
	v_cmp_le_u64_e32 vcc, s[40:41], v[6:7]
	v_add_u32_e32 v8, s76, v8
	s_mov_b64 s[46:47], 0
	s_orn2_b64 s[44:45], vcc, exec
	s_branch .LBB92_183
.LBB92_188:                             ;   in Loop: Header=BB92_9 Depth=1
                                        ; implicit-def: $sgpr26_sgpr27
	s_branch .LBB92_130
.LBB92_189:                             ;   in Loop: Header=BB92_9 Depth=1
                                        ; implicit-def: $sgpr0_sgpr1
	s_branch .LBB92_149
.LBB92_190:                             ;   in Loop: Header=BB92_9 Depth=1
	s_or_b64 exec, exec, s[8:9]
	s_and_b64 s[8:9], s[42:43], exec
.LBB92_191:                             ;   in Loop: Header=BB92_9 Depth=1
	s_or_b64 exec, exec, s[38:39]
.LBB92_192:                             ;   in Loop: Header=BB92_9 Depth=1
	s_and_b64 vcc, exec, s[34:35]
	s_cbranch_vccz .LBB92_206
; %bb.193:                              ;   in Loop: Header=BB92_9 Depth=1
	s_mov_b32 s82, s75
	s_cmp_lg_u64 s[82:83], 0
	s_cbranch_scc0 .LBB92_234
; %bb.194:                              ;   in Loop: Header=BB92_9 Depth=1
	v_cvt_f32_u32_e32 v6, s70
	s_sub_u32 s30, 0, s70
	s_subb_u32 s31, 0, 0
	v_fmac_f32_e32 v6, 0, v45
	v_rcp_f32_e32 v6, v6
	s_nop 0
	v_mul_f32_e32 v6, 0x5f7ffffc, v6
	v_mul_f32_e32 v7, 0x2f800000, v6
	v_trunc_f32_e32 v7, v7
	v_fmac_f32_e32 v6, 0xcf800000, v7
	v_cvt_u32_f32_e32 v7, v7
	v_cvt_u32_f32_e32 v6, v6
	v_readfirstlane_b32 s34, v7
	v_readfirstlane_b32 s28, v6
	s_mul_i32 s29, s30, s34
	s_mul_hi_u32 s36, s30, s28
	s_mul_i32 s35, s31, s28
	s_add_i32 s29, s36, s29
	s_mul_i32 s37, s30, s28
	s_add_i32 s29, s29, s35
	s_mul_hi_u32 s36, s28, s37
	s_mul_i32 s38, s28, s29
	s_mul_hi_u32 s35, s28, s29
	s_add_u32 s36, s36, s38
	s_addc_u32 s35, 0, s35
	s_mul_hi_u32 s39, s34, s37
	s_mul_i32 s37, s34, s37
	s_add_u32 s36, s36, s37
	s_mul_hi_u32 s38, s34, s29
	s_addc_u32 s35, s35, s39
	s_addc_u32 s36, s38, 0
	s_mul_i32 s29, s34, s29
	s_add_u32 s29, s35, s29
	s_addc_u32 s35, 0, s36
	s_add_u32 s36, s28, s29
	s_cselect_b64 s[28:29], -1, 0
	s_cmp_lg_u64 s[28:29], 0
	s_addc_u32 s34, s34, s35
	s_mul_i32 s28, s30, s34
	s_mul_hi_u32 s29, s30, s36
	s_add_i32 s28, s29, s28
	s_mul_i32 s31, s31, s36
	s_add_i32 s28, s28, s31
	s_mul_i32 s30, s30, s36
	s_mul_hi_u32 s31, s34, s30
	s_mul_i32 s35, s34, s30
	s_mul_i32 s38, s36, s28
	s_mul_hi_u32 s30, s36, s30
	s_mul_hi_u32 s37, s36, s28
	s_add_u32 s30, s30, s38
	s_addc_u32 s37, 0, s37
	s_add_u32 s30, s30, s35
	s_mul_hi_u32 s29, s34, s28
	s_addc_u32 s30, s37, s31
	s_addc_u32 s29, s29, 0
	s_mul_i32 s28, s34, s28
	s_add_u32 s28, s30, s28
	s_addc_u32 s30, 0, s29
	s_add_u32 s31, s36, s28
	s_cselect_b64 s[28:29], -1, 0
	s_cmp_lg_u64 s[28:29], 0
	s_addc_u32 s28, s34, s30
	s_mul_i32 s30, s33, s28
	s_mul_hi_u32 s34, s33, s31
	s_mul_hi_u32 s29, s33, s28
	s_add_u32 s30, s34, s30
	s_addc_u32 s29, 0, s29
	s_mul_hi_u32 s35, s83, s31
	s_mul_i32 s31, s83, s31
	s_add_u32 s30, s30, s31
	s_mul_hi_u32 s34, s83, s28
	s_addc_u32 s29, s29, s35
	s_addc_u32 s30, s34, 0
	s_mul_i32 s28, s83, s28
	s_add_u32 s28, s29, s28
	s_addc_u32 s29, 0, s30
	s_mul_i32 s29, s70, s29
	s_mul_hi_u32 s30, s70, s28
	s_add_i32 s30, s30, s29
	s_mul_i32 s28, s70, s28
	s_sub_u32 s31, s33, s28
	s_cselect_b64 s[28:29], -1, 0
	s_cmp_lg_u64 s[28:29], 0
	s_subb_u32 s30, s83, s30
	s_sub_u32 s34, s31, s70
	s_cselect_b64 s[28:29], -1, 0
	s_cmp_lg_u64 s[28:29], 0
	s_subb_u32 s35, s30, 0
	;; [unrolled: 4-line block ×3, first 2 shown]
	s_cmp_ge_u32 s34, s70
	s_cselect_b32 s29, -1, 0
	s_cmp_eq_u32 s35, 0
	s_cselect_b32 s29, s29, -1
	s_cmp_lg_u32 s29, 0
	s_cselect_b32 s28, s28, s35
	s_cselect_b32 s34, s36, s34
	s_cmp_ge_u32 s31, s70
	s_cselect_b32 s29, -1, 0
	s_cmp_eq_u32 s30, 0
	s_cselect_b32 s29, s29, -1
	s_cmp_lg_u32 s29, 0
	s_cselect_b32 s29, s28, s30
	s_cselect_b32 s28, s34, s31
	s_cbranch_execnz .LBB92_196
.LBB92_195:                             ;   in Loop: Header=BB92_9 Depth=1
	v_cvt_f32_u32_e32 v6, s70
	s_sub_i32 s28, 0, s70
	v_rcp_iflag_f32_e32 v6, v6
	s_nop 0
	v_mul_f32_e32 v6, 0x4f7ffffe, v6
	v_cvt_u32_f32_e32 v6, v6
	s_nop 0
	v_readfirstlane_b32 s29, v6
	s_mul_i32 s28, s28, s29
	s_mul_hi_u32 s28, s29, s28
	s_add_i32 s29, s29, s28
	s_mul_hi_u32 s28, s33, s29
	s_mul_i32 s28, s28, s70
	s_sub_i32 s28, s33, s28
	s_sub_i32 s29, s28, s70
	s_cmp_ge_u32 s28, s70
	s_cselect_b32 s28, s29, s28
	s_sub_i32 s29, s28, s70
	s_cmp_ge_u32 s28, s70
	s_cselect_b32 s74, s29, s28
	s_mov_b64 s[28:29], s[74:75]
.LBB92_196:                             ;   in Loop: Header=BB92_9 Depth=1
	s_sub_u32 s30, s33, s28
	s_subb_u32 s31, s83, s29
	v_cmp_gt_u64_e32 vcc, s[30:31], v[0:1]
                                        ; implicit-def: $vgpr33
	s_and_saveexec_b64 s[28:29], vcc
	s_cbranch_execz .LBB92_205
; %bb.197:                              ;   in Loop: Header=BB92_9 Depth=1
	s_mov_b64 s[34:35], 0
	v_mov_b64_e32 v[6:7], v[12:13]
	v_mov_b64_e32 v[8:9], v[0:1]
                                        ; implicit-def: $sgpr36_sgpr37
	s_branch .LBB92_200
.LBB92_198:                             ;   in Loop: Header=BB92_200 Depth=2
	s_or_b64 exec, exec, s[38:39]
	s_waitcnt lgkmcnt(0)
	s_barrier
	ds_read_b64 v[32:33], v3 offset:3072
	s_mov_b64 s[38:39], -1
	s_mov_b64 s[40:41], -1
	s_waitcnt lgkmcnt(0)
	s_barrier
	v_cmp_eq_u32_e32 vcc, 0, v32
	s_cbranch_vccnz .LBB92_203
.LBB92_199:                             ;   in Loop: Header=BB92_200 Depth=2
	s_and_b64 s[38:39], exec, s[38:39]
	s_or_b64 s[34:35], s[38:39], s[34:35]
	s_andn2_b64 s[36:37], s[36:37], exec
	s_and_b64 s[38:39], s[40:41], exec
	s_or_b64 s[36:37], s[36:37], s[38:39]
	s_andn2_b64 exec, exec, s[34:35]
	s_cbranch_execz .LBB92_204
.LBB92_200:                             ;   Parent Loop BB92_9 Depth=1
                                        ; =>  This Inner Loop Header: Depth=2
	v_cmp_gt_u64_e32 vcc, s[56:57], v[8:9]
	s_and_saveexec_b64 s[38:39], vcc
	s_cbranch_execz .LBB92_198
; %bb.201:                              ;   in Loop: Header=BB92_200 Depth=2
	global_load_dword v31, v[6:7], off
	s_waitcnt vmcnt(0)
	v_bitop3_b32 v10, v31, v47, s77 bitop3:0x48
	v_cmp_eq_u32_e32 vcc, v10, v44
	s_and_b64 exec, exec, vcc
	s_cbranch_execz .LBB92_198
; %bb.202:                              ;   in Loop: Header=BB92_200 Depth=2
	ds_write_b64 v3, v[30:31] offset:3072
	s_branch .LBB92_198
.LBB92_203:                             ;   in Loop: Header=BB92_200 Depth=2
	v_lshl_add_u64 v[8:9], v[8:9], 0, s[70:71]
	v_cmp_le_u64_e32 vcc, s[30:31], v[8:9]
	v_lshl_add_u64 v[6:7], v[6:7], 0, s[78:79]
	s_mov_b64 s[40:41], 0
	s_orn2_b64 s[38:39], vcc, exec
	s_branch .LBB92_199
.LBB92_204:                             ;   in Loop: Header=BB92_9 Depth=1
	s_or_b64 exec, exec, s[34:35]
	s_andn2_b64 s[8:9], s[8:9], exec
	s_and_b64 s[30:31], s[36:37], exec
	s_or_b64 s[8:9], s[8:9], s[30:31]
.LBB92_205:                             ;   in Loop: Header=BB92_9 Depth=1
	s_or_b64 exec, exec, s[28:29]
	s_mov_b64 s[28:29], 0
	s_mov_b64 s[36:37], -1
.LBB92_206:                             ;   in Loop: Header=BB92_9 Depth=1
	s_orn2_b64 s[8:9], s[8:9], exec
.LBB92_207:                             ;   in Loop: Header=BB92_9 Depth=1
	s_or_b64 exec, exec, s[12:13]
	s_mov_b64 s[30:31], 0
	s_and_saveexec_b64 s[12:13], s[8:9]
	s_cbranch_execz .LBB92_265
; %bb.208:                              ;   in Loop: Header=BB92_9 Depth=1
	s_xor_b64 s[10:11], s[10:11], -1
	v_mov_b32_e32 v2, 1
	v_mov_b64_e32 v[6:7], 1
	s_and_saveexec_b64 s[8:9], s[10:11]
	s_cbranch_execz .LBB92_217
; %bb.209:                              ;   in Loop: Header=BB92_9 Depth=1
	v_cmp_ge_u64_e32 vcc, s[20:21], v[4:5]
	s_and_saveexec_b64 s[10:11], vcc
	s_xor_b64 s[10:11], exec, s[10:11]
	s_cbranch_execz .LBB92_214
; %bb.210:                              ;   in Loop: Header=BB92_9 Depth=1
	ds_read_b64 v[6:7], v3 offset:5120
	v_and_b32_e32 v2, s48, v44
	v_lshl_or_b32 v44, 2, s84, v2
	v_or_b32_e32 v47, s54, v47
	s_waitcnt lgkmcnt(0)
	v_cmp_ne_u64_e32 vcc, 0, v[6:7]
	s_cbranch_vccnz .LBB92_214
; %bb.211:                              ;   in Loop: Header=BB92_9 Depth=1
	s_mov_b64 s[30:31], exec
	v_readlane_b32 s34, v62, 0
	v_readlane_b32 s35, v62, 1
	s_and_b64 s[34:35], s[30:31], s[34:35]
	s_mov_b64 exec, s[34:35]
; %bb.212:                              ;   in Loop: Header=BB92_9 Depth=1
	v_mov_b64_e32 v[6:7], s[20:21]
	ds_write_b64 v3, v[6:7] offset:5128
; %bb.213:                              ;   in Loop: Header=BB92_9 Depth=1
	s_or_b64 exec, exec, s[30:31]
	s_waitcnt lgkmcnt(0)
	s_barrier
.LBB92_214:                             ;   in Loop: Header=BB92_9 Depth=1
	s_or_saveexec_b64 s[10:11], s[10:11]
	s_mov_b64 s[30:31], 0
	v_mov_b32_e32 v2, 8
	s_xor_b64 exec, exec, s[10:11]
; %bb.215:                              ;   in Loop: Header=BB92_9 Depth=1
	v_mov_b32_e32 v2, s21
	v_subrev_co_u32_e32 v4, vcc, s20, v4
	s_mov_b64 s[30:31], exec
	s_nop 0
	v_subb_co_u32_e32 v5, vcc, v5, v2, vcc
	v_mov_b32_e32 v2, 0
; %bb.216:                              ;   in Loop: Header=BB92_9 Depth=1
	s_or_b64 exec, exec, s[10:11]
	s_and_b64 s[30:31], s[30:31], exec
	v_mov_b64_e32 v[6:7], v[4:5]
.LBB92_217:                             ;   in Loop: Header=BB92_9 Depth=1
	s_or_b64 exec, exec, s[8:9]
	s_mov_b64 s[8:9], -1
                                        ; implicit-def: $sgpr34_sgpr35
                                        ; implicit-def: $sgpr40_sgpr41
	s_and_saveexec_b64 s[10:11], s[30:31]
	s_cbranch_execz .LBB92_264
; %bb.218:                              ;   in Loop: Header=BB92_9 Depth=1
	s_cmp_eq_u64 s[2:3], 1
	s_cselect_b64 s[8:9], -1, 0
	v_cmp_eq_u64_e32 vcc, 1, v[6:7]
	s_and_b64 s[20:21], s[8:9], vcc
	s_mov_b64 s[30:31], -1
                                        ; implicit-def: $sgpr34_sgpr35
                                        ; implicit-def: $sgpr40_sgpr41
	s_and_saveexec_b64 s[38:39], s[20:21]
	s_cbranch_execz .LBB92_252
; %bb.219:                              ;   in Loop: Header=BB92_9 Depth=1
	ds_read_b64 v[4:5], v3 offset:5120
	s_waitcnt lgkmcnt(0)
	s_barrier
	v_readfirstlane_b32 s30, v4
	v_readfirstlane_b32 s31, v5
	s_mov_b64 s[8:9], exec
	v_readlane_b32 s34, v62, 14
	v_readlane_b32 s35, v62, 15
	s_and_b64 s[34:35], s[8:9], s[34:35]
	s_mov_b64 exec, s[34:35]
; %bb.220:                              ;   in Loop: Header=BB92_9 Depth=1
	ds_write_b32 v39, v3
; %bb.221:                              ;   in Loop: Header=BB92_9 Depth=1
	s_or_b64 exec, exec, s[8:9]
	v_or_b32_e32 v44, s54, v44
	v_or_b32_e32 v47, s54, v47
	s_mov_b64 s[40:41], -1
	s_mov_b64 s[34:35], 0
	s_cmp_eq_u64 s[30:31], 0
	s_mov_b64 s[8:9], 0
	s_mov_b64 s[42:43], -1
	s_waitcnt lgkmcnt(0)
	s_barrier
                                        ; implicit-def: $vgpr33
	s_cbranch_scc1 .LBB92_237
; %bb.222:                              ;   in Loop: Header=BB92_9 Depth=1
	v_readlane_b32 s8, v62, 20
	s_add_u32 s46, s30, s8
	v_readlane_b32 s8, v62, 21
	s_addc_u32 s9, s31, s8
	s_mov_b32 s8, s75
	s_cmp_lg_u64 s[8:9], 0
	s_cbranch_scc0 .LBB92_271
; %bb.223:                              ;   in Loop: Header=BB92_9 Depth=1
	v_cvt_f32_u32_e32 v4, s70
	s_sub_u32 s8, 0, s70
	s_subb_u32 s44, 0, 0
	v_fmac_f32_e32 v4, 0, v45
	v_rcp_f32_e32 v4, v4
	s_nop 0
	v_mul_f32_e32 v4, 0x5f7ffffc, v4
	v_mul_f32_e32 v5, 0x2f800000, v4
	v_trunc_f32_e32 v5, v5
	v_fmac_f32_e32 v4, 0xcf800000, v5
	v_cvt_u32_f32_e32 v5, v5
	v_cvt_u32_f32_e32 v4, v4
	v_readfirstlane_b32 s45, v5
	v_readfirstlane_b32 s42, v4
	s_mul_i32 s43, s8, s45
	s_mul_hi_u32 s48, s8, s42
	s_mul_i32 s47, s44, s42
	s_add_i32 s43, s48, s43
	s_mul_i32 s49, s8, s42
	s_add_i32 s43, s43, s47
	s_mul_hi_u32 s48, s42, s49
	s_mul_i32 s50, s42, s43
	s_mul_hi_u32 s47, s42, s43
	s_add_u32 s48, s48, s50
	s_addc_u32 s47, 0, s47
	s_mul_hi_u32 s51, s45, s49
	s_mul_i32 s49, s45, s49
	s_add_u32 s48, s48, s49
	s_mul_hi_u32 s50, s45, s43
	s_addc_u32 s47, s47, s51
	s_addc_u32 s48, s50, 0
	s_mul_i32 s43, s45, s43
	s_add_u32 s43, s47, s43
	s_addc_u32 s47, 0, s48
	s_add_u32 s48, s42, s43
	s_cselect_b64 s[42:43], -1, 0
	s_cmp_lg_u64 s[42:43], 0
	s_addc_u32 s45, s45, s47
	s_mul_i32 s42, s8, s45
	s_mul_hi_u32 s43, s8, s48
	s_add_i32 s42, s43, s42
	s_mul_i32 s44, s44, s48
	s_add_i32 s42, s42, s44
	s_mul_i32 s8, s8, s48
	s_mul_hi_u32 s44, s45, s8
	s_mul_i32 s47, s45, s8
	s_mul_i32 s50, s48, s42
	s_mul_hi_u32 s8, s48, s8
	s_mul_hi_u32 s49, s48, s42
	s_add_u32 s8, s8, s50
	s_addc_u32 s49, 0, s49
	s_add_u32 s8, s8, s47
	s_mul_hi_u32 s43, s45, s42
	s_addc_u32 s8, s49, s44
	s_addc_u32 s43, s43, 0
	s_mul_i32 s42, s45, s42
	s_add_u32 s8, s8, s42
	s_addc_u32 s44, 0, s43
	s_add_u32 s8, s48, s8
	s_cselect_b64 s[42:43], -1, 0
	s_cmp_lg_u64 s[42:43], 0
	s_addc_u32 s42, s45, s44
	s_mul_i32 s44, s46, s42
	s_mul_hi_u32 s45, s46, s8
	s_mul_hi_u32 s43, s46, s42
	s_add_u32 s44, s45, s44
	s_addc_u32 s43, 0, s43
	s_mul_hi_u32 s47, s9, s8
	s_mul_i32 s8, s9, s8
	s_add_u32 s8, s44, s8
	s_mul_hi_u32 s45, s9, s42
	s_addc_u32 s8, s43, s47
	s_addc_u32 s43, s45, 0
	s_mul_i32 s42, s9, s42
	s_add_u32 s8, s8, s42
	s_addc_u32 s42, 0, s43
	s_mul_i32 s42, s70, s42
	s_mul_hi_u32 s43, s70, s8
	s_add_i32 s44, s43, s42
	s_mul_i32 s8, s70, s8
	s_sub_u32 s8, s46, s8
	s_cselect_b64 s[42:43], -1, 0
	s_cmp_lg_u64 s[42:43], 0
	s_subb_u32 s44, s9, s44
	s_sub_u32 s45, s8, s70
	s_cselect_b64 s[42:43], -1, 0
	s_cmp_lg_u64 s[42:43], 0
	s_subb_u32 s47, s44, 0
	;; [unrolled: 4-line block ×3, first 2 shown]
	s_cmp_ge_u32 s45, s70
	s_cselect_b32 s43, -1, 0
	s_cmp_eq_u32 s47, 0
	s_cselect_b32 s43, s43, -1
	s_cmp_lg_u32 s43, 0
	s_cselect_b32 s42, s42, s47
	s_cselect_b32 s45, s48, s45
	s_cmp_ge_u32 s8, s70
	s_cselect_b32 s43, -1, 0
	s_cmp_eq_u32 s44, 0
	s_cselect_b32 s43, s43, -1
	s_cmp_lg_u32 s43, 0
	s_cselect_b32 s43, s42, s44
	s_cselect_b32 s42, s45, s8
	s_cbranch_execnz .LBB92_225
.LBB92_224:                             ;   in Loop: Header=BB92_9 Depth=1
	v_cvt_f32_u32_e32 v4, s70
	s_sub_i32 s8, 0, s70
	v_rcp_iflag_f32_e32 v4, v4
	s_nop 0
	v_mul_f32_e32 v4, 0x4f7ffffe, v4
	v_cvt_u32_f32_e32 v4, v4
	s_nop 0
	v_readfirstlane_b32 s42, v4
	s_mul_i32 s8, s8, s42
	s_mul_hi_u32 s8, s42, s8
	s_add_i32 s42, s42, s8
	s_mul_hi_u32 s8, s46, s42
	s_mul_i32 s8, s8, s70
	s_sub_i32 s8, s46, s8
	s_sub_i32 s42, s8, s70
	s_cmp_ge_u32 s8, s70
	s_cselect_b32 s8, s42, s8
	s_sub_i32 s42, s8, s70
	s_cmp_ge_u32 s8, s70
	s_cselect_b32 s74, s42, s8
	s_mov_b64 s[42:43], s[74:75]
.LBB92_225:                             ;   in Loop: Header=BB92_9 Depth=1
	s_sub_u32 s46, s46, s42
	s_subb_u32 s47, s9, s43
	v_cmp_gt_u64_e32 vcc, s[46:47], v[0:1]
	s_mov_b64 s[42:43], 0
	s_mov_b64 s[8:9], 0
                                        ; implicit-def: $vgpr33
	s_and_saveexec_b64 s[44:45], vcc
	s_cbranch_execz .LBB92_236
; %bb.226:                              ;   in Loop: Header=BB92_9 Depth=1
	v_mov_b32_e32 v8, v14
	v_mov_b64_e32 v[4:5], v[0:1]
                                        ; implicit-def: $sgpr48_sgpr49
	s_branch .LBB92_229
.LBB92_227:                             ;   in Loop: Header=BB92_229 Depth=2
	s_or_b64 exec, exec, s[50:51]
	s_waitcnt lgkmcnt(0)
	s_barrier
	ds_read_b64 v[32:33], v3 offset:3072
	s_mov_b64 s[50:51], -1
	s_mov_b64 s[52:53], -1
	s_waitcnt lgkmcnt(0)
	s_barrier
	v_cmp_ne_u32_e32 vcc, 0, v32
	s_cbranch_vccz .LBB92_232
.LBB92_228:                             ;   in Loop: Header=BB92_229 Depth=2
	s_and_b64 s[50:51], exec, s[50:51]
	s_or_b64 s[8:9], s[50:51], s[8:9]
	s_andn2_b64 s[48:49], s[48:49], exec
	s_and_b64 s[50:51], s[52:53], exec
	s_or_b64 s[48:49], s[48:49], s[50:51]
	s_andn2_b64 exec, exec, s[8:9]
	s_cbranch_execz .LBB92_235
.LBB92_229:                             ;   Parent Loop BB92_9 Depth=1
                                        ; =>  This Inner Loop Header: Depth=2
	v_cmp_gt_u64_e32 vcc, s[30:31], v[4:5]
	s_and_saveexec_b64 s[50:51], vcc
	s_cbranch_execz .LBB92_227
; %bb.230:                              ;   in Loop: Header=BB92_229 Depth=2
	ds_read_b32 v31, v8
	s_waitcnt lgkmcnt(0)
	v_bitop3_b32 v9, v31, v47, s77 bitop3:0x48
	v_cmp_eq_u32_e32 vcc, v9, v44
	s_and_b64 exec, exec, vcc
	s_cbranch_execz .LBB92_227
; %bb.231:                              ;   in Loop: Header=BB92_229 Depth=2
	ds_write_b64 v3, v[30:31] offset:3072
	s_branch .LBB92_227
.LBB92_232:                             ;   in Loop: Header=BB92_229 Depth=2
	v_lshl_add_u64 v[4:5], v[4:5], 0, s[70:71]
	v_cmp_le_u64_e32 vcc, s[46:47], v[4:5]
	v_add_u32_e32 v8, s76, v8
	s_mov_b64 s[52:53], 0
	s_orn2_b64 s[50:51], vcc, exec
	s_branch .LBB92_228
.LBB92_233:                             ;   in Loop: Header=BB92_9 Depth=1
                                        ; implicit-def: $sgpr34_sgpr35
	s_branch .LBB92_179
.LBB92_234:                             ;   in Loop: Header=BB92_9 Depth=1
                                        ; implicit-def: $sgpr28_sgpr29
	s_branch .LBB92_195
.LBB92_235:                             ;   in Loop: Header=BB92_9 Depth=1
	s_or_b64 exec, exec, s[8:9]
	s_and_b64 s[8:9], s[48:49], exec
.LBB92_236:                             ;   in Loop: Header=BB92_9 Depth=1
	s_or_b64 exec, exec, s[44:45]
.LBB92_237:                             ;   in Loop: Header=BB92_9 Depth=1
	s_and_b64 vcc, exec, s[42:43]
	s_cbranch_vccz .LBB92_251
; %bb.238:                              ;   in Loop: Header=BB92_9 Depth=1
	s_mov_b32 s82, s75
	s_cmp_lg_u64 s[82:83], 0
	s_cbranch_scc0 .LBB92_272
; %bb.239:                              ;   in Loop: Header=BB92_9 Depth=1
	v_cvt_f32_u32_e32 v4, s70
	s_sub_u32 s34, 0, s70
	s_subb_u32 s35, 0, 0
	v_fmac_f32_e32 v4, 0, v45
	v_rcp_f32_e32 v4, v4
	s_nop 0
	v_mul_f32_e32 v4, 0x5f7ffffc, v4
	v_mul_f32_e32 v5, 0x2f800000, v4
	v_trunc_f32_e32 v5, v5
	v_fmac_f32_e32 v4, 0xcf800000, v5
	v_cvt_u32_f32_e32 v5, v5
	v_cvt_u32_f32_e32 v4, v4
	v_readfirstlane_b32 s40, v5
	v_readfirstlane_b32 s30, v4
	s_mul_i32 s31, s34, s40
	s_mul_hi_u32 s42, s34, s30
	s_mul_i32 s41, s35, s30
	s_add_i32 s31, s42, s31
	s_mul_i32 s43, s34, s30
	s_add_i32 s31, s31, s41
	s_mul_hi_u32 s42, s30, s43
	s_mul_i32 s44, s30, s31
	s_mul_hi_u32 s41, s30, s31
	s_add_u32 s42, s42, s44
	s_addc_u32 s41, 0, s41
	s_mul_hi_u32 s45, s40, s43
	s_mul_i32 s43, s40, s43
	s_add_u32 s42, s42, s43
	s_mul_hi_u32 s44, s40, s31
	s_addc_u32 s41, s41, s45
	s_addc_u32 s42, s44, 0
	s_mul_i32 s31, s40, s31
	s_add_u32 s31, s41, s31
	s_addc_u32 s41, 0, s42
	s_add_u32 s42, s30, s31
	s_cselect_b64 s[30:31], -1, 0
	s_cmp_lg_u64 s[30:31], 0
	s_addc_u32 s40, s40, s41
	s_mul_i32 s30, s34, s40
	s_mul_hi_u32 s31, s34, s42
	s_add_i32 s30, s31, s30
	s_mul_i32 s35, s35, s42
	s_add_i32 s30, s30, s35
	s_mul_i32 s34, s34, s42
	s_mul_hi_u32 s35, s40, s34
	s_mul_i32 s41, s40, s34
	s_mul_i32 s44, s42, s30
	s_mul_hi_u32 s34, s42, s34
	s_mul_hi_u32 s43, s42, s30
	s_add_u32 s34, s34, s44
	s_addc_u32 s43, 0, s43
	s_add_u32 s34, s34, s41
	s_mul_hi_u32 s31, s40, s30
	s_addc_u32 s34, s43, s35
	s_addc_u32 s31, s31, 0
	s_mul_i32 s30, s40, s30
	s_add_u32 s30, s34, s30
	s_addc_u32 s34, 0, s31
	s_add_u32 s35, s42, s30
	s_cselect_b64 s[30:31], -1, 0
	s_cmp_lg_u64 s[30:31], 0
	s_addc_u32 s30, s40, s34
	s_mul_i32 s34, s33, s30
	s_mul_hi_u32 s40, s33, s35
	s_mul_hi_u32 s31, s33, s30
	s_add_u32 s34, s40, s34
	s_addc_u32 s31, 0, s31
	s_mul_hi_u32 s41, s83, s35
	s_mul_i32 s35, s83, s35
	s_add_u32 s34, s34, s35
	s_mul_hi_u32 s40, s83, s30
	s_addc_u32 s31, s31, s41
	s_addc_u32 s34, s40, 0
	s_mul_i32 s30, s83, s30
	s_add_u32 s30, s31, s30
	s_addc_u32 s31, 0, s34
	s_mul_i32 s31, s70, s31
	s_mul_hi_u32 s34, s70, s30
	s_add_i32 s34, s34, s31
	s_mul_i32 s30, s70, s30
	s_sub_u32 s35, s33, s30
	s_cselect_b64 s[30:31], -1, 0
	s_cmp_lg_u64 s[30:31], 0
	s_subb_u32 s34, s83, s34
	s_sub_u32 s40, s35, s70
	s_cselect_b64 s[30:31], -1, 0
	s_cmp_lg_u64 s[30:31], 0
	s_subb_u32 s41, s34, 0
	;; [unrolled: 4-line block ×3, first 2 shown]
	s_cmp_ge_u32 s40, s70
	s_cselect_b32 s31, -1, 0
	s_cmp_eq_u32 s41, 0
	s_cselect_b32 s31, s31, -1
	s_cmp_lg_u32 s31, 0
	s_cselect_b32 s30, s30, s41
	s_cselect_b32 s40, s42, s40
	s_cmp_ge_u32 s35, s70
	s_cselect_b32 s31, -1, 0
	s_cmp_eq_u32 s34, 0
	s_cselect_b32 s31, s31, -1
	s_cmp_lg_u32 s31, 0
	s_cselect_b32 s31, s30, s34
	s_cselect_b32 s30, s40, s35
	s_cbranch_execnz .LBB92_241
.LBB92_240:                             ;   in Loop: Header=BB92_9 Depth=1
	v_cvt_f32_u32_e32 v4, s70
	s_sub_i32 s30, 0, s70
	v_rcp_iflag_f32_e32 v4, v4
	s_nop 0
	v_mul_f32_e32 v4, 0x4f7ffffe, v4
	v_cvt_u32_f32_e32 v4, v4
	s_nop 0
	v_readfirstlane_b32 s31, v4
	s_mul_i32 s30, s30, s31
	s_mul_hi_u32 s30, s31, s30
	s_add_i32 s31, s31, s30
	s_mul_hi_u32 s30, s33, s31
	s_mul_i32 s30, s30, s70
	s_sub_i32 s30, s33, s30
	s_sub_i32 s31, s30, s70
	s_cmp_ge_u32 s30, s70
	s_cselect_b32 s30, s31, s30
	s_sub_i32 s31, s30, s70
	s_cmp_ge_u32 s30, s70
	s_cselect_b32 s74, s31, s30
	s_mov_b64 s[30:31], s[74:75]
.LBB92_241:                             ;   in Loop: Header=BB92_9 Depth=1
	s_sub_u32 s34, s33, s30
	s_subb_u32 s35, s83, s31
	v_cmp_gt_u64_e32 vcc, s[34:35], v[0:1]
                                        ; implicit-def: $vgpr33
	s_and_saveexec_b64 s[30:31], vcc
	s_cbranch_execz .LBB92_250
; %bb.242:                              ;   in Loop: Header=BB92_9 Depth=1
	s_mov_b64 s[40:41], 0
	v_mov_b64_e32 v[4:5], v[12:13]
	v_mov_b64_e32 v[8:9], v[0:1]
                                        ; implicit-def: $sgpr42_sgpr43
	s_branch .LBB92_245
.LBB92_243:                             ;   in Loop: Header=BB92_245 Depth=2
	s_or_b64 exec, exec, s[44:45]
	s_waitcnt lgkmcnt(0)
	s_barrier
	ds_read_b64 v[32:33], v3 offset:3072
	s_mov_b64 s[44:45], -1
	s_mov_b64 s[46:47], -1
	s_waitcnt lgkmcnt(0)
	s_barrier
	v_cmp_eq_u32_e32 vcc, 0, v32
	s_cbranch_vccnz .LBB92_248
.LBB92_244:                             ;   in Loop: Header=BB92_245 Depth=2
	s_and_b64 s[44:45], exec, s[44:45]
	s_or_b64 s[40:41], s[44:45], s[40:41]
	s_andn2_b64 s[42:43], s[42:43], exec
	s_and_b64 s[44:45], s[46:47], exec
	s_or_b64 s[42:43], s[42:43], s[44:45]
	s_andn2_b64 exec, exec, s[40:41]
	s_cbranch_execz .LBB92_249
.LBB92_245:                             ;   Parent Loop BB92_9 Depth=1
                                        ; =>  This Inner Loop Header: Depth=2
	v_cmp_gt_u64_e32 vcc, s[56:57], v[8:9]
	s_and_saveexec_b64 s[44:45], vcc
	s_cbranch_execz .LBB92_243
; %bb.246:                              ;   in Loop: Header=BB92_245 Depth=2
	global_load_dword v31, v[4:5], off
	s_waitcnt vmcnt(0)
	v_bitop3_b32 v10, v31, v47, s77 bitop3:0x48
	v_cmp_eq_u32_e32 vcc, v10, v44
	s_and_b64 exec, exec, vcc
	s_cbranch_execz .LBB92_243
; %bb.247:                              ;   in Loop: Header=BB92_245 Depth=2
	ds_write_b64 v3, v[30:31] offset:3072
	s_branch .LBB92_243
.LBB92_248:                             ;   in Loop: Header=BB92_245 Depth=2
	v_lshl_add_u64 v[8:9], v[8:9], 0, s[70:71]
	v_cmp_le_u64_e32 vcc, s[34:35], v[8:9]
	v_lshl_add_u64 v[4:5], v[4:5], 0, s[78:79]
	s_mov_b64 s[46:47], 0
	s_orn2_b64 s[44:45], vcc, exec
	s_branch .LBB92_244
.LBB92_249:                             ;   in Loop: Header=BB92_9 Depth=1
	s_or_b64 exec, exec, s[40:41]
	s_andn2_b64 s[8:9], s[8:9], exec
	s_and_b64 s[34:35], s[42:43], exec
	s_or_b64 s[8:9], s[8:9], s[34:35]
.LBB92_250:                             ;   in Loop: Header=BB92_9 Depth=1
	s_or_b64 exec, exec, s[30:31]
	s_mov_b64 s[40:41], 0
	s_mov_b64 s[34:35], -1
.LBB92_251:                             ;   in Loop: Header=BB92_9 Depth=1
	s_orn2_b64 s[30:31], s[8:9], exec
.LBB92_252:                             ;   in Loop: Header=BB92_9 Depth=1
	s_or_b64 exec, exec, s[38:39]
	s_mov_b64 s[38:39], 0
	s_and_saveexec_b64 s[8:9], s[30:31]
	s_cbranch_execz .LBB92_263
; %bb.253:                              ;   in Loop: Header=BB92_9 Depth=1
	s_xor_b64 s[30:31], s[20:21], -1
	v_mov_b64_e32 v[4:5], 1
	v_mov_b32_e32 v2, 1
	s_and_saveexec_b64 s[20:21], s[30:31]
	s_cbranch_execz .LBB92_262
; %bb.254:                              ;   in Loop: Header=BB92_9 Depth=1
	v_cmp_ge_u64_e32 vcc, s[2:3], v[6:7]
	s_and_saveexec_b64 s[30:31], vcc
	s_xor_b64 s[30:31], exec, s[30:31]
	s_cbranch_execz .LBB92_259
; %bb.255:                              ;   in Loop: Header=BB92_9 Depth=1
	ds_read_b64 v[4:5], v3 offset:5120
	v_or_b32_e32 v44, s54, v44
	v_or_b32_e32 v47, s54, v47
	s_waitcnt lgkmcnt(0)
	v_cmp_ne_u64_e32 vcc, 0, v[4:5]
	s_cbranch_vccnz .LBB92_259
; %bb.256:                              ;   in Loop: Header=BB92_9 Depth=1
	s_mov_b64 s[38:39], exec
	v_readlane_b32 s42, v62, 0
	v_readlane_b32 s43, v62, 1
	s_and_b64 s[42:43], s[38:39], s[42:43]
	s_mov_b64 exec, s[42:43]
; %bb.257:                              ;   in Loop: Header=BB92_9 Depth=1
	v_mov_b64_e32 v[4:5], s[2:3]
	ds_write_b64 v3, v[4:5] offset:5128
; %bb.258:                              ;   in Loop: Header=BB92_9 Depth=1
	s_or_b64 exec, exec, s[38:39]
	s_waitcnt lgkmcnt(0)
	s_barrier
.LBB92_259:                             ;   in Loop: Header=BB92_9 Depth=1
	s_andn2_saveexec_b64 s[30:31], s[30:31]
; %bb.260:                              ;   in Loop: Header=BB92_9 Depth=1
	v_mov_b32_e32 v2, s3
	v_subrev_co_u32_e32 v6, vcc, s2, v6
	s_nop 1
	v_subb_co_u32_e32 v7, vcc, v7, v2, vcc
; %bb.261:                              ;   in Loop: Header=BB92_9 Depth=1
	s_or_b64 exec, exec, s[30:31]
	v_mov_b32_e32 v2, 8
	v_mov_b64_e32 v[4:5], v[6:7]
.LBB92_262:                             ;   in Loop: Header=BB92_9 Depth=1
	s_or_b64 exec, exec, s[20:21]
	s_mov_b64 s[38:39], exec
	v_mov_b64_e32 v[6:7], v[4:5]
.LBB92_263:                             ;   in Loop: Header=BB92_9 Depth=1
	s_or_b64 exec, exec, s[8:9]
	s_orn2_b64 s[8:9], s[38:39], exec
.LBB92_264:                             ;   in Loop: Header=BB92_9 Depth=1
	s_or_b64 exec, exec, s[10:11]
	s_andn2_b64 s[2:3], s[36:37], exec
	s_and_b64 s[10:11], s[34:35], exec
	s_or_b64 s[36:37], s[2:3], s[10:11]
	s_andn2_b64 s[2:3], s[28:29], exec
	s_and_b64 s[10:11], s[40:41], exec
	s_or_b64 s[28:29], s[2:3], s[10:11]
	s_and_b64 s[30:31], s[8:9], exec
	v_mov_b64_e32 v[4:5], v[6:7]
.LBB92_265:                             ;   in Loop: Header=BB92_9 Depth=1
	s_or_b64 exec, exec, s[12:13]
	s_orn2_b64 s[8:9], s[30:31], exec
.LBB92_266:                             ;   in Loop: Header=BB92_9 Depth=1
	s_or_b64 exec, exec, s[26:27]
	s_andn2_b64 s[2:3], s[22:23], exec
	s_and_b64 s[10:11], s[36:37], exec
	s_or_b64 s[22:23], s[2:3], s[10:11]
	s_andn2_b64 s[0:1], s[0:1], exec
	s_and_b64 s[2:3], s[28:29], exec
	s_or_b64 s[0:1], s[0:1], s[2:3]
	s_and_b64 s[12:13], s[8:9], exec
	v_mov_b64_e32 v[8:9], v[4:5]
.LBB92_267:                             ;   in Loop: Header=BB92_9 Depth=1
	s_or_b64 exec, exec, s[24:25]
	s_orn2_b64 s[8:9], s[12:13], exec
.LBB92_268:                             ;   in Loop: Header=BB92_9 Depth=1
	s_or_b64 exec, exec, s[18:19]
	s_mov_b64 s[10:11], 0
	s_and_saveexec_b64 s[2:3], s[8:9]
	s_xor_b64 s[2:3], exec, s[2:3]
	s_cbranch_execz .LBB92_7
; %bb.269:                              ;   in Loop: Header=BB92_9 Depth=1
	v_and_b32_e32 v2, 7, v2
	v_cmp_eq_u32_e32 vcc, 0, v2
	s_mov_b64 s[8:9], -1
	s_mov_b64 s[10:11], -1
	s_and_saveexec_b64 s[12:13], vcc
	s_cbranch_execz .LBB92_6
; %bb.270:                              ;   in Loop: Header=BB92_9 Depth=1
	s_add_i32 s16, s84, -2
	s_cmp_eq_u32 s84, 0
	s_cselect_b64 s[8:9], -1, 0
	v_xor_b32_e32 v46, 1, v46
	s_xor_b64 s[10:11], exec, -1
	s_orn2_b64 s[8:9], s[8:9], exec
	s_mov_b32 s84, s16
	s_branch .LBB92_6
.LBB92_271:                             ;   in Loop: Header=BB92_9 Depth=1
                                        ; implicit-def: $sgpr42_sgpr43
	s_branch .LBB92_224
.LBB92_272:                             ;   in Loop: Header=BB92_9 Depth=1
                                        ; implicit-def: $sgpr30_sgpr31
	s_branch .LBB92_240
.LBB92_273:
	s_or_b64 exec, exec, s[94:95]
	s_xor_b64 s[6:7], s[58:59], -1
	s_xor_b64 s[0:1], s[96:97], -1
	;; [unrolled: 1-line block ×3, first 2 shown]
	s_mov_b64 s[2:3], 0
	s_and_saveexec_b64 s[8:9], s[0:1]
	s_xor_b64 s[0:1], exec, s[8:9]
	s_cbranch_execnz .LBB92_278
; %bb.274:
	s_andn2_saveexec_b64 s[0:1], s[0:1]
	s_cbranch_execnz .LBB92_291
.LBB92_275:
	s_or_b64 exec, exec, s[0:1]
	s_and_saveexec_b64 s[0:1], s[2:3]
.LBB92_276:
	; divergent unreachable
.LBB92_277:
	s_endpgm
.LBB92_278:
	s_and_saveexec_b64 s[2:3], s[6:7]
	s_xor_b64 s[2:3], exec, s[2:3]
	s_cbranch_execz .LBB92_289
; %bb.279:
	s_and_saveexec_b64 s[6:7], s[4:5]
	s_xor_b64 s[4:5], exec, s[6:7]
; %bb.280:
	v_xor_b32_e32 v33, 0x80000000, v44
; %bb.281:
	s_or_b64 exec, exec, s[4:5]
	v_readlane_b32 s6, v62, 6
	v_readlane_b32 s18, v62, 10
	v_readlane_b32 s7, v62, 7
	s_mul_i32 s4, s7, s18
	s_mul_hi_u32 s5, s6, s18
	s_add_i32 s5, s5, s4
	s_mul_i32 s4, s6, s18
	s_lshl_b64 s[4:5], s[4:5], 2
	v_readlane_b32 s6, v62, 8
	v_readlane_b32 s7, v62, 9
	s_add_u32 s4, s6, s4
	s_addc_u32 s5, s7, s5
	v_mov_b32_e32 v2, 0
	v_readlane_b32 s19, v62, 11
	global_store_dword v2, v33, s[4:5]
	s_mov_b64 s[4:5], exec
	v_readlane_b32 s6, v62, 12
	v_readlane_b32 s7, v62, 13
	s_and_b64 s[6:7], s[4:5], s[6:7]
	s_mov_b64 exec, s[6:7]
	s_cbranch_execz .LBB92_288
; %bb.282:
	s_mov_b64 s[6:7], 0
                                        ; implicit-def: $sgpr8_sgpr9
                                        ; implicit-def: $sgpr12_sgpr13
                                        ; implicit-def: $sgpr10_sgpr11
	s_branch .LBB92_284
.LBB92_283:                             ;   in Loop: Header=BB92_284 Depth=1
	s_or_b64 exec, exec, s[14:15]
	s_and_b64 s[14:15], exec, s[12:13]
	s_or_b64 s[6:7], s[14:15], s[6:7]
	s_andn2_b64 s[8:9], s[8:9], exec
	s_and_b64 s[14:15], s[10:11], exec
	s_or_b64 s[8:9], s[8:9], s[14:15]
	s_andn2_b64 exec, exec, s[6:7]
	s_cbranch_execz .LBB92_286
.LBB92_284:                             ; =>This Inner Loop Header: Depth=1
	global_load_dword v4, v[12:13], off
	v_mov_b64_e32 v[2:3], v[0:1]
	s_or_b64 s[10:11], s[10:11], exec
	s_or_b64 s[12:13], s[12:13], exec
                                        ; implicit-def: $vgpr0_vgpr1
	s_waitcnt vmcnt(0)
	v_cmp_ne_u32_e32 vcc, v4, v33
	s_and_saveexec_b64 s[14:15], vcc
	s_cbranch_execz .LBB92_283
; %bb.285:                              ;   in Loop: Header=BB92_284 Depth=1
	v_lshl_add_u64 v[0:1], v[2:3], 0, s[70:71]
	v_cmp_le_u64_e32 vcc, s[56:57], v[0:1]
	s_andn2_b64 s[12:13], s[12:13], exec
	s_and_b64 s[16:17], vcc, exec
	v_lshl_add_u64 v[12:13], v[12:13], 0, s[78:79]
	s_andn2_b64 s[10:11], s[10:11], exec
	s_or_b64 s[12:13], s[12:13], s[16:17]
	s_branch .LBB92_283
.LBB92_286:
	s_or_b64 exec, exec, s[6:7]
	s_and_saveexec_b64 s[6:7], s[8:9]
	s_xor_b64 s[6:7], exec, s[6:7]
	s_cbranch_execz .LBB92_288
; %bb.287:
	v_readlane_b32 s8, v62, 2
	v_readlane_b32 s9, v62, 3
	s_mul_i32 s6, s9, s18
	s_mul_hi_u32 s7, s8, s18
	s_add_i32 s7, s7, s6
	s_mul_i32 s6, s8, s18
	s_lshl_b64 s[6:7], s[6:7], 3
	v_readlane_b32 s8, v62, 4
	v_readlane_b32 s9, v62, 5
	s_add_u32 s6, s8, s6
	s_addc_u32 s7, s9, s7
	v_mov_b32_e32 v0, 0
	global_store_dwordx2 v0, v[2:3], s[6:7]
.LBB92_288:
	s_or_b64 exec, exec, s[4:5]
.LBB92_289:
	s_or_saveexec_b64 s[2:3], s[2:3]
	s_mov_b64 s[4:5], 0
	s_xor_b64 exec, exec, s[2:3]
	s_cbranch_execnz .LBB92_292
.LBB92_290:
	s_or_b64 exec, exec, s[2:3]
	s_and_b64 s[2:3], s[4:5], exec
	s_andn2_saveexec_b64 s[0:1], s[0:1]
	s_cbranch_execz .LBB92_275
.LBB92_291:
	s_or_b64 s[2:3], s[2:3], exec
	s_trap 2
	s_or_b64 exec, exec, s[0:1]
	s_and_saveexec_b64 s[0:1], s[2:3]
	s_cbranch_execnz .LBB92_276
	s_branch .LBB92_277
.LBB92_292:
	s_mov_b64 s[4:5], exec
	s_trap 2
	s_branch .LBB92_290
	.section	.rodata,"a",@progbits
	.p2align	6, 0x0
	.amdhsa_kernel _ZN2at6native12_GLOBAL__N_112gatherMedianIimLi1EEEvNS_4cuda6detail10TensorInfoIT_T0_EENS5_IlS7_EENS5_IKS6_S7_EES7_S7_S7_b
		.amdhsa_group_segment_fixed_size 5152
		.amdhsa_private_segment_fixed_size 0
		.amdhsa_kernarg_size 1536
		.amdhsa_user_sgpr_count 2
		.amdhsa_user_sgpr_dispatch_ptr 0
		.amdhsa_user_sgpr_queue_ptr 0
		.amdhsa_user_sgpr_kernarg_segment_ptr 1
		.amdhsa_user_sgpr_dispatch_id 0
		.amdhsa_user_sgpr_kernarg_preload_length 0
		.amdhsa_user_sgpr_kernarg_preload_offset 0
		.amdhsa_user_sgpr_private_segment_size 0
		.amdhsa_uses_dynamic_stack 0
		.amdhsa_enable_private_segment 0
		.amdhsa_system_sgpr_workgroup_id_x 1
		.amdhsa_system_sgpr_workgroup_id_y 1
		.amdhsa_system_sgpr_workgroup_id_z 1
		.amdhsa_system_sgpr_workgroup_info 0
		.amdhsa_system_vgpr_workitem_id 0
		.amdhsa_next_free_vgpr 63
		.amdhsa_next_free_sgpr 100
		.amdhsa_accum_offset 64
		.amdhsa_reserve_vcc 1
		.amdhsa_float_round_mode_32 0
		.amdhsa_float_round_mode_16_64 0
		.amdhsa_float_denorm_mode_32 3
		.amdhsa_float_denorm_mode_16_64 3
		.amdhsa_dx10_clamp 1
		.amdhsa_ieee_mode 1
		.amdhsa_fp16_overflow 0
		.amdhsa_tg_split 0
		.amdhsa_exception_fp_ieee_invalid_op 0
		.amdhsa_exception_fp_denorm_src 0
		.amdhsa_exception_fp_ieee_div_zero 0
		.amdhsa_exception_fp_ieee_overflow 0
		.amdhsa_exception_fp_ieee_underflow 0
		.amdhsa_exception_fp_ieee_inexact 0
		.amdhsa_exception_int_div_zero 0
	.end_amdhsa_kernel
	.section	.text._ZN2at6native12_GLOBAL__N_112gatherMedianIimLi1EEEvNS_4cuda6detail10TensorInfoIT_T0_EENS5_IlS7_EENS5_IKS6_S7_EES7_S7_S7_b,"axG",@progbits,_ZN2at6native12_GLOBAL__N_112gatherMedianIimLi1EEEvNS_4cuda6detail10TensorInfoIT_T0_EENS5_IlS7_EENS5_IKS6_S7_EES7_S7_S7_b,comdat
.Lfunc_end92:
	.size	_ZN2at6native12_GLOBAL__N_112gatherMedianIimLi1EEEvNS_4cuda6detail10TensorInfoIT_T0_EENS5_IlS7_EENS5_IKS6_S7_EES7_S7_S7_b, .Lfunc_end92-_ZN2at6native12_GLOBAL__N_112gatherMedianIimLi1EEEvNS_4cuda6detail10TensorInfoIT_T0_EENS5_IlS7_EENS5_IKS6_S7_EES7_S7_S7_b
                                        ; -- End function
	.set _ZN2at6native12_GLOBAL__N_112gatherMedianIimLi1EEEvNS_4cuda6detail10TensorInfoIT_T0_EENS5_IlS7_EENS5_IKS6_S7_EES7_S7_S7_b.num_vgpr, 63
	.set _ZN2at6native12_GLOBAL__N_112gatherMedianIimLi1EEEvNS_4cuda6detail10TensorInfoIT_T0_EENS5_IlS7_EENS5_IKS6_S7_EES7_S7_S7_b.num_agpr, 0
	.set _ZN2at6native12_GLOBAL__N_112gatherMedianIimLi1EEEvNS_4cuda6detail10TensorInfoIT_T0_EENS5_IlS7_EENS5_IKS6_S7_EES7_S7_S7_b.numbered_sgpr, 100
	.set _ZN2at6native12_GLOBAL__N_112gatherMedianIimLi1EEEvNS_4cuda6detail10TensorInfoIT_T0_EENS5_IlS7_EENS5_IKS6_S7_EES7_S7_S7_b.num_named_barrier, 0
	.set _ZN2at6native12_GLOBAL__N_112gatherMedianIimLi1EEEvNS_4cuda6detail10TensorInfoIT_T0_EENS5_IlS7_EENS5_IKS6_S7_EES7_S7_S7_b.private_seg_size, 0
	.set _ZN2at6native12_GLOBAL__N_112gatherMedianIimLi1EEEvNS_4cuda6detail10TensorInfoIT_T0_EENS5_IlS7_EENS5_IKS6_S7_EES7_S7_S7_b.uses_vcc, 1
	.set _ZN2at6native12_GLOBAL__N_112gatherMedianIimLi1EEEvNS_4cuda6detail10TensorInfoIT_T0_EENS5_IlS7_EENS5_IKS6_S7_EES7_S7_S7_b.uses_flat_scratch, 0
	.set _ZN2at6native12_GLOBAL__N_112gatherMedianIimLi1EEEvNS_4cuda6detail10TensorInfoIT_T0_EENS5_IlS7_EENS5_IKS6_S7_EES7_S7_S7_b.has_dyn_sized_stack, 0
	.set _ZN2at6native12_GLOBAL__N_112gatherMedianIimLi1EEEvNS_4cuda6detail10TensorInfoIT_T0_EENS5_IlS7_EENS5_IKS6_S7_EES7_S7_S7_b.has_recursion, 0
	.set _ZN2at6native12_GLOBAL__N_112gatherMedianIimLi1EEEvNS_4cuda6detail10TensorInfoIT_T0_EENS5_IlS7_EENS5_IKS6_S7_EES7_S7_S7_b.has_indirect_call, 0
	.section	.AMDGPU.csdata,"",@progbits
; Kernel info:
; codeLenInByte = 14748
; TotalNumSgprs: 106
; NumVgprs: 63
; NumAgprs: 0
; TotalNumVgprs: 63
; ScratchSize: 0
; MemoryBound: 0
; FloatMode: 240
; IeeeMode: 1
; LDSByteSize: 5152 bytes/workgroup (compile time only)
; SGPRBlocks: 13
; VGPRBlocks: 7
; NumSGPRsForWavesPerEU: 106
; NumVGPRsForWavesPerEU: 63
; AccumOffset: 64
; Occupancy: 7
; WaveLimiterHint : 1
; COMPUTE_PGM_RSRC2:SCRATCH_EN: 0
; COMPUTE_PGM_RSRC2:USER_SGPR: 2
; COMPUTE_PGM_RSRC2:TRAP_HANDLER: 0
; COMPUTE_PGM_RSRC2:TGID_X_EN: 1
; COMPUTE_PGM_RSRC2:TGID_Y_EN: 1
; COMPUTE_PGM_RSRC2:TGID_Z_EN: 1
; COMPUTE_PGM_RSRC2:TIDIG_COMP_CNT: 0
; COMPUTE_PGM_RSRC3_GFX90A:ACCUM_OFFSET: 15
; COMPUTE_PGM_RSRC3_GFX90A:TG_SPLIT: 0
	.section	.text._ZN2at6native12_GLOBAL__N_112gatherMedianIimLi2EEEvNS_4cuda6detail10TensorInfoIT_T0_EENS5_IlS7_EENS5_IKS6_S7_EES7_S7_S7_b,"axG",@progbits,_ZN2at6native12_GLOBAL__N_112gatherMedianIimLi2EEEvNS_4cuda6detail10TensorInfoIT_T0_EENS5_IlS7_EENS5_IKS6_S7_EES7_S7_S7_b,comdat
	.globl	_ZN2at6native12_GLOBAL__N_112gatherMedianIimLi2EEEvNS_4cuda6detail10TensorInfoIT_T0_EENS5_IlS7_EENS5_IKS6_S7_EES7_S7_S7_b ; -- Begin function _ZN2at6native12_GLOBAL__N_112gatherMedianIimLi2EEEvNS_4cuda6detail10TensorInfoIT_T0_EENS5_IlS7_EENS5_IKS6_S7_EES7_S7_S7_b
	.p2align	8
	.type	_ZN2at6native12_GLOBAL__N_112gatherMedianIimLi2EEEvNS_4cuda6detail10TensorInfoIT_T0_EENS5_IlS7_EENS5_IKS6_S7_EES7_S7_S7_b,@function
_ZN2at6native12_GLOBAL__N_112gatherMedianIimLi2EEEvNS_4cuda6detail10TensorInfoIT_T0_EENS5_IlS7_EENS5_IKS6_S7_EES7_S7_S7_b: ; @_ZN2at6native12_GLOBAL__N_112gatherMedianIimLi2EEEvNS_4cuda6detail10TensorInfoIT_T0_EENS5_IlS7_EENS5_IKS6_S7_EES7_S7_S7_b
; %bb.0:
	s_load_dwordx2 s[8:9], s[0:1], 0x500
	s_load_dwordx4 s[56:59], s[0:1], 0x4e0
	s_add_u32 s10, s0, 0x500
	s_addc_u32 s11, s1, 0
	s_mov_b32 s25, 0
	s_waitcnt lgkmcnt(0)
	s_mul_i32 s4, s9, s4
	s_add_i32 s3, s4, s3
	s_mul_i32 s3, s3, s8
	s_add_i32 s24, s3, s2
	v_mov_b64_e32 v[2:3], s[24:25]
	v_cmp_le_u64_e32 vcc, s[58:59], v[2:3]
	s_cbranch_vccnz .LBB93_283
; %bb.1:
	s_load_dwordx2 s[18:19], s[0:1], 0x10
	s_load_dwordx2 s[12:13], s[0:1], 0x350
	;; [unrolled: 1-line block ×3, first 2 shown]
	s_mov_b64 s[16:17], 0
	s_mov_b64 s[4:5], 0
	s_waitcnt lgkmcnt(0)
	v_mov_b64_e32 v[2:3], s[18:19]
	v_cmp_lt_u64_e32 vcc, s[24:25], v[2:3]
	s_cbranch_vccnz .LBB93_3
; %bb.2:
	v_cvt_f32_u32_e32 v1, s18
	s_sub_i32 s3, 0, s18
	v_rcp_iflag_f32_e32 v1, v1
	s_nop 0
	v_mul_f32_e32 v1, 0x4f7ffffe, v1
	v_cvt_u32_f32_e32 v1, v1
	s_nop 0
	v_readfirstlane_b32 s4, v1
	s_mul_i32 s3, s3, s4
	s_mul_hi_u32 s3, s4, s3
	s_add_i32 s4, s4, s3
	s_mul_hi_u32 s3, s24, s4
	s_mul_i32 s5, s3, s18
	s_sub_i32 s5, s24, s5
	s_add_i32 s4, s3, 1
	s_sub_i32 s6, s5, s18
	s_cmp_ge_u32 s5, s18
	s_cselect_b32 s3, s4, s3
	s_cselect_b32 s5, s6, s5
	s_add_i32 s4, s3, 1
	s_cmp_ge_u32 s5, s18
	s_cselect_b32 s4, s4, s3
.LBB93_3:
	s_load_dwordx2 s[72:73], s[0:1], 0x4f0
                                        ; implicit-def: $vgpr54 : SGPR spill to VGPR lane
	v_mov_b64_e32 v[2:3], s[14:15]
	v_writelane_b32 v54, s4, 0
	v_cmp_lt_u64_e32 vcc, s[24:25], v[2:3]
	s_nop 0
	v_writelane_b32 v54, s5, 1
	v_writelane_b32 v54, s18, 2
	s_nop 1
	v_writelane_b32 v54, s19, 3
	s_cbranch_vccnz .LBB93_5
; %bb.4:
	v_cvt_f32_u32_e32 v1, s14
	s_sub_i32 s3, 0, s14
	v_rcp_iflag_f32_e32 v1, v1
	s_nop 0
	v_mul_f32_e32 v1, 0x4f7ffffe, v1
	v_cvt_u32_f32_e32 v1, v1
	s_nop 0
	v_readfirstlane_b32 s4, v1
	s_mul_i32 s3, s3, s4
	s_mul_hi_u32 s3, s4, s3
	s_add_i32 s4, s4, s3
	s_mul_hi_u32 s3, s24, s4
	s_mul_i32 s5, s3, s14
	s_sub_i32 s5, s24, s5
	s_add_i32 s4, s3, 1
	s_sub_i32 s6, s5, s14
	s_cmp_ge_u32 s5, s14
	s_cselect_b32 s3, s4, s3
	s_cselect_b32 s5, s6, s5
	s_add_i32 s4, s3, 1
	s_cmp_ge_u32 s5, s14
	s_cselect_b32 s16, s4, s3
.LBB93_5:
	v_writelane_b32 v54, s16, 4
	v_mov_b64_e32 v[2:3], s[12:13]
	v_cmp_lt_u64_e32 vcc, s[24:25], v[2:3]
	v_writelane_b32 v54, s17, 5
	v_writelane_b32 v54, s14, 6
	s_mov_b64 s[16:17], 0
	s_nop 0
	v_writelane_b32 v54, s15, 7
	s_cbranch_vccnz .LBB93_7
; %bb.6:
	v_cvt_f32_u32_e32 v1, s12
	s_sub_i32 s3, 0, s12
	v_rcp_iflag_f32_e32 v1, v1
	s_nop 0
	v_mul_f32_e32 v1, 0x4f7ffffe, v1
	v_cvt_u32_f32_e32 v1, v1
	s_nop 0
	v_readfirstlane_b32 s4, v1
	s_mul_i32 s3, s3, s4
	s_mul_hi_u32 s3, s4, s3
	s_add_i32 s4, s4, s3
	s_mul_hi_u32 s3, s24, s4
	s_mul_i32 s5, s3, s12
	s_sub_i32 s5, s24, s5
	s_add_i32 s4, s3, 1
	s_sub_i32 s6, s5, s12
	s_cmp_ge_u32 s5, s12
	s_cselect_b32 s3, s4, s3
	s_cselect_b32 s5, s6, s5
	s_add_i32 s4, s3, 1
	s_cmp_ge_u32 s5, s12
	s_cselect_b32 s16, s4, s3
.LBB93_7:
	s_load_dwordx2 s[18:19], s[0:1], 0x340
	v_cmp_eq_u32_e64 s[6:7], 0, v0
	s_mov_b64 s[4:5], exec
	s_nop 0
	v_writelane_b32 v54, s6, 8
	s_nop 1
	v_writelane_b32 v54, s7, 9
	s_and_b64 s[6:7], s[4:5], s[6:7]
	s_mov_b64 exec, s[6:7]
; %bb.8:
	v_mov_b32_e32 v2, 0
	v_mov_b32_e32 v3, v2
	ds_write_b64 v2, v[2:3] offset:5136
; %bb.9:
	s_or_b64 exec, exec, s[4:5]
	s_load_dwordx2 s[4:5], s[0:1], 0x1a0
	v_mov_b32_e32 v3, 0
	s_waitcnt lgkmcnt(0)
	s_barrier
	v_writelane_b32 v54, s4, 10
	s_barrier
	s_nop 0
	v_writelane_b32 v54, s5, 11
	s_load_dwordx2 s[4:5], s[0:1], 0x0
	s_waitcnt lgkmcnt(0)
	ds_read_b64 v[4:5], v3 offset:5136
	v_writelane_b32 v54, s4, 12
	s_nop 1
	v_writelane_b32 v54, s5, 13
	s_load_dwordx4 s[4:7], s[0:1], 0x410
	s_waitcnt lgkmcnt(0)
	v_readfirstlane_b32 s14, v4
	v_readfirstlane_b32 s15, v5
	s_mov_b64 s[20:21], exec
	v_readlane_b32 s22, v54, 8
	v_readlane_b32 s23, v54, 9
	s_and_b64 s[22:23], s[20:21], s[22:23]
	s_mov_b64 exec, s[22:23]
	s_cbranch_execz .LBB93_11
; %bb.10:
	v_mov_b32_e32 v4, s56
	v_mov_b32_e32 v5, s57
	;; [unrolled: 1-line block ×3, first 2 shown]
	ds_write_b32 v3, v3 offset:5144
	ds_write_b128 v3, v[2:5] offset:5120
.LBB93_11:
	s_or_b64 exec, exec, s[20:21]
	s_load_dword s3, s[0:1], 0x4f8
	s_load_dwordx4 s[20:23], s[0:1], 0x270
                                        ; kill: killed $sgpr0 killed $sgpr1
	v_mov_b32_e32 v1, v3
	v_mbcnt_lo_u32_b32 v2, -1, 0
	v_mbcnt_hi_u32_b32 v30, -1, v2
	s_waitcnt lgkmcnt(0)
	s_bitcmp1_b32 s3, 0
	v_writelane_b32 v54, s20, 14
	v_cmp_gt_u32_e32 vcc, 64, v0
	v_mov_b64_e32 v[4:5], 0x300
	v_writelane_b32 v54, s21, 15
	v_writelane_b32 v54, s22, 16
	;; [unrolled: 1-line block ×3, first 2 shown]
	s_load_dwordx4 s[20:23], s[0:1], 0xd0
	v_cmp_lt_i64_e64 s[0:1], s[14:15], 1
	s_waitcnt lgkmcnt(0)
	s_barrier
	v_writelane_b32 v54, s20, 18
	s_mov_b32 s87, 0
	v_lshlrev_b32_e32 v12, 2, v0
	v_writelane_b32 v54, s21, 19
	v_writelane_b32 v54, s22, 20
	;; [unrolled: 1-line block ×3, first 2 shown]
	s_cselect_b64 s[20:21], -1, 0
	s_not_b64 s[14:15], s[14:15]
	s_or_b64 s[0:1], s[20:21], s[0:1]
	s_add_u32 s14, s56, s14
	s_addc_u32 s15, s57, s15
	s_lshr_b64 s[14:15], s[14:15], 1
	s_add_u32 s3, s14, 1
	s_addc_u32 s9, s15, 0
	s_and_b64 s[0:1], s[0:1], exec
	s_mul_i32 s0, s16, s13
	s_mul_hi_u32 s1, s16, s12
	s_cselect_b32 s15, s9, s57
	s_cselect_b32 s14, s3, s56
	s_add_i32 s1, s1, s0
	s_mul_i32 s0, s16, s12
	s_sub_u32 s0, s24, s0
	s_subb_u32 s1, 0, s1
	s_mul_i32 s3, s0, s7
	s_mul_hi_u32 s7, s0, s6
	s_add_i32 s3, s7, s3
	s_mul_i32 s1, s1, s6
	s_add_i32 s1, s3, s1
	s_mul_i32 s3, s16, s5
	s_mul_hi_u32 s5, s16, s4
	s_add_i32 s5, s5, s3
	s_mul_i32 s4, s16, s4
	s_lshl_b64 s[4:5], s[4:5], 2
	s_mul_i32 s0, s0, s6
	s_add_u32 s3, s18, s4
	s_mov_b32 s12, s24
	s_addc_u32 s4, s19, s5
	s_lshl_b64 s[0:1], s[0:1], 2
	v_writelane_b32 v54, s12, 22
	s_add_u32 s80, s3, s0
	s_addc_u32 s81, s4, s1
	v_writelane_b32 v54, s13, 23
	v_cmp_gt_u64_e64 s[0:1], s[56:57], v[0:1]
	v_cmp_eq_u32_e64 s[4:5], 0, v30
	v_add_u32_e32 v31, 0xc00, v12
	v_writelane_b32 v54, s0, 24
	v_mov_b32_e32 v13, v3
	s_mov_b32 s85, s87
	v_writelane_b32 v54, s1, 25
	v_cmp_gt_i32_e64 s[0:1], 4, v30
	s_and_b64 s[88:89], vcc, s[0:1]
	v_cmp_gt_u32_e64 s[0:1], 2, v0
	s_mov_b32 s33, s72
	s_mov_b32 s69, s73
	v_writelane_b32 v54, s0, 26
	v_lshlrev_b32_e32 v35, 4, v0
	s_mov_b64 s[76:77], 0
	v_writelane_b32 v54, s1, 27
	v_cmp_gt_u64_e64 s[0:1], s[56:57], v[4:5]
	v_mov_b64_e32 v[26:27], s[14:15]
	v_mov_b64_e32 v[40:41], s[56:57]
	v_writelane_b32 v54, s0, 28
	v_mov_b32_e32 v22, 1
	v_mov_b32_e32 v37, 0x4f800000
	v_writelane_b32 v54, s1, 29
	v_mad_u64_u32 v[4:5], s[0:1], s72, v0, 0
	v_mov_b32_e32 v2, v5
	v_mad_u64_u32 v[6:7], s[0:1], s73, v0, v[2:3]
	s_load_dword s0, s[10:11], 0xc
	v_lshlrev_b32_e32 v2, 2, v30
	v_and_b32_e32 v32, 0x100, v2
	v_lshrrev_b32_e32 v2, 1, v0
	v_mov_b32_e32 v5, v6
	s_waitcnt lgkmcnt(0)
	s_and_b32 s84, s0, 0xffff
	s_bfe_u32 s0, s0, 0xa0006
	v_and_b32_e32 v2, 0x1e0, v2
	v_lshl_add_u64 v[14:15], v[4:5], 2, s[80:81]
	v_lshlrev_b64 v[4:5], v30, -1
	s_cmp_gt_u32 s84, 63
	v_or_b32_e32 v33, 0xc00, v2
	v_add_u32_e32 v2, 2, v0
	v_not_b32_e32 v16, v4
	s_cselect_b64 s[6:7], -1, 0
	s_add_u32 s1, s84, -1
	v_mov_b32_e32 v4, s57
	v_cmp_gt_u64_e32 vcc, s[56:57], v[2:3]
	v_not_b32_e32 v17, v5
	v_writelane_b32 v54, s6, 30
	s_addc_u32 s3, 0, -1
	v_cndmask_b32_e32 v5, 0, v4, vcc
	v_mov_b32_e32 v4, s56
	v_writelane_b32 v54, s7, 31
	s_add_u32 s68, s1, s56
	v_cndmask_b32_e32 v4, v2, v4, vcc
	v_mov_b32_e32 v7, -1
	v_not_b32_e32 v6, v0
	v_writelane_b32 v54, s1, 32
	s_addc_u32 s93, s3, s57
	v_lshl_add_u64 v[4:5], v[4:5], 0, v[6:7]
	v_writelane_b32 v54, s3, 33
	s_cmp_lt_u32 s2, s8
	v_cmp_lt_u64_e64 s[2:3], 1, v[4:5]
	s_cselect_b32 s1, 12, 18
	v_and_b32_e32 v18, -2, v4
	v_writelane_b32 v54, s2, 34
	v_mov_b32_e32 v19, v5
	s_add_u32 s94, s10, s1
	v_writelane_b32 v54, s3, 35
	v_cmp_ne_u64_e64 s[2:3], v[4:5], v[18:19]
	s_addc_u32 s95, s11, 0
	s_add_i32 s1, s0, -1
	v_writelane_b32 v54, s2, 36
	s_and_b32 s1, s1, 0xffff
	v_mov_b32_e32 v2, 0xc00
	v_writelane_b32 v54, s3, 37
	s_bfe_u32 s2, s84, 0x30006
	s_cmp_gt_u32 s1, 6
	s_cselect_b64 s[6:7], -1, 0
	v_writelane_b32 v54, s6, 38
	s_and_b32 s90, s0, 0x3f8
	s_cmp_lg_u32 s2, 0
	v_writelane_b32 v54, s7, 39
	v_writelane_b32 v54, s2, 40
	s_cselect_b64 s[0:1], -1, 0
	v_lshl_add_u64 v[20:21], v[18:19], 0, v[0:1]
	v_writelane_b32 v54, s0, 41
	v_lshl_or_b32 v36, v30, 3, v2
	s_lshl_b32 s91, s84, 2
	s_mov_b32 s7, 30
	s_brev_b32 s6, 1
	v_mov_b32_e32 v25, 0
	v_mov_b32_e32 v38, 0
	v_mov_b32_e32 v34, 0
	v_mov_b32_e32 v39, 0
	v_writelane_b32 v54, s1, 42
                                        ; implicit-def: $sgpr60_sgpr61
                                        ; implicit-def: $sgpr82_sgpr83
                                        ; implicit-def: $sgpr62_sgpr63
                                        ; implicit-def: $sgpr12_sgpr13
                                        ; implicit-def: $sgpr10_sgpr11
                                        ; implicit-def: $sgpr70_sgpr71
	s_branch .LBB93_15
.LBB93_12:                              ;   in Loop: Header=BB93_15 Depth=1
	s_or_b64 exec, exec, s[18:19]
	s_and_b64 s[14:15], s[14:15], exec
	s_andn2_b64 s[24:25], s[24:25], exec
	s_andn2_b64 s[0:1], s[0:1], exec
	s_orn2_b64 s[18:19], s[8:9], exec
.LBB93_13:                              ;   in Loop: Header=BB93_15 Depth=1
	s_or_b64 exec, exec, s[2:3]
	s_andn2_b64 s[2:3], s[70:71], exec
	s_and_b64 s[8:9], s[14:15], exec
	s_or_b64 s[70:71], s[2:3], s[8:9]
	s_andn2_b64 s[2:3], s[10:11], exec
	s_and_b64 s[8:9], s[24:25], exec
	s_or_b64 s[10:11], s[2:3], s[8:9]
	;; [unrolled: 3-line block ×3, first 2 shown]
	s_orn2_b64 s[0:1], s[18:19], exec
.LBB93_14:                              ;   in Loop: Header=BB93_15 Depth=1
	s_or_b64 exec, exec, s[16:17]
	s_and_b64 s[0:1], exec, s[0:1]
	s_or_b64 s[76:77], s[0:1], s[76:77]
	s_andn2_b64 s[0:1], s[62:63], exec
	s_and_b64 s[2:3], s[70:71], exec
	s_or_b64 s[62:63], s[0:1], s[2:3]
	s_andn2_b64 s[0:1], s[82:83], exec
	s_and_b64 s[2:3], s[10:11], exec
	;; [unrolled: 3-line block ×3, first 2 shown]
	s_or_b64 s[60:61], s[0:1], s[2:3]
	v_mov_b64_e32 v[26:27], v[8:9]
	s_andn2_b64 exec, exec, s[76:77]
	s_cbranch_execz .LBB93_279
.LBB93_15:                              ; =>This Loop Header: Depth=1
                                        ;     Child Loop BB93_21 Depth 2
                                        ;     Child Loop BB93_35 Depth 2
	;; [unrolled: 1-line block ×17, first 2 shown]
	ds_read_b128 v[4:7], v3 offset:5120
	s_waitcnt lgkmcnt(0)
	v_readfirstlane_b32 s65, v5
	v_readfirstlane_b32 s64, v4
	s_cmp_lg_u64 s[64:65], 0
	s_cbranch_scc1 .LBB93_48
; %bb.16:                               ;   in Loop: Header=BB93_15 Depth=1
	v_readlane_b32 s0, v54, 28
	v_readlane_b32 s1, v54, 29
	s_and_b64 vcc, exec, s[0:1]
	s_cbranch_vccz .LBB93_29
; %bb.17:                               ;   in Loop: Header=BB93_15 Depth=1
	s_mov_b64 s[0:1], 0x301
	v_cmp_gt_u64_e32 vcc, s[0:1], v[6:7]
	s_mov_b64 s[8:9], 0
	s_mov_b64 s[0:1], 0
	s_cbranch_vccz .LBB93_30
; %bb.18:                               ;   in Loop: Header=BB93_15 Depth=1
	s_mov_b64 s[14:15], exec
	v_readlane_b32 s0, v54, 24
	v_readlane_b32 s1, v54, 25
	s_and_b64 s[0:1], s[14:15], s[0:1]
	s_mov_b64 exec, s[0:1]
	s_cbranch_execz .LBB93_146
; %bb.19:                               ;   in Loop: Header=BB93_15 Depth=1
	global_load_ushort v2, v3, s[94:95]
	global_load_dword v6, v[14:15], off
	s_mov_b64 s[16:17], 0
	v_mov_b64_e32 v[4:5], v[0:1]
	s_waitcnt vmcnt(1)
	v_and_b32_e32 v2, 0xffff, v2
	s_branch .LBB93_21
.LBB93_20:                              ;   in Loop: Header=BB93_21 Depth=2
	s_or_b64 exec, exec, s[2:3]
	v_mov_b32_e32 v6, v7
	s_andn2_b64 exec, exec, s[16:17]
	s_cbranch_execz .LBB93_146
.LBB93_21:                              ;   Parent Loop BB93_15 Depth=1
                                        ; =>  This Inner Loop Header: Depth=2
	v_lshl_add_u64 v[4:5], v[4:5], 0, v[2:3]
	v_cmp_gt_u64_e64 s[0:1], s[56:57], v[4:5]
	v_cmp_le_u64_e32 vcc, s[56:57], v[4:5]
	s_waitcnt lgkmcnt(0)
	v_mov_b32_e32 v8, 0
	v_mov_b32_e32 v7, 0
	s_and_saveexec_b64 s[2:3], s[0:1]
	s_cbranch_execz .LBB93_23
; %bb.22:                               ;   in Loop: Header=BB93_21 Depth=2
	v_mul_lo_u32 v7, v5, s72
	v_mul_lo_u32 v9, v4, s73
	v_mad_u64_u32 v[10:11], s[0:1], v4, s72, 0
	v_add3_u32 v11, v11, v9, v7
	v_lshl_add_u64 v[10:11], v[10:11], 2, s[80:81]
	global_load_dword v7, v[10:11], off
.LBB93_23:                              ;   in Loop: Header=BB93_21 Depth=2
	s_or_b64 exec, exec, s[2:3]
	s_waitcnt vmcnt(0)
	v_bitop3_b32 v9, v6, v39, s6 bitop3:0x48
	v_cmp_eq_u32_e64 s[0:1], v9, v34
	s_cmp_lg_u64 s[0:1], 0
	s_cselect_b64 s[2:3], -1, 0
	s_and_b64 s[2:3], s[4:5], s[2:3]
	s_and_saveexec_b64 s[18:19], s[2:3]
	s_cbranch_execz .LBB93_27
; %bb.24:                               ;   in Loop: Header=BB93_21 Depth=2
	s_mov_b64 s[22:23], exec
	v_mbcnt_lo_u32_b32 v8, s22, 0
	v_mbcnt_hi_u32_b32 v8, s23, v8
	s_bcnt1_i32_b64 s24, s[0:1]
	v_cmp_eq_u32_e64 s[2:3], 0, v8
                                        ; implicit-def: $vgpr9
	s_and_saveexec_b64 s[20:21], s[2:3]
; %bb.25:                               ;   in Loop: Header=BB93_21 Depth=2
	s_bcnt1_i32_b64 s2, s[22:23]
	s_mul_i32 s2, s24, s2
	v_mov_b32_e32 v9, s2
	ds_add_rtn_u32 v9, v3, v9 offset:5144
; %bb.26:                               ;   in Loop: Header=BB93_21 Depth=2
	s_or_b64 exec, exec, s[20:21]
	s_waitcnt lgkmcnt(0)
	v_readfirstlane_b32 s2, v9
	s_nop 1
	v_mov_b32_e32 v9, s2
	v_mad_u32_u24 v8, s24, v8, v9
.LBB93_27:                              ;   in Loop: Header=BB93_21 Depth=2
	s_or_b64 exec, exec, s[18:19]
	ds_bpermute_b32 v8, v32, v8
	s_and_b64 s[2:3], exec, vcc
	s_or_b64 s[16:17], s[2:3], s[16:17]
	s_and_saveexec_b64 s[2:3], s[0:1]
	s_cbranch_execz .LBB93_20
; %bb.28:                               ;   in Loop: Header=BB93_21 Depth=2
	v_and_b32_e32 v10, s0, v16
	v_and_b32_e32 v9, s1, v17
	v_bcnt_u32_b32 v10, v10, 0
	v_bcnt_u32_b32 v9, v9, v10
	v_lshlrev_b32_e32 v9, 2, v9
	s_waitcnt lgkmcnt(0)
	v_lshl_add_u32 v8, v8, 2, v9
	ds_write_b32 v8, v6
	s_branch .LBB93_20
.LBB93_29:                              ;   in Loop: Header=BB93_15 Depth=1
	s_mov_b64 s[8:9], -1
	s_mov_b64 s[0:1], 0
.LBB93_30:                              ;   in Loop: Header=BB93_15 Depth=1
	s_and_b64 vcc, exec, s[8:9]
	s_cbranch_vccz .LBB93_46
.LBB93_31:                              ;   in Loop: Header=BB93_15 Depth=1
	s_mov_b64 s[0:1], exec
	v_readlane_b32 s2, v54, 24
	v_readlane_b32 s3, v54, 25
	s_and_b64 s[2:3], s[0:1], s[2:3]
	s_mov_b64 exec, s[2:3]
	s_cbranch_execz .LBB93_43
; %bb.32:                               ;   in Loop: Header=BB93_15 Depth=1
	global_load_ushort v2, v3, s[94:95]
	global_load_dword v10, v[14:15], off
	v_mov_b32_e32 v6, v0
	s_waitcnt vmcnt(1)
	v_readfirstlane_b32 s8, v2
	v_add_u32_sdwa v2, v2, v0 dst_sel:DWORD dst_unused:UNUSED_PAD src0_sel:WORD_0 src1_sel:DWORD
	v_cmp_gt_u64_e32 vcc, s[56:57], v[2:3]
	s_and_saveexec_b64 s[2:3], vcc
	s_cbranch_execz .LBB93_42
; %bb.33:                               ;   in Loop: Header=BB93_15 Depth=1
	s_and_b32 s86, s8, 0xffff
	s_cmp_eq_u32 s86, 1
	v_readlane_b32 s14, v54, 34
	s_cselect_b64 s[8:9], -1, 0
	v_readlane_b32 s15, v54, 35
	s_and_b64 s[16:17], s[14:15], s[8:9]
	s_mov_b64 s[14:15], -1
	v_mov_b64_e32 v[8:9], v[0:1]
	v_mov_b64_e32 v[4:5], v[2:3]
                                        ; implicit-def: $vgpr11
                                        ; implicit-def: $vgpr6_vgpr7
	s_and_saveexec_b64 s[8:9], s[16:17]
	s_cbranch_execz .LBB93_37
; %bb.34:                               ;   in Loop: Header=BB93_15 Depth=1
	v_lshl_add_u64 v[4:5], v[2:3], 0, 1
	v_mov_b64_e32 v[6:7], v[4:5]
	s_mov_b64 s[14:15], 0
	v_mov_b64_e32 v[8:9], v[18:19]
	v_mov_b32_e32 v23, v12
	v_mov_b64_e32 v[4:5], v[2:3]
.LBB93_35:                              ;   Parent Loop BB93_15 Depth=1
                                        ; =>  This Inner Loop Header: Depth=2
	v_mul_lo_u32 v44, v5, s72
	v_mul_lo_u32 v45, v4, s73
	v_mad_u64_u32 v[42:43], s[16:17], v4, s72, 0
	v_mul_lo_u32 v11, v7, s33
	v_mul_lo_u32 v24, v6, s69
	v_mad_u64_u32 v[28:29], s[16:17], v6, s33, 0
	v_add3_u32 v43, v43, v45, v44
	v_add3_u32 v29, v29, v24, v11
	v_lshl_add_u64 v[42:43], v[42:43], 2, s[80:81]
	v_lshl_add_u64 v[28:29], v[28:29], 2, s[80:81]
	global_load_dword v24, v[42:43], off
	global_load_dword v11, v[28:29], off
	v_lshl_add_u64 v[8:9], v[8:9], 0, -2
	v_cmp_eq_u64_e32 vcc, 0, v[8:9]
	v_lshl_add_u64 v[6:7], v[6:7], 0, 2
	v_lshl_add_u64 v[4:5], v[4:5], 0, 2
	s_or_b64 s[14:15], vcc, s[14:15]
	s_waitcnt vmcnt(1)
	ds_write2_b32 v23, v10, v24 offset1:1
	v_add_u32_e32 v23, 8, v23
	s_waitcnt vmcnt(0)
	v_mov_b32_e32 v10, v11
	s_andn2_b64 exec, exec, s[14:15]
	s_cbranch_execnz .LBB93_35
; %bb.36:                               ;   in Loop: Header=BB93_15 Depth=1
	s_or_b64 exec, exec, s[14:15]
	v_readlane_b32 s14, v54, 36
	v_lshl_add_u64 v[4:5], v[2:3], 0, v[18:19]
	v_readlane_b32 s15, v54, 37
	v_lshl_add_u64 v[6:7], v[4:5], 0, -1
	s_orn2_b64 s[14:15], s[14:15], exec
	v_mov_b32_e32 v10, v11
	v_mov_b64_e32 v[8:9], v[20:21]
.LBB93_37:                              ;   in Loop: Header=BB93_15 Depth=1
	s_or_b64 exec, exec, s[8:9]
	s_and_saveexec_b64 s[8:9], s[14:15]
	s_cbranch_execz .LBB93_41
; %bb.38:                               ;   in Loop: Header=BB93_15 Depth=1
	s_sub_u32 s14, 0, s86
	s_mov_b64 s[16:17], 0
	s_subb_u32 s15, 0, 0
.LBB93_39:                              ;   Parent Loop BB93_15 Depth=1
                                        ; =>  This Inner Loop Header: Depth=2
	v_mov_b64_e32 v[6:7], v[4:5]
	v_mul_lo_u32 v2, v7, s72
	v_mul_lo_u32 v9, v6, s73
	v_mad_u64_u32 v[4:5], s[18:19], v6, s72, 0
	v_add3_u32 v5, v5, v9, v2
	v_lshl_add_u64 v[4:5], v[4:5], 2, s[80:81]
	global_load_dword v11, v[4:5], off
	v_lshl_add_u64 v[4:5], v[6:7], 0, s[86:87]
	v_lshlrev_b32_e32 v2, 2, v8
	v_cmp_le_u64_e32 vcc, s[56:57], v[4:5]
	s_waitcnt vmcnt(1)
	ds_write_b32 v2, v10
	v_mov_b64_e32 v[8:9], v[6:7]
	s_or_b64 s[16:17], vcc, s[16:17]
	s_waitcnt vmcnt(0)
	v_mov_b32_e32 v10, v11
	s_andn2_b64 exec, exec, s[16:17]
	s_cbranch_execnz .LBB93_39
; %bb.40:                               ;   in Loop: Header=BB93_15 Depth=1
	s_or_b64 exec, exec, s[16:17]
	v_lshl_add_u64 v[6:7], s[14:15], 0, v[4:5]
.LBB93_41:                              ;   in Loop: Header=BB93_15 Depth=1
	s_or_b64 exec, exec, s[8:9]
	s_waitcnt vmcnt(0)
	v_mov_b32_e32 v10, v11
.LBB93_42:                              ;   in Loop: Header=BB93_15 Depth=1
	s_or_b64 exec, exec, s[2:3]
	v_lshlrev_b32_e32 v2, 2, v6
	s_waitcnt vmcnt(0)
	ds_write_b32 v2, v10
.LBB93_43:                              ;   in Loop: Header=BB93_15 Depth=1
	s_or_b64 exec, exec, s[0:1]
	s_waitcnt lgkmcnt(0)
	s_barrier
	s_mov_b64 s[0:1], exec
	v_readlane_b32 s2, v54, 8
	v_readlane_b32 s3, v54, 9
	s_and_b64 s[2:3], s[0:1], s[2:3]
	s_mov_b64 exec, s[2:3]
; %bb.44:                               ;   in Loop: Header=BB93_15 Depth=1
	ds_write_b64 v3, v[40:41] offset:5120
; %bb.45:                               ;   in Loop: Header=BB93_15 Depth=1
	s_or_b64 exec, exec, s[0:1]
	s_mov_b64 s[0:1], -1
	s_waitcnt lgkmcnt(0)
	s_barrier
.LBB93_46:                              ;   in Loop: Header=BB93_15 Depth=1
	s_mov_b64 s[64:65], 0
	s_and_b64 vcc, exec, s[0:1]
	s_cbranch_vccz .LBB93_48
; %bb.47:                               ;   in Loop: Header=BB93_15 Depth=1
	ds_read_b64 v[4:5], v3 offset:5120
	s_waitcnt lgkmcnt(0)
	v_readfirstlane_b32 s64, v4
.LBB93_48:                              ;   in Loop: Header=BB93_15 Depth=1
	s_cmp_lt_i32 s64, 1
	s_mov_b64 s[0:1], -1
                                        ; implicit-def: $vgpr4_vgpr5
                                        ; implicit-def: $vgpr8_vgpr9
	s_cbranch_scc1 .LBB93_58
; %bb.49:                               ;   in Loop: Header=BB93_15 Depth=1
	s_and_b64 vcc, exec, s[0:1]
	s_cbranch_vccnz .LBB93_72
.LBB93_50:                              ;   in Loop: Header=BB93_15 Depth=1
	v_lshlrev_b32_e32 v2, 6, v38
	s_and_saveexec_b64 s[0:1], s[4:5]
	s_cbranch_execz .LBB93_52
.LBB93_51:                              ;   in Loop: Header=BB93_15 Depth=1
	v_lshl_add_u32 v23, v2, 3, v33
	ds_write_b128 v23, v[4:7]
	ds_write_b128 v23, v[8:11] offset:16
.LBB93_52:                              ;   in Loop: Header=BB93_15 Depth=1
	s_or_b64 exec, exec, s[0:1]
	s_waitcnt lgkmcnt(0)
	s_barrier
	s_and_saveexec_b64 s[0:1], s[88:89]
	s_cbranch_execz .LBB93_87
; %bb.53:                               ;   in Loop: Header=BB93_15 Depth=1
	v_readlane_b32 s2, v54, 30
	v_readlane_b32 s3, v54, 31
	s_andn2_b64 vcc, exec, s[2:3]
	v_mov_b64_e32 v[4:5], 0
	s_cbranch_vccnz .LBB93_86
; %bb.54:                               ;   in Loop: Header=BB93_15 Depth=1
	v_readlane_b32 s2, v54, 38
	v_readlane_b32 s3, v54, 39
	s_andn2_b64 vcc, exec, s[2:3]
	s_cbranch_vccnz .LBB93_82
; %bb.55:                               ;   in Loop: Header=BB93_15 Depth=1
	v_lshl_add_u32 v6, v38, 9, v36
	v_mov_b64_e32 v[4:5], 0
	s_mov_b32 s2, 0
.LBB93_56:                              ;   Parent Loop BB93_15 Depth=1
                                        ; =>  This Inner Loop Header: Depth=2
	ds_read2_b64 v[8:11], v6 offset1:4
	ds_read2_b64 v[42:45], v6 offset0:8 offset1:12
	ds_read2_b64 v[46:49], v6 offset0:16 offset1:20
	ds_read2_b64 v[50:53], v6 offset0:24 offset1:28
	s_add_i32 s2, s2, 8
	s_waitcnt lgkmcnt(3)
	v_lshl_add_u64 v[4:5], v[8:9], 0, v[4:5]
	v_lshl_add_u64 v[4:5], v[10:11], 0, v[4:5]
	s_waitcnt lgkmcnt(2)
	v_lshl_add_u64 v[4:5], v[42:43], 0, v[4:5]
	v_lshl_add_u64 v[4:5], v[44:45], 0, v[4:5]
	;; [unrolled: 3-line block ×3, first 2 shown]
	s_waitcnt lgkmcnt(0)
	v_lshl_add_u64 v[4:5], v[50:51], 0, v[4:5]
	v_add_u32_e32 v6, 0x100, v6
	s_cmp_eq_u32 s90, s2
	v_lshl_add_u64 v[4:5], v[52:53], 0, v[4:5]
	s_cbranch_scc0 .LBB93_56
; %bb.57:                               ;   in Loop: Header=BB93_15 Depth=1
	s_mov_b32 s2, s90
	s_branch .LBB93_83
.LBB93_58:                              ;   in Loop: Header=BB93_15 Depth=1
	global_load_ushort v2, v3, s[94:95]
	s_mov_b32 s0, s87
	s_waitcnt vmcnt(0)
	v_readfirstlane_b32 s1, v2
	s_and_b32 s1, 0xffff, s1
	s_lshl_b32 s86, s1, 2
	s_mov_b32 s1, s57
	s_cmp_lg_u64 s[0:1], 0
	s_cbranch_scc0 .LBB93_81
; %bb.59:                               ;   in Loop: Header=BB93_15 Depth=1
	v_cvt_f32_u32_e32 v4, s86
	s_sub_u32 s2, 0, s86
	s_subb_u32 s3, 0, 0
	v_fmac_f32_e32 v4, 0, v37
	v_rcp_f32_e32 v4, v4
	s_nop 0
	v_mul_f32_e32 v4, 0x5f7ffffc, v4
	v_mul_f32_e32 v5, 0x2f800000, v4
	v_trunc_f32_e32 v5, v5
	v_fmac_f32_e32 v4, 0xcf800000, v5
	v_cvt_u32_f32_e32 v5, v5
	v_cvt_u32_f32_e32 v4, v4
	v_readfirstlane_b32 s8, v5
	v_readfirstlane_b32 s0, v4
	s_mul_i32 s1, s2, s8
	s_mul_hi_u32 s14, s2, s0
	s_mul_i32 s9, s3, s0
	s_add_i32 s1, s14, s1
	s_mul_i32 s15, s2, s0
	s_add_i32 s1, s1, s9
	s_mul_hi_u32 s14, s0, s15
	s_mul_i32 s16, s0, s1
	s_mul_hi_u32 s9, s0, s1
	s_add_u32 s14, s14, s16
	s_addc_u32 s9, 0, s9
	s_mul_hi_u32 s17, s8, s15
	s_mul_i32 s15, s8, s15
	s_add_u32 s14, s14, s15
	s_mul_hi_u32 s16, s8, s1
	s_addc_u32 s9, s9, s17
	s_addc_u32 s14, s16, 0
	s_mul_i32 s1, s8, s1
	s_add_u32 s1, s9, s1
	s_addc_u32 s9, 0, s14
	s_add_u32 s14, s0, s1
	s_cselect_b64 s[0:1], -1, 0
	s_cmp_lg_u64 s[0:1], 0
	s_addc_u32 s8, s8, s9
	s_mul_i32 s0, s2, s8
	s_mul_hi_u32 s1, s2, s14
	s_add_i32 s0, s1, s0
	s_mul_i32 s3, s3, s14
	s_add_i32 s0, s0, s3
	s_mul_i32 s2, s2, s14
	s_mul_hi_u32 s3, s8, s2
	s_mul_i32 s9, s8, s2
	s_mul_i32 s16, s14, s0
	s_mul_hi_u32 s2, s14, s2
	s_mul_hi_u32 s15, s14, s0
	s_add_u32 s2, s2, s16
	s_addc_u32 s15, 0, s15
	s_add_u32 s2, s2, s9
	s_mul_hi_u32 s1, s8, s0
	s_addc_u32 s2, s15, s3
	s_addc_u32 s1, s1, 0
	s_mul_i32 s0, s8, s0
	s_add_u32 s0, s2, s0
	s_addc_u32 s2, 0, s1
	s_add_u32 s3, s14, s0
	s_cselect_b64 s[0:1], -1, 0
	s_cmp_lg_u64 s[0:1], 0
	s_addc_u32 s0, s8, s2
	s_mul_i32 s2, s56, s0
	s_mul_hi_u32 s8, s56, s3
	s_mul_hi_u32 s1, s56, s0
	s_add_u32 s2, s8, s2
	s_addc_u32 s1, 0, s1
	s_mul_hi_u32 s9, s57, s3
	s_mul_i32 s3, s57, s3
	s_add_u32 s2, s2, s3
	s_mul_hi_u32 s8, s57, s0
	s_addc_u32 s1, s1, s9
	s_addc_u32 s2, s8, 0
	s_mul_i32 s0, s57, s0
	s_add_u32 s0, s1, s0
	s_addc_u32 s1, 0, s2
	s_mul_i32 s1, s86, s1
	s_mul_hi_u32 s2, s86, s0
	s_add_i32 s2, s2, s1
	s_mul_i32 s0, s86, s0
	s_sub_u32 s3, s56, s0
	s_cselect_b64 s[0:1], -1, 0
	s_cmp_lg_u64 s[0:1], 0
	s_subb_u32 s2, s57, s2
	s_sub_u32 s8, s3, s86
	s_cselect_b64 s[0:1], -1, 0
	s_cmp_lg_u64 s[0:1], 0
	s_subb_u32 s9, s2, 0
	;; [unrolled: 4-line block ×3, first 2 shown]
	s_cmp_ge_u32 s8, s86
	s_cselect_b32 s1, -1, 0
	s_cmp_eq_u32 s9, 0
	s_cselect_b32 s1, s1, -1
	s_cmp_lg_u32 s1, 0
	s_cselect_b32 s0, s0, s9
	s_cselect_b32 s8, s14, s8
	s_cmp_ge_u32 s3, s86
	s_cselect_b32 s1, -1, 0
	s_cmp_eq_u32 s2, 0
	s_cselect_b32 s1, s1, -1
	s_cmp_lg_u32 s1, 0
	s_cselect_b32 s1, s0, s2
	s_cselect_b32 s0, s8, s3
	s_cbranch_execnz .LBB93_61
.LBB93_60:                              ;   in Loop: Header=BB93_15 Depth=1
	v_cvt_f32_u32_e32 v4, s86
	s_sub_i32 s0, 0, s86
	v_rcp_iflag_f32_e32 v4, v4
	s_nop 0
	v_mul_f32_e32 v4, 0x4f7ffffe, v4
	v_cvt_u32_f32_e32 v4, v4
	s_nop 0
	v_readfirstlane_b32 s1, v4
	s_mul_i32 s0, s0, s1
	s_mul_hi_u32 s0, s1, s0
	s_add_i32 s1, s1, s0
	s_mul_hi_u32 s0, s56, s1
	s_mul_i32 s0, s0, s86
	s_sub_i32 s0, s56, s0
	s_sub_i32 s1, s0, s86
	s_cmp_ge_u32 s0, s86
	s_cselect_b32 s0, s1, s0
	s_sub_i32 s1, s0, s86
	s_cmp_ge_u32 s0, s86
	s_cselect_b32 s0, s1, s0
	s_mov_b32 s1, s87
.LBB93_61:                              ;   in Loop: Header=BB93_15 Depth=1
	s_sub_u32 s54, s56, s0
	s_subb_u32 s55, s57, s1
	v_cmp_gt_u64_e32 vcc, s[54:55], v[12:13]
	v_mov_b64_e32 v[4:5], 0
	v_mov_b64_e32 v[6:7], 0
	;; [unrolled: 1-line block ×4, first 2 shown]
	s_and_saveexec_b64 s[66:67], vcc
	s_cbranch_execz .LBB93_65
; %bb.62:                               ;   in Loop: Header=BB93_15 Depth=1
	s_mov_b64 s[58:59], 0
	s_mov_b64 s[78:79], 0
	;; [unrolled: 1-line block ×5, first 2 shown]
	v_mov_b64_e32 v[28:29], v[12:13]
.LBB93_63:                              ;   Parent Loop BB93_15 Depth=1
                                        ; =>  This Inner Loop Header: Depth=2
	v_mul_lo_u32 v6, v29, s72
	v_mul_lo_u32 v7, v28, s73
	v_mad_u64_u32 v[4:5], s[0:1], v28, s72, 0
	v_add3_u32 v5, v5, v7, v6
	s_lshl_b64 s[0:1], s[72:73], 2
	v_lshl_add_u64 v[4:5], v[4:5], 2, s[80:81]
	global_load_dword v6, v[4:5], off
	v_lshl_add_u64 v[4:5], v[4:5], 0, s[0:1]
	global_load_dword v7, v[4:5], off
	;; [unrolled: 2-line block ×4, first 2 shown]
	v_lshl_add_u64 v[28:29], v[28:29], 0, s[86:87]
	v_cmp_le_u64_e32 vcc, s[54:55], v[28:29]
	s_waitcnt vmcnt(3)
	v_xor_b32_e32 v5, 0x80000000, v6
	v_bitop3_b32 v6, v6, v39, s6 bitop3:0x48
	v_cmp_eq_u32_e64 s[16:17], v6, v34
	s_waitcnt vmcnt(2)
	v_bitop3_b32 v6, v7, v39, s6 bitop3:0x48
	v_bfe_u32 v5, v5, s7, 2
	v_xor_b32_e32 v9, 0x80000000, v7
	s_waitcnt vmcnt(1)
	v_xor_b32_e32 v7, 0x80000000, v8
	v_cmp_eq_u32_e64 s[0:1], v6, v34
	v_bitop3_b32 v6, v8, v39, s6 bitop3:0x48
	v_cmp_eq_u32_e64 s[2:3], 0, v5
	v_bfe_u32 v8, v9, s7, 2
	v_cmp_eq_u32_e64 s[34:35], 1, v5
	v_cmp_eq_u32_e64 s[36:37], 2, v5
	;; [unrolled: 1-line block ×3, first 2 shown]
	s_waitcnt vmcnt(0)
	v_xor_b32_e32 v5, 0x80000000, v4
	v_cmp_eq_u32_e64 s[18:19], v6, v34
	v_bitop3_b32 v4, v4, v39, s6 bitop3:0x48
	v_bfe_u32 v6, v7, s7, 2
	s_and_b64 s[2:3], s[16:17], s[2:3]
	v_cmp_eq_u32_e64 s[28:29], 0, v8
	v_cndmask_b32_e64 v7, 0, 1, s[2:3]
	v_cmp_eq_u32_e64 s[22:23], v4, v34
	v_bfe_u32 v4, v5, s7, 2
	v_cmp_eq_u32_e64 s[2:3], 0, v6
	s_and_b64 s[8:9], s[0:1], s[28:29]
	v_cmp_eq_u32_e64 s[48:49], 0, v4
	s_and_b64 s[2:3], s[18:19], s[2:3]
	v_cndmask_b32_e64 v5, 0, 1, s[8:9]
	v_cmp_eq_u32_e64 s[50:51], 1, v4
	v_cmp_eq_u32_e64 s[52:53], 2, v4
	;; [unrolled: 1-line block ×3, first 2 shown]
	v_cndmask_b32_e64 v4, 0, 1, s[2:3]
	s_and_b64 s[8:9], s[22:23], s[48:49]
	v_cmp_ne_u32_e64 s[46:47], 0, v7
	v_cmp_ne_u32_e64 s[2:3], 0, v4
	v_cndmask_b32_e64 v4, 0, 1, s[8:9]
	s_bcnt1_i32_b64 s14, s[46:47]
	v_cmp_ne_u32_e64 s[46:47], 0, v5
	s_bcnt1_i32_b64 s8, s[2:3]
	v_cmp_ne_u32_e64 s[2:3], 0, v4
	s_bcnt1_i32_b64 s15, s[46:47]
	s_bcnt1_i32_b64 s2, s[2:3]
	s_add_u32 s3, s14, s98
	s_addc_u32 s9, 0, s99
	s_add_u32 s3, s3, s15
	s_addc_u32 s9, s9, 0
	;; [unrolled: 2-line block ×3, first 2 shown]
	s_add_u32 s98, s3, s2
	v_cmp_eq_u32_e64 s[38:39], 1, v8
	s_addc_u32 s99, s8, 0
	s_and_b64 s[2:3], s[16:17], s[34:35]
	v_cmp_eq_u32_e64 s[42:43], 1, v6
	v_cmp_eq_u32_e64 s[44:45], 2, v6
	;; [unrolled: 1-line block ×3, first 2 shown]
	v_cndmask_b32_e64 v6, 0, 1, s[2:3]
	s_and_b64 s[2:3], s[0:1], s[38:39]
	v_cndmask_b32_e64 v7, 0, 1, s[2:3]
	s_and_b64 s[2:3], s[18:19], s[42:43]
	v_cmp_eq_u32_e64 s[40:41], 2, v8
	v_cmp_eq_u32_e64 s[24:25], 3, v8
	v_cndmask_b32_e64 v8, 0, 1, s[2:3]
	s_and_b64 s[2:3], s[22:23], s[50:51]
	v_cndmask_b32_e64 v9, 0, 1, s[2:3]
	v_cmp_ne_u32_e64 s[2:3], 0, v6
	v_cmp_ne_u32_e64 s[34:35], 0, v7
	;; [unrolled: 1-line block ×4, first 2 shown]
	s_bcnt1_i32_b64 s2, s[2:3]
	s_bcnt1_i32_b64 s3, s[34:35]
	;; [unrolled: 1-line block ×4, first 2 shown]
	s_add_u32 s2, s2, s96
	s_addc_u32 s14, 0, s97
	s_add_u32 s2, s2, s3
	s_addc_u32 s3, s14, 0
	;; [unrolled: 2-line block ×4, first 2 shown]
	s_and_b64 s[2:3], s[16:17], s[36:37]
	v_cndmask_b32_e64 v8, 0, 1, s[2:3]
	s_and_b64 s[2:3], s[0:1], s[40:41]
	v_cndmask_b32_e64 v9, 0, 1, s[2:3]
	;; [unrolled: 2-line block ×4, first 2 shown]
	v_cmp_ne_u32_e64 s[2:3], 0, v8
	v_cmp_ne_u32_e64 s[34:35], 0, v9
	;; [unrolled: 1-line block ×4, first 2 shown]
	s_bcnt1_i32_b64 s2, s[2:3]
	s_bcnt1_i32_b64 s3, s[34:35]
	;; [unrolled: 1-line block ×4, first 2 shown]
	s_add_u32 s2, s2, s74
	s_addc_u32 s14, 0, s75
	s_add_u32 s2, s2, s3
	s_addc_u32 s3, s14, 0
	;; [unrolled: 2-line block ×4, first 2 shown]
	s_and_b64 s[0:1], s[0:1], s[24:25]
	v_cndmask_b32_e64 v11, 0, 1, s[0:1]
	s_and_b64 s[0:1], s[18:19], s[26:27]
	s_and_b64 s[2:3], s[16:17], s[20:21]
	v_cndmask_b32_e64 v23, 0, 1, s[0:1]
	s_and_b64 s[0:1], s[22:23], s[28:29]
	v_cndmask_b32_e64 v10, 0, 1, s[2:3]
	v_cndmask_b32_e64 v24, 0, 1, s[0:1]
	v_cmp_ne_u32_e64 s[0:1], 0, v10
	v_cmp_ne_u32_e64 s[2:3], 0, v11
	;; [unrolled: 1-line block ×4, first 2 shown]
	s_bcnt1_i32_b64 s0, s[0:1]
	s_bcnt1_i32_b64 s1, s[2:3]
	;; [unrolled: 1-line block ×4, first 2 shown]
	s_add_u32 s0, s0, s78
	s_addc_u32 s8, 0, s79
	s_add_u32 s0, s0, s1
	s_addc_u32 s1, s8, 0
	;; [unrolled: 2-line block ×4, first 2 shown]
	v_mov_b64_e32 v[4:5], s[98:99]
	v_mov_b64_e32 v[6:7], s[96:97]
	;; [unrolled: 1-line block ×3, first 2 shown]
	s_or_b64 s[58:59], vcc, s[58:59]
	v_mov_b64_e32 v[10:11], s[78:79]
	s_andn2_b64 exec, exec, s[58:59]
	s_cbranch_execnz .LBB93_63
; %bb.64:                               ;   in Loop: Header=BB93_15 Depth=1
	s_or_b64 exec, exec, s[58:59]
.LBB93_65:                              ;   in Loop: Header=BB93_15 Depth=1
	s_or_b64 exec, exec, s[66:67]
	v_lshl_add_u64 v[28:29], s[54:55], 0, v[0:1]
	v_and_b32_e32 v2, 0xffff, v2
	v_cmp_gt_u64_e32 vcc, s[56:57], v[28:29]
	s_and_saveexec_b64 s[2:3], vcc
	s_cbranch_execz .LBB93_71
; %bb.66:                               ;   in Loop: Header=BB93_15 Depth=1
	v_mul_lo_u32 v23, v29, s72
	v_mul_lo_u32 v24, v28, s73
	v_mad_u64_u32 v[42:43], s[0:1], v28, s72, 0
	v_add3_u32 v43, v43, v24, v23
	v_lshl_add_u64 v[42:43], v[42:43], 2, s[80:81]
	global_load_dword v24, v[42:43], off
	s_mov_b64 s[8:9], 0
	s_branch .LBB93_68
.LBB93_67:                              ;   in Loop: Header=BB93_68 Depth=2
	s_or_b64 exec, exec, s[14:15]
	s_waitcnt vmcnt(0)
	v_xor_b32_e32 v42, 0x80000000, v24
	v_bitop3_b32 v24, v24, v39, s6 bitop3:0x48
	s_and_b64 s[0:1], exec, vcc
	v_cmp_eq_u32_e32 vcc, v24, v34
	v_bfe_u32 v24, v42, s7, 2
	s_or_b64 s[8:9], s[0:1], s[8:9]
	v_cmp_eq_u32_e64 s[0:1], 0, v24
	s_and_b64 s[0:1], vcc, s[0:1]
	s_nop 0
	v_cndmask_b32_e64 v42, 0, 1, s[0:1]
	v_cmp_ne_u32_e64 s[0:1], 0, v42
	s_bcnt1_i32_b64 s86, s[0:1]
	v_cmp_eq_u32_e64 s[0:1], 1, v24
	s_and_b64 s[0:1], vcc, s[0:1]
	v_lshl_add_u64 v[4:5], s[86:87], 0, v[4:5]
	v_cndmask_b32_e64 v42, 0, 1, s[0:1]
	v_cmp_ne_u32_e64 s[0:1], 0, v42
	s_bcnt1_i32_b64 s86, s[0:1]
	v_cmp_eq_u32_e64 s[0:1], 2, v24
	s_and_b64 s[0:1], vcc, s[0:1]
	v_lshl_add_u64 v[6:7], s[86:87], 0, v[6:7]
	;; [unrolled: 6-line block ×3, first 2 shown]
	v_cndmask_b32_e64 v24, 0, 1, s[0:1]
	v_cmp_ne_u32_e32 vcc, 0, v24
	s_bcnt1_i32_b64 s86, vcc
	v_lshl_add_u64 v[10:11], s[86:87], 0, v[10:11]
	v_mov_b32_e32 v24, v23
	s_andn2_b64 exec, exec, s[8:9]
	s_cbranch_execz .LBB93_70
.LBB93_68:                              ;   Parent Loop BB93_15 Depth=1
                                        ; =>  This Inner Loop Header: Depth=2
	v_lshl_add_u64 v[28:29], v[28:29], 0, v[2:3]
	v_cmp_gt_u64_e64 s[0:1], s[56:57], v[28:29]
	v_cmp_le_u64_e32 vcc, s[56:57], v[28:29]
	v_mov_b32_e32 v23, 0
	s_and_saveexec_b64 s[14:15], s[0:1]
	s_cbranch_execz .LBB93_67
; %bb.69:                               ;   in Loop: Header=BB93_68 Depth=2
	v_mul_lo_u32 v23, v29, s72
	v_mul_lo_u32 v44, v28, s73
	v_mad_u64_u32 v[42:43], s[0:1], v28, s72, 0
	v_add3_u32 v43, v43, v44, v23
	v_lshl_add_u64 v[42:43], v[42:43], 2, s[80:81]
	global_load_dword v23, v[42:43], off
	s_branch .LBB93_67
.LBB93_70:                              ;   in Loop: Header=BB93_15 Depth=1
	s_or_b64 exec, exec, s[8:9]
.LBB93_71:                              ;   in Loop: Header=BB93_15 Depth=1
	s_or_b64 exec, exec, s[2:3]
	s_branch .LBB93_50
.LBB93_72:                              ;   in Loop: Header=BB93_15 Depth=1
	global_load_ushort v2, v3, s[94:95]
	v_mov_b64_e32 v[8:9], 0
	s_waitcnt vmcnt(0)
	v_readfirstlane_b32 s0, v2
	s_and_b32 s0, 0xffff, s0
	s_lshl_b32 s66, s0, 2
	v_cvt_f32_u32_e32 v4, s66
	s_sub_i32 s1, 0, s66
	v_rcp_iflag_f32_e32 v6, v4
	v_mov_b64_e32 v[4:5], 0
	v_mul_f32_e32 v6, 0x4f7ffffe, v6
	v_cvt_u32_f32_e32 v10, v6
	v_mov_b64_e32 v[6:7], 0
	v_readfirstlane_b32 s2, v10
	s_mul_i32 s1, s1, s2
	s_mul_hi_u32 s1, s2, s1
	s_add_i32 s2, s2, s1
	s_mul_hi_u32 s1, s64, s2
	s_mul_i32 s2, s1, s66
	s_sub_i32 s2, s64, s2
	s_add_i32 s3, s1, 1
	s_sub_i32 s8, s2, s66
	s_cmp_ge_u32 s2, s66
	s_cselect_b32 s1, s3, s1
	s_cselect_b32 s2, s8, s2
	s_add_i32 s3, s1, 1
	s_cmp_ge_u32 s2, s66
	s_cselect_b32 s1, s3, s1
	s_mul_hi_u32 s79, s0, s1
	s_mul_i32 s78, s0, s1
	s_lshl_b64 s[58:59], s[78:79], 2
	v_cmp_gt_u64_e32 vcc, s[58:59], v[12:13]
	v_mov_b64_e32 v[10:11], 0
	s_and_saveexec_b64 s[74:75], vcc
	s_cbranch_execz .LBB93_76
; %bb.73:                               ;   in Loop: Header=BB93_15 Depth=1
	s_mov_b32 s67, s87
	s_lshl_b32 s65, s0, 4
	s_mov_b64 s[96:97], 0
	v_mov_b32_e32 v23, v35
	s_mov_b64 s[98:99], 0
	s_mov_b64 s[30:31], 0
	;; [unrolled: 1-line block ×4, first 2 shown]
	v_mov_b64_e32 v[28:29], v[12:13]
.LBB93_74:                              ;   Parent Loop BB93_15 Depth=1
                                        ; =>  This Inner Loop Header: Depth=2
	ds_read_b128 v[4:7], v23
	v_lshl_add_u64 v[28:29], v[28:29], 0, s[66:67]
	v_cmp_le_u64_e32 vcc, s[58:59], v[28:29]
	v_add_u32_e32 v23, s65, v23
	s_waitcnt lgkmcnt(0)
	v_xor_b32_e32 v8, 0x80000000, v4
	v_bitop3_b32 v4, v4, v39, s6 bitop3:0x48
	v_xor_b32_e32 v9, 0x80000000, v5
	v_bitop3_b32 v5, v5, v39, s6 bitop3:0x48
	v_cmp_eq_u32_e64 s[20:21], v4, v34
	v_bfe_u32 v4, v8, s7, 2
	v_xor_b32_e32 v10, 0x80000000, v6
	v_bitop3_b32 v6, v6, v39, s6 bitop3:0x48
	v_cmp_eq_u32_e64 s[18:19], v5, v34
	v_bfe_u32 v5, v9, s7, 2
	v_cmp_eq_u32_e64 s[2:3], 0, v4
	v_xor_b32_e32 v11, 0x80000000, v7
	v_bitop3_b32 v7, v7, v39, s6 bitop3:0x48
	v_cmp_eq_u32_e64 s[16:17], v6, v34
	v_bfe_u32 v6, v10, s7, 2
	v_cmp_eq_u32_e64 s[34:35], 0, v5
	s_and_b64 s[2:3], s[20:21], s[2:3]
	v_cmp_eq_u32_e64 s[0:1], v7, v34
	v_bfe_u32 v7, v11, s7, 2
	v_cmp_eq_u32_e64 s[36:37], 0, v6
	v_cmp_eq_u32_e64 s[40:41], 1, v4
	;; [unrolled: 1-line block ×4, first 2 shown]
	v_cndmask_b32_e64 v4, 0, 1, s[2:3]
	s_and_b64 s[2:3], s[18:19], s[34:35]
	v_cmp_eq_u32_e64 s[38:39], 0, v7
	v_cmp_eq_u32_e64 s[42:43], 1, v5
	;; [unrolled: 1-line block ×4, first 2 shown]
	v_cndmask_b32_e64 v5, 0, 1, s[2:3]
	s_and_b64 s[2:3], s[16:17], s[36:37]
	v_cmp_eq_u32_e64 s[44:45], 1, v6
	v_cmp_eq_u32_e64 s[52:53], 2, v6
	;; [unrolled: 1-line block ×3, first 2 shown]
	v_cndmask_b32_e64 v6, 0, 1, s[2:3]
	s_and_b64 s[2:3], s[0:1], s[38:39]
	v_cmp_eq_u32_e64 s[46:47], 1, v7
	v_cmp_eq_u32_e64 s[54:55], 2, v7
	;; [unrolled: 1-line block ×3, first 2 shown]
	v_cndmask_b32_e64 v7, 0, 1, s[2:3]
	v_cmp_ne_u32_e64 s[2:3], 0, v4
	v_cmp_ne_u32_e64 s[34:35], 0, v5
	;; [unrolled: 1-line block ×4, first 2 shown]
	s_bcnt1_i32_b64 s2, s[2:3]
	s_bcnt1_i32_b64 s3, s[34:35]
	s_bcnt1_i32_b64 s34, s[36:37]
	s_bcnt1_i32_b64 s35, s[38:39]
	s_add_u32 s2, s2, s14
	s_addc_u32 s14, 0, s15
	s_add_u32 s2, s2, s3
	s_addc_u32 s3, s14, 0
	s_add_u32 s2, s2, s34
	s_addc_u32 s3, s3, 0
	s_add_u32 s14, s2, s35
	s_addc_u32 s15, s3, 0
	s_and_b64 s[2:3], s[20:21], s[40:41]
	v_cndmask_b32_e64 v6, 0, 1, s[2:3]
	s_and_b64 s[2:3], s[18:19], s[42:43]
	v_cndmask_b32_e64 v7, 0, 1, s[2:3]
	;; [unrolled: 2-line block ×4, first 2 shown]
	v_cmp_ne_u32_e64 s[2:3], 0, v6
	v_cmp_ne_u32_e64 s[34:35], 0, v7
	;; [unrolled: 1-line block ×4, first 2 shown]
	s_bcnt1_i32_b64 s2, s[2:3]
	s_bcnt1_i32_b64 s3, s[34:35]
	;; [unrolled: 1-line block ×4, first 2 shown]
	s_add_u32 s2, s2, s8
	s_addc_u32 s8, 0, s9
	s_add_u32 s2, s2, s3
	s_addc_u32 s3, s8, 0
	;; [unrolled: 2-line block ×4, first 2 shown]
	s_and_b64 s[2:3], s[20:21], s[48:49]
	v_cndmask_b32_e64 v8, 0, 1, s[2:3]
	s_and_b64 s[2:3], s[18:19], s[50:51]
	v_cndmask_b32_e64 v9, 0, 1, s[2:3]
	;; [unrolled: 2-line block ×4, first 2 shown]
	v_cmp_ne_u32_e64 s[2:3], 0, v8
	v_cmp_ne_u32_e64 s[34:35], 0, v9
	;; [unrolled: 1-line block ×4, first 2 shown]
	s_bcnt1_i32_b64 s2, s[2:3]
	s_bcnt1_i32_b64 s3, s[34:35]
	;; [unrolled: 1-line block ×4, first 2 shown]
	s_add_u32 s2, s2, s30
	s_addc_u32 s30, 0, s31
	s_add_u32 s2, s2, s3
	s_addc_u32 s3, s30, 0
	;; [unrolled: 2-line block ×4, first 2 shown]
	s_and_b64 s[2:3], s[20:21], s[28:29]
	v_cndmask_b32_e64 v10, 0, 1, s[2:3]
	s_and_b64 s[2:3], s[18:19], s[26:27]
	v_cndmask_b32_e64 v11, 0, 1, s[2:3]
	s_and_b64 s[2:3], s[16:17], s[24:25]
	s_and_b64 s[0:1], s[0:1], s[22:23]
	v_cndmask_b32_e64 v24, 0, 1, s[2:3]
	v_cndmask_b32_e64 v42, 0, 1, s[0:1]
	v_cmp_ne_u32_e64 s[0:1], 0, v10
	v_cmp_ne_u32_e64 s[2:3], 0, v11
	;; [unrolled: 1-line block ×4, first 2 shown]
	s_bcnt1_i32_b64 s0, s[0:1]
	s_bcnt1_i32_b64 s1, s[2:3]
	;; [unrolled: 1-line block ×4, first 2 shown]
	s_add_u32 s0, s0, s98
	s_addc_u32 s16, 0, s99
	s_add_u32 s0, s0, s1
	s_addc_u32 s1, s16, 0
	;; [unrolled: 2-line block ×4, first 2 shown]
	v_mov_b64_e32 v[4:5], s[14:15]
	v_mov_b64_e32 v[6:7], s[8:9]
	;; [unrolled: 1-line block ×3, first 2 shown]
	s_or_b64 s[96:97], vcc, s[96:97]
	v_mov_b64_e32 v[10:11], s[98:99]
	s_andn2_b64 exec, exec, s[96:97]
	s_cbranch_execnz .LBB93_74
; %bb.75:                               ;   in Loop: Header=BB93_15 Depth=1
	s_or_b64 exec, exec, s[96:97]
.LBB93_76:                              ;   in Loop: Header=BB93_15 Depth=1
	s_or_b64 exec, exec, s[74:75]
	s_and_b32 s8, s64, 0x7fffffff
	s_mov_b32 s9, s87
	v_lshl_add_u64 v[28:29], s[58:59], 0, v[0:1]
	v_and_b32_e32 v2, 0xffff, v2
	v_cmp_gt_u64_e32 vcc, s[8:9], v[28:29]
	s_and_saveexec_b64 s[14:15], vcc
	s_cbranch_execz .LBB93_80
; %bb.77:                               ;   in Loop: Header=BB93_15 Depth=1
	v_lshl_add_u32 v23, s78, 4, v12
	s_mov_b64 s[22:23], 0
.LBB93_78:                              ;   Parent Loop BB93_15 Depth=1
                                        ; =>  This Inner Loop Header: Depth=2
	ds_read_b32 v24, v23
	v_lshl_add_u64 v[28:29], v[28:29], 0, v[2:3]
	v_cmp_le_u64_e32 vcc, s[8:9], v[28:29]
	v_add_u32_e32 v23, s66, v23
	s_waitcnt lgkmcnt(0)
	v_xor_b32_e32 v42, 0x80000000, v24
	v_bitop3_b32 v24, v24, v39, s6 bitop3:0x48
	v_cmp_eq_u32_e64 s[0:1], v24, v34
	v_bfe_u32 v24, v42, s7, 2
	v_cmp_eq_u32_e64 s[2:3], 0, v24
	v_cmp_eq_u32_e64 s[16:17], 1, v24
	s_and_b64 s[2:3], s[0:1], s[2:3]
	v_cmp_eq_u32_e64 s[18:19], 2, v24
	v_cmp_eq_u32_e64 s[20:21], 3, v24
	v_cndmask_b32_e64 v24, 0, 1, s[2:3]
	s_and_b64 s[2:3], s[0:1], s[16:17]
	v_cndmask_b32_e64 v42, 0, 1, s[2:3]
	s_and_b64 s[2:3], s[0:1], s[18:19]
	s_and_b64 s[0:1], s[0:1], s[20:21]
	v_cndmask_b32_e64 v44, 0, 1, s[0:1]
	v_cmp_ne_u32_e64 s[0:1], 0, v24
	v_cndmask_b32_e64 v43, 0, 1, s[2:3]
	v_cmp_ne_u32_e64 s[2:3], 0, v42
	s_bcnt1_i32_b64 s86, s[0:1]
	v_cmp_ne_u32_e64 s[16:17], 0, v43
	v_lshl_add_u64 v[4:5], s[86:87], 0, v[4:5]
	s_bcnt1_i32_b64 s86, s[2:3]
	v_cmp_ne_u32_e64 s[18:19], 0, v44
	v_lshl_add_u64 v[6:7], s[86:87], 0, v[6:7]
	s_bcnt1_i32_b64 s86, s[16:17]
	v_lshl_add_u64 v[8:9], s[86:87], 0, v[8:9]
	s_bcnt1_i32_b64 s86, s[18:19]
	s_or_b64 s[22:23], vcc, s[22:23]
	v_lshl_add_u64 v[10:11], s[86:87], 0, v[10:11]
	s_andn2_b64 exec, exec, s[22:23]
	s_cbranch_execnz .LBB93_78
; %bb.79:                               ;   in Loop: Header=BB93_15 Depth=1
	s_or_b64 exec, exec, s[22:23]
.LBB93_80:                              ;   in Loop: Header=BB93_15 Depth=1
	s_or_b64 exec, exec, s[14:15]
	v_lshlrev_b32_e32 v2, 6, v38
	s_and_saveexec_b64 s[0:1], s[4:5]
	s_cbranch_execnz .LBB93_51
	s_branch .LBB93_52
.LBB93_81:                              ;   in Loop: Header=BB93_15 Depth=1
                                        ; implicit-def: $sgpr0_sgpr1
	s_branch .LBB93_60
.LBB93_82:                              ;   in Loop: Header=BB93_15 Depth=1
	s_mov_b32 s2, 0
	v_mov_b64_e32 v[4:5], 0
.LBB93_83:                              ;   in Loop: Header=BB93_15 Depth=1
	v_readlane_b32 s8, v54, 41
	v_readlane_b32 s9, v54, 42
	s_andn2_b64 vcc, exec, s[8:9]
	s_cbranch_vccnz .LBB93_86
; %bb.84:                               ;   in Loop: Header=BB93_15 Depth=1
	v_lshlrev_b32_e32 v6, 9, v38
	s_lshl_b32 s2, s2, 5
	v_add_u32_e32 v6, s2, v6
	v_add_u32_e32 v6, v36, v6
	v_readlane_b32 s2, v54, 40
.LBB93_85:                              ;   Parent Loop BB93_15 Depth=1
                                        ; =>  This Inner Loop Header: Depth=2
	ds_read_b64 v[8:9], v6
	s_add_i32 s2, s2, -1
	v_add_u32_e32 v6, 32, v6
	s_cmp_lg_u32 s2, 0
	s_waitcnt lgkmcnt(0)
	v_lshl_add_u64 v[4:5], v[8:9], 0, v[4:5]
	s_cbranch_scc1 .LBB93_85
.LBB93_86:                              ;   in Loop: Header=BB93_15 Depth=1
	v_add_lshl_u32 v6, v2, v30, 3
	ds_write_b64 v6, v[4:5] offset:3072
.LBB93_87:                              ;   in Loop: Header=BB93_15 Depth=1
	s_or_b64 exec, exec, s[0:1]
	v_lshlrev_b32_e32 v2, 3, v2
	s_waitcnt lgkmcnt(0)
	s_barrier
	ds_read_b128 v[8:11], v2 offset:3088
	ds_read_b128 v[4:7], v2 offset:3072
	s_lshl_b32 s64, 3, s7
	v_cmp_eq_u64_e64 s[0:1], 1, v[26:27]
	s_not_b32 s52, s64
	s_waitcnt lgkmcnt(1)
	v_readfirstlane_b32 s22, v8
	s_waitcnt lgkmcnt(0)
	v_cmp_eq_u64_e32 vcc, 1, v[4:5]
	v_readfirstlane_b32 s23, v9
	v_readfirstlane_b32 s2, v10
	;; [unrolled: 1-line block ×3, first 2 shown]
	s_and_b64 s[18:19], vcc, s[0:1]
	s_mov_b64 s[0:1], -1
	s_mov_b64 s[8:9], -1
                                        ; implicit-def: $sgpr24_sgpr25
                                        ; implicit-def: $sgpr20_sgpr21
	s_and_saveexec_b64 s[16:17], s[18:19]
	s_cbranch_execz .LBB93_119
; %bb.88:                               ;   in Loop: Header=BB93_15 Depth=1
	ds_read_b64 v[8:9], v3 offset:5120
	s_waitcnt lgkmcnt(0)
	s_barrier
	v_readfirstlane_b32 s14, v8
	v_readfirstlane_b32 s15, v9
	s_mov_b64 s[8:9], exec
	v_readlane_b32 s20, v54, 26
	v_readlane_b32 s21, v54, 27
	s_and_b64 s[20:21], s[8:9], s[20:21]
	s_mov_b64 exec, s[20:21]
; %bb.89:                               ;   in Loop: Header=BB93_15 Depth=1
	ds_write_b32 v31, v3
; %bb.90:                               ;   in Loop: Header=BB93_15 Depth=1
	s_or_b64 exec, exec, s[8:9]
	v_and_b32_e32 v34, s52, v34
	v_or_b32_e32 v39, s64, v39
	s_mov_b64 s[20:21], -1
	s_mov_b64 s[24:25], 0
	s_cmp_eq_u64 s[14:15], 0
	s_mov_b64 s[8:9], 0
	s_mov_b64 s[26:27], -1
	s_waitcnt lgkmcnt(0)
	s_barrier
                                        ; implicit-def: $vgpr25
	s_cbranch_scc1 .LBB93_104
; %bb.91:                               ;   in Loop: Header=BB93_15 Depth=1
	v_readlane_b32 s8, v54, 32
	s_add_u32 s30, s14, s8
	v_readlane_b32 s8, v54, 33
	s_addc_u32 s9, s15, s8
	s_mov_b32 s8, s87
	s_cmp_lg_u64 s[8:9], 0
	s_cbranch_scc0 .LBB93_145
; %bb.92:                               ;   in Loop: Header=BB93_15 Depth=1
	v_cvt_f32_u32_e32 v2, s84
	s_sub_u32 s8, 0, s84
	s_subb_u32 s28, 0, 0
	v_fmac_f32_e32 v2, 0, v37
	v_rcp_f32_e32 v2, v2
	s_nop 0
	v_mul_f32_e32 v2, 0x5f7ffffc, v2
	v_mul_f32_e32 v8, 0x2f800000, v2
	v_trunc_f32_e32 v8, v8
	v_fmac_f32_e32 v2, 0xcf800000, v8
	v_cvt_u32_f32_e32 v8, v8
	v_cvt_u32_f32_e32 v2, v2
	v_readfirstlane_b32 s29, v8
	v_readfirstlane_b32 s26, v2
	s_mul_i32 s27, s8, s29
	s_mul_hi_u32 s34, s8, s26
	s_mul_i32 s31, s28, s26
	s_add_i32 s27, s34, s27
	s_mul_i32 s35, s8, s26
	s_add_i32 s27, s27, s31
	s_mul_hi_u32 s34, s26, s35
	s_mul_i32 s36, s26, s27
	s_mul_hi_u32 s31, s26, s27
	s_add_u32 s34, s34, s36
	s_addc_u32 s31, 0, s31
	s_mul_hi_u32 s37, s29, s35
	s_mul_i32 s35, s29, s35
	s_add_u32 s34, s34, s35
	s_mul_hi_u32 s36, s29, s27
	s_addc_u32 s31, s31, s37
	s_addc_u32 s34, s36, 0
	s_mul_i32 s27, s29, s27
	s_add_u32 s27, s31, s27
	s_addc_u32 s31, 0, s34
	s_add_u32 s34, s26, s27
	s_cselect_b64 s[26:27], -1, 0
	s_cmp_lg_u64 s[26:27], 0
	s_addc_u32 s29, s29, s31
	s_mul_i32 s26, s8, s29
	s_mul_hi_u32 s27, s8, s34
	s_add_i32 s26, s27, s26
	s_mul_i32 s28, s28, s34
	s_add_i32 s26, s26, s28
	s_mul_i32 s8, s8, s34
	s_mul_hi_u32 s28, s29, s8
	s_mul_i32 s31, s29, s8
	s_mul_i32 s36, s34, s26
	s_mul_hi_u32 s8, s34, s8
	s_mul_hi_u32 s35, s34, s26
	s_add_u32 s8, s8, s36
	s_addc_u32 s35, 0, s35
	s_add_u32 s8, s8, s31
	s_mul_hi_u32 s27, s29, s26
	s_addc_u32 s8, s35, s28
	s_addc_u32 s27, s27, 0
	s_mul_i32 s26, s29, s26
	s_add_u32 s8, s8, s26
	s_addc_u32 s28, 0, s27
	s_add_u32 s8, s34, s8
	s_cselect_b64 s[26:27], -1, 0
	s_cmp_lg_u64 s[26:27], 0
	s_addc_u32 s26, s29, s28
	s_mul_i32 s28, s30, s26
	s_mul_hi_u32 s29, s30, s8
	s_mul_hi_u32 s27, s30, s26
	s_add_u32 s28, s29, s28
	s_addc_u32 s27, 0, s27
	s_mul_hi_u32 s31, s9, s8
	s_mul_i32 s8, s9, s8
	s_add_u32 s8, s28, s8
	s_mul_hi_u32 s29, s9, s26
	s_addc_u32 s8, s27, s31
	s_addc_u32 s27, s29, 0
	s_mul_i32 s26, s9, s26
	s_add_u32 s8, s8, s26
	s_addc_u32 s26, 0, s27
	s_mul_i32 s26, s84, s26
	s_mul_hi_u32 s27, s84, s8
	s_add_i32 s28, s27, s26
	s_mul_i32 s8, s84, s8
	s_sub_u32 s8, s30, s8
	s_cselect_b64 s[26:27], -1, 0
	s_cmp_lg_u64 s[26:27], 0
	s_subb_u32 s28, s9, s28
	s_sub_u32 s29, s8, s84
	s_cselect_b64 s[26:27], -1, 0
	s_cmp_lg_u64 s[26:27], 0
	s_subb_u32 s31, s28, 0
	;; [unrolled: 4-line block ×3, first 2 shown]
	s_cmp_ge_u32 s29, s84
	s_cselect_b32 s27, -1, 0
	s_cmp_eq_u32 s31, 0
	s_cselect_b32 s27, s27, -1
	s_cmp_lg_u32 s27, 0
	s_cselect_b32 s26, s26, s31
	s_cselect_b32 s29, s34, s29
	s_cmp_ge_u32 s8, s84
	s_cselect_b32 s27, -1, 0
	s_cmp_eq_u32 s28, 0
	s_cselect_b32 s27, s27, -1
	s_cmp_lg_u32 s27, 0
	s_cselect_b32 s27, s26, s28
	s_cselect_b32 s26, s29, s8
	s_cbranch_execnz .LBB93_94
.LBB93_93:                              ;   in Loop: Header=BB93_15 Depth=1
	v_cvt_f32_u32_e32 v2, s84
	s_sub_i32 s8, 0, s84
	v_rcp_iflag_f32_e32 v2, v2
	s_nop 0
	v_mul_f32_e32 v2, 0x4f7ffffe, v2
	v_cvt_u32_f32_e32 v2, v2
	s_nop 0
	v_readfirstlane_b32 s26, v2
	s_mul_i32 s8, s8, s26
	s_mul_hi_u32 s8, s26, s8
	s_add_i32 s26, s26, s8
	s_mul_hi_u32 s8, s30, s26
	s_mul_i32 s8, s8, s84
	s_sub_i32 s8, s30, s8
	s_sub_i32 s26, s8, s84
	s_cmp_ge_u32 s8, s84
	s_cselect_b32 s8, s26, s8
	s_sub_i32 s26, s8, s84
	s_cmp_ge_u32 s8, s84
	s_cselect_b32 s86, s26, s8
	s_mov_b64 s[26:27], s[86:87]
.LBB93_94:                              ;   in Loop: Header=BB93_15 Depth=1
	s_sub_u32 s30, s30, s26
	s_subb_u32 s31, s9, s27
	v_cmp_gt_u64_e32 vcc, s[30:31], v[0:1]
	s_mov_b64 s[26:27], 0
	s_mov_b64 s[8:9], 0
                                        ; implicit-def: $vgpr25
	s_and_saveexec_b64 s[28:29], vcc
	s_cbranch_execz .LBB93_103
; %bb.95:                               ;   in Loop: Header=BB93_15 Depth=1
	v_mov_b32_e32 v2, v12
	v_mov_b64_e32 v[8:9], v[0:1]
                                        ; implicit-def: $sgpr34_sgpr35
	s_branch .LBB93_98
.LBB93_96:                              ;   in Loop: Header=BB93_98 Depth=2
	s_or_b64 exec, exec, s[36:37]
	s_waitcnt lgkmcnt(0)
	s_barrier
	ds_read_b64 v[24:25], v3 offset:3072
	s_mov_b64 s[36:37], -1
	s_mov_b64 s[38:39], -1
	s_waitcnt lgkmcnt(0)
	s_barrier
	v_cmp_ne_u32_e32 vcc, 0, v24
	s_cbranch_vccz .LBB93_101
.LBB93_97:                              ;   in Loop: Header=BB93_98 Depth=2
	s_and_b64 s[36:37], exec, s[36:37]
	s_or_b64 s[8:9], s[36:37], s[8:9]
	s_andn2_b64 s[34:35], s[34:35], exec
	s_and_b64 s[36:37], s[38:39], exec
	s_or_b64 s[34:35], s[34:35], s[36:37]
	s_andn2_b64 exec, exec, s[8:9]
	s_cbranch_execz .LBB93_102
.LBB93_98:                              ;   Parent Loop BB93_15 Depth=1
                                        ; =>  This Inner Loop Header: Depth=2
	v_cmp_gt_u64_e32 vcc, s[14:15], v[8:9]
	s_and_saveexec_b64 s[36:37], vcc
	s_cbranch_execz .LBB93_96
; %bb.99:                               ;   in Loop: Header=BB93_98 Depth=2
	ds_read_b32 v23, v2
	s_waitcnt lgkmcnt(0)
	v_bitop3_b32 v10, v23, v39, s6 bitop3:0x48
	v_cmp_eq_u32_e32 vcc, v10, v34
	s_and_b64 exec, exec, vcc
	s_cbranch_execz .LBB93_96
; %bb.100:                              ;   in Loop: Header=BB93_98 Depth=2
	ds_write_b64 v3, v[22:23] offset:3072
	s_branch .LBB93_96
.LBB93_101:                             ;   in Loop: Header=BB93_98 Depth=2
	v_lshl_add_u64 v[8:9], v[8:9], 0, s[84:85]
	v_cmp_le_u64_e32 vcc, s[30:31], v[8:9]
	v_add_u32_e32 v2, s91, v2
	s_mov_b64 s[38:39], 0
	s_orn2_b64 s[36:37], vcc, exec
	s_branch .LBB93_97
.LBB93_102:                             ;   in Loop: Header=BB93_15 Depth=1
	s_or_b64 exec, exec, s[8:9]
	s_and_b64 s[8:9], s[34:35], exec
.LBB93_103:                             ;   in Loop: Header=BB93_15 Depth=1
	s_or_b64 exec, exec, s[28:29]
.LBB93_104:                             ;   in Loop: Header=BB93_15 Depth=1
	s_and_b64 vcc, exec, s[26:27]
	s_cbranch_vccz .LBB93_118
; %bb.105:                              ;   in Loop: Header=BB93_15 Depth=1
	s_mov_b32 s92, s87
	s_cmp_lg_u64 s[92:93], 0
	s_cbranch_scc0 .LBB93_149
; %bb.106:                              ;   in Loop: Header=BB93_15 Depth=1
	v_cvt_f32_u32_e32 v2, s84
	s_sub_u32 s20, 0, s84
	s_subb_u32 s21, 0, 0
	v_fmac_f32_e32 v2, 0, v37
	v_rcp_f32_e32 v2, v2
	s_nop 0
	v_mul_f32_e32 v2, 0x5f7ffffc, v2
	v_mul_f32_e32 v8, 0x2f800000, v2
	v_trunc_f32_e32 v8, v8
	v_fmac_f32_e32 v2, 0xcf800000, v8
	v_cvt_u32_f32_e32 v8, v8
	v_cvt_u32_f32_e32 v2, v2
	v_readfirstlane_b32 s24, v8
	v_readfirstlane_b32 s14, v2
	s_mul_i32 s15, s20, s24
	s_mul_hi_u32 s26, s20, s14
	s_mul_i32 s25, s21, s14
	s_add_i32 s15, s26, s15
	s_mul_i32 s27, s20, s14
	s_add_i32 s15, s15, s25
	s_mul_hi_u32 s26, s14, s27
	s_mul_i32 s28, s14, s15
	s_mul_hi_u32 s25, s14, s15
	s_add_u32 s26, s26, s28
	s_addc_u32 s25, 0, s25
	s_mul_hi_u32 s29, s24, s27
	s_mul_i32 s27, s24, s27
	s_add_u32 s26, s26, s27
	s_mul_hi_u32 s28, s24, s15
	s_addc_u32 s25, s25, s29
	s_addc_u32 s26, s28, 0
	s_mul_i32 s15, s24, s15
	s_add_u32 s15, s25, s15
	s_addc_u32 s25, 0, s26
	s_add_u32 s26, s14, s15
	s_cselect_b64 s[14:15], -1, 0
	s_cmp_lg_u64 s[14:15], 0
	s_addc_u32 s24, s24, s25
	s_mul_i32 s14, s20, s24
	s_mul_hi_u32 s15, s20, s26
	s_add_i32 s14, s15, s14
	s_mul_i32 s21, s21, s26
	s_add_i32 s14, s14, s21
	s_mul_i32 s20, s20, s26
	s_mul_hi_u32 s21, s24, s20
	s_mul_i32 s25, s24, s20
	s_mul_i32 s28, s26, s14
	s_mul_hi_u32 s20, s26, s20
	s_mul_hi_u32 s27, s26, s14
	s_add_u32 s20, s20, s28
	s_addc_u32 s27, 0, s27
	s_add_u32 s20, s20, s25
	s_mul_hi_u32 s15, s24, s14
	s_addc_u32 s20, s27, s21
	s_addc_u32 s15, s15, 0
	s_mul_i32 s14, s24, s14
	s_add_u32 s14, s20, s14
	s_addc_u32 s20, 0, s15
	s_add_u32 s21, s26, s14
	s_cselect_b64 s[14:15], -1, 0
	s_cmp_lg_u64 s[14:15], 0
	s_addc_u32 s14, s24, s20
	s_mul_i32 s20, s68, s14
	s_mul_hi_u32 s24, s68, s21
	s_mul_hi_u32 s15, s68, s14
	s_add_u32 s20, s24, s20
	s_addc_u32 s15, 0, s15
	s_mul_hi_u32 s25, s93, s21
	s_mul_i32 s21, s93, s21
	s_add_u32 s20, s20, s21
	s_mul_hi_u32 s24, s93, s14
	s_addc_u32 s15, s15, s25
	s_addc_u32 s20, s24, 0
	s_mul_i32 s14, s93, s14
	s_add_u32 s14, s15, s14
	s_addc_u32 s15, 0, s20
	s_mul_i32 s15, s84, s15
	s_mul_hi_u32 s20, s84, s14
	s_add_i32 s20, s20, s15
	s_mul_i32 s14, s84, s14
	s_sub_u32 s21, s68, s14
	s_cselect_b64 s[14:15], -1, 0
	s_cmp_lg_u64 s[14:15], 0
	s_subb_u32 s20, s93, s20
	s_sub_u32 s24, s21, s84
	s_cselect_b64 s[14:15], -1, 0
	s_cmp_lg_u64 s[14:15], 0
	s_subb_u32 s25, s20, 0
	;; [unrolled: 4-line block ×3, first 2 shown]
	s_cmp_ge_u32 s24, s84
	s_cselect_b32 s15, -1, 0
	s_cmp_eq_u32 s25, 0
	s_cselect_b32 s15, s15, -1
	s_cmp_lg_u32 s15, 0
	s_cselect_b32 s14, s14, s25
	s_cselect_b32 s24, s26, s24
	s_cmp_ge_u32 s21, s84
	s_cselect_b32 s15, -1, 0
	s_cmp_eq_u32 s20, 0
	s_cselect_b32 s15, s15, -1
	s_cmp_lg_u32 s15, 0
	s_cselect_b32 s15, s14, s20
	s_cselect_b32 s14, s24, s21
	s_cbranch_execnz .LBB93_108
.LBB93_107:                             ;   in Loop: Header=BB93_15 Depth=1
	v_cvt_f32_u32_e32 v2, s84
	s_sub_i32 s14, 0, s84
	v_rcp_iflag_f32_e32 v2, v2
	s_nop 0
	v_mul_f32_e32 v2, 0x4f7ffffe, v2
	v_cvt_u32_f32_e32 v2, v2
	s_nop 0
	v_readfirstlane_b32 s15, v2
	s_mul_i32 s14, s14, s15
	s_mul_hi_u32 s14, s15, s14
	s_add_i32 s15, s15, s14
	s_mul_hi_u32 s14, s68, s15
	s_mul_i32 s14, s14, s84
	s_sub_i32 s14, s68, s14
	s_sub_i32 s15, s14, s84
	s_cmp_ge_u32 s14, s84
	s_cselect_b32 s14, s15, s14
	s_sub_i32 s15, s14, s84
	s_cmp_ge_u32 s14, s84
	s_cselect_b32 s86, s15, s14
	s_mov_b64 s[14:15], s[86:87]
.LBB93_108:                             ;   in Loop: Header=BB93_15 Depth=1
	s_sub_u32 s20, s68, s14
	s_subb_u32 s21, s93, s15
	v_cmp_gt_u64_e32 vcc, s[20:21], v[0:1]
                                        ; implicit-def: $vgpr25
	s_and_saveexec_b64 s[14:15], vcc
	s_cbranch_execz .LBB93_117
; %bb.109:                              ;   in Loop: Header=BB93_15 Depth=1
	s_mov_b64 s[24:25], 0
	v_mov_b64_e32 v[8:9], v[0:1]
                                        ; implicit-def: $sgpr26_sgpr27
	s_branch .LBB93_112
.LBB93_110:                             ;   in Loop: Header=BB93_112 Depth=2
	s_or_b64 exec, exec, s[28:29]
	s_waitcnt lgkmcnt(0)
	s_barrier
	ds_read_b64 v[24:25], v3 offset:3072
	s_mov_b64 s[28:29], -1
	s_mov_b64 s[30:31], -1
	s_waitcnt lgkmcnt(0)
	s_barrier
	v_cmp_ne_u32_e32 vcc, 0, v24
	s_cbranch_vccz .LBB93_115
.LBB93_111:                             ;   in Loop: Header=BB93_112 Depth=2
	s_and_b64 s[28:29], exec, s[28:29]
	s_or_b64 s[24:25], s[28:29], s[24:25]
	s_andn2_b64 s[26:27], s[26:27], exec
	s_and_b64 s[28:29], s[30:31], exec
	s_or_b64 s[26:27], s[26:27], s[28:29]
	s_andn2_b64 exec, exec, s[24:25]
	s_cbranch_execz .LBB93_116
.LBB93_112:                             ;   Parent Loop BB93_15 Depth=1
                                        ; =>  This Inner Loop Header: Depth=2
	v_cmp_gt_u64_e32 vcc, s[56:57], v[8:9]
	s_and_saveexec_b64 s[28:29], vcc
	s_cbranch_execz .LBB93_110
; %bb.113:                              ;   in Loop: Header=BB93_112 Depth=2
	v_mul_lo_u32 v2, v9, s72
	v_mul_lo_u32 v23, v8, s73
	v_mad_u64_u32 v[10:11], s[30:31], v8, s72, 0
	v_add3_u32 v11, v11, v23, v2
	v_lshl_add_u64 v[10:11], v[10:11], 2, s[80:81]
	global_load_dword v23, v[10:11], off
	s_waitcnt vmcnt(0)
	v_bitop3_b32 v2, v23, v39, s6 bitop3:0x48
	v_cmp_eq_u32_e32 vcc, v2, v34
	s_and_b64 exec, exec, vcc
	s_cbranch_execz .LBB93_110
; %bb.114:                              ;   in Loop: Header=BB93_112 Depth=2
	ds_write_b64 v3, v[22:23] offset:3072
	s_branch .LBB93_110
.LBB93_115:                             ;   in Loop: Header=BB93_112 Depth=2
	v_lshl_add_u64 v[8:9], v[8:9], 0, s[84:85]
	v_cmp_le_u64_e32 vcc, s[20:21], v[8:9]
	s_mov_b64 s[30:31], 0
	s_orn2_b64 s[28:29], vcc, exec
	s_branch .LBB93_111
.LBB93_116:                             ;   in Loop: Header=BB93_15 Depth=1
	s_or_b64 exec, exec, s[24:25]
	s_andn2_b64 s[8:9], s[8:9], exec
	s_and_b64 s[20:21], s[26:27], exec
	s_or_b64 s[8:9], s[8:9], s[20:21]
.LBB93_117:                             ;   in Loop: Header=BB93_15 Depth=1
	s_or_b64 exec, exec, s[14:15]
	s_mov_b64 s[20:21], 0
	s_mov_b64 s[24:25], -1
.LBB93_118:                             ;   in Loop: Header=BB93_15 Depth=1
	s_orn2_b64 s[8:9], s[8:9], exec
.LBB93_119:                             ;   in Loop: Header=BB93_15 Depth=1
	s_or_b64 exec, exec, s[16:17]
	s_andn2_b64 s[10:11], s[10:11], exec
	s_and_b64 s[14:15], s[24:25], exec
	s_or_b64 s[10:11], s[10:11], s[14:15]
	s_andn2_b64 s[12:13], s[12:13], exec
	s_and_b64 s[14:15], s[20:21], exec
	s_andn2_b64 s[70:71], s[70:71], exec
	s_or_b64 s[12:13], s[12:13], s[14:15]
                                        ; implicit-def: $vgpr8_vgpr9
	s_and_saveexec_b64 s[16:17], s[8:9]
	s_cbranch_execz .LBB93_14
; %bb.120:                              ;   in Loop: Header=BB93_15 Depth=1
	s_xor_b64 s[8:9], s[18:19], -1
	v_mov_b32_e32 v2, 1
	s_mov_b64 s[14:15], 0
	v_mov_b64_e32 v[8:9], 1
	s_and_saveexec_b64 s[0:1], s[8:9]
	s_cbranch_execz .LBB93_129
; %bb.121:                              ;   in Loop: Header=BB93_15 Depth=1
	v_cmp_le_u64_e32 vcc, v[26:27], v[4:5]
	s_and_saveexec_b64 s[8:9], vcc
	s_xor_b64 s[8:9], exec, s[8:9]
	s_cbranch_execz .LBB93_126
; %bb.122:                              ;   in Loop: Header=BB93_15 Depth=1
	ds_read_b64 v[8:9], v3 offset:5120
	v_and_b32_e32 v34, s52, v34
	v_or_b32_e32 v39, s64, v39
	s_waitcnt lgkmcnt(0)
	v_cmp_ne_u64_e32 vcc, 0, v[8:9]
	s_cbranch_vccnz .LBB93_126
; %bb.123:                              ;   in Loop: Header=BB93_15 Depth=1
	s_mov_b64 s[14:15], exec
	v_readlane_b32 s18, v54, 8
	v_readlane_b32 s19, v54, 9
	s_and_b64 s[18:19], s[14:15], s[18:19]
	s_mov_b64 exec, s[18:19]
; %bb.124:                              ;   in Loop: Header=BB93_15 Depth=1
	ds_write_b64 v3, v[4:5] offset:5128
; %bb.125:                              ;   in Loop: Header=BB93_15 Depth=1
	s_or_b64 exec, exec, s[14:15]
	s_waitcnt lgkmcnt(0)
	s_barrier
.LBB93_126:                             ;   in Loop: Header=BB93_15 Depth=1
	s_or_saveexec_b64 s[8:9], s[8:9]
	s_mov_b64 s[14:15], 0
	v_mov_b32_e32 v2, 8
	s_xor_b64 exec, exec, s[8:9]
; %bb.127:                              ;   in Loop: Header=BB93_15 Depth=1
	v_sub_co_u32_e32 v26, vcc, v26, v4
	s_mov_b64 s[14:15], exec
	s_nop 0
	v_subb_co_u32_e32 v27, vcc, v27, v5, vcc
	v_mov_b32_e32 v2, 0
; %bb.128:                              ;   in Loop: Header=BB93_15 Depth=1
	s_or_b64 exec, exec, s[8:9]
	s_and_b64 s[14:15], s[14:15], exec
	v_mov_b64_e32 v[8:9], v[26:27]
.LBB93_129:                             ;   in Loop: Header=BB93_15 Depth=1
	s_or_b64 exec, exec, s[0:1]
	s_mov_b64 s[18:19], -1
	s_mov_b64 s[8:9], -1
                                        ; implicit-def: $sgpr0_sgpr1
                                        ; implicit-def: $sgpr24_sgpr25
	s_and_saveexec_b64 s[20:21], s[14:15]
	s_xor_b64 s[20:21], exec, s[20:21]
	s_cbranch_execz .LBB93_274
; %bb.130:                              ;   in Loop: Header=BB93_15 Depth=1
	v_cmp_eq_u64_e32 vcc, 1, v[6:7]
	v_cmp_eq_u64_e64 s[0:1], 1, v[8:9]
	s_and_b64 s[28:29], vcc, s[0:1]
                                        ; implicit-def: $sgpr24_sgpr25
                                        ; implicit-def: $sgpr0_sgpr1
	s_and_saveexec_b64 s[26:27], s[28:29]
	s_cbranch_execz .LBB93_167
; %bb.131:                              ;   in Loop: Header=BB93_15 Depth=1
	ds_read_b64 v[4:5], v3 offset:5120
	s_waitcnt lgkmcnt(0)
	s_barrier
	v_readfirstlane_b32 s14, v4
	v_readfirstlane_b32 s15, v5
	s_mov_b64 s[0:1], exec
	v_readlane_b32 s8, v54, 26
	v_readlane_b32 s9, v54, 27
	s_and_b64 s[8:9], s[0:1], s[8:9]
	s_mov_b64 exec, s[8:9]
; %bb.132:                              ;   in Loop: Header=BB93_15 Depth=1
	ds_write_b32 v31, v3
; %bb.133:                              ;   in Loop: Header=BB93_15 Depth=1
	s_or_b64 exec, exec, s[0:1]
	v_and_b32_e32 v4, s52, v34
	v_lshl_or_b32 v34, 1, s7, v4
	v_or_b32_e32 v39, s64, v39
	s_mov_b64 s[0:1], -1
	s_mov_b64 s[24:25], 0
	s_cmp_eq_u64 s[14:15], 0
	s_mov_b64 s[8:9], 0
	s_mov_b64 s[30:31], -1
	s_waitcnt lgkmcnt(0)
	s_barrier
                                        ; implicit-def: $vgpr25
	s_cbranch_scc1 .LBB93_152
; %bb.134:                              ;   in Loop: Header=BB93_15 Depth=1
	v_readlane_b32 s8, v54, 32
	s_add_u32 s36, s14, s8
	v_readlane_b32 s8, v54, 33
	s_addc_u32 s9, s15, s8
	s_mov_b32 s8, s87
	s_cmp_lg_u64 s[8:9], 0
	s_cbranch_scc0 .LBB93_194
; %bb.135:                              ;   in Loop: Header=BB93_15 Depth=1
	v_cvt_f32_u32_e32 v4, s84
	s_sub_u32 s8, 0, s84
	s_subb_u32 s34, 0, 0
	v_fmac_f32_e32 v4, 0, v37
	v_rcp_f32_e32 v4, v4
	s_nop 0
	v_mul_f32_e32 v4, 0x5f7ffffc, v4
	v_mul_f32_e32 v5, 0x2f800000, v4
	v_trunc_f32_e32 v5, v5
	v_fmac_f32_e32 v4, 0xcf800000, v5
	v_cvt_u32_f32_e32 v5, v5
	v_cvt_u32_f32_e32 v4, v4
	v_readfirstlane_b32 s35, v5
	v_readfirstlane_b32 s30, v4
	s_mul_i32 s31, s8, s35
	s_mul_hi_u32 s38, s8, s30
	s_mul_i32 s37, s34, s30
	s_add_i32 s31, s38, s31
	s_mul_i32 s39, s8, s30
	s_add_i32 s31, s31, s37
	s_mul_hi_u32 s38, s30, s39
	s_mul_i32 s40, s30, s31
	s_mul_hi_u32 s37, s30, s31
	s_add_u32 s38, s38, s40
	s_addc_u32 s37, 0, s37
	s_mul_hi_u32 s41, s35, s39
	s_mul_i32 s39, s35, s39
	s_add_u32 s38, s38, s39
	s_mul_hi_u32 s40, s35, s31
	s_addc_u32 s37, s37, s41
	s_addc_u32 s38, s40, 0
	s_mul_i32 s31, s35, s31
	s_add_u32 s31, s37, s31
	s_addc_u32 s37, 0, s38
	s_add_u32 s38, s30, s31
	s_cselect_b64 s[30:31], -1, 0
	s_cmp_lg_u64 s[30:31], 0
	s_addc_u32 s35, s35, s37
	s_mul_i32 s30, s8, s35
	s_mul_hi_u32 s31, s8, s38
	s_add_i32 s30, s31, s30
	s_mul_i32 s34, s34, s38
	s_add_i32 s30, s30, s34
	s_mul_i32 s8, s8, s38
	s_mul_hi_u32 s34, s35, s8
	s_mul_i32 s37, s35, s8
	s_mul_i32 s40, s38, s30
	s_mul_hi_u32 s8, s38, s8
	s_mul_hi_u32 s39, s38, s30
	s_add_u32 s8, s8, s40
	s_addc_u32 s39, 0, s39
	s_add_u32 s8, s8, s37
	s_mul_hi_u32 s31, s35, s30
	s_addc_u32 s8, s39, s34
	s_addc_u32 s31, s31, 0
	s_mul_i32 s30, s35, s30
	s_add_u32 s8, s8, s30
	s_addc_u32 s34, 0, s31
	s_add_u32 s8, s38, s8
	s_cselect_b64 s[30:31], -1, 0
	s_cmp_lg_u64 s[30:31], 0
	s_addc_u32 s30, s35, s34
	s_mul_i32 s34, s36, s30
	s_mul_hi_u32 s35, s36, s8
	s_mul_hi_u32 s31, s36, s30
	s_add_u32 s34, s35, s34
	s_addc_u32 s31, 0, s31
	s_mul_hi_u32 s37, s9, s8
	s_mul_i32 s8, s9, s8
	s_add_u32 s8, s34, s8
	s_mul_hi_u32 s35, s9, s30
	s_addc_u32 s8, s31, s37
	s_addc_u32 s31, s35, 0
	s_mul_i32 s30, s9, s30
	s_add_u32 s8, s8, s30
	s_addc_u32 s30, 0, s31
	s_mul_i32 s30, s84, s30
	s_mul_hi_u32 s31, s84, s8
	s_add_i32 s34, s31, s30
	s_mul_i32 s8, s84, s8
	s_sub_u32 s8, s36, s8
	s_cselect_b64 s[30:31], -1, 0
	s_cmp_lg_u64 s[30:31], 0
	s_subb_u32 s34, s9, s34
	s_sub_u32 s35, s8, s84
	s_cselect_b64 s[30:31], -1, 0
	s_cmp_lg_u64 s[30:31], 0
	s_subb_u32 s37, s34, 0
	;; [unrolled: 4-line block ×3, first 2 shown]
	s_cmp_ge_u32 s35, s84
	s_cselect_b32 s31, -1, 0
	s_cmp_eq_u32 s37, 0
	s_cselect_b32 s31, s31, -1
	s_cmp_lg_u32 s31, 0
	s_cselect_b32 s30, s30, s37
	s_cselect_b32 s35, s38, s35
	s_cmp_ge_u32 s8, s84
	s_cselect_b32 s31, -1, 0
	s_cmp_eq_u32 s34, 0
	s_cselect_b32 s31, s31, -1
	s_cmp_lg_u32 s31, 0
	s_cselect_b32 s31, s30, s34
	s_cselect_b32 s30, s35, s8
	s_cbranch_execnz .LBB93_137
.LBB93_136:                             ;   in Loop: Header=BB93_15 Depth=1
	v_cvt_f32_u32_e32 v4, s84
	s_sub_i32 s8, 0, s84
	v_rcp_iflag_f32_e32 v4, v4
	s_nop 0
	v_mul_f32_e32 v4, 0x4f7ffffe, v4
	v_cvt_u32_f32_e32 v4, v4
	s_nop 0
	v_readfirstlane_b32 s30, v4
	s_mul_i32 s8, s8, s30
	s_mul_hi_u32 s8, s30, s8
	s_add_i32 s30, s30, s8
	s_mul_hi_u32 s8, s36, s30
	s_mul_i32 s8, s8, s84
	s_sub_i32 s8, s36, s8
	s_sub_i32 s30, s8, s84
	s_cmp_ge_u32 s8, s84
	s_cselect_b32 s8, s30, s8
	s_sub_i32 s30, s8, s84
	s_cmp_ge_u32 s8, s84
	s_cselect_b32 s86, s30, s8
	s_mov_b64 s[30:31], s[86:87]
.LBB93_137:                             ;   in Loop: Header=BB93_15 Depth=1
	s_sub_u32 s36, s36, s30
	s_subb_u32 s37, s9, s31
	v_cmp_gt_u64_e32 vcc, s[36:37], v[0:1]
	s_mov_b64 s[30:31], 0
	s_mov_b64 s[8:9], 0
                                        ; implicit-def: $vgpr25
	s_and_saveexec_b64 s[34:35], vcc
	s_cbranch_execz .LBB93_151
; %bb.138:                              ;   in Loop: Header=BB93_15 Depth=1
	v_mov_b32_e32 v10, v12
	v_mov_b64_e32 v[4:5], v[0:1]
                                        ; implicit-def: $sgpr38_sgpr39
	s_branch .LBB93_141
.LBB93_139:                             ;   in Loop: Header=BB93_141 Depth=2
	s_or_b64 exec, exec, s[40:41]
	s_waitcnt lgkmcnt(0)
	s_barrier
	ds_read_b64 v[24:25], v3 offset:3072
	s_mov_b64 s[40:41], -1
	s_mov_b64 s[42:43], -1
	s_waitcnt lgkmcnt(0)
	s_barrier
	v_cmp_ne_u32_e32 vcc, 0, v24
	s_cbranch_vccz .LBB93_144
.LBB93_140:                             ;   in Loop: Header=BB93_141 Depth=2
	s_and_b64 s[40:41], exec, s[40:41]
	s_or_b64 s[8:9], s[40:41], s[8:9]
	s_andn2_b64 s[38:39], s[38:39], exec
	s_and_b64 s[40:41], s[42:43], exec
	s_or_b64 s[38:39], s[38:39], s[40:41]
	s_andn2_b64 exec, exec, s[8:9]
	s_cbranch_execz .LBB93_150
.LBB93_141:                             ;   Parent Loop BB93_15 Depth=1
                                        ; =>  This Inner Loop Header: Depth=2
	v_cmp_gt_u64_e32 vcc, s[14:15], v[4:5]
	s_and_saveexec_b64 s[40:41], vcc
	s_cbranch_execz .LBB93_139
; %bb.142:                              ;   in Loop: Header=BB93_141 Depth=2
	ds_read_b32 v23, v10
	s_waitcnt lgkmcnt(0)
	v_bitop3_b32 v11, v23, v39, s6 bitop3:0x48
	v_cmp_eq_u32_e32 vcc, v11, v34
	s_and_b64 exec, exec, vcc
	s_cbranch_execz .LBB93_139
; %bb.143:                              ;   in Loop: Header=BB93_141 Depth=2
	ds_write_b64 v3, v[22:23] offset:3072
	s_branch .LBB93_139
.LBB93_144:                             ;   in Loop: Header=BB93_141 Depth=2
	v_lshl_add_u64 v[4:5], v[4:5], 0, s[84:85]
	v_cmp_le_u64_e32 vcc, s[36:37], v[4:5]
	v_add_u32_e32 v10, s91, v10
	s_mov_b64 s[42:43], 0
	s_orn2_b64 s[40:41], vcc, exec
	s_branch .LBB93_140
.LBB93_145:                             ;   in Loop: Header=BB93_15 Depth=1
                                        ; implicit-def: $sgpr26_sgpr27
	s_branch .LBB93_93
.LBB93_146:                             ;   in Loop: Header=BB93_15 Depth=1
	s_or_b64 exec, exec, s[14:15]
	s_waitcnt lgkmcnt(0)
	s_barrier
	s_mov_b64 s[0:1], exec
	v_readlane_b32 s2, v54, 8
	v_readlane_b32 s3, v54, 9
	s_and_b64 s[2:3], s[0:1], s[2:3]
	s_mov_b64 exec, s[2:3]
	s_cbranch_execz .LBB93_148
; %bb.147:                              ;   in Loop: Header=BB93_15 Depth=1
	ds_read_b32 v4, v3 offset:5144
	s_waitcnt lgkmcnt(0)
	v_ashrrev_i32_e32 v5, 31, v4
	ds_write_b64 v3, v[4:5] offset:5120
.LBB93_148:                             ;   in Loop: Header=BB93_15 Depth=1
	s_or_b64 exec, exec, s[0:1]
	s_waitcnt lgkmcnt(0)
	s_barrier
	s_mov_b64 s[0:1], -1
	s_and_b64 vcc, exec, s[8:9]
	s_cbranch_vccnz .LBB93_31
	s_branch .LBB93_46
.LBB93_149:                             ;   in Loop: Header=BB93_15 Depth=1
                                        ; implicit-def: $sgpr14_sgpr15
	s_branch .LBB93_107
.LBB93_150:                             ;   in Loop: Header=BB93_15 Depth=1
	s_or_b64 exec, exec, s[8:9]
	s_and_b64 s[8:9], s[38:39], exec
.LBB93_151:                             ;   in Loop: Header=BB93_15 Depth=1
	s_or_b64 exec, exec, s[34:35]
.LBB93_152:                             ;   in Loop: Header=BB93_15 Depth=1
	s_and_b64 vcc, exec, s[30:31]
	s_cbranch_vccz .LBB93_166
; %bb.153:                              ;   in Loop: Header=BB93_15 Depth=1
	s_mov_b32 s92, s87
	s_cmp_lg_u64 s[92:93], 0
	s_cbranch_scc0 .LBB93_195
; %bb.154:                              ;   in Loop: Header=BB93_15 Depth=1
	v_cvt_f32_u32_e32 v4, s84
	s_sub_u32 s14, 0, s84
	s_subb_u32 s15, 0, 0
	v_fmac_f32_e32 v4, 0, v37
	v_rcp_f32_e32 v4, v4
	s_nop 0
	v_mul_f32_e32 v4, 0x5f7ffffc, v4
	v_mul_f32_e32 v5, 0x2f800000, v4
	v_trunc_f32_e32 v5, v5
	v_fmac_f32_e32 v4, 0xcf800000, v5
	v_cvt_u32_f32_e32 v5, v5
	v_cvt_u32_f32_e32 v4, v4
	v_readfirstlane_b32 s24, v5
	v_readfirstlane_b32 s0, v4
	s_mul_i32 s1, s14, s24
	s_mul_hi_u32 s30, s14, s0
	s_mul_i32 s25, s15, s0
	s_add_i32 s1, s30, s1
	s_mul_i32 s31, s14, s0
	s_add_i32 s1, s1, s25
	s_mul_hi_u32 s30, s0, s31
	s_mul_i32 s34, s0, s1
	s_mul_hi_u32 s25, s0, s1
	s_add_u32 s30, s30, s34
	s_addc_u32 s25, 0, s25
	s_mul_hi_u32 s35, s24, s31
	s_mul_i32 s31, s24, s31
	s_add_u32 s30, s30, s31
	s_mul_hi_u32 s34, s24, s1
	s_addc_u32 s25, s25, s35
	s_addc_u32 s30, s34, 0
	s_mul_i32 s1, s24, s1
	s_add_u32 s1, s25, s1
	s_addc_u32 s25, 0, s30
	s_add_u32 s30, s0, s1
	s_cselect_b64 s[0:1], -1, 0
	s_cmp_lg_u64 s[0:1], 0
	s_addc_u32 s24, s24, s25
	s_mul_i32 s0, s14, s24
	s_mul_hi_u32 s1, s14, s30
	s_add_i32 s0, s1, s0
	s_mul_i32 s15, s15, s30
	s_add_i32 s0, s0, s15
	s_mul_i32 s14, s14, s30
	s_mul_hi_u32 s15, s24, s14
	s_mul_i32 s25, s24, s14
	s_mul_i32 s34, s30, s0
	s_mul_hi_u32 s14, s30, s14
	s_mul_hi_u32 s31, s30, s0
	s_add_u32 s14, s14, s34
	s_addc_u32 s31, 0, s31
	s_add_u32 s14, s14, s25
	s_mul_hi_u32 s1, s24, s0
	s_addc_u32 s14, s31, s15
	s_addc_u32 s1, s1, 0
	s_mul_i32 s0, s24, s0
	s_add_u32 s0, s14, s0
	s_addc_u32 s14, 0, s1
	s_add_u32 s15, s30, s0
	s_cselect_b64 s[0:1], -1, 0
	s_cmp_lg_u64 s[0:1], 0
	s_addc_u32 s0, s24, s14
	s_mul_i32 s14, s68, s0
	s_mul_hi_u32 s24, s68, s15
	s_mul_hi_u32 s1, s68, s0
	s_add_u32 s14, s24, s14
	s_addc_u32 s1, 0, s1
	s_mul_hi_u32 s25, s93, s15
	s_mul_i32 s15, s93, s15
	s_add_u32 s14, s14, s15
	s_mul_hi_u32 s24, s93, s0
	s_addc_u32 s1, s1, s25
	s_addc_u32 s14, s24, 0
	s_mul_i32 s0, s93, s0
	s_add_u32 s0, s1, s0
	s_addc_u32 s1, 0, s14
	s_mul_i32 s1, s84, s1
	s_mul_hi_u32 s14, s84, s0
	s_add_i32 s14, s14, s1
	s_mul_i32 s0, s84, s0
	s_sub_u32 s15, s68, s0
	s_cselect_b64 s[0:1], -1, 0
	s_cmp_lg_u64 s[0:1], 0
	s_subb_u32 s14, s93, s14
	s_sub_u32 s24, s15, s84
	s_cselect_b64 s[0:1], -1, 0
	s_cmp_lg_u64 s[0:1], 0
	s_subb_u32 s25, s14, 0
	;; [unrolled: 4-line block ×3, first 2 shown]
	s_cmp_ge_u32 s24, s84
	s_cselect_b32 s1, -1, 0
	s_cmp_eq_u32 s25, 0
	s_cselect_b32 s1, s1, -1
	s_cmp_lg_u32 s1, 0
	s_cselect_b32 s0, s0, s25
	s_cselect_b32 s24, s30, s24
	s_cmp_ge_u32 s15, s84
	s_cselect_b32 s1, -1, 0
	s_cmp_eq_u32 s14, 0
	s_cselect_b32 s1, s1, -1
	s_cmp_lg_u32 s1, 0
	s_cselect_b32 s1, s0, s14
	s_cselect_b32 s0, s24, s15
	s_cbranch_execnz .LBB93_156
.LBB93_155:                             ;   in Loop: Header=BB93_15 Depth=1
	v_cvt_f32_u32_e32 v4, s84
	s_sub_i32 s0, 0, s84
	v_rcp_iflag_f32_e32 v4, v4
	s_nop 0
	v_mul_f32_e32 v4, 0x4f7ffffe, v4
	v_cvt_u32_f32_e32 v4, v4
	s_nop 0
	v_readfirstlane_b32 s1, v4
	s_mul_i32 s0, s0, s1
	s_mul_hi_u32 s0, s1, s0
	s_add_i32 s1, s1, s0
	s_mul_hi_u32 s0, s68, s1
	s_mul_i32 s0, s0, s84
	s_sub_i32 s0, s68, s0
	s_sub_i32 s1, s0, s84
	s_cmp_ge_u32 s0, s84
	s_cselect_b32 s0, s1, s0
	s_sub_i32 s1, s0, s84
	s_cmp_ge_u32 s0, s84
	s_cselect_b32 s86, s1, s0
	s_mov_b64 s[0:1], s[86:87]
.LBB93_156:                             ;   in Loop: Header=BB93_15 Depth=1
	s_sub_u32 s14, s68, s0
	s_subb_u32 s15, s93, s1
	v_cmp_gt_u64_e32 vcc, s[14:15], v[0:1]
                                        ; implicit-def: $vgpr25
	s_and_saveexec_b64 s[0:1], vcc
	s_cbranch_execz .LBB93_165
; %bb.157:                              ;   in Loop: Header=BB93_15 Depth=1
	s_mov_b64 s[24:25], 0
	v_mov_b64_e32 v[4:5], v[0:1]
                                        ; implicit-def: $sgpr30_sgpr31
	s_branch .LBB93_160
.LBB93_158:                             ;   in Loop: Header=BB93_160 Depth=2
	s_or_b64 exec, exec, s[34:35]
	s_waitcnt lgkmcnt(0)
	s_barrier
	ds_read_b64 v[24:25], v3 offset:3072
	s_mov_b64 s[34:35], -1
	s_mov_b64 s[36:37], -1
	s_waitcnt lgkmcnt(0)
	s_barrier
	v_cmp_eq_u32_e32 vcc, 0, v24
	s_cbranch_vccnz .LBB93_163
.LBB93_159:                             ;   in Loop: Header=BB93_160 Depth=2
	s_and_b64 s[34:35], exec, s[34:35]
	s_or_b64 s[24:25], s[34:35], s[24:25]
	s_andn2_b64 s[30:31], s[30:31], exec
	s_and_b64 s[34:35], s[36:37], exec
	s_or_b64 s[30:31], s[30:31], s[34:35]
	s_andn2_b64 exec, exec, s[24:25]
	s_cbranch_execz .LBB93_164
.LBB93_160:                             ;   Parent Loop BB93_15 Depth=1
                                        ; =>  This Inner Loop Header: Depth=2
	v_cmp_gt_u64_e32 vcc, s[56:57], v[4:5]
	s_and_saveexec_b64 s[34:35], vcc
	s_cbranch_execz .LBB93_158
; %bb.161:                              ;   in Loop: Header=BB93_160 Depth=2
	v_mul_lo_u32 v23, v5, s72
	v_mul_lo_u32 v24, v4, s73
	v_mad_u64_u32 v[10:11], s[36:37], v4, s72, 0
	v_add3_u32 v11, v11, v24, v23
	v_lshl_add_u64 v[10:11], v[10:11], 2, s[80:81]
	global_load_dword v23, v[10:11], off
	s_waitcnt vmcnt(0)
	v_bitop3_b32 v10, v23, v39, s6 bitop3:0x48
	v_cmp_eq_u32_e32 vcc, v10, v34
	s_and_b64 exec, exec, vcc
	s_cbranch_execz .LBB93_158
; %bb.162:                              ;   in Loop: Header=BB93_160 Depth=2
	ds_write_b64 v3, v[22:23] offset:3072
	s_branch .LBB93_158
.LBB93_163:                             ;   in Loop: Header=BB93_160 Depth=2
	v_lshl_add_u64 v[4:5], v[4:5], 0, s[84:85]
	v_cmp_le_u64_e32 vcc, s[14:15], v[4:5]
	s_mov_b64 s[36:37], 0
	s_orn2_b64 s[34:35], vcc, exec
	s_branch .LBB93_159
.LBB93_164:                             ;   in Loop: Header=BB93_15 Depth=1
	s_or_b64 exec, exec, s[24:25]
	s_andn2_b64 s[8:9], s[8:9], exec
	s_and_b64 s[14:15], s[30:31], exec
	s_or_b64 s[8:9], s[8:9], s[14:15]
.LBB93_165:                             ;   in Loop: Header=BB93_15 Depth=1
	s_or_b64 exec, exec, s[0:1]
	s_mov_b64 s[0:1], 0
	s_mov_b64 s[24:25], -1
.LBB93_166:                             ;   in Loop: Header=BB93_15 Depth=1
	s_orn2_b64 s[8:9], s[8:9], exec
.LBB93_167:                             ;   in Loop: Header=BB93_15 Depth=1
	s_or_b64 exec, exec, s[26:27]
	s_mov_b64 s[14:15], 0
	s_and_saveexec_b64 s[26:27], s[8:9]
	s_cbranch_execz .LBB93_273
; %bb.168:                              ;   in Loop: Header=BB93_15 Depth=1
	s_xor_b64 s[28:29], s[28:29], -1
	v_mov_b32_e32 v2, 1
	v_mov_b64_e32 v[4:5], 1
	s_and_saveexec_b64 s[8:9], s[28:29]
	s_cbranch_execz .LBB93_178
; %bb.169:                              ;   in Loop: Header=BB93_15 Depth=1
	v_cmp_le_u64_e32 vcc, v[8:9], v[6:7]
	s_and_saveexec_b64 s[14:15], vcc
	s_xor_b64 s[14:15], exec, s[14:15]
	s_cbranch_execz .LBB93_175
; %bb.170:                              ;   in Loop: Header=BB93_15 Depth=1
	ds_read_b64 v[4:5], v3 offset:5120
	v_and_b32_e32 v2, s52, v34
	v_lshl_or_b32 v34, 1, s7, v2
	v_or_b32_e32 v39, s64, v39
	s_waitcnt lgkmcnt(0)
	v_cmp_ne_u64_e32 vcc, 0, v[4:5]
	s_cbranch_vccnz .LBB93_174
; %bb.171:                              ;   in Loop: Header=BB93_15 Depth=1
	s_mov_b64 s[28:29], exec
	v_readlane_b32 s30, v54, 8
	v_readlane_b32 s31, v54, 9
	s_and_b64 s[30:31], s[28:29], s[30:31]
	s_mov_b64 exec, s[30:31]
; %bb.172:                              ;   in Loop: Header=BB93_15 Depth=1
	ds_write_b64 v3, v[6:7] offset:5128
; %bb.173:                              ;   in Loop: Header=BB93_15 Depth=1
	s_or_b64 exec, exec, s[28:29]
	s_waitcnt lgkmcnt(0)
	s_barrier
.LBB93_174:                             ;   in Loop: Header=BB93_15 Depth=1
                                        ; implicit-def: $vgpr4_vgpr5_vgpr6_vgpr7
.LBB93_175:                             ;   in Loop: Header=BB93_15 Depth=1
	s_or_saveexec_b64 s[14:15], s[14:15]
	s_mov_b64 s[28:29], 0
	v_mov_b32_e32 v2, 8
	s_xor_b64 exec, exec, s[14:15]
; %bb.176:                              ;   in Loop: Header=BB93_15 Depth=1
	v_sub_co_u32_e32 v8, vcc, v8, v6
	s_mov_b64 s[28:29], exec
	s_nop 0
	v_subb_co_u32_e32 v9, vcc, v9, v7, vcc
	v_mov_b32_e32 v2, 0
; %bb.177:                              ;   in Loop: Header=BB93_15 Depth=1
	s_or_b64 exec, exec, s[14:15]
	s_and_b64 s[14:15], s[28:29], exec
	v_mov_b64_e32 v[4:5], v[8:9]
.LBB93_178:                             ;   in Loop: Header=BB93_15 Depth=1
	s_or_b64 exec, exec, s[8:9]
	s_mov_b64 s[8:9], -1
                                        ; implicit-def: $sgpr34_sgpr35
                                        ; implicit-def: $sgpr36_sgpr37
	s_and_saveexec_b64 s[28:29], s[14:15]
	s_cbranch_execz .LBB93_272
; %bb.179:                              ;   in Loop: Header=BB93_15 Depth=1
	s_cmp_eq_u64 s[22:23], 1
	s_cselect_b64 s[8:9], -1, 0
	v_cmp_eq_u64_e32 vcc, 1, v[4:5]
	s_and_b64 s[40:41], s[8:9], vcc
	s_mov_b64 s[8:9], -1
                                        ; implicit-def: $sgpr36_sgpr37
                                        ; implicit-def: $sgpr34_sgpr35
	s_and_saveexec_b64 s[38:39], s[40:41]
	s_cbranch_execz .LBB93_213
; %bb.180:                              ;   in Loop: Header=BB93_15 Depth=1
	ds_read_b64 v[6:7], v3 offset:5120
	s_waitcnt lgkmcnt(0)
	s_barrier
	v_readfirstlane_b32 s14, v6
	v_readfirstlane_b32 s15, v7
	s_mov_b64 s[8:9], exec
	v_readlane_b32 s30, v54, 26
	v_readlane_b32 s31, v54, 27
	s_and_b64 s[30:31], s[8:9], s[30:31]
	s_mov_b64 exec, s[30:31]
; %bb.181:                              ;   in Loop: Header=BB93_15 Depth=1
	ds_write_b32 v31, v3
; %bb.182:                              ;   in Loop: Header=BB93_15 Depth=1
	s_or_b64 exec, exec, s[8:9]
	v_and_b32_e32 v6, s52, v34
	v_lshl_or_b32 v34, 2, s7, v6
	v_or_b32_e32 v39, s64, v39
	s_mov_b64 s[34:35], -1
	s_mov_b64 s[36:37], 0
	s_cmp_eq_u64 s[14:15], 0
	s_mov_b64 s[8:9], 0
	s_mov_b64 s[30:31], -1
	s_waitcnt lgkmcnt(0)
	s_barrier
                                        ; implicit-def: $vgpr25
	s_cbranch_scc1 .LBB93_198
; %bb.183:                              ;   in Loop: Header=BB93_15 Depth=1
	v_readlane_b32 s8, v54, 32
	s_add_u32 s44, s14, s8
	v_readlane_b32 s8, v54, 33
	s_addc_u32 s9, s15, s8
	s_mov_b32 s8, s87
	s_cmp_lg_u64 s[8:9], 0
	s_cbranch_scc0 .LBB93_239
; %bb.184:                              ;   in Loop: Header=BB93_15 Depth=1
	v_cvt_f32_u32_e32 v6, s84
	s_sub_u32 s8, 0, s84
	s_subb_u32 s42, 0, 0
	v_fmac_f32_e32 v6, 0, v37
	v_rcp_f32_e32 v6, v6
	s_nop 0
	v_mul_f32_e32 v6, 0x5f7ffffc, v6
	v_mul_f32_e32 v7, 0x2f800000, v6
	v_trunc_f32_e32 v7, v7
	v_fmac_f32_e32 v6, 0xcf800000, v7
	v_cvt_u32_f32_e32 v7, v7
	v_cvt_u32_f32_e32 v6, v6
	v_readfirstlane_b32 s43, v7
	v_readfirstlane_b32 s30, v6
	s_mul_i32 s31, s8, s43
	s_mul_hi_u32 s46, s8, s30
	s_mul_i32 s45, s42, s30
	s_add_i32 s31, s46, s31
	s_mul_i32 s47, s8, s30
	s_add_i32 s31, s31, s45
	s_mul_hi_u32 s46, s30, s47
	s_mul_i32 s48, s30, s31
	s_mul_hi_u32 s45, s30, s31
	s_add_u32 s46, s46, s48
	s_addc_u32 s45, 0, s45
	s_mul_hi_u32 s49, s43, s47
	s_mul_i32 s47, s43, s47
	s_add_u32 s46, s46, s47
	s_mul_hi_u32 s48, s43, s31
	s_addc_u32 s45, s45, s49
	s_addc_u32 s46, s48, 0
	s_mul_i32 s31, s43, s31
	s_add_u32 s31, s45, s31
	s_addc_u32 s45, 0, s46
	s_add_u32 s46, s30, s31
	s_cselect_b64 s[30:31], -1, 0
	s_cmp_lg_u64 s[30:31], 0
	s_addc_u32 s43, s43, s45
	s_mul_i32 s30, s8, s43
	s_mul_hi_u32 s31, s8, s46
	s_add_i32 s30, s31, s30
	s_mul_i32 s42, s42, s46
	s_add_i32 s30, s30, s42
	s_mul_i32 s8, s8, s46
	s_mul_hi_u32 s42, s43, s8
	s_mul_i32 s45, s43, s8
	s_mul_i32 s48, s46, s30
	s_mul_hi_u32 s8, s46, s8
	s_mul_hi_u32 s47, s46, s30
	s_add_u32 s8, s8, s48
	s_addc_u32 s47, 0, s47
	s_add_u32 s8, s8, s45
	s_mul_hi_u32 s31, s43, s30
	s_addc_u32 s8, s47, s42
	s_addc_u32 s31, s31, 0
	s_mul_i32 s30, s43, s30
	s_add_u32 s8, s8, s30
	s_addc_u32 s42, 0, s31
	s_add_u32 s8, s46, s8
	s_cselect_b64 s[30:31], -1, 0
	s_cmp_lg_u64 s[30:31], 0
	s_addc_u32 s30, s43, s42
	s_mul_i32 s42, s44, s30
	s_mul_hi_u32 s43, s44, s8
	s_mul_hi_u32 s31, s44, s30
	s_add_u32 s42, s43, s42
	s_addc_u32 s31, 0, s31
	s_mul_hi_u32 s45, s9, s8
	s_mul_i32 s8, s9, s8
	s_add_u32 s8, s42, s8
	s_mul_hi_u32 s43, s9, s30
	s_addc_u32 s8, s31, s45
	s_addc_u32 s31, s43, 0
	s_mul_i32 s30, s9, s30
	s_add_u32 s8, s8, s30
	s_addc_u32 s30, 0, s31
	s_mul_i32 s30, s84, s30
	s_mul_hi_u32 s31, s84, s8
	s_add_i32 s42, s31, s30
	s_mul_i32 s8, s84, s8
	s_sub_u32 s8, s44, s8
	s_cselect_b64 s[30:31], -1, 0
	s_cmp_lg_u64 s[30:31], 0
	s_subb_u32 s42, s9, s42
	s_sub_u32 s43, s8, s84
	s_cselect_b64 s[30:31], -1, 0
	s_cmp_lg_u64 s[30:31], 0
	s_subb_u32 s45, s42, 0
	;; [unrolled: 4-line block ×3, first 2 shown]
	s_cmp_ge_u32 s43, s84
	s_cselect_b32 s31, -1, 0
	s_cmp_eq_u32 s45, 0
	s_cselect_b32 s31, s31, -1
	s_cmp_lg_u32 s31, 0
	s_cselect_b32 s30, s30, s45
	s_cselect_b32 s43, s46, s43
	s_cmp_ge_u32 s8, s84
	s_cselect_b32 s31, -1, 0
	s_cmp_eq_u32 s42, 0
	s_cselect_b32 s31, s31, -1
	s_cmp_lg_u32 s31, 0
	s_cselect_b32 s31, s30, s42
	s_cselect_b32 s30, s43, s8
	s_cbranch_execnz .LBB93_186
.LBB93_185:                             ;   in Loop: Header=BB93_15 Depth=1
	v_cvt_f32_u32_e32 v6, s84
	s_sub_i32 s8, 0, s84
	v_rcp_iflag_f32_e32 v6, v6
	s_nop 0
	v_mul_f32_e32 v6, 0x4f7ffffe, v6
	v_cvt_u32_f32_e32 v6, v6
	s_nop 0
	v_readfirstlane_b32 s30, v6
	s_mul_i32 s8, s8, s30
	s_mul_hi_u32 s8, s30, s8
	s_add_i32 s30, s30, s8
	s_mul_hi_u32 s8, s44, s30
	s_mul_i32 s8, s8, s84
	s_sub_i32 s8, s44, s8
	s_sub_i32 s30, s8, s84
	s_cmp_ge_u32 s8, s84
	s_cselect_b32 s8, s30, s8
	s_sub_i32 s30, s8, s84
	s_cmp_ge_u32 s8, s84
	s_cselect_b32 s86, s30, s8
	s_mov_b64 s[30:31], s[86:87]
.LBB93_186:                             ;   in Loop: Header=BB93_15 Depth=1
	s_sub_u32 s44, s44, s30
	s_subb_u32 s45, s9, s31
	v_cmp_gt_u64_e32 vcc, s[44:45], v[0:1]
	s_mov_b64 s[30:31], 0
	s_mov_b64 s[8:9], 0
                                        ; implicit-def: $vgpr25
	s_and_saveexec_b64 s[42:43], vcc
	s_cbranch_execz .LBB93_197
; %bb.187:                              ;   in Loop: Header=BB93_15 Depth=1
	v_mov_b32_e32 v8, v12
	v_mov_b64_e32 v[6:7], v[0:1]
                                        ; implicit-def: $sgpr46_sgpr47
	s_branch .LBB93_190
.LBB93_188:                             ;   in Loop: Header=BB93_190 Depth=2
	s_or_b64 exec, exec, s[48:49]
	s_waitcnt lgkmcnt(0)
	s_barrier
	ds_read_b64 v[24:25], v3 offset:3072
	s_mov_b64 s[48:49], -1
	s_mov_b64 s[50:51], -1
	s_waitcnt lgkmcnt(0)
	s_barrier
	v_cmp_ne_u32_e32 vcc, 0, v24
	s_cbranch_vccz .LBB93_193
.LBB93_189:                             ;   in Loop: Header=BB93_190 Depth=2
	s_and_b64 s[48:49], exec, s[48:49]
	s_or_b64 s[8:9], s[48:49], s[8:9]
	s_andn2_b64 s[46:47], s[46:47], exec
	s_and_b64 s[48:49], s[50:51], exec
	s_or_b64 s[46:47], s[46:47], s[48:49]
	s_andn2_b64 exec, exec, s[8:9]
	s_cbranch_execz .LBB93_196
.LBB93_190:                             ;   Parent Loop BB93_15 Depth=1
                                        ; =>  This Inner Loop Header: Depth=2
	v_cmp_gt_u64_e32 vcc, s[14:15], v[6:7]
	s_and_saveexec_b64 s[48:49], vcc
	s_cbranch_execz .LBB93_188
; %bb.191:                              ;   in Loop: Header=BB93_190 Depth=2
	ds_read_b32 v23, v8
	s_waitcnt lgkmcnt(0)
	v_bitop3_b32 v9, v23, v39, s6 bitop3:0x48
	v_cmp_eq_u32_e32 vcc, v9, v34
	s_and_b64 exec, exec, vcc
	s_cbranch_execz .LBB93_188
; %bb.192:                              ;   in Loop: Header=BB93_190 Depth=2
	ds_write_b64 v3, v[22:23] offset:3072
	s_branch .LBB93_188
.LBB93_193:                             ;   in Loop: Header=BB93_190 Depth=2
	v_lshl_add_u64 v[6:7], v[6:7], 0, s[84:85]
	v_cmp_le_u64_e32 vcc, s[44:45], v[6:7]
	v_add_u32_e32 v8, s91, v8
	s_mov_b64 s[50:51], 0
	s_orn2_b64 s[48:49], vcc, exec
	s_branch .LBB93_189
.LBB93_194:                             ;   in Loop: Header=BB93_15 Depth=1
                                        ; implicit-def: $sgpr30_sgpr31
	s_branch .LBB93_136
.LBB93_195:                             ;   in Loop: Header=BB93_15 Depth=1
                                        ; implicit-def: $sgpr0_sgpr1
	s_branch .LBB93_155
.LBB93_196:                             ;   in Loop: Header=BB93_15 Depth=1
	s_or_b64 exec, exec, s[8:9]
	s_and_b64 s[8:9], s[46:47], exec
.LBB93_197:                             ;   in Loop: Header=BB93_15 Depth=1
	s_or_b64 exec, exec, s[42:43]
.LBB93_198:                             ;   in Loop: Header=BB93_15 Depth=1
	s_and_b64 vcc, exec, s[30:31]
	s_cbranch_vccz .LBB93_212
; %bb.199:                              ;   in Loop: Header=BB93_15 Depth=1
	s_mov_b32 s92, s87
	s_cmp_lg_u64 s[92:93], 0
	s_cbranch_scc0 .LBB93_240
; %bb.200:                              ;   in Loop: Header=BB93_15 Depth=1
	v_cvt_f32_u32_e32 v6, s84
	s_sub_u32 s30, 0, s84
	s_subb_u32 s31, 0, 0
	v_fmac_f32_e32 v6, 0, v37
	v_rcp_f32_e32 v6, v6
	s_nop 0
	v_mul_f32_e32 v6, 0x5f7ffffc, v6
	v_mul_f32_e32 v7, 0x2f800000, v6
	v_trunc_f32_e32 v7, v7
	v_fmac_f32_e32 v6, 0xcf800000, v7
	v_cvt_u32_f32_e32 v7, v7
	v_cvt_u32_f32_e32 v6, v6
	v_readfirstlane_b32 s34, v7
	v_readfirstlane_b32 s14, v6
	s_mul_i32 s15, s30, s34
	s_mul_hi_u32 s36, s30, s14
	s_mul_i32 s35, s31, s14
	s_add_i32 s15, s36, s15
	s_mul_i32 s37, s30, s14
	s_add_i32 s15, s15, s35
	s_mul_hi_u32 s36, s14, s37
	s_mul_i32 s42, s14, s15
	s_mul_hi_u32 s35, s14, s15
	s_add_u32 s36, s36, s42
	s_addc_u32 s35, 0, s35
	s_mul_hi_u32 s43, s34, s37
	s_mul_i32 s37, s34, s37
	s_add_u32 s36, s36, s37
	s_mul_hi_u32 s42, s34, s15
	s_addc_u32 s35, s35, s43
	s_addc_u32 s36, s42, 0
	s_mul_i32 s15, s34, s15
	s_add_u32 s15, s35, s15
	s_addc_u32 s35, 0, s36
	s_add_u32 s36, s14, s15
	s_cselect_b64 s[14:15], -1, 0
	s_cmp_lg_u64 s[14:15], 0
	s_addc_u32 s34, s34, s35
	s_mul_i32 s14, s30, s34
	s_mul_hi_u32 s15, s30, s36
	s_add_i32 s14, s15, s14
	s_mul_i32 s31, s31, s36
	s_add_i32 s14, s14, s31
	s_mul_i32 s30, s30, s36
	s_mul_hi_u32 s31, s34, s30
	s_mul_i32 s35, s34, s30
	s_mul_i32 s42, s36, s14
	s_mul_hi_u32 s30, s36, s30
	s_mul_hi_u32 s37, s36, s14
	s_add_u32 s30, s30, s42
	s_addc_u32 s37, 0, s37
	s_add_u32 s30, s30, s35
	s_mul_hi_u32 s15, s34, s14
	s_addc_u32 s30, s37, s31
	s_addc_u32 s15, s15, 0
	s_mul_i32 s14, s34, s14
	s_add_u32 s14, s30, s14
	s_addc_u32 s30, 0, s15
	s_add_u32 s31, s36, s14
	s_cselect_b64 s[14:15], -1, 0
	s_cmp_lg_u64 s[14:15], 0
	s_addc_u32 s14, s34, s30
	s_mul_i32 s30, s68, s14
	s_mul_hi_u32 s34, s68, s31
	s_mul_hi_u32 s15, s68, s14
	s_add_u32 s30, s34, s30
	s_addc_u32 s15, 0, s15
	s_mul_hi_u32 s35, s93, s31
	s_mul_i32 s31, s93, s31
	s_add_u32 s30, s30, s31
	s_mul_hi_u32 s34, s93, s14
	s_addc_u32 s15, s15, s35
	s_addc_u32 s30, s34, 0
	s_mul_i32 s14, s93, s14
	s_add_u32 s14, s15, s14
	s_addc_u32 s15, 0, s30
	s_mul_i32 s15, s84, s15
	s_mul_hi_u32 s30, s84, s14
	s_add_i32 s30, s30, s15
	s_mul_i32 s14, s84, s14
	s_sub_u32 s31, s68, s14
	s_cselect_b64 s[14:15], -1, 0
	s_cmp_lg_u64 s[14:15], 0
	s_subb_u32 s30, s93, s30
	s_sub_u32 s34, s31, s84
	s_cselect_b64 s[14:15], -1, 0
	s_cmp_lg_u64 s[14:15], 0
	s_subb_u32 s35, s30, 0
	s_sub_u32 s36, s34, s84
	s_cselect_b64 s[14:15], -1, 0
	s_cmp_lg_u64 s[14:15], 0
	s_subb_u32 s14, s35, 0
	s_cmp_ge_u32 s34, s84
	s_cselect_b32 s15, -1, 0
	s_cmp_eq_u32 s35, 0
	s_cselect_b32 s15, s15, -1
	s_cmp_lg_u32 s15, 0
	s_cselect_b32 s14, s14, s35
	s_cselect_b32 s34, s36, s34
	s_cmp_ge_u32 s31, s84
	s_cselect_b32 s15, -1, 0
	s_cmp_eq_u32 s30, 0
	s_cselect_b32 s15, s15, -1
	s_cmp_lg_u32 s15, 0
	s_cselect_b32 s15, s14, s30
	s_cselect_b32 s14, s34, s31
	s_cbranch_execnz .LBB93_202
.LBB93_201:                             ;   in Loop: Header=BB93_15 Depth=1
	v_cvt_f32_u32_e32 v6, s84
	s_sub_i32 s14, 0, s84
	v_rcp_iflag_f32_e32 v6, v6
	s_nop 0
	v_mul_f32_e32 v6, 0x4f7ffffe, v6
	v_cvt_u32_f32_e32 v6, v6
	s_nop 0
	v_readfirstlane_b32 s15, v6
	s_mul_i32 s14, s14, s15
	s_mul_hi_u32 s14, s15, s14
	s_add_i32 s15, s15, s14
	s_mul_hi_u32 s14, s68, s15
	s_mul_i32 s14, s14, s84
	s_sub_i32 s14, s68, s14
	s_sub_i32 s15, s14, s84
	s_cmp_ge_u32 s14, s84
	s_cselect_b32 s14, s15, s14
	s_sub_i32 s15, s14, s84
	s_cmp_ge_u32 s14, s84
	s_cselect_b32 s86, s15, s14
	s_mov_b64 s[14:15], s[86:87]
.LBB93_202:                             ;   in Loop: Header=BB93_15 Depth=1
	s_sub_u32 s30, s68, s14
	s_subb_u32 s31, s93, s15
	v_cmp_gt_u64_e32 vcc, s[30:31], v[0:1]
                                        ; implicit-def: $vgpr25
	s_and_saveexec_b64 s[14:15], vcc
	s_cbranch_execz .LBB93_211
; %bb.203:                              ;   in Loop: Header=BB93_15 Depth=1
	s_mov_b64 s[34:35], 0
	v_mov_b64_e32 v[6:7], v[0:1]
                                        ; implicit-def: $sgpr36_sgpr37
	s_branch .LBB93_206
.LBB93_204:                             ;   in Loop: Header=BB93_206 Depth=2
	s_or_b64 exec, exec, s[42:43]
	s_waitcnt lgkmcnt(0)
	s_barrier
	ds_read_b64 v[24:25], v3 offset:3072
	s_mov_b64 s[42:43], -1
	s_mov_b64 s[44:45], -1
	s_waitcnt lgkmcnt(0)
	s_barrier
	v_cmp_eq_u32_e32 vcc, 0, v24
	s_cbranch_vccnz .LBB93_209
.LBB93_205:                             ;   in Loop: Header=BB93_206 Depth=2
	s_and_b64 s[42:43], exec, s[42:43]
	s_or_b64 s[34:35], s[42:43], s[34:35]
	s_andn2_b64 s[36:37], s[36:37], exec
	s_and_b64 s[42:43], s[44:45], exec
	s_or_b64 s[36:37], s[36:37], s[42:43]
	s_andn2_b64 exec, exec, s[34:35]
	s_cbranch_execz .LBB93_210
.LBB93_206:                             ;   Parent Loop BB93_15 Depth=1
                                        ; =>  This Inner Loop Header: Depth=2
	v_cmp_gt_u64_e32 vcc, s[56:57], v[6:7]
	s_and_saveexec_b64 s[42:43], vcc
	s_cbranch_execz .LBB93_204
; %bb.207:                              ;   in Loop: Header=BB93_206 Depth=2
	v_mul_lo_u32 v10, v7, s72
	v_mul_lo_u32 v11, v6, s73
	v_mad_u64_u32 v[8:9], s[44:45], v6, s72, 0
	v_add3_u32 v9, v9, v11, v10
	v_lshl_add_u64 v[8:9], v[8:9], 2, s[80:81]
	global_load_dword v23, v[8:9], off
	s_waitcnt vmcnt(0)
	v_bitop3_b32 v8, v23, v39, s6 bitop3:0x48
	v_cmp_eq_u32_e32 vcc, v8, v34
	s_and_b64 exec, exec, vcc
	s_cbranch_execz .LBB93_204
; %bb.208:                              ;   in Loop: Header=BB93_206 Depth=2
	ds_write_b64 v3, v[22:23] offset:3072
	s_branch .LBB93_204
.LBB93_209:                             ;   in Loop: Header=BB93_206 Depth=2
	v_lshl_add_u64 v[6:7], v[6:7], 0, s[84:85]
	v_cmp_le_u64_e32 vcc, s[30:31], v[6:7]
	s_mov_b64 s[44:45], 0
	s_orn2_b64 s[42:43], vcc, exec
	s_branch .LBB93_205
.LBB93_210:                             ;   in Loop: Header=BB93_15 Depth=1
	s_or_b64 exec, exec, s[34:35]
	s_andn2_b64 s[8:9], s[8:9], exec
	s_and_b64 s[30:31], s[36:37], exec
	s_or_b64 s[8:9], s[8:9], s[30:31]
.LBB93_211:                             ;   in Loop: Header=BB93_15 Depth=1
	s_or_b64 exec, exec, s[14:15]
	s_mov_b64 s[34:35], 0
	s_mov_b64 s[36:37], -1
.LBB93_212:                             ;   in Loop: Header=BB93_15 Depth=1
	s_orn2_b64 s[8:9], s[8:9], exec
.LBB93_213:                             ;   in Loop: Header=BB93_15 Depth=1
	s_or_b64 exec, exec, s[38:39]
	s_mov_b64 s[14:15], 0
	s_and_saveexec_b64 s[38:39], s[8:9]
	s_cbranch_execz .LBB93_271
; %bb.214:                              ;   in Loop: Header=BB93_15 Depth=1
	s_xor_b64 s[30:31], s[40:41], -1
	v_mov_b32_e32 v2, 1
	v_mov_b64_e32 v[6:7], 1
	s_and_saveexec_b64 s[8:9], s[30:31]
	s_cbranch_execz .LBB93_223
; %bb.215:                              ;   in Loop: Header=BB93_15 Depth=1
	v_cmp_ge_u64_e32 vcc, s[22:23], v[4:5]
	s_and_saveexec_b64 s[14:15], vcc
	s_xor_b64 s[14:15], exec, s[14:15]
	s_cbranch_execz .LBB93_220
; %bb.216:                              ;   in Loop: Header=BB93_15 Depth=1
	ds_read_b64 v[6:7], v3 offset:5120
	v_and_b32_e32 v2, s52, v34
	v_lshl_or_b32 v34, 2, s7, v2
	v_or_b32_e32 v39, s64, v39
	s_waitcnt lgkmcnt(0)
	v_cmp_ne_u64_e32 vcc, 0, v[6:7]
	s_cbranch_vccnz .LBB93_220
; %bb.217:                              ;   in Loop: Header=BB93_15 Depth=1
	s_mov_b64 s[30:31], exec
	v_readlane_b32 s40, v54, 8
	v_readlane_b32 s41, v54, 9
	s_and_b64 s[40:41], s[30:31], s[40:41]
	s_mov_b64 exec, s[40:41]
; %bb.218:                              ;   in Loop: Header=BB93_15 Depth=1
	v_mov_b64_e32 v[6:7], s[22:23]
	ds_write_b64 v3, v[6:7] offset:5128
; %bb.219:                              ;   in Loop: Header=BB93_15 Depth=1
	s_or_b64 exec, exec, s[30:31]
	s_waitcnt lgkmcnt(0)
	s_barrier
.LBB93_220:                             ;   in Loop: Header=BB93_15 Depth=1
	s_or_saveexec_b64 s[14:15], s[14:15]
	s_mov_b64 s[30:31], 0
	v_mov_b32_e32 v2, 8
	s_xor_b64 exec, exec, s[14:15]
; %bb.221:                              ;   in Loop: Header=BB93_15 Depth=1
	v_mov_b32_e32 v2, s23
	v_subrev_co_u32_e32 v4, vcc, s22, v4
	s_mov_b64 s[30:31], exec
	s_nop 0
	v_subb_co_u32_e32 v5, vcc, v5, v2, vcc
	v_mov_b32_e32 v2, 0
; %bb.222:                              ;   in Loop: Header=BB93_15 Depth=1
	s_or_b64 exec, exec, s[14:15]
	s_and_b64 s[14:15], s[30:31], exec
	v_mov_b64_e32 v[6:7], v[4:5]
.LBB93_223:                             ;   in Loop: Header=BB93_15 Depth=1
	s_or_b64 exec, exec, s[8:9]
	s_mov_b64 s[8:9], -1
                                        ; implicit-def: $sgpr46_sgpr47
                                        ; implicit-def: $sgpr44_sgpr45
	s_and_saveexec_b64 s[22:23], s[14:15]
	s_cbranch_execz .LBB93_270
; %bb.224:                              ;   in Loop: Header=BB93_15 Depth=1
	s_cmp_eq_u64 s[2:3], 1
	s_cselect_b64 s[8:9], -1, 0
	v_cmp_eq_u64_e32 vcc, 1, v[6:7]
	s_and_b64 s[40:41], s[8:9], vcc
	s_mov_b64 s[14:15], -1
                                        ; implicit-def: $sgpr46_sgpr47
                                        ; implicit-def: $sgpr44_sgpr45
	s_and_saveexec_b64 s[42:43], s[40:41]
	s_cbranch_execz .LBB93_258
; %bb.225:                              ;   in Loop: Header=BB93_15 Depth=1
	ds_read_b64 v[4:5], v3 offset:5120
	s_waitcnt lgkmcnt(0)
	s_barrier
	v_readfirstlane_b32 s14, v4
	v_readfirstlane_b32 s15, v5
	s_mov_b64 s[8:9], exec
	v_readlane_b32 s30, v54, 26
	v_readlane_b32 s31, v54, 27
	s_and_b64 s[30:31], s[8:9], s[30:31]
	s_mov_b64 exec, s[30:31]
; %bb.226:                              ;   in Loop: Header=BB93_15 Depth=1
	ds_write_b32 v31, v3
; %bb.227:                              ;   in Loop: Header=BB93_15 Depth=1
	s_or_b64 exec, exec, s[8:9]
	v_or_b32_e32 v34, s64, v34
	v_or_b32_e32 v39, s64, v39
	s_mov_b64 s[44:45], -1
	s_mov_b64 s[46:47], 0
	s_cmp_eq_u64 s[14:15], 0
	s_mov_b64 s[8:9], 0
	s_mov_b64 s[30:31], -1
	s_waitcnt lgkmcnt(0)
	s_barrier
                                        ; implicit-def: $vgpr25
	s_cbranch_scc1 .LBB93_243
; %bb.228:                              ;   in Loop: Header=BB93_15 Depth=1
	v_readlane_b32 s8, v54, 32
	s_add_u32 s50, s14, s8
	v_readlane_b32 s8, v54, 33
	s_addc_u32 s9, s15, s8
	s_mov_b32 s8, s87
	s_cmp_lg_u64 s[8:9], 0
	s_cbranch_scc0 .LBB93_277
; %bb.229:                              ;   in Loop: Header=BB93_15 Depth=1
	v_cvt_f32_u32_e32 v4, s84
	s_sub_u32 s8, 0, s84
	s_subb_u32 s48, 0, 0
	v_fmac_f32_e32 v4, 0, v37
	v_rcp_f32_e32 v4, v4
	s_nop 0
	v_mul_f32_e32 v4, 0x5f7ffffc, v4
	v_mul_f32_e32 v5, 0x2f800000, v4
	v_trunc_f32_e32 v5, v5
	v_fmac_f32_e32 v4, 0xcf800000, v5
	v_cvt_u32_f32_e32 v5, v5
	v_cvt_u32_f32_e32 v4, v4
	v_readfirstlane_b32 s49, v5
	v_readfirstlane_b32 s30, v4
	s_mul_i32 s31, s8, s49
	s_mul_hi_u32 s52, s8, s30
	s_mul_i32 s51, s48, s30
	s_add_i32 s31, s52, s31
	s_mul_i32 s53, s8, s30
	s_add_i32 s31, s31, s51
	s_mul_hi_u32 s52, s30, s53
	s_mul_i32 s54, s30, s31
	s_mul_hi_u32 s51, s30, s31
	s_add_u32 s52, s52, s54
	s_addc_u32 s51, 0, s51
	s_mul_hi_u32 s55, s49, s53
	s_mul_i32 s53, s49, s53
	s_add_u32 s52, s52, s53
	s_mul_hi_u32 s54, s49, s31
	s_addc_u32 s51, s51, s55
	s_addc_u32 s52, s54, 0
	s_mul_i32 s31, s49, s31
	s_add_u32 s31, s51, s31
	s_addc_u32 s51, 0, s52
	s_add_u32 s52, s30, s31
	s_cselect_b64 s[30:31], -1, 0
	s_cmp_lg_u64 s[30:31], 0
	s_addc_u32 s49, s49, s51
	s_mul_i32 s30, s8, s49
	s_mul_hi_u32 s31, s8, s52
	s_add_i32 s30, s31, s30
	s_mul_i32 s48, s48, s52
	s_add_i32 s30, s30, s48
	s_mul_i32 s8, s8, s52
	s_mul_hi_u32 s48, s49, s8
	s_mul_i32 s51, s49, s8
	s_mul_i32 s54, s52, s30
	s_mul_hi_u32 s8, s52, s8
	s_mul_hi_u32 s53, s52, s30
	s_add_u32 s8, s8, s54
	s_addc_u32 s53, 0, s53
	s_add_u32 s8, s8, s51
	s_mul_hi_u32 s31, s49, s30
	s_addc_u32 s8, s53, s48
	s_addc_u32 s31, s31, 0
	s_mul_i32 s30, s49, s30
	s_add_u32 s8, s8, s30
	s_addc_u32 s48, 0, s31
	s_add_u32 s8, s52, s8
	s_cselect_b64 s[30:31], -1, 0
	s_cmp_lg_u64 s[30:31], 0
	s_addc_u32 s30, s49, s48
	s_mul_i32 s48, s50, s30
	s_mul_hi_u32 s49, s50, s8
	s_mul_hi_u32 s31, s50, s30
	s_add_u32 s48, s49, s48
	s_addc_u32 s31, 0, s31
	s_mul_hi_u32 s51, s9, s8
	s_mul_i32 s8, s9, s8
	s_add_u32 s8, s48, s8
	s_mul_hi_u32 s49, s9, s30
	s_addc_u32 s8, s31, s51
	s_addc_u32 s31, s49, 0
	s_mul_i32 s30, s9, s30
	s_add_u32 s8, s8, s30
	s_addc_u32 s30, 0, s31
	s_mul_i32 s30, s84, s30
	s_mul_hi_u32 s31, s84, s8
	s_add_i32 s48, s31, s30
	s_mul_i32 s8, s84, s8
	s_sub_u32 s8, s50, s8
	s_cselect_b64 s[30:31], -1, 0
	s_cmp_lg_u64 s[30:31], 0
	s_subb_u32 s48, s9, s48
	s_sub_u32 s49, s8, s84
	s_cselect_b64 s[30:31], -1, 0
	s_cmp_lg_u64 s[30:31], 0
	s_subb_u32 s51, s48, 0
	;; [unrolled: 4-line block ×3, first 2 shown]
	s_cmp_ge_u32 s49, s84
	s_cselect_b32 s31, -1, 0
	s_cmp_eq_u32 s51, 0
	s_cselect_b32 s31, s31, -1
	s_cmp_lg_u32 s31, 0
	s_cselect_b32 s30, s30, s51
	s_cselect_b32 s49, s52, s49
	s_cmp_ge_u32 s8, s84
	s_cselect_b32 s31, -1, 0
	s_cmp_eq_u32 s48, 0
	s_cselect_b32 s31, s31, -1
	s_cmp_lg_u32 s31, 0
	s_cselect_b32 s31, s30, s48
	s_cselect_b32 s30, s49, s8
	s_cbranch_execnz .LBB93_231
.LBB93_230:                             ;   in Loop: Header=BB93_15 Depth=1
	v_cvt_f32_u32_e32 v4, s84
	s_sub_i32 s8, 0, s84
	v_rcp_iflag_f32_e32 v4, v4
	s_nop 0
	v_mul_f32_e32 v4, 0x4f7ffffe, v4
	v_cvt_u32_f32_e32 v4, v4
	s_nop 0
	v_readfirstlane_b32 s30, v4
	s_mul_i32 s8, s8, s30
	s_mul_hi_u32 s8, s30, s8
	s_add_i32 s30, s30, s8
	s_mul_hi_u32 s8, s50, s30
	s_mul_i32 s8, s8, s84
	s_sub_i32 s8, s50, s8
	s_sub_i32 s30, s8, s84
	s_cmp_ge_u32 s8, s84
	s_cselect_b32 s8, s30, s8
	s_sub_i32 s30, s8, s84
	s_cmp_ge_u32 s8, s84
	s_cselect_b32 s86, s30, s8
	s_mov_b64 s[30:31], s[86:87]
.LBB93_231:                             ;   in Loop: Header=BB93_15 Depth=1
	s_sub_u32 s50, s50, s30
	s_subb_u32 s51, s9, s31
	v_cmp_gt_u64_e32 vcc, s[50:51], v[0:1]
	s_mov_b64 s[30:31], 0
	s_mov_b64 s[8:9], 0
                                        ; implicit-def: $vgpr25
	s_and_saveexec_b64 s[48:49], vcc
	s_cbranch_execz .LBB93_242
; %bb.232:                              ;   in Loop: Header=BB93_15 Depth=1
	v_mov_b32_e32 v8, v12
	v_mov_b64_e32 v[4:5], v[0:1]
                                        ; implicit-def: $sgpr52_sgpr53
	s_branch .LBB93_235
.LBB93_233:                             ;   in Loop: Header=BB93_235 Depth=2
	s_or_b64 exec, exec, s[54:55]
	s_waitcnt lgkmcnt(0)
	s_barrier
	ds_read_b64 v[24:25], v3 offset:3072
	s_mov_b64 s[54:55], -1
	s_mov_b64 s[58:59], -1
	s_waitcnt lgkmcnt(0)
	s_barrier
	v_cmp_ne_u32_e32 vcc, 0, v24
	s_cbranch_vccz .LBB93_238
.LBB93_234:                             ;   in Loop: Header=BB93_235 Depth=2
	s_and_b64 s[54:55], exec, s[54:55]
	s_or_b64 s[8:9], s[54:55], s[8:9]
	s_andn2_b64 s[52:53], s[52:53], exec
	s_and_b64 s[54:55], s[58:59], exec
	s_or_b64 s[52:53], s[52:53], s[54:55]
	s_andn2_b64 exec, exec, s[8:9]
	s_cbranch_execz .LBB93_241
.LBB93_235:                             ;   Parent Loop BB93_15 Depth=1
                                        ; =>  This Inner Loop Header: Depth=2
	v_cmp_gt_u64_e32 vcc, s[14:15], v[4:5]
	s_and_saveexec_b64 s[54:55], vcc
	s_cbranch_execz .LBB93_233
; %bb.236:                              ;   in Loop: Header=BB93_235 Depth=2
	ds_read_b32 v23, v8
	s_waitcnt lgkmcnt(0)
	v_bitop3_b32 v9, v23, v39, s6 bitop3:0x48
	v_cmp_eq_u32_e32 vcc, v9, v34
	s_and_b64 exec, exec, vcc
	s_cbranch_execz .LBB93_233
; %bb.237:                              ;   in Loop: Header=BB93_235 Depth=2
	ds_write_b64 v3, v[22:23] offset:3072
	s_branch .LBB93_233
.LBB93_238:                             ;   in Loop: Header=BB93_235 Depth=2
	v_lshl_add_u64 v[4:5], v[4:5], 0, s[84:85]
	v_cmp_le_u64_e32 vcc, s[50:51], v[4:5]
	v_add_u32_e32 v8, s91, v8
	s_mov_b64 s[58:59], 0
	s_orn2_b64 s[54:55], vcc, exec
	s_branch .LBB93_234
.LBB93_239:                             ;   in Loop: Header=BB93_15 Depth=1
                                        ; implicit-def: $sgpr30_sgpr31
	s_branch .LBB93_185
.LBB93_240:                             ;   in Loop: Header=BB93_15 Depth=1
                                        ; implicit-def: $sgpr14_sgpr15
	s_branch .LBB93_201
.LBB93_241:                             ;   in Loop: Header=BB93_15 Depth=1
	s_or_b64 exec, exec, s[8:9]
	s_and_b64 s[8:9], s[52:53], exec
.LBB93_242:                             ;   in Loop: Header=BB93_15 Depth=1
	s_or_b64 exec, exec, s[48:49]
.LBB93_243:                             ;   in Loop: Header=BB93_15 Depth=1
	s_and_b64 vcc, exec, s[30:31]
	s_cbranch_vccz .LBB93_257
; %bb.244:                              ;   in Loop: Header=BB93_15 Depth=1
	s_mov_b32 s92, s87
	s_cmp_lg_u64 s[92:93], 0
	s_cbranch_scc0 .LBB93_278
; %bb.245:                              ;   in Loop: Header=BB93_15 Depth=1
	v_cvt_f32_u32_e32 v4, s84
	s_sub_u32 s30, 0, s84
	s_subb_u32 s31, 0, 0
	v_fmac_f32_e32 v4, 0, v37
	v_rcp_f32_e32 v4, v4
	s_nop 0
	v_mul_f32_e32 v4, 0x5f7ffffc, v4
	v_mul_f32_e32 v5, 0x2f800000, v4
	v_trunc_f32_e32 v5, v5
	v_fmac_f32_e32 v4, 0xcf800000, v5
	v_cvt_u32_f32_e32 v5, v5
	v_cvt_u32_f32_e32 v4, v4
	v_readfirstlane_b32 s44, v5
	v_readfirstlane_b32 s14, v4
	s_mul_i32 s15, s30, s44
	s_mul_hi_u32 s46, s30, s14
	s_mul_i32 s45, s31, s14
	s_add_i32 s15, s46, s15
	s_mul_i32 s47, s30, s14
	s_add_i32 s15, s15, s45
	s_mul_hi_u32 s46, s14, s47
	s_mul_i32 s48, s14, s15
	s_mul_hi_u32 s45, s14, s15
	s_add_u32 s46, s46, s48
	s_addc_u32 s45, 0, s45
	s_mul_hi_u32 s49, s44, s47
	s_mul_i32 s47, s44, s47
	s_add_u32 s46, s46, s47
	s_mul_hi_u32 s48, s44, s15
	s_addc_u32 s45, s45, s49
	s_addc_u32 s46, s48, 0
	s_mul_i32 s15, s44, s15
	s_add_u32 s15, s45, s15
	s_addc_u32 s45, 0, s46
	s_add_u32 s46, s14, s15
	s_cselect_b64 s[14:15], -1, 0
	s_cmp_lg_u64 s[14:15], 0
	s_addc_u32 s44, s44, s45
	s_mul_i32 s14, s30, s44
	s_mul_hi_u32 s15, s30, s46
	s_add_i32 s14, s15, s14
	s_mul_i32 s31, s31, s46
	s_add_i32 s14, s14, s31
	s_mul_i32 s30, s30, s46
	s_mul_hi_u32 s31, s44, s30
	s_mul_i32 s45, s44, s30
	s_mul_i32 s48, s46, s14
	s_mul_hi_u32 s30, s46, s30
	s_mul_hi_u32 s47, s46, s14
	s_add_u32 s30, s30, s48
	s_addc_u32 s47, 0, s47
	s_add_u32 s30, s30, s45
	s_mul_hi_u32 s15, s44, s14
	s_addc_u32 s30, s47, s31
	s_addc_u32 s15, s15, 0
	s_mul_i32 s14, s44, s14
	s_add_u32 s14, s30, s14
	s_addc_u32 s30, 0, s15
	s_add_u32 s31, s46, s14
	s_cselect_b64 s[14:15], -1, 0
	s_cmp_lg_u64 s[14:15], 0
	s_addc_u32 s14, s44, s30
	s_mul_i32 s30, s68, s14
	s_mul_hi_u32 s44, s68, s31
	s_mul_hi_u32 s15, s68, s14
	s_add_u32 s30, s44, s30
	s_addc_u32 s15, 0, s15
	s_mul_hi_u32 s45, s93, s31
	s_mul_i32 s31, s93, s31
	s_add_u32 s30, s30, s31
	s_mul_hi_u32 s44, s93, s14
	s_addc_u32 s15, s15, s45
	s_addc_u32 s30, s44, 0
	s_mul_i32 s14, s93, s14
	s_add_u32 s14, s15, s14
	s_addc_u32 s15, 0, s30
	s_mul_i32 s15, s84, s15
	s_mul_hi_u32 s30, s84, s14
	s_add_i32 s30, s30, s15
	s_mul_i32 s14, s84, s14
	s_sub_u32 s31, s68, s14
	s_cselect_b64 s[14:15], -1, 0
	s_cmp_lg_u64 s[14:15], 0
	s_subb_u32 s30, s93, s30
	s_sub_u32 s44, s31, s84
	s_cselect_b64 s[14:15], -1, 0
	s_cmp_lg_u64 s[14:15], 0
	s_subb_u32 s45, s30, 0
	s_sub_u32 s46, s44, s84
	s_cselect_b64 s[14:15], -1, 0
	s_cmp_lg_u64 s[14:15], 0
	s_subb_u32 s14, s45, 0
	s_cmp_ge_u32 s44, s84
	s_cselect_b32 s15, -1, 0
	s_cmp_eq_u32 s45, 0
	s_cselect_b32 s15, s15, -1
	s_cmp_lg_u32 s15, 0
	s_cselect_b32 s14, s14, s45
	s_cselect_b32 s44, s46, s44
	s_cmp_ge_u32 s31, s84
	s_cselect_b32 s15, -1, 0
	s_cmp_eq_u32 s30, 0
	s_cselect_b32 s15, s15, -1
	s_cmp_lg_u32 s15, 0
	s_cselect_b32 s15, s14, s30
	s_cselect_b32 s14, s44, s31
	s_cbranch_execnz .LBB93_247
.LBB93_246:                             ;   in Loop: Header=BB93_15 Depth=1
	v_cvt_f32_u32_e32 v4, s84
	s_sub_i32 s14, 0, s84
	v_rcp_iflag_f32_e32 v4, v4
	s_nop 0
	v_mul_f32_e32 v4, 0x4f7ffffe, v4
	v_cvt_u32_f32_e32 v4, v4
	s_nop 0
	v_readfirstlane_b32 s15, v4
	s_mul_i32 s14, s14, s15
	s_mul_hi_u32 s14, s15, s14
	s_add_i32 s15, s15, s14
	s_mul_hi_u32 s14, s68, s15
	s_mul_i32 s14, s14, s84
	s_sub_i32 s14, s68, s14
	s_sub_i32 s15, s14, s84
	s_cmp_ge_u32 s14, s84
	s_cselect_b32 s14, s15, s14
	s_sub_i32 s15, s14, s84
	s_cmp_ge_u32 s14, s84
	s_cselect_b32 s86, s15, s14
	s_mov_b64 s[14:15], s[86:87]
.LBB93_247:                             ;   in Loop: Header=BB93_15 Depth=1
	s_sub_u32 s30, s68, s14
	s_subb_u32 s31, s93, s15
	v_cmp_gt_u64_e32 vcc, s[30:31], v[0:1]
                                        ; implicit-def: $vgpr25
	s_and_saveexec_b64 s[14:15], vcc
	s_cbranch_execz .LBB93_256
; %bb.248:                              ;   in Loop: Header=BB93_15 Depth=1
	s_mov_b64 s[44:45], 0
	v_mov_b64_e32 v[4:5], v[0:1]
                                        ; implicit-def: $sgpr46_sgpr47
	s_branch .LBB93_251
.LBB93_249:                             ;   in Loop: Header=BB93_251 Depth=2
	s_or_b64 exec, exec, s[48:49]
	s_waitcnt lgkmcnt(0)
	s_barrier
	ds_read_b64 v[24:25], v3 offset:3072
	s_mov_b64 s[48:49], -1
	s_mov_b64 s[50:51], -1
	s_waitcnt lgkmcnt(0)
	s_barrier
	v_cmp_eq_u32_e32 vcc, 0, v24
	s_cbranch_vccnz .LBB93_254
.LBB93_250:                             ;   in Loop: Header=BB93_251 Depth=2
	s_and_b64 s[48:49], exec, s[48:49]
	s_or_b64 s[44:45], s[48:49], s[44:45]
	s_andn2_b64 s[46:47], s[46:47], exec
	s_and_b64 s[48:49], s[50:51], exec
	s_or_b64 s[46:47], s[46:47], s[48:49]
	s_andn2_b64 exec, exec, s[44:45]
	s_cbranch_execz .LBB93_255
.LBB93_251:                             ;   Parent Loop BB93_15 Depth=1
                                        ; =>  This Inner Loop Header: Depth=2
	v_cmp_gt_u64_e32 vcc, s[56:57], v[4:5]
	s_and_saveexec_b64 s[48:49], vcc
	s_cbranch_execz .LBB93_249
; %bb.252:                              ;   in Loop: Header=BB93_251 Depth=2
	v_mul_lo_u32 v10, v5, s72
	v_mul_lo_u32 v11, v4, s73
	v_mad_u64_u32 v[8:9], s[50:51], v4, s72, 0
	v_add3_u32 v9, v9, v11, v10
	v_lshl_add_u64 v[8:9], v[8:9], 2, s[80:81]
	global_load_dword v23, v[8:9], off
	s_waitcnt vmcnt(0)
	v_bitop3_b32 v8, v23, v39, s6 bitop3:0x48
	v_cmp_eq_u32_e32 vcc, v8, v34
	s_and_b64 exec, exec, vcc
	s_cbranch_execz .LBB93_249
; %bb.253:                              ;   in Loop: Header=BB93_251 Depth=2
	ds_write_b64 v3, v[22:23] offset:3072
	s_branch .LBB93_249
.LBB93_254:                             ;   in Loop: Header=BB93_251 Depth=2
	v_lshl_add_u64 v[4:5], v[4:5], 0, s[84:85]
	v_cmp_le_u64_e32 vcc, s[30:31], v[4:5]
	s_mov_b64 s[50:51], 0
	s_orn2_b64 s[48:49], vcc, exec
	s_branch .LBB93_250
.LBB93_255:                             ;   in Loop: Header=BB93_15 Depth=1
	s_or_b64 exec, exec, s[44:45]
	s_andn2_b64 s[8:9], s[8:9], exec
	s_and_b64 s[30:31], s[46:47], exec
	s_or_b64 s[8:9], s[8:9], s[30:31]
.LBB93_256:                             ;   in Loop: Header=BB93_15 Depth=1
	s_or_b64 exec, exec, s[14:15]
	s_mov_b64 s[44:45], 0
	s_mov_b64 s[46:47], -1
.LBB93_257:                             ;   in Loop: Header=BB93_15 Depth=1
	s_orn2_b64 s[14:15], s[8:9], exec
.LBB93_258:                             ;   in Loop: Header=BB93_15 Depth=1
	s_or_b64 exec, exec, s[42:43]
	s_mov_b64 s[30:31], 0
	s_and_saveexec_b64 s[8:9], s[14:15]
	s_cbranch_execz .LBB93_269
; %bb.259:                              ;   in Loop: Header=BB93_15 Depth=1
	s_xor_b64 s[30:31], s[40:41], -1
	v_mov_b64_e32 v[4:5], 1
	v_mov_b32_e32 v2, 1
	s_and_saveexec_b64 s[14:15], s[30:31]
	s_cbranch_execz .LBB93_268
; %bb.260:                              ;   in Loop: Header=BB93_15 Depth=1
	v_cmp_ge_u64_e32 vcc, s[2:3], v[6:7]
	s_and_saveexec_b64 s[30:31], vcc
	s_xor_b64 s[30:31], exec, s[30:31]
	s_cbranch_execz .LBB93_265
; %bb.261:                              ;   in Loop: Header=BB93_15 Depth=1
	ds_read_b64 v[4:5], v3 offset:5120
	v_or_b32_e32 v34, s64, v34
	v_or_b32_e32 v39, s64, v39
	s_waitcnt lgkmcnt(0)
	v_cmp_ne_u64_e32 vcc, 0, v[4:5]
	s_cbranch_vccnz .LBB93_265
; %bb.262:                              ;   in Loop: Header=BB93_15 Depth=1
	s_mov_b64 s[40:41], exec
	v_readlane_b32 s42, v54, 8
	v_readlane_b32 s43, v54, 9
	s_and_b64 s[42:43], s[40:41], s[42:43]
	s_mov_b64 exec, s[42:43]
; %bb.263:                              ;   in Loop: Header=BB93_15 Depth=1
	v_mov_b64_e32 v[4:5], s[2:3]
	ds_write_b64 v3, v[4:5] offset:5128
; %bb.264:                              ;   in Loop: Header=BB93_15 Depth=1
	s_or_b64 exec, exec, s[40:41]
	s_waitcnt lgkmcnt(0)
	s_barrier
.LBB93_265:                             ;   in Loop: Header=BB93_15 Depth=1
	s_andn2_saveexec_b64 s[30:31], s[30:31]
; %bb.266:                              ;   in Loop: Header=BB93_15 Depth=1
	v_mov_b32_e32 v2, s3
	v_subrev_co_u32_e32 v6, vcc, s2, v6
	s_nop 1
	v_subb_co_u32_e32 v7, vcc, v7, v2, vcc
; %bb.267:                              ;   in Loop: Header=BB93_15 Depth=1
	s_or_b64 exec, exec, s[30:31]
	v_mov_b32_e32 v2, 8
	v_mov_b64_e32 v[4:5], v[6:7]
.LBB93_268:                             ;   in Loop: Header=BB93_15 Depth=1
	s_or_b64 exec, exec, s[14:15]
	s_mov_b64 s[30:31], exec
	v_mov_b64_e32 v[6:7], v[4:5]
.LBB93_269:                             ;   in Loop: Header=BB93_15 Depth=1
	s_or_b64 exec, exec, s[8:9]
	s_orn2_b64 s[8:9], s[30:31], exec
.LBB93_270:                             ;   in Loop: Header=BB93_15 Depth=1
	s_or_b64 exec, exec, s[22:23]
	s_andn2_b64 s[2:3], s[36:37], exec
	s_and_b64 s[14:15], s[46:47], exec
	s_or_b64 s[36:37], s[2:3], s[14:15]
	s_andn2_b64 s[2:3], s[34:35], exec
	s_and_b64 s[14:15], s[44:45], exec
	s_or_b64 s[34:35], s[2:3], s[14:15]
	s_and_b64 s[14:15], s[8:9], exec
	v_mov_b64_e32 v[4:5], v[6:7]
.LBB93_271:                             ;   in Loop: Header=BB93_15 Depth=1
	s_or_b64 exec, exec, s[38:39]
	s_orn2_b64 s[8:9], s[14:15], exec
.LBB93_272:                             ;   in Loop: Header=BB93_15 Depth=1
	s_or_b64 exec, exec, s[28:29]
	s_andn2_b64 s[2:3], s[24:25], exec
	s_and_b64 s[14:15], s[36:37], exec
	s_or_b64 s[24:25], s[2:3], s[14:15]
	s_andn2_b64 s[0:1], s[0:1], exec
	s_and_b64 s[2:3], s[34:35], exec
	s_or_b64 s[0:1], s[0:1], s[2:3]
	s_and_b64 s[14:15], s[8:9], exec
	v_mov_b64_e32 v[8:9], v[4:5]
.LBB93_273:                             ;   in Loop: Header=BB93_15 Depth=1
	s_or_b64 exec, exec, s[26:27]
	s_orn2_b64 s[8:9], s[14:15], exec
.LBB93_274:                             ;   in Loop: Header=BB93_15 Depth=1
	s_or_b64 exec, exec, s[20:21]
	s_mov_b64 s[14:15], 0
	s_and_saveexec_b64 s[2:3], s[8:9]
	s_xor_b64 s[2:3], exec, s[2:3]
	s_cbranch_execz .LBB93_13
; %bb.275:                              ;   in Loop: Header=BB93_15 Depth=1
	v_and_b32_e32 v2, 7, v2
	v_cmp_eq_u32_e32 vcc, 0, v2
	s_mov_b64 s[8:9], -1
	s_mov_b64 s[14:15], -1
	s_and_saveexec_b64 s[18:19], vcc
	s_cbranch_execz .LBB93_12
; %bb.276:                              ;   in Loop: Header=BB93_15 Depth=1
	s_add_i32 s20, s7, -2
	s_cmp_eq_u32 s7, 0
	s_cselect_b64 s[8:9], -1, 0
	v_xor_b32_e32 v38, 1, v38
	s_xor_b64 s[14:15], exec, -1
	s_orn2_b64 s[8:9], s[8:9], exec
	s_mov_b32 s7, s20
	s_branch .LBB93_12
.LBB93_277:                             ;   in Loop: Header=BB93_15 Depth=1
                                        ; implicit-def: $sgpr30_sgpr31
	s_branch .LBB93_230
.LBB93_278:                             ;   in Loop: Header=BB93_15 Depth=1
                                        ; implicit-def: $sgpr14_sgpr15
	s_branch .LBB93_246
.LBB93_279:
	s_or_b64 exec, exec, s[76:77]
	s_xor_b64 s[6:7], s[82:83], -1
	s_xor_b64 s[0:1], s[60:61], -1
	;; [unrolled: 1-line block ×3, first 2 shown]
	s_mov_b64 s[2:3], 0
	s_and_saveexec_b64 s[8:9], s[0:1]
	s_xor_b64 s[0:1], exec, s[8:9]
	s_cbranch_execnz .LBB93_284
; %bb.280:
	s_andn2_saveexec_b64 s[0:1], s[0:1]
	s_cbranch_execnz .LBB93_297
.LBB93_281:
	s_or_b64 exec, exec, s[0:1]
	s_and_saveexec_b64 s[0:1], s[2:3]
.LBB93_282:
	; divergent unreachable
.LBB93_283:
	s_endpgm
.LBB93_284:
	s_and_saveexec_b64 s[2:3], s[6:7]
	s_xor_b64 s[2:3], exec, s[2:3]
	s_cbranch_execz .LBB93_295
; %bb.285:
	s_and_saveexec_b64 s[6:7], s[4:5]
	s_xor_b64 s[4:5], exec, s[6:7]
; %bb.286:
	v_xor_b32_e32 v25, 0x80000000, v34
; %bb.287:
	s_or_b64 exec, exec, s[4:5]
	v_readlane_b32 s6, v54, 2
	v_readlane_b32 s4, v54, 0
	;; [unrolled: 1-line block ×4, first 2 shown]
	s_mov_b32 s8, s4
	s_mul_i32 s4, s4, s7
	s_mul_hi_u32 s5, s8, s6
	s_add_i32 s5, s5, s4
	s_mul_i32 s4, s8, s6
	v_readlane_b32 s18, v54, 22
	v_readlane_b32 s12, v54, 18
	s_sub_u32 s4, s18, s4
	v_readlane_b32 s14, v54, 20
	v_readlane_b32 s15, v54, 21
	s_subb_u32 s5, 0, s5
	s_mul_i32 s6, s4, s15
	s_mul_hi_u32 s7, s4, s14
	v_readlane_b32 s13, v54, 19
	s_add_i32 s6, s7, s6
	s_mul_i32 s5, s5, s14
	s_add_i32 s5, s6, s5
	s_mul_i32 s6, s8, s13
	s_mul_hi_u32 s7, s8, s12
	s_add_i32 s7, s7, s6
	s_mul_i32 s6, s8, s12
	s_lshl_b64 s[6:7], s[6:7], 2
	v_readlane_b32 s8, v54, 12
	s_mul_i32 s4, s4, s14
	v_readlane_b32 s9, v54, 13
	s_add_u32 s6, s8, s6
	s_addc_u32 s7, s9, s7
	s_lshl_b64 s[4:5], s[4:5], 2
	s_add_u32 s4, s6, s4
	s_addc_u32 s5, s7, s5
	v_mov_b32_e32 v2, 0
	v_readlane_b32 s19, v54, 23
	global_store_dword v2, v25, s[4:5]
	s_mov_b64 s[4:5], exec
	v_readlane_b32 s6, v54, 24
	v_readlane_b32 s7, v54, 25
	s_and_b64 s[6:7], s[4:5], s[6:7]
	s_mov_b64 exec, s[6:7]
	s_cbranch_execz .LBB93_294
; %bb.288:
	s_mov_b64 s[6:7], 0
                                        ; implicit-def: $sgpr8_sgpr9
                                        ; implicit-def: $sgpr12_sgpr13
                                        ; implicit-def: $sgpr10_sgpr11
	s_branch .LBB93_290
.LBB93_289:                             ;   in Loop: Header=BB93_290 Depth=1
	s_or_b64 exec, exec, s[14:15]
	s_and_b64 s[14:15], exec, s[12:13]
	s_or_b64 s[6:7], s[14:15], s[6:7]
	s_andn2_b64 s[8:9], s[8:9], exec
	s_and_b64 s[14:15], s[10:11], exec
	s_or_b64 s[8:9], s[8:9], s[14:15]
	s_andn2_b64 exec, exec, s[6:7]
	s_cbranch_execz .LBB93_292
.LBB93_290:                             ; =>This Inner Loop Header: Depth=1
	v_mov_b64_e32 v[2:3], v[0:1]
	v_mul_lo_u32 v4, v3, s72
	v_mul_lo_u32 v5, v2, s73
	v_mad_u64_u32 v[0:1], s[14:15], v2, s72, 0
	v_add3_u32 v1, v1, v5, v4
	v_lshl_add_u64 v[0:1], v[0:1], 2, s[80:81]
	global_load_dword v0, v[0:1], off
	s_or_b64 s[10:11], s[10:11], exec
	s_or_b64 s[12:13], s[12:13], exec
	s_waitcnt vmcnt(0)
	v_cmp_ne_u32_e32 vcc, v0, v25
                                        ; implicit-def: $vgpr0_vgpr1
	s_and_saveexec_b64 s[14:15], vcc
	s_cbranch_execz .LBB93_289
; %bb.291:                              ;   in Loop: Header=BB93_290 Depth=1
	v_lshl_add_u64 v[0:1], v[2:3], 0, s[84:85]
	v_cmp_le_u64_e32 vcc, s[56:57], v[0:1]
	s_andn2_b64 s[12:13], s[12:13], exec
	s_and_b64 s[16:17], vcc, exec
	s_andn2_b64 s[10:11], s[10:11], exec
	s_or_b64 s[12:13], s[12:13], s[16:17]
	s_branch .LBB93_289
.LBB93_292:
	s_or_b64 exec, exec, s[6:7]
	s_and_saveexec_b64 s[6:7], s[8:9]
	s_xor_b64 s[6:7], exec, s[6:7]
	s_cbranch_execz .LBB93_294
; %bb.293:
	v_readlane_b32 s8, v54, 6
	v_readlane_b32 s6, v54, 4
	;; [unrolled: 1-line block ×4, first 2 shown]
	s_mov_b32 s10, s6
	s_mul_i32 s6, s6, s9
	s_mul_hi_u32 s7, s10, s8
	s_add_i32 s7, s7, s6
	s_mul_i32 s6, s10, s8
	v_readlane_b32 s12, v54, 14
	s_sub_u32 s6, s18, s6
	v_readlane_b32 s14, v54, 16
	v_readlane_b32 s15, v54, 17
	s_subb_u32 s7, 0, s7
	s_mul_i32 s8, s6, s15
	s_mul_hi_u32 s9, s6, s14
	v_readlane_b32 s13, v54, 15
	s_add_i32 s8, s9, s8
	s_mul_i32 s7, s7, s14
	s_add_i32 s7, s8, s7
	s_mul_i32 s8, s10, s13
	s_mul_hi_u32 s9, s10, s12
	s_add_i32 s9, s9, s8
	s_mul_i32 s8, s10, s12
	s_lshl_b64 s[8:9], s[8:9], 3
	v_readlane_b32 s10, v54, 10
	s_mul_i32 s6, s6, s14
	v_readlane_b32 s11, v54, 11
	s_add_u32 s8, s10, s8
	s_addc_u32 s9, s11, s9
	s_lshl_b64 s[6:7], s[6:7], 3
	s_add_u32 s6, s8, s6
	s_addc_u32 s7, s9, s7
	v_mov_b32_e32 v0, 0
	global_store_dwordx2 v0, v[2:3], s[6:7]
.LBB93_294:
	s_or_b64 exec, exec, s[4:5]
.LBB93_295:
	s_or_saveexec_b64 s[2:3], s[2:3]
	s_mov_b64 s[4:5], 0
	s_xor_b64 exec, exec, s[2:3]
	s_cbranch_execnz .LBB93_298
.LBB93_296:
	s_or_b64 exec, exec, s[2:3]
	s_and_b64 s[2:3], s[4:5], exec
	s_andn2_saveexec_b64 s[0:1], s[0:1]
	s_cbranch_execz .LBB93_281
.LBB93_297:
	s_or_b64 s[2:3], s[2:3], exec
	s_trap 2
	s_or_b64 exec, exec, s[0:1]
	s_and_saveexec_b64 s[0:1], s[2:3]
	s_cbranch_execnz .LBB93_282
	s_branch .LBB93_283
.LBB93_298:
	s_mov_b64 s[4:5], exec
	s_trap 2
	s_branch .LBB93_296
	.section	.rodata,"a",@progbits
	.p2align	6, 0x0
	.amdhsa_kernel _ZN2at6native12_GLOBAL__N_112gatherMedianIimLi2EEEvNS_4cuda6detail10TensorInfoIT_T0_EENS5_IlS7_EENS5_IKS6_S7_EES7_S7_S7_b
		.amdhsa_group_segment_fixed_size 5152
		.amdhsa_private_segment_fixed_size 0
		.amdhsa_kernarg_size 1536
		.amdhsa_user_sgpr_count 2
		.amdhsa_user_sgpr_dispatch_ptr 0
		.amdhsa_user_sgpr_queue_ptr 0
		.amdhsa_user_sgpr_kernarg_segment_ptr 1
		.amdhsa_user_sgpr_dispatch_id 0
		.amdhsa_user_sgpr_kernarg_preload_length 0
		.amdhsa_user_sgpr_kernarg_preload_offset 0
		.amdhsa_user_sgpr_private_segment_size 0
		.amdhsa_uses_dynamic_stack 0
		.amdhsa_enable_private_segment 0
		.amdhsa_system_sgpr_workgroup_id_x 1
		.amdhsa_system_sgpr_workgroup_id_y 1
		.amdhsa_system_sgpr_workgroup_id_z 1
		.amdhsa_system_sgpr_workgroup_info 0
		.amdhsa_system_vgpr_workitem_id 0
		.amdhsa_next_free_vgpr 55
		.amdhsa_next_free_sgpr 100
		.amdhsa_accum_offset 56
		.amdhsa_reserve_vcc 1
		.amdhsa_float_round_mode_32 0
		.amdhsa_float_round_mode_16_64 0
		.amdhsa_float_denorm_mode_32 3
		.amdhsa_float_denorm_mode_16_64 3
		.amdhsa_dx10_clamp 1
		.amdhsa_ieee_mode 1
		.amdhsa_fp16_overflow 0
		.amdhsa_tg_split 0
		.amdhsa_exception_fp_ieee_invalid_op 0
		.amdhsa_exception_fp_denorm_src 0
		.amdhsa_exception_fp_ieee_div_zero 0
		.amdhsa_exception_fp_ieee_overflow 0
		.amdhsa_exception_fp_ieee_underflow 0
		.amdhsa_exception_fp_ieee_inexact 0
		.amdhsa_exception_int_div_zero 0
	.end_amdhsa_kernel
	.section	.text._ZN2at6native12_GLOBAL__N_112gatherMedianIimLi2EEEvNS_4cuda6detail10TensorInfoIT_T0_EENS5_IlS7_EENS5_IKS6_S7_EES7_S7_S7_b,"axG",@progbits,_ZN2at6native12_GLOBAL__N_112gatherMedianIimLi2EEEvNS_4cuda6detail10TensorInfoIT_T0_EENS5_IlS7_EENS5_IKS6_S7_EES7_S7_S7_b,comdat
.Lfunc_end93:
	.size	_ZN2at6native12_GLOBAL__N_112gatherMedianIimLi2EEEvNS_4cuda6detail10TensorInfoIT_T0_EENS5_IlS7_EENS5_IKS6_S7_EES7_S7_S7_b, .Lfunc_end93-_ZN2at6native12_GLOBAL__N_112gatherMedianIimLi2EEEvNS_4cuda6detail10TensorInfoIT_T0_EENS5_IlS7_EENS5_IKS6_S7_EES7_S7_S7_b
                                        ; -- End function
	.set _ZN2at6native12_GLOBAL__N_112gatherMedianIimLi2EEEvNS_4cuda6detail10TensorInfoIT_T0_EENS5_IlS7_EENS5_IKS6_S7_EES7_S7_S7_b.num_vgpr, 55
	.set _ZN2at6native12_GLOBAL__N_112gatherMedianIimLi2EEEvNS_4cuda6detail10TensorInfoIT_T0_EENS5_IlS7_EENS5_IKS6_S7_EES7_S7_S7_b.num_agpr, 0
	.set _ZN2at6native12_GLOBAL__N_112gatherMedianIimLi2EEEvNS_4cuda6detail10TensorInfoIT_T0_EENS5_IlS7_EENS5_IKS6_S7_EES7_S7_S7_b.numbered_sgpr, 100
	.set _ZN2at6native12_GLOBAL__N_112gatherMedianIimLi2EEEvNS_4cuda6detail10TensorInfoIT_T0_EENS5_IlS7_EENS5_IKS6_S7_EES7_S7_S7_b.num_named_barrier, 0
	.set _ZN2at6native12_GLOBAL__N_112gatherMedianIimLi2EEEvNS_4cuda6detail10TensorInfoIT_T0_EENS5_IlS7_EENS5_IKS6_S7_EES7_S7_S7_b.private_seg_size, 0
	.set _ZN2at6native12_GLOBAL__N_112gatherMedianIimLi2EEEvNS_4cuda6detail10TensorInfoIT_T0_EENS5_IlS7_EENS5_IKS6_S7_EES7_S7_S7_b.uses_vcc, 1
	.set _ZN2at6native12_GLOBAL__N_112gatherMedianIimLi2EEEvNS_4cuda6detail10TensorInfoIT_T0_EENS5_IlS7_EENS5_IKS6_S7_EES7_S7_S7_b.uses_flat_scratch, 0
	.set _ZN2at6native12_GLOBAL__N_112gatherMedianIimLi2EEEvNS_4cuda6detail10TensorInfoIT_T0_EENS5_IlS7_EENS5_IKS6_S7_EES7_S7_S7_b.has_dyn_sized_stack, 0
	.set _ZN2at6native12_GLOBAL__N_112gatherMedianIimLi2EEEvNS_4cuda6detail10TensorInfoIT_T0_EENS5_IlS7_EENS5_IKS6_S7_EES7_S7_S7_b.has_recursion, 0
	.set _ZN2at6native12_GLOBAL__N_112gatherMedianIimLi2EEEvNS_4cuda6detail10TensorInfoIT_T0_EENS5_IlS7_EENS5_IKS6_S7_EES7_S7_S7_b.has_indirect_call, 0
	.section	.AMDGPU.csdata,"",@progbits
; Kernel info:
; codeLenInByte = 15284
; TotalNumSgprs: 106
; NumVgprs: 55
; NumAgprs: 0
; TotalNumVgprs: 55
; ScratchSize: 0
; MemoryBound: 0
; FloatMode: 240
; IeeeMode: 1
; LDSByteSize: 5152 bytes/workgroup (compile time only)
; SGPRBlocks: 13
; VGPRBlocks: 6
; NumSGPRsForWavesPerEU: 106
; NumVGPRsForWavesPerEU: 55
; AccumOffset: 56
; Occupancy: 7
; WaveLimiterHint : 1
; COMPUTE_PGM_RSRC2:SCRATCH_EN: 0
; COMPUTE_PGM_RSRC2:USER_SGPR: 2
; COMPUTE_PGM_RSRC2:TRAP_HANDLER: 0
; COMPUTE_PGM_RSRC2:TGID_X_EN: 1
; COMPUTE_PGM_RSRC2:TGID_Y_EN: 1
; COMPUTE_PGM_RSRC2:TGID_Z_EN: 1
; COMPUTE_PGM_RSRC2:TIDIG_COMP_CNT: 0
; COMPUTE_PGM_RSRC3_GFX90A:ACCUM_OFFSET: 13
; COMPUTE_PGM_RSRC3_GFX90A:TG_SPLIT: 0
	.section	.text._ZN2at6native12_GLOBAL__N_112gatherMedianIimLi3EEEvNS_4cuda6detail10TensorInfoIT_T0_EENS5_IlS7_EENS5_IKS6_S7_EES7_S7_S7_b,"axG",@progbits,_ZN2at6native12_GLOBAL__N_112gatherMedianIimLi3EEEvNS_4cuda6detail10TensorInfoIT_T0_EENS5_IlS7_EENS5_IKS6_S7_EES7_S7_S7_b,comdat
	.globl	_ZN2at6native12_GLOBAL__N_112gatherMedianIimLi3EEEvNS_4cuda6detail10TensorInfoIT_T0_EENS5_IlS7_EENS5_IKS6_S7_EES7_S7_S7_b ; -- Begin function _ZN2at6native12_GLOBAL__N_112gatherMedianIimLi3EEEvNS_4cuda6detail10TensorInfoIT_T0_EENS5_IlS7_EENS5_IKS6_S7_EES7_S7_S7_b
	.p2align	8
	.type	_ZN2at6native12_GLOBAL__N_112gatherMedianIimLi3EEEvNS_4cuda6detail10TensorInfoIT_T0_EENS5_IlS7_EENS5_IKS6_S7_EES7_S7_S7_b,@function
_ZN2at6native12_GLOBAL__N_112gatherMedianIimLi3EEEvNS_4cuda6detail10TensorInfoIT_T0_EENS5_IlS7_EENS5_IKS6_S7_EES7_S7_S7_b: ; @_ZN2at6native12_GLOBAL__N_112gatherMedianIimLi3EEEvNS_4cuda6detail10TensorInfoIT_T0_EENS5_IlS7_EENS5_IKS6_S7_EES7_S7_S7_b
; %bb.0:
	s_load_dwordx2 s[12:13], s[0:1], 0x500
	s_load_dwordx4 s[56:59], s[0:1], 0x4e0
	s_add_u32 s16, s0, 0x500
	s_addc_u32 s17, s1, 0
	s_mov_b32 s31, 0
	s_waitcnt lgkmcnt(0)
	s_mul_i32 s4, s13, s4
	s_add_i32 s3, s4, s3
	s_mul_i32 s3, s3, s12
	s_add_i32 s30, s3, s2
	v_mov_b64_e32 v[2:3], s[30:31]
	v_cmp_le_u64_e32 vcc, s[58:59], v[2:3]
	s_cbranch_vccnz .LBB94_289
; %bb.1:
	s_load_dwordx4 s[4:7], s[0:1], 0x10
	s_mov_b64 s[8:9], 0
                                        ; implicit-def: $vgpr54 : SGPR spill to VGPR lane
	v_writelane_b32 v54, s8, 0
	s_waitcnt lgkmcnt(0)
	v_mov_b64_e32 v[2:3], s[6:7]
	v_writelane_b32 v54, s9, 1
	v_writelane_b32 v54, s4, 2
	v_cmp_lt_u64_e32 vcc, s[30:31], v[2:3]
	s_and_b64 vcc, exec, vcc
	v_writelane_b32 v54, s5, 3
	s_mov_b64 s[8:9], 0
	v_writelane_b32 v54, s6, 4
	v_writelane_b32 v54, s7, 5
	s_cbranch_vccnz .LBB94_3
; %bb.2:
	v_cvt_f32_u32_e32 v1, s6
	s_sub_i32 s3, 0, s6
	s_load_dwordx4 s[8:11], s[0:1], 0x10
	v_rcp_iflag_f32_e32 v1, v1
	s_nop 0
	v_mul_f32_e32 v1, 0x4f7ffffe, v1
	v_cvt_u32_f32_e32 v1, v1
	s_nop 0
	v_readfirstlane_b32 s4, v1
	s_mul_i32 s3, s3, s4
	s_mul_hi_u32 s3, s4, s3
	s_add_i32 s4, s4, s3
	s_mul_hi_u32 s3, s30, s4
	s_waitcnt lgkmcnt(0)
	s_mul_i32 s5, s3, s10
	s_load_dwordx4 s[8:11], s[0:1], 0x10
	s_sub_i32 s5, s30, s5
	s_add_i32 s4, s3, 1
	s_waitcnt lgkmcnt(0)
	s_sub_i32 s6, s5, s10
	s_load_dwordx4 s[8:11], s[0:1], 0x10
	s_waitcnt lgkmcnt(0)
	s_cmp_ge_u32 s5, s10
	s_load_dwordx4 s[8:11], s[0:1], 0x10
	s_cselect_b32 s3, s4, s3
	s_cselect_b32 s5, s6, s5
	s_add_i32 s4, s3, 1
	s_waitcnt lgkmcnt(0)
	s_mov_b32 s9, 0
	s_cmp_ge_u32 s5, s10
	s_cselect_b32 s8, s4, s3
	s_load_dwordx4 s[4:7], s[0:1], 0x10
.LBB94_3:
	s_waitcnt lgkmcnt(0)
	s_mov_b64 s[6:7], s[8:9]
	s_load_dwordx4 s[8:11], s[0:1], 0x1b0
	v_writelane_b32 v54, s6, 6
	v_mov_b64_e32 v[2:3], s[4:5]
	s_nop 0
	v_writelane_b32 v54, s7, 7
	s_waitcnt lgkmcnt(0)
	v_writelane_b32 v54, s8, 8
	v_cmp_lt_u64_e32 vcc, s[6:7], v[2:3]
	s_nop 0
	v_writelane_b32 v54, s9, 9
	v_writelane_b32 v54, s10, 10
	;; [unrolled: 1-line block ×3, first 2 shown]
	s_cbranch_vccnz .LBB94_5
; %bb.4:
	s_load_dwordx4 s[4:7], s[0:1], 0x10
	s_waitcnt lgkmcnt(0)
	s_mov_b64 s[10:11], s[6:7]
	s_mov_b64 s[8:9], s[4:5]
	v_cvt_f32_u32_e32 v1, s8
	s_sub_i32 s3, 0, s8
	v_readlane_b32 s6, v54, 6
	v_readlane_b32 s7, v54, 7
	v_rcp_iflag_f32_e32 v1, v1
	s_nop 0
	v_mul_f32_e32 v1, 0x4f7ffffe, v1
	v_cvt_u32_f32_e32 v1, v1
	s_nop 0
	v_readfirstlane_b32 s4, v1
	s_mul_i32 s3, s3, s4
	s_mul_hi_u32 s3, s4, s3
	s_add_i32 s4, s4, s3
	s_mul_hi_u32 s3, s6, s4
	s_mul_i32 s5, s3, s8
	s_sub_i32 s5, s6, s5
	s_add_i32 s4, s3, 1
	s_sub_i32 s6, s5, s8
	s_cmp_ge_u32 s5, s8
	s_cselect_b32 s3, s4, s3
	s_cselect_b32 s5, s6, s5
	s_add_i32 s4, s3, 1
	s_cmp_ge_u32 s5, s8
	s_load_dwordx4 s[8:11], s[0:1], 0x1b0
	s_cselect_b32 s4, s4, s3
	v_writelane_b32 v54, s4, 0
	s_nop 1
	v_writelane_b32 v54, s5, 1
.LBB94_5:
	s_waitcnt lgkmcnt(0)
	v_mov_b64_e32 v[2:3], s[10:11]
	v_cmp_lt_u64_e32 vcc, s[30:31], v[2:3]
	s_mov_b64 s[4:5], 0
	v_writelane_b32 v54, s4, 12
	s_mov_b64 s[14:15], 0
	s_nop 0
	v_writelane_b32 v54, s5, 13
	s_cbranch_vccnz .LBB94_7
; %bb.6:
	v_cvt_f32_u32_e32 v1, s10
	s_sub_i32 s3, 0, s10
	s_mov_b32 s15, 0
	v_rcp_iflag_f32_e32 v1, v1
	s_nop 0
	v_mul_f32_e32 v1, 0x4f7ffffe, v1
	v_cvt_u32_f32_e32 v1, v1
	s_nop 0
	v_readfirstlane_b32 s4, v1
	s_mul_i32 s3, s3, s4
	s_mul_hi_u32 s3, s4, s3
	s_add_i32 s4, s4, s3
	s_mul_hi_u32 s3, s30, s4
	s_mul_i32 s5, s3, s10
	s_sub_i32 s5, s30, s5
	s_add_i32 s4, s3, 1
	s_sub_i32 s6, s5, s10
	s_cmp_ge_u32 s5, s10
	s_cselect_b32 s3, s4, s3
	s_cselect_b32 s5, s6, s5
	s_add_i32 s4, s3, 1
	s_cmp_ge_u32 s5, s10
	s_cselect_b32 s14, s4, s3
.LBB94_7:
	s_load_dwordx4 s[4:7], s[0:1], 0x350
	v_mov_b64_e32 v[2:3], s[8:9]
	v_cmp_lt_u64_e32 vcc, s[14:15], v[2:3]
	s_cbranch_vccnz .LBB94_9
; %bb.8:
	s_load_dwordx4 s[8:11], s[0:1], 0x1b0
	s_waitcnt lgkmcnt(0)
	s_mov_b64 s[22:23], s[10:11]
	s_mov_b64 s[20:21], s[8:9]
	v_cvt_f32_u32_e32 v1, s20
	s_sub_i32 s3, 0, s20
	v_rcp_iflag_f32_e32 v1, v1
	s_nop 0
	v_mul_f32_e32 v1, 0x4f7ffffe, v1
	v_cvt_u32_f32_e32 v1, v1
	s_nop 0
	v_readfirstlane_b32 s8, v1
	s_mul_i32 s3, s3, s8
	s_mul_hi_u32 s3, s8, s3
	s_add_i32 s8, s8, s3
	s_mul_hi_u32 s3, s14, s8
	s_mul_i32 s9, s3, s20
	s_sub_i32 s9, s14, s9
	s_add_i32 s8, s3, 1
	s_sub_i32 s10, s9, s20
	s_cmp_ge_u32 s9, s20
	s_cselect_b32 s3, s8, s3
	s_cselect_b32 s9, s10, s9
	s_add_i32 s8, s3, 1
	s_cmp_ge_u32 s9, s20
	s_cselect_b32 s8, s8, s3
	v_writelane_b32 v54, s8, 12
	s_nop 1
	v_writelane_b32 v54, s9, 13
.LBB94_9:
	s_load_dwordx2 s[84:85], s[0:1], 0x4f0
	s_waitcnt lgkmcnt(0)
	v_mov_b64_e32 v[2:3], s[6:7]
	v_writelane_b32 v54, s14, 14
	v_cmp_lt_u64_e32 vcc, s[30:31], v[2:3]
	s_nop 0
	v_writelane_b32 v54, s15, 15
	s_mov_b64 s[14:15], 0
	s_mov_b64 s[18:19], 0
	s_cbranch_vccnz .LBB94_11
; %bb.10:
	v_cvt_f32_u32_e32 v1, s6
	s_sub_i32 s3, 0, s6
	s_mov_b32 s19, 0
	v_rcp_iflag_f32_e32 v1, v1
	s_nop 0
	v_mul_f32_e32 v1, 0x4f7ffffe, v1
	v_cvt_u32_f32_e32 v1, v1
	s_nop 0
	v_readfirstlane_b32 s8, v1
	s_mul_i32 s3, s3, s8
	s_mul_hi_u32 s3, s8, s3
	s_add_i32 s8, s8, s3
	s_mul_hi_u32 s3, s30, s8
	s_mul_i32 s9, s3, s6
	s_sub_i32 s9, s30, s9
	s_add_i32 s8, s3, 1
	s_sub_i32 s10, s9, s6
	s_cmp_ge_u32 s9, s6
	s_cselect_b32 s3, s8, s3
	s_cselect_b32 s9, s10, s9
	s_add_i32 s8, s3, 1
	s_cmp_ge_u32 s9, s6
	s_cselect_b32 s18, s8, s3
.LBB94_11:
	s_load_dwordx2 s[22:23], s[0:1], 0x420
	s_load_dwordx4 s[8:11], s[0:1], 0x410
	v_mov_b64_e32 v[2:3], s[4:5]
	v_cmp_lt_u64_e32 vcc, s[18:19], v[2:3]
	s_cbranch_vccnz .LBB94_13
; %bb.12:
	v_cvt_f32_u32_e32 v1, s4
	s_sub_i32 s3, 0, s4
	v_rcp_iflag_f32_e32 v1, v1
	s_nop 0
	v_mul_f32_e32 v1, 0x4f7ffffe, v1
	v_cvt_u32_f32_e32 v1, v1
	s_nop 0
	v_readfirstlane_b32 s13, v1
	s_mul_i32 s3, s3, s13
	s_mul_hi_u32 s3, s13, s3
	s_add_i32 s13, s13, s3
	s_mul_hi_u32 s3, s18, s13
	s_mul_i32 s14, s3, s4
	s_sub_i32 s14, s18, s14
	s_add_i32 s13, s3, 1
	s_sub_i32 s15, s14, s4
	s_cmp_ge_u32 s14, s4
	s_cselect_b32 s3, s13, s3
	s_cselect_b32 s14, s15, s14
	s_add_i32 s13, s3, 1
	s_cmp_ge_u32 s14, s4
	s_cselect_b32 s14, s13, s3
.LBB94_13:
	s_load_dwordx2 s[20:21], s[0:1], 0x280
	s_load_dwordx4 s[24:27], s[0:1], 0x270
	s_waitcnt lgkmcnt(0)
	v_writelane_b32 v54, s20, 16
	s_nop 1
	v_writelane_b32 v54, s21, 17
	v_writelane_b32 v54, s24, 18
	s_load_dwordx2 s[20:21], s[0:1], 0xe0
	s_nop 0
	v_writelane_b32 v54, s25, 19
	v_writelane_b32 v54, s26, 20
	;; [unrolled: 1-line block ×3, first 2 shown]
	s_load_dwordx4 s[24:27], s[0:1], 0xd0
	s_waitcnt lgkmcnt(0)
	v_writelane_b32 v54, s20, 22
	s_nop 1
	v_writelane_b32 v54, s21, 23
	v_writelane_b32 v54, s24, 24
	s_nop 1
	v_writelane_b32 v54, s25, 25
	v_writelane_b32 v54, s26, 26
	;; [unrolled: 1-line block ×3, first 2 shown]
	s_load_dwordx2 s[24:25], s[0:1], 0x340
	v_cmp_eq_u32_e64 s[26:27], 0, v0
	s_mov_b64 s[20:21], exec
	s_nop 0
	v_writelane_b32 v54, s26, 28
	s_nop 1
	v_writelane_b32 v54, s27, 29
	s_and_b64 s[26:27], s[20:21], s[26:27]
	s_mov_b64 exec, s[26:27]
; %bb.14:
	v_mov_b32_e32 v2, 0
	v_mov_b32_e32 v3, v2
	ds_write_b64 v2, v[2:3] offset:5136
; %bb.15:
	s_or_b64 exec, exec, s[20:21]
	s_load_dwordx2 s[20:21], s[0:1], 0x1a0
	v_mov_b32_e32 v3, 0
	s_waitcnt lgkmcnt(0)
	s_barrier
	v_writelane_b32 v54, s20, 30
	s_barrier
	s_nop 0
	v_writelane_b32 v54, s21, 31
	s_load_dwordx2 s[20:21], s[0:1], 0x0
	s_waitcnt lgkmcnt(0)
	ds_read_b64 v[4:5], v3 offset:5136
	v_writelane_b32 v54, s20, 32
	s_nop 1
	v_writelane_b32 v54, s21, 33
	s_waitcnt lgkmcnt(0)
	v_readfirstlane_b32 s20, v4
	v_readfirstlane_b32 s21, v5
	s_mov_b64 s[26:27], exec
	v_readlane_b32 s28, v54, 28
	v_readlane_b32 s29, v54, 29
	s_and_b64 s[28:29], s[26:27], s[28:29]
	s_mov_b64 exec, s[28:29]
	s_cbranch_execz .LBB94_17
; %bb.16:
	v_mov_b32_e32 v4, s56
	v_mov_b32_e32 v5, s57
	;; [unrolled: 1-line block ×3, first 2 shown]
	ds_write_b32 v3, v3 offset:5144
	ds_write_b128 v3, v[2:5] offset:5120
.LBB94_17:
	s_or_b64 exec, exec, s[26:27]
	s_load_dword s3, s[0:1], 0x4f8
	v_cmp_lt_i64_e64 s[0:1], s[20:21], 1
	s_mul_i32 s7, s18, s7
	v_mov_b32_e32 v1, v3
	v_mbcnt_lo_u32_b32 v2, -1, 0
	s_waitcnt lgkmcnt(0)
	s_bitcmp1_b32 s3, 0
	s_cselect_b64 s[26:27], -1, 0
	s_not_b64 s[20:21], s[20:21]
	s_or_b64 s[0:1], s[26:27], s[0:1]
	s_add_u32 s20, s56, s20
	s_addc_u32 s21, s57, s21
	s_lshr_b64 s[20:21], s[20:21], 1
	s_add_u32 s3, s20, 1
	s_addc_u32 s13, s21, 0
	s_and_b64 s[0:1], s[0:1], exec
	s_mul_hi_u32 s0, s18, s6
	s_cselect_b32 s21, s13, s57
	s_cselect_b32 s20, s3, s56
	s_add_i32 s0, s0, s7
	s_mul_i32 s1, s18, s6
	s_mov_b32 s6, s30
	v_writelane_b32 v54, s6, 34
	s_sub_u32 s3, s30, s1
	s_subb_u32 s0, 0, s0
	v_writelane_b32 v54, s7, 35
	s_mul_i32 s1, s3, s23
	s_mul_hi_u32 s6, s3, s22
	s_add_i32 s1, s6, s1
	s_mul_i32 s0, s0, s22
	s_add_i32 s1, s1, s0
	s_mul_i32 s0, s3, s22
	s_mul_i32 s3, s14, s5
	s_mul_hi_u32 s5, s14, s4
	s_add_i32 s5, s5, s3
	s_mul_i32 s3, s14, s4
	s_sub_u32 s3, s18, s3
	s_subb_u32 s4, s19, s5
	s_mul_i32 s5, s3, s11
	s_mul_hi_u32 s6, s3, s10
	s_add_i32 s5, s6, s5
	s_mul_i32 s4, s4, s10
	s_add_i32 s5, s5, s4
	s_mul_i32 s4, s3, s10
	s_mul_i32 s3, s14, s9
	s_mul_hi_u32 s6, s14, s8
	s_add_i32 s7, s6, s3
	s_mul_i32 s6, s14, s8
	s_lshl_b64 s[6:7], s[6:7], 2
	s_add_u32 s3, s24, s6
	s_addc_u32 s6, s25, s7
	s_lshl_b64 s[4:5], s[4:5], 2
	s_add_u32 s3, s3, s4
	s_addc_u32 s4, s6, s5
	;; [unrolled: 3-line block ×3, first 2 shown]
	v_cmp_gt_u64_e64 s[0:1], s[56:57], v[0:1]
	v_mbcnt_hi_u32_b32 v30, -1, v2
	v_cmp_gt_u32_e32 vcc, 64, v0
	v_writelane_b32 v54, s0, 36
	v_mov_b64_e32 v[4:5], 0x300
	s_nop 0
	v_writelane_b32 v54, s1, 37
	v_cmp_gt_i32_e64 s[0:1], 4, v30
	s_and_b64 s[88:89], vcc, s[0:1]
	v_cmp_gt_u32_e64 s[0:1], 2, v0
	s_barrier
	s_nop 0
	v_writelane_b32 v54, s0, 38
	s_mov_b32 s99, 0
	v_lshlrev_b32_e32 v12, 2, v0
	v_writelane_b32 v54, s1, 39
	v_cmp_gt_u64_e64 s[0:1], s[56:57], v[4:5]
	v_cmp_eq_u32_e64 s[4:5], 0, v30
	v_add_u32_e32 v31, 0xc00, v12
	v_writelane_b32 v54, s0, 40
	v_mov_b32_e32 v13, v3
	s_mov_b32 s97, s99
	v_writelane_b32 v54, s1, 41
	v_mad_u64_u32 v[4:5], s[0:1], s84, v0, 0
	v_mov_b32_e32 v2, v5
	v_mad_u64_u32 v[6:7], s[0:1], s85, v0, v[2:3]
	s_load_dword s0, s[16:17], 0xc
	v_lshlrev_b32_e32 v2, 2, v30
	v_and_b32_e32 v32, 0x100, v2
	v_lshrrev_b32_e32 v2, 1, v0
	v_mov_b32_e32 v5, v6
	s_waitcnt lgkmcnt(0)
	s_and_b32 s96, s0, 0xffff
	s_bfe_u32 s0, s0, 0xa0006
	v_and_b32_e32 v2, 0x1e0, v2
	v_lshl_add_u64 v[14:15], v[4:5], 2, s[94:95]
	v_lshlrev_b64 v[4:5], v30, -1
	s_cmp_gt_u32 s96, 63
	v_or_b32_e32 v33, 0xc00, v2
	v_add_u32_e32 v2, 2, v0
	v_not_b32_e32 v16, v4
	s_cselect_b64 s[6:7], -1, 0
	s_add_u32 s1, s96, -1
	v_mov_b32_e32 v4, s57
	v_cmp_gt_u64_e32 vcc, s[56:57], v[2:3]
	v_not_b32_e32 v17, v5
	v_writelane_b32 v54, s6, 42
	s_addc_u32 s3, 0, -1
	v_cndmask_b32_e32 v5, 0, v4, vcc
	v_mov_b32_e32 v4, s56
	v_writelane_b32 v54, s7, 43
	s_add_u32 s76, s1, s56
	v_cndmask_b32_e32 v4, v2, v4, vcc
	v_mov_b32_e32 v7, -1
	v_not_b32_e32 v6, v0
	v_writelane_b32 v54, s1, 44
	s_addc_u32 s69, s3, s57
	v_lshl_add_u64 v[4:5], v[4:5], 0, v[6:7]
	v_writelane_b32 v54, s3, 45
	s_cmp_lt_u32 s2, s12
	v_cmp_lt_u64_e64 s[2:3], 1, v[4:5]
	s_cselect_b32 s1, 12, 18
	v_and_b32_e32 v18, -2, v4
	v_writelane_b32 v54, s2, 46
	v_mov_b32_e32 v19, v5
	s_add_u32 s70, s16, s1
	v_writelane_b32 v54, s3, 47
	v_cmp_ne_u64_e64 s[2:3], v[4:5], v[18:19]
	s_addc_u32 s71, s17, 0
	s_add_i32 s1, s0, -1
	v_writelane_b32 v54, s2, 48
	s_and_b32 s1, s1, 0xffff
	v_mov_b32_e32 v2, 0xc00
	v_writelane_b32 v54, s3, 49
	s_bfe_u32 s2, s96, 0x30006
	s_cmp_gt_u32 s1, 6
	s_cselect_b64 s[6:7], -1, 0
	v_writelane_b32 v54, s6, 50
	s_and_b32 s86, s0, 0x3f8
	s_cmp_lg_u32 s2, 0
	v_writelane_b32 v54, s7, 51
	v_writelane_b32 v54, s2, 52
	s_cselect_b64 s[0:1], -1, 0
	v_lshl_add_u64 v[20:21], v[18:19], 0, v[0:1]
	s_mov_b32 s33, s84
	s_mov_b32 s77, s85
	v_writelane_b32 v54, s0, 53
	v_lshlrev_b32_e32 v35, 4, v0
	v_lshl_or_b32 v36, v30, 3, v2
	s_lshl_b32 s87, s96, 2
	s_mov_b32 s7, 30
	s_mov_b64 s[12:13], 0
	v_mov_b64_e32 v[26:27], s[20:21]
	s_brev_b32 s6, 1
	v_mov_b64_e32 v[40:41], s[56:57]
	v_mov_b32_e32 v22, 1
	v_mov_b32_e32 v37, 0x4f800000
	v_mov_b32_e32 v25, 0
	v_mov_b32_e32 v38, 0
	v_mov_b32_e32 v34, 0
	v_mov_b32_e32 v39, 0
	v_writelane_b32 v54, s1, 54
                                        ; implicit-def: $sgpr90_sgpr91
                                        ; implicit-def: $sgpr72_sgpr73
                                        ; implicit-def: $sgpr10_sgpr11
                                        ; implicit-def: $sgpr82_sgpr83
                                        ; implicit-def: $sgpr58_sgpr59
                                        ; implicit-def: $sgpr74_sgpr75
	s_branch .LBB94_21
.LBB94_18:                              ;   in Loop: Header=BB94_21 Depth=1
	s_or_b64 exec, exec, s[18:19]
	s_and_b64 s[14:15], s[14:15], exec
	s_andn2_b64 s[24:25], s[24:25], exec
	s_andn2_b64 s[0:1], s[0:1], exec
	s_orn2_b64 s[18:19], s[8:9], exec
.LBB94_19:                              ;   in Loop: Header=BB94_21 Depth=1
	s_or_b64 exec, exec, s[2:3]
	s_andn2_b64 s[2:3], s[74:75], exec
	s_and_b64 s[8:9], s[14:15], exec
	s_or_b64 s[74:75], s[2:3], s[8:9]
	s_andn2_b64 s[2:3], s[58:59], exec
	s_and_b64 s[8:9], s[24:25], exec
	s_or_b64 s[58:59], s[2:3], s[8:9]
	;; [unrolled: 3-line block ×3, first 2 shown]
	s_orn2_b64 s[0:1], s[18:19], exec
.LBB94_20:                              ;   in Loop: Header=BB94_21 Depth=1
	s_or_b64 exec, exec, s[16:17]
	s_and_b64 s[0:1], exec, s[0:1]
	s_or_b64 s[12:13], s[0:1], s[12:13]
	s_andn2_b64 s[0:1], s[10:11], exec
	s_and_b64 s[2:3], s[74:75], exec
	s_or_b64 s[10:11], s[0:1], s[2:3]
	s_andn2_b64 s[0:1], s[72:73], exec
	s_and_b64 s[2:3], s[58:59], exec
	s_or_b64 s[72:73], s[0:1], s[2:3]
	s_andn2_b64 s[0:1], s[90:91], exec
	s_and_b64 s[2:3], s[82:83], exec
	s_or_b64 s[90:91], s[0:1], s[2:3]
	v_mov_b64_e32 v[26:27], v[8:9]
	s_andn2_b64 exec, exec, s[12:13]
	s_cbranch_execz .LBB94_285
.LBB94_21:                              ; =>This Loop Header: Depth=1
                                        ;     Child Loop BB94_27 Depth 2
                                        ;     Child Loop BB94_41 Depth 2
	;; [unrolled: 1-line block ×17, first 2 shown]
	ds_read_b128 v[4:7], v3 offset:5120
	s_waitcnt lgkmcnt(0)
	v_readfirstlane_b32 s81, v5
	v_readfirstlane_b32 s80, v4
	s_cmp_lg_u64 s[80:81], 0
	s_cbranch_scc1 .LBB94_54
; %bb.22:                               ;   in Loop: Header=BB94_21 Depth=1
	v_readlane_b32 s0, v54, 40
	v_readlane_b32 s1, v54, 41
	s_and_b64 vcc, exec, s[0:1]
	s_cbranch_vccz .LBB94_35
; %bb.23:                               ;   in Loop: Header=BB94_21 Depth=1
	s_mov_b64 s[0:1], 0x301
	v_cmp_gt_u64_e32 vcc, s[0:1], v[6:7]
	s_mov_b64 s[8:9], 0
	s_mov_b64 s[0:1], 0
	s_cbranch_vccz .LBB94_36
; %bb.24:                               ;   in Loop: Header=BB94_21 Depth=1
	s_mov_b64 s[14:15], exec
	v_readlane_b32 s0, v54, 36
	v_readlane_b32 s1, v54, 37
	s_and_b64 s[0:1], s[14:15], s[0:1]
	s_mov_b64 exec, s[0:1]
	s_cbranch_execz .LBB94_152
; %bb.25:                               ;   in Loop: Header=BB94_21 Depth=1
	global_load_ushort v2, v3, s[70:71]
	global_load_dword v6, v[14:15], off
	s_mov_b64 s[16:17], 0
	v_mov_b64_e32 v[4:5], v[0:1]
	s_waitcnt vmcnt(1)
	v_and_b32_e32 v2, 0xffff, v2
	s_branch .LBB94_27
.LBB94_26:                              ;   in Loop: Header=BB94_27 Depth=2
	s_or_b64 exec, exec, s[2:3]
	v_mov_b32_e32 v6, v7
	s_andn2_b64 exec, exec, s[16:17]
	s_cbranch_execz .LBB94_152
.LBB94_27:                              ;   Parent Loop BB94_21 Depth=1
                                        ; =>  This Inner Loop Header: Depth=2
	v_lshl_add_u64 v[4:5], v[4:5], 0, v[2:3]
	v_cmp_gt_u64_e64 s[0:1], s[56:57], v[4:5]
	v_cmp_le_u64_e32 vcc, s[56:57], v[4:5]
	s_waitcnt lgkmcnt(0)
	v_mov_b32_e32 v8, 0
	v_mov_b32_e32 v7, 0
	s_and_saveexec_b64 s[2:3], s[0:1]
	s_cbranch_execz .LBB94_29
; %bb.28:                               ;   in Loop: Header=BB94_27 Depth=2
	v_mul_lo_u32 v7, v5, s84
	v_mul_lo_u32 v9, v4, s85
	v_mad_u64_u32 v[10:11], s[0:1], v4, s84, 0
	v_add3_u32 v11, v11, v9, v7
	v_lshl_add_u64 v[10:11], v[10:11], 2, s[94:95]
	global_load_dword v7, v[10:11], off
.LBB94_29:                              ;   in Loop: Header=BB94_27 Depth=2
	s_or_b64 exec, exec, s[2:3]
	s_waitcnt vmcnt(0)
	v_bitop3_b32 v9, v6, v39, s6 bitop3:0x48
	v_cmp_eq_u32_e64 s[0:1], v9, v34
	s_cmp_lg_u64 s[0:1], 0
	s_cselect_b64 s[2:3], -1, 0
	s_and_b64 s[2:3], s[4:5], s[2:3]
	s_and_saveexec_b64 s[18:19], s[2:3]
	s_cbranch_execz .LBB94_33
; %bb.30:                               ;   in Loop: Header=BB94_27 Depth=2
	s_mov_b64 s[22:23], exec
	v_mbcnt_lo_u32_b32 v8, s22, 0
	v_mbcnt_hi_u32_b32 v8, s23, v8
	s_bcnt1_i32_b64 s24, s[0:1]
	v_cmp_eq_u32_e64 s[2:3], 0, v8
                                        ; implicit-def: $vgpr9
	s_and_saveexec_b64 s[20:21], s[2:3]
; %bb.31:                               ;   in Loop: Header=BB94_27 Depth=2
	s_bcnt1_i32_b64 s2, s[22:23]
	s_mul_i32 s2, s24, s2
	v_mov_b32_e32 v9, s2
	ds_add_rtn_u32 v9, v3, v9 offset:5144
; %bb.32:                               ;   in Loop: Header=BB94_27 Depth=2
	s_or_b64 exec, exec, s[20:21]
	s_waitcnt lgkmcnt(0)
	v_readfirstlane_b32 s2, v9
	s_nop 1
	v_mov_b32_e32 v9, s2
	v_mad_u32_u24 v8, s24, v8, v9
.LBB94_33:                              ;   in Loop: Header=BB94_27 Depth=2
	s_or_b64 exec, exec, s[18:19]
	ds_bpermute_b32 v8, v32, v8
	s_and_b64 s[2:3], exec, vcc
	s_or_b64 s[16:17], s[2:3], s[16:17]
	s_and_saveexec_b64 s[2:3], s[0:1]
	s_cbranch_execz .LBB94_26
; %bb.34:                               ;   in Loop: Header=BB94_27 Depth=2
	v_and_b32_e32 v10, s0, v16
	v_and_b32_e32 v9, s1, v17
	v_bcnt_u32_b32 v10, v10, 0
	v_bcnt_u32_b32 v9, v9, v10
	v_lshlrev_b32_e32 v9, 2, v9
	s_waitcnt lgkmcnt(0)
	v_lshl_add_u32 v8, v8, 2, v9
	ds_write_b32 v8, v6
	s_branch .LBB94_26
.LBB94_35:                              ;   in Loop: Header=BB94_21 Depth=1
	s_mov_b64 s[8:9], -1
	s_mov_b64 s[0:1], 0
.LBB94_36:                              ;   in Loop: Header=BB94_21 Depth=1
	s_and_b64 vcc, exec, s[8:9]
	s_cbranch_vccz .LBB94_52
.LBB94_37:                              ;   in Loop: Header=BB94_21 Depth=1
	s_mov_b64 s[0:1], exec
	v_readlane_b32 s2, v54, 36
	v_readlane_b32 s3, v54, 37
	s_and_b64 s[2:3], s[0:1], s[2:3]
	s_mov_b64 exec, s[2:3]
	s_cbranch_execz .LBB94_49
; %bb.38:                               ;   in Loop: Header=BB94_21 Depth=1
	global_load_ushort v2, v3, s[70:71]
	global_load_dword v10, v[14:15], off
	v_mov_b32_e32 v6, v0
	s_waitcnt vmcnt(1)
	v_readfirstlane_b32 s8, v2
	v_add_u32_sdwa v2, v2, v0 dst_sel:DWORD dst_unused:UNUSED_PAD src0_sel:WORD_0 src1_sel:DWORD
	v_cmp_gt_u64_e32 vcc, s[56:57], v[2:3]
	s_and_saveexec_b64 s[2:3], vcc
	s_cbranch_execz .LBB94_48
; %bb.39:                               ;   in Loop: Header=BB94_21 Depth=1
	s_and_b32 s98, s8, 0xffff
	s_cmp_eq_u32 s98, 1
	v_readlane_b32 s14, v54, 46
	s_cselect_b64 s[8:9], -1, 0
	v_readlane_b32 s15, v54, 47
	s_and_b64 s[16:17], s[14:15], s[8:9]
	s_mov_b64 s[14:15], -1
	v_mov_b64_e32 v[8:9], v[0:1]
	v_mov_b64_e32 v[4:5], v[2:3]
                                        ; implicit-def: $vgpr11
                                        ; implicit-def: $vgpr6_vgpr7
	s_and_saveexec_b64 s[8:9], s[16:17]
	s_cbranch_execz .LBB94_43
; %bb.40:                               ;   in Loop: Header=BB94_21 Depth=1
	v_lshl_add_u64 v[4:5], v[2:3], 0, 1
	v_mov_b64_e32 v[6:7], v[4:5]
	s_mov_b64 s[14:15], 0
	v_mov_b64_e32 v[8:9], v[18:19]
	v_mov_b32_e32 v23, v12
	v_mov_b64_e32 v[4:5], v[2:3]
.LBB94_41:                              ;   Parent Loop BB94_21 Depth=1
                                        ; =>  This Inner Loop Header: Depth=2
	v_mul_lo_u32 v44, v5, s84
	v_mul_lo_u32 v45, v4, s85
	v_mad_u64_u32 v[42:43], s[16:17], v4, s84, 0
	v_mul_lo_u32 v11, v7, s33
	v_mul_lo_u32 v24, v6, s77
	v_mad_u64_u32 v[28:29], s[16:17], v6, s33, 0
	v_add3_u32 v43, v43, v45, v44
	v_add3_u32 v29, v29, v24, v11
	v_lshl_add_u64 v[42:43], v[42:43], 2, s[94:95]
	v_lshl_add_u64 v[28:29], v[28:29], 2, s[94:95]
	global_load_dword v24, v[42:43], off
	global_load_dword v11, v[28:29], off
	v_lshl_add_u64 v[8:9], v[8:9], 0, -2
	v_cmp_eq_u64_e32 vcc, 0, v[8:9]
	v_lshl_add_u64 v[6:7], v[6:7], 0, 2
	v_lshl_add_u64 v[4:5], v[4:5], 0, 2
	s_or_b64 s[14:15], vcc, s[14:15]
	s_waitcnt vmcnt(1)
	ds_write2_b32 v23, v10, v24 offset1:1
	v_add_u32_e32 v23, 8, v23
	s_waitcnt vmcnt(0)
	v_mov_b32_e32 v10, v11
	s_andn2_b64 exec, exec, s[14:15]
	s_cbranch_execnz .LBB94_41
; %bb.42:                               ;   in Loop: Header=BB94_21 Depth=1
	s_or_b64 exec, exec, s[14:15]
	v_readlane_b32 s14, v54, 48
	v_lshl_add_u64 v[4:5], v[2:3], 0, v[18:19]
	v_readlane_b32 s15, v54, 49
	v_lshl_add_u64 v[6:7], v[4:5], 0, -1
	s_orn2_b64 s[14:15], s[14:15], exec
	v_mov_b32_e32 v10, v11
	v_mov_b64_e32 v[8:9], v[20:21]
.LBB94_43:                              ;   in Loop: Header=BB94_21 Depth=1
	s_or_b64 exec, exec, s[8:9]
	s_and_saveexec_b64 s[8:9], s[14:15]
	s_cbranch_execz .LBB94_47
; %bb.44:                               ;   in Loop: Header=BB94_21 Depth=1
	s_sub_u32 s14, 0, s98
	s_mov_b64 s[16:17], 0
	s_subb_u32 s15, 0, 0
.LBB94_45:                              ;   Parent Loop BB94_21 Depth=1
                                        ; =>  This Inner Loop Header: Depth=2
	v_mov_b64_e32 v[6:7], v[4:5]
	v_mul_lo_u32 v2, v7, s84
	v_mul_lo_u32 v9, v6, s85
	v_mad_u64_u32 v[4:5], s[18:19], v6, s84, 0
	v_add3_u32 v5, v5, v9, v2
	v_lshl_add_u64 v[4:5], v[4:5], 2, s[94:95]
	global_load_dword v11, v[4:5], off
	v_lshl_add_u64 v[4:5], v[6:7], 0, s[98:99]
	v_lshlrev_b32_e32 v2, 2, v8
	v_cmp_le_u64_e32 vcc, s[56:57], v[4:5]
	s_waitcnt vmcnt(1)
	ds_write_b32 v2, v10
	v_mov_b64_e32 v[8:9], v[6:7]
	s_or_b64 s[16:17], vcc, s[16:17]
	s_waitcnt vmcnt(0)
	v_mov_b32_e32 v10, v11
	s_andn2_b64 exec, exec, s[16:17]
	s_cbranch_execnz .LBB94_45
; %bb.46:                               ;   in Loop: Header=BB94_21 Depth=1
	s_or_b64 exec, exec, s[16:17]
	v_lshl_add_u64 v[6:7], s[14:15], 0, v[4:5]
.LBB94_47:                              ;   in Loop: Header=BB94_21 Depth=1
	s_or_b64 exec, exec, s[8:9]
	s_waitcnt vmcnt(0)
	v_mov_b32_e32 v10, v11
.LBB94_48:                              ;   in Loop: Header=BB94_21 Depth=1
	s_or_b64 exec, exec, s[2:3]
	v_lshlrev_b32_e32 v2, 2, v6
	s_waitcnt vmcnt(0)
	ds_write_b32 v2, v10
.LBB94_49:                              ;   in Loop: Header=BB94_21 Depth=1
	s_or_b64 exec, exec, s[0:1]
	s_waitcnt lgkmcnt(0)
	s_barrier
	s_mov_b64 s[0:1], exec
	v_readlane_b32 s2, v54, 28
	v_readlane_b32 s3, v54, 29
	s_and_b64 s[2:3], s[0:1], s[2:3]
	s_mov_b64 exec, s[2:3]
; %bb.50:                               ;   in Loop: Header=BB94_21 Depth=1
	ds_write_b64 v3, v[40:41] offset:5120
; %bb.51:                               ;   in Loop: Header=BB94_21 Depth=1
	s_or_b64 exec, exec, s[0:1]
	s_mov_b64 s[0:1], -1
	s_waitcnt lgkmcnt(0)
	s_barrier
.LBB94_52:                              ;   in Loop: Header=BB94_21 Depth=1
	s_mov_b64 s[80:81], 0
	s_and_b64 vcc, exec, s[0:1]
	s_cbranch_vccz .LBB94_54
; %bb.53:                               ;   in Loop: Header=BB94_21 Depth=1
	ds_read_b64 v[4:5], v3 offset:5120
	s_waitcnt lgkmcnt(0)
	v_readfirstlane_b32 s80, v4
.LBB94_54:                              ;   in Loop: Header=BB94_21 Depth=1
	s_cmp_lt_i32 s80, 1
	s_mov_b64 s[0:1], -1
                                        ; implicit-def: $vgpr4_vgpr5
                                        ; implicit-def: $vgpr8_vgpr9
	s_cbranch_scc1 .LBB94_64
; %bb.55:                               ;   in Loop: Header=BB94_21 Depth=1
	s_and_b64 vcc, exec, s[0:1]
	s_cbranch_vccnz .LBB94_78
.LBB94_56:                              ;   in Loop: Header=BB94_21 Depth=1
	v_lshlrev_b32_e32 v2, 6, v38
	s_and_saveexec_b64 s[0:1], s[4:5]
	s_cbranch_execz .LBB94_58
.LBB94_57:                              ;   in Loop: Header=BB94_21 Depth=1
	v_lshl_add_u32 v23, v2, 3, v33
	ds_write_b128 v23, v[4:7]
	ds_write_b128 v23, v[8:11] offset:16
.LBB94_58:                              ;   in Loop: Header=BB94_21 Depth=1
	s_or_b64 exec, exec, s[0:1]
	s_waitcnt lgkmcnt(0)
	s_barrier
	s_and_saveexec_b64 s[0:1], s[88:89]
	s_cbranch_execz .LBB94_93
; %bb.59:                               ;   in Loop: Header=BB94_21 Depth=1
	v_readlane_b32 s2, v54, 42
	v_readlane_b32 s3, v54, 43
	s_andn2_b64 vcc, exec, s[2:3]
	v_mov_b64_e32 v[4:5], 0
	s_cbranch_vccnz .LBB94_92
; %bb.60:                               ;   in Loop: Header=BB94_21 Depth=1
	v_readlane_b32 s2, v54, 50
	v_readlane_b32 s3, v54, 51
	s_andn2_b64 vcc, exec, s[2:3]
	s_cbranch_vccnz .LBB94_88
; %bb.61:                               ;   in Loop: Header=BB94_21 Depth=1
	v_lshl_add_u32 v6, v38, 9, v36
	v_mov_b64_e32 v[4:5], 0
	s_mov_b32 s2, 0
.LBB94_62:                              ;   Parent Loop BB94_21 Depth=1
                                        ; =>  This Inner Loop Header: Depth=2
	ds_read2_b64 v[8:11], v6 offset1:4
	ds_read2_b64 v[42:45], v6 offset0:8 offset1:12
	ds_read2_b64 v[46:49], v6 offset0:16 offset1:20
	;; [unrolled: 1-line block ×3, first 2 shown]
	s_add_i32 s2, s2, 8
	s_waitcnt lgkmcnt(3)
	v_lshl_add_u64 v[4:5], v[8:9], 0, v[4:5]
	v_lshl_add_u64 v[4:5], v[10:11], 0, v[4:5]
	s_waitcnt lgkmcnt(2)
	v_lshl_add_u64 v[4:5], v[42:43], 0, v[4:5]
	v_lshl_add_u64 v[4:5], v[44:45], 0, v[4:5]
	;; [unrolled: 3-line block ×3, first 2 shown]
	s_waitcnt lgkmcnt(0)
	v_lshl_add_u64 v[4:5], v[50:51], 0, v[4:5]
	v_add_u32_e32 v6, 0x100, v6
	s_cmp_eq_u32 s86, s2
	v_lshl_add_u64 v[4:5], v[52:53], 0, v[4:5]
	s_cbranch_scc0 .LBB94_62
; %bb.63:                               ;   in Loop: Header=BB94_21 Depth=1
	s_mov_b32 s2, s86
	s_branch .LBB94_89
.LBB94_64:                              ;   in Loop: Header=BB94_21 Depth=1
	global_load_ushort v2, v3, s[70:71]
	s_mov_b32 s0, s99
	s_waitcnt vmcnt(0)
	v_readfirstlane_b32 s1, v2
	s_and_b32 s1, 0xffff, s1
	s_lshl_b32 s98, s1, 2
	s_mov_b32 s1, s57
	s_cmp_lg_u64 s[0:1], 0
	s_cbranch_scc0 .LBB94_87
; %bb.65:                               ;   in Loop: Header=BB94_21 Depth=1
	v_cvt_f32_u32_e32 v4, s98
	s_sub_u32 s2, 0, s98
	s_subb_u32 s3, 0, 0
	v_fmac_f32_e32 v4, 0, v37
	v_rcp_f32_e32 v4, v4
	s_nop 0
	v_mul_f32_e32 v4, 0x5f7ffffc, v4
	v_mul_f32_e32 v5, 0x2f800000, v4
	v_trunc_f32_e32 v5, v5
	v_fmac_f32_e32 v4, 0xcf800000, v5
	v_cvt_u32_f32_e32 v5, v5
	v_cvt_u32_f32_e32 v4, v4
	v_readfirstlane_b32 s8, v5
	v_readfirstlane_b32 s0, v4
	s_mul_i32 s1, s2, s8
	s_mul_hi_u32 s14, s2, s0
	s_mul_i32 s9, s3, s0
	s_add_i32 s1, s14, s1
	s_mul_i32 s15, s2, s0
	s_add_i32 s1, s1, s9
	s_mul_hi_u32 s14, s0, s15
	s_mul_i32 s16, s0, s1
	s_mul_hi_u32 s9, s0, s1
	s_add_u32 s14, s14, s16
	s_addc_u32 s9, 0, s9
	s_mul_hi_u32 s17, s8, s15
	s_mul_i32 s15, s8, s15
	s_add_u32 s14, s14, s15
	s_mul_hi_u32 s16, s8, s1
	s_addc_u32 s9, s9, s17
	s_addc_u32 s14, s16, 0
	s_mul_i32 s1, s8, s1
	s_add_u32 s1, s9, s1
	s_addc_u32 s9, 0, s14
	s_add_u32 s14, s0, s1
	s_cselect_b64 s[0:1], -1, 0
	s_cmp_lg_u64 s[0:1], 0
	s_addc_u32 s8, s8, s9
	s_mul_i32 s0, s2, s8
	s_mul_hi_u32 s1, s2, s14
	s_add_i32 s0, s1, s0
	s_mul_i32 s3, s3, s14
	s_add_i32 s0, s0, s3
	s_mul_i32 s2, s2, s14
	s_mul_hi_u32 s3, s8, s2
	s_mul_i32 s9, s8, s2
	s_mul_i32 s16, s14, s0
	s_mul_hi_u32 s2, s14, s2
	s_mul_hi_u32 s15, s14, s0
	s_add_u32 s2, s2, s16
	s_addc_u32 s15, 0, s15
	s_add_u32 s2, s2, s9
	s_mul_hi_u32 s1, s8, s0
	s_addc_u32 s2, s15, s3
	s_addc_u32 s1, s1, 0
	s_mul_i32 s0, s8, s0
	s_add_u32 s0, s2, s0
	s_addc_u32 s2, 0, s1
	s_add_u32 s3, s14, s0
	s_cselect_b64 s[0:1], -1, 0
	s_cmp_lg_u64 s[0:1], 0
	s_addc_u32 s0, s8, s2
	s_mul_i32 s2, s56, s0
	s_mul_hi_u32 s8, s56, s3
	s_mul_hi_u32 s1, s56, s0
	s_add_u32 s2, s8, s2
	s_addc_u32 s1, 0, s1
	s_mul_hi_u32 s9, s57, s3
	s_mul_i32 s3, s57, s3
	s_add_u32 s2, s2, s3
	s_mul_hi_u32 s8, s57, s0
	s_addc_u32 s1, s1, s9
	s_addc_u32 s2, s8, 0
	s_mul_i32 s0, s57, s0
	s_add_u32 s0, s1, s0
	s_addc_u32 s1, 0, s2
	s_mul_i32 s1, s98, s1
	s_mul_hi_u32 s2, s98, s0
	s_add_i32 s2, s2, s1
	s_mul_i32 s0, s98, s0
	s_sub_u32 s3, s56, s0
	s_cselect_b64 s[0:1], -1, 0
	s_cmp_lg_u64 s[0:1], 0
	s_subb_u32 s2, s57, s2
	s_sub_u32 s8, s3, s98
	s_cselect_b64 s[0:1], -1, 0
	s_cmp_lg_u64 s[0:1], 0
	s_subb_u32 s9, s2, 0
	;; [unrolled: 4-line block ×3, first 2 shown]
	s_cmp_ge_u32 s8, s98
	s_cselect_b32 s1, -1, 0
	s_cmp_eq_u32 s9, 0
	s_cselect_b32 s1, s1, -1
	s_cmp_lg_u32 s1, 0
	s_cselect_b32 s0, s0, s9
	s_cselect_b32 s8, s14, s8
	s_cmp_ge_u32 s3, s98
	s_cselect_b32 s1, -1, 0
	s_cmp_eq_u32 s2, 0
	s_cselect_b32 s1, s1, -1
	s_cmp_lg_u32 s1, 0
	s_cselect_b32 s1, s0, s2
	s_cselect_b32 s0, s8, s3
	s_cbranch_execnz .LBB94_67
.LBB94_66:                              ;   in Loop: Header=BB94_21 Depth=1
	v_cvt_f32_u32_e32 v4, s98
	s_sub_i32 s0, 0, s98
	v_rcp_iflag_f32_e32 v4, v4
	s_nop 0
	v_mul_f32_e32 v4, 0x4f7ffffe, v4
	v_cvt_u32_f32_e32 v4, v4
	s_nop 0
	v_readfirstlane_b32 s1, v4
	s_mul_i32 s0, s0, s1
	s_mul_hi_u32 s0, s1, s0
	s_add_i32 s1, s1, s0
	s_mul_hi_u32 s0, s56, s1
	s_mul_i32 s0, s0, s98
	s_sub_i32 s0, s56, s0
	s_sub_i32 s1, s0, s98
	s_cmp_ge_u32 s0, s98
	s_cselect_b32 s0, s1, s0
	s_sub_i32 s1, s0, s98
	s_cmp_ge_u32 s0, s98
	s_cselect_b32 s0, s1, s0
	s_mov_b32 s1, s99
.LBB94_67:                              ;   in Loop: Header=BB94_21 Depth=1
	s_sub_u32 s54, s56, s0
	s_subb_u32 s55, s57, s1
	v_cmp_gt_u64_e32 vcc, s[54:55], v[12:13]
	v_mov_b64_e32 v[4:5], 0
	v_mov_b64_e32 v[6:7], 0
	;; [unrolled: 1-line block ×4, first 2 shown]
	s_and_saveexec_b64 s[60:61], vcc
	s_cbranch_execz .LBB94_71
; %bb.68:                               ;   in Loop: Header=BB94_21 Depth=1
	s_mov_b64 s[62:63], 0
	s_mov_b64 s[92:93], 0
	;; [unrolled: 1-line block ×5, first 2 shown]
	v_mov_b64_e32 v[28:29], v[12:13]
.LBB94_69:                              ;   Parent Loop BB94_21 Depth=1
                                        ; =>  This Inner Loop Header: Depth=2
	v_mul_lo_u32 v6, v29, s84
	v_mul_lo_u32 v7, v28, s85
	v_mad_u64_u32 v[4:5], s[0:1], v28, s84, 0
	v_add3_u32 v5, v5, v7, v6
	s_lshl_b64 s[0:1], s[84:85], 2
	v_lshl_add_u64 v[4:5], v[4:5], 2, s[94:95]
	global_load_dword v6, v[4:5], off
	v_lshl_add_u64 v[4:5], v[4:5], 0, s[0:1]
	global_load_dword v7, v[4:5], off
	;; [unrolled: 2-line block ×4, first 2 shown]
	v_lshl_add_u64 v[28:29], v[28:29], 0, s[98:99]
	v_cmp_le_u64_e32 vcc, s[54:55], v[28:29]
	s_waitcnt vmcnt(3)
	v_xor_b32_e32 v5, 0x80000000, v6
	v_bitop3_b32 v6, v6, v39, s6 bitop3:0x48
	v_cmp_eq_u32_e64 s[16:17], v6, v34
	s_waitcnt vmcnt(2)
	v_bitop3_b32 v6, v7, v39, s6 bitop3:0x48
	v_bfe_u32 v5, v5, s7, 2
	v_xor_b32_e32 v9, 0x80000000, v7
	s_waitcnt vmcnt(1)
	v_xor_b32_e32 v7, 0x80000000, v8
	v_cmp_eq_u32_e64 s[0:1], v6, v34
	v_bitop3_b32 v6, v8, v39, s6 bitop3:0x48
	v_cmp_eq_u32_e64 s[2:3], 0, v5
	v_bfe_u32 v8, v9, s7, 2
	v_cmp_eq_u32_e64 s[34:35], 1, v5
	v_cmp_eq_u32_e64 s[36:37], 2, v5
	;; [unrolled: 1-line block ×3, first 2 shown]
	s_waitcnt vmcnt(0)
	v_xor_b32_e32 v5, 0x80000000, v4
	v_cmp_eq_u32_e64 s[18:19], v6, v34
	v_bitop3_b32 v4, v4, v39, s6 bitop3:0x48
	v_bfe_u32 v6, v7, s7, 2
	s_and_b64 s[2:3], s[16:17], s[2:3]
	v_cmp_eq_u32_e64 s[28:29], 0, v8
	v_cndmask_b32_e64 v7, 0, 1, s[2:3]
	v_cmp_eq_u32_e64 s[22:23], v4, v34
	v_bfe_u32 v4, v5, s7, 2
	v_cmp_eq_u32_e64 s[2:3], 0, v6
	s_and_b64 s[8:9], s[0:1], s[28:29]
	v_cmp_eq_u32_e64 s[48:49], 0, v4
	s_and_b64 s[2:3], s[18:19], s[2:3]
	v_cndmask_b32_e64 v5, 0, 1, s[8:9]
	v_cmp_eq_u32_e64 s[50:51], 1, v4
	v_cmp_eq_u32_e64 s[52:53], 2, v4
	;; [unrolled: 1-line block ×3, first 2 shown]
	v_cndmask_b32_e64 v4, 0, 1, s[2:3]
	s_and_b64 s[8:9], s[22:23], s[48:49]
	v_cmp_ne_u32_e64 s[46:47], 0, v7
	v_cmp_ne_u32_e64 s[2:3], 0, v4
	v_cndmask_b32_e64 v4, 0, 1, s[8:9]
	s_bcnt1_i32_b64 s14, s[46:47]
	v_cmp_ne_u32_e64 s[46:47], 0, v5
	s_bcnt1_i32_b64 s8, s[2:3]
	v_cmp_ne_u32_e64 s[2:3], 0, v4
	s_bcnt1_i32_b64 s15, s[46:47]
	s_bcnt1_i32_b64 s2, s[2:3]
	s_add_u32 s3, s14, s66
	s_addc_u32 s9, 0, s67
	s_add_u32 s3, s3, s15
	s_addc_u32 s9, s9, 0
	;; [unrolled: 2-line block ×3, first 2 shown]
	s_add_u32 s66, s3, s2
	v_cmp_eq_u32_e64 s[38:39], 1, v8
	s_addc_u32 s67, s8, 0
	s_and_b64 s[2:3], s[16:17], s[34:35]
	v_cmp_eq_u32_e64 s[42:43], 1, v6
	v_cmp_eq_u32_e64 s[44:45], 2, v6
	;; [unrolled: 1-line block ×3, first 2 shown]
	v_cndmask_b32_e64 v6, 0, 1, s[2:3]
	s_and_b64 s[2:3], s[0:1], s[38:39]
	v_cndmask_b32_e64 v7, 0, 1, s[2:3]
	s_and_b64 s[2:3], s[18:19], s[42:43]
	v_cmp_eq_u32_e64 s[40:41], 2, v8
	v_cmp_eq_u32_e64 s[24:25], 3, v8
	v_cndmask_b32_e64 v8, 0, 1, s[2:3]
	s_and_b64 s[2:3], s[22:23], s[50:51]
	v_cndmask_b32_e64 v9, 0, 1, s[2:3]
	v_cmp_ne_u32_e64 s[2:3], 0, v6
	v_cmp_ne_u32_e64 s[34:35], 0, v7
	;; [unrolled: 1-line block ×4, first 2 shown]
	s_bcnt1_i32_b64 s2, s[2:3]
	s_bcnt1_i32_b64 s3, s[34:35]
	;; [unrolled: 1-line block ×4, first 2 shown]
	s_add_u32 s2, s2, s64
	s_addc_u32 s14, 0, s65
	s_add_u32 s2, s2, s3
	s_addc_u32 s3, s14, 0
	;; [unrolled: 2-line block ×4, first 2 shown]
	s_and_b64 s[2:3], s[16:17], s[36:37]
	v_cndmask_b32_e64 v8, 0, 1, s[2:3]
	s_and_b64 s[2:3], s[0:1], s[40:41]
	v_cndmask_b32_e64 v9, 0, 1, s[2:3]
	;; [unrolled: 2-line block ×4, first 2 shown]
	v_cmp_ne_u32_e64 s[2:3], 0, v8
	v_cmp_ne_u32_e64 s[34:35], 0, v9
	;; [unrolled: 1-line block ×4, first 2 shown]
	s_bcnt1_i32_b64 s2, s[2:3]
	s_bcnt1_i32_b64 s3, s[34:35]
	;; [unrolled: 1-line block ×4, first 2 shown]
	s_add_u32 s2, s2, s78
	s_addc_u32 s14, 0, s79
	s_add_u32 s2, s2, s3
	s_addc_u32 s3, s14, 0
	;; [unrolled: 2-line block ×4, first 2 shown]
	s_and_b64 s[0:1], s[0:1], s[24:25]
	v_cndmask_b32_e64 v11, 0, 1, s[0:1]
	s_and_b64 s[0:1], s[18:19], s[26:27]
	s_and_b64 s[2:3], s[16:17], s[20:21]
	v_cndmask_b32_e64 v23, 0, 1, s[0:1]
	s_and_b64 s[0:1], s[22:23], s[28:29]
	v_cndmask_b32_e64 v10, 0, 1, s[2:3]
	v_cndmask_b32_e64 v24, 0, 1, s[0:1]
	v_cmp_ne_u32_e64 s[0:1], 0, v10
	v_cmp_ne_u32_e64 s[2:3], 0, v11
	;; [unrolled: 1-line block ×4, first 2 shown]
	s_bcnt1_i32_b64 s0, s[0:1]
	s_bcnt1_i32_b64 s1, s[2:3]
	;; [unrolled: 1-line block ×4, first 2 shown]
	s_add_u32 s0, s0, s92
	s_addc_u32 s8, 0, s93
	s_add_u32 s0, s0, s1
	s_addc_u32 s1, s8, 0
	;; [unrolled: 2-line block ×4, first 2 shown]
	v_mov_b64_e32 v[4:5], s[66:67]
	v_mov_b64_e32 v[6:7], s[64:65]
	;; [unrolled: 1-line block ×3, first 2 shown]
	s_or_b64 s[62:63], vcc, s[62:63]
	v_mov_b64_e32 v[10:11], s[92:93]
	s_andn2_b64 exec, exec, s[62:63]
	s_cbranch_execnz .LBB94_69
; %bb.70:                               ;   in Loop: Header=BB94_21 Depth=1
	s_or_b64 exec, exec, s[62:63]
.LBB94_71:                              ;   in Loop: Header=BB94_21 Depth=1
	s_or_b64 exec, exec, s[60:61]
	v_lshl_add_u64 v[28:29], s[54:55], 0, v[0:1]
	v_and_b32_e32 v2, 0xffff, v2
	v_cmp_gt_u64_e32 vcc, s[56:57], v[28:29]
	s_and_saveexec_b64 s[2:3], vcc
	s_cbranch_execz .LBB94_77
; %bb.72:                               ;   in Loop: Header=BB94_21 Depth=1
	v_mul_lo_u32 v23, v29, s84
	v_mul_lo_u32 v24, v28, s85
	v_mad_u64_u32 v[42:43], s[0:1], v28, s84, 0
	v_add3_u32 v43, v43, v24, v23
	v_lshl_add_u64 v[42:43], v[42:43], 2, s[94:95]
	global_load_dword v24, v[42:43], off
	s_mov_b64 s[8:9], 0
	s_branch .LBB94_74
.LBB94_73:                              ;   in Loop: Header=BB94_74 Depth=2
	s_or_b64 exec, exec, s[14:15]
	s_waitcnt vmcnt(0)
	v_xor_b32_e32 v42, 0x80000000, v24
	v_bitop3_b32 v24, v24, v39, s6 bitop3:0x48
	s_and_b64 s[0:1], exec, vcc
	v_cmp_eq_u32_e32 vcc, v24, v34
	v_bfe_u32 v24, v42, s7, 2
	s_or_b64 s[8:9], s[0:1], s[8:9]
	v_cmp_eq_u32_e64 s[0:1], 0, v24
	s_and_b64 s[0:1], vcc, s[0:1]
	s_nop 0
	v_cndmask_b32_e64 v42, 0, 1, s[0:1]
	v_cmp_ne_u32_e64 s[0:1], 0, v42
	s_bcnt1_i32_b64 s98, s[0:1]
	v_cmp_eq_u32_e64 s[0:1], 1, v24
	s_and_b64 s[0:1], vcc, s[0:1]
	v_lshl_add_u64 v[4:5], s[98:99], 0, v[4:5]
	v_cndmask_b32_e64 v42, 0, 1, s[0:1]
	v_cmp_ne_u32_e64 s[0:1], 0, v42
	s_bcnt1_i32_b64 s98, s[0:1]
	v_cmp_eq_u32_e64 s[0:1], 2, v24
	s_and_b64 s[0:1], vcc, s[0:1]
	v_lshl_add_u64 v[6:7], s[98:99], 0, v[6:7]
	;; [unrolled: 6-line block ×3, first 2 shown]
	v_cndmask_b32_e64 v24, 0, 1, s[0:1]
	v_cmp_ne_u32_e32 vcc, 0, v24
	s_bcnt1_i32_b64 s98, vcc
	v_lshl_add_u64 v[10:11], s[98:99], 0, v[10:11]
	v_mov_b32_e32 v24, v23
	s_andn2_b64 exec, exec, s[8:9]
	s_cbranch_execz .LBB94_76
.LBB94_74:                              ;   Parent Loop BB94_21 Depth=1
                                        ; =>  This Inner Loop Header: Depth=2
	v_lshl_add_u64 v[28:29], v[28:29], 0, v[2:3]
	v_cmp_gt_u64_e64 s[0:1], s[56:57], v[28:29]
	v_cmp_le_u64_e32 vcc, s[56:57], v[28:29]
	v_mov_b32_e32 v23, 0
	s_and_saveexec_b64 s[14:15], s[0:1]
	s_cbranch_execz .LBB94_73
; %bb.75:                               ;   in Loop: Header=BB94_74 Depth=2
	v_mul_lo_u32 v23, v29, s84
	v_mul_lo_u32 v44, v28, s85
	v_mad_u64_u32 v[42:43], s[0:1], v28, s84, 0
	v_add3_u32 v43, v43, v44, v23
	v_lshl_add_u64 v[42:43], v[42:43], 2, s[94:95]
	global_load_dword v23, v[42:43], off
	s_branch .LBB94_73
.LBB94_76:                              ;   in Loop: Header=BB94_21 Depth=1
	s_or_b64 exec, exec, s[8:9]
.LBB94_77:                              ;   in Loop: Header=BB94_21 Depth=1
	s_or_b64 exec, exec, s[2:3]
	s_branch .LBB94_56
.LBB94_78:                              ;   in Loop: Header=BB94_21 Depth=1
	global_load_ushort v2, v3, s[70:71]
	v_mov_b64_e32 v[8:9], 0
	s_waitcnt vmcnt(0)
	v_readfirstlane_b32 s0, v2
	s_and_b32 s0, 0xffff, s0
	s_lshl_b32 s60, s0, 2
	v_cvt_f32_u32_e32 v4, s60
	s_sub_i32 s1, 0, s60
	v_rcp_iflag_f32_e32 v6, v4
	v_mov_b64_e32 v[4:5], 0
	v_mul_f32_e32 v6, 0x4f7ffffe, v6
	v_cvt_u32_f32_e32 v10, v6
	v_mov_b64_e32 v[6:7], 0
	v_readfirstlane_b32 s2, v10
	s_mul_i32 s1, s1, s2
	s_mul_hi_u32 s1, s2, s1
	s_add_i32 s2, s2, s1
	s_mul_hi_u32 s1, s80, s2
	s_mul_i32 s2, s1, s60
	s_sub_i32 s2, s80, s2
	s_add_i32 s3, s1, 1
	s_sub_i32 s8, s2, s60
	s_cmp_ge_u32 s2, s60
	s_cselect_b32 s1, s3, s1
	s_cselect_b32 s2, s8, s2
	s_add_i32 s3, s1, 1
	s_cmp_ge_u32 s2, s60
	s_cselect_b32 s1, s3, s1
	s_mul_hi_u32 s63, s0, s1
	s_mul_i32 s62, s0, s1
	s_lshl_b64 s[92:93], s[62:63], 2
	v_cmp_gt_u64_e32 vcc, s[92:93], v[12:13]
	v_mov_b64_e32 v[10:11], 0
	s_and_saveexec_b64 s[64:65], vcc
	s_cbranch_execz .LBB94_82
; %bb.79:                               ;   in Loop: Header=BB94_21 Depth=1
	s_mov_b32 s61, s99
	s_lshl_b32 s63, s0, 4
	s_mov_b64 s[66:67], 0
	v_mov_b32_e32 v23, v35
	s_mov_b64 s[78:79], 0
	s_mov_b64 s[30:31], 0
	;; [unrolled: 1-line block ×4, first 2 shown]
	v_mov_b64_e32 v[28:29], v[12:13]
.LBB94_80:                              ;   Parent Loop BB94_21 Depth=1
                                        ; =>  This Inner Loop Header: Depth=2
	ds_read_b128 v[4:7], v23
	v_lshl_add_u64 v[28:29], v[28:29], 0, s[60:61]
	v_cmp_le_u64_e32 vcc, s[92:93], v[28:29]
	v_add_u32_e32 v23, s63, v23
	s_waitcnt lgkmcnt(0)
	v_xor_b32_e32 v8, 0x80000000, v4
	v_bitop3_b32 v4, v4, v39, s6 bitop3:0x48
	v_xor_b32_e32 v9, 0x80000000, v5
	v_bitop3_b32 v5, v5, v39, s6 bitop3:0x48
	v_cmp_eq_u32_e64 s[20:21], v4, v34
	v_bfe_u32 v4, v8, s7, 2
	v_xor_b32_e32 v10, 0x80000000, v6
	v_bitop3_b32 v6, v6, v39, s6 bitop3:0x48
	v_cmp_eq_u32_e64 s[18:19], v5, v34
	v_bfe_u32 v5, v9, s7, 2
	v_cmp_eq_u32_e64 s[2:3], 0, v4
	v_xor_b32_e32 v11, 0x80000000, v7
	v_bitop3_b32 v7, v7, v39, s6 bitop3:0x48
	v_cmp_eq_u32_e64 s[16:17], v6, v34
	v_bfe_u32 v6, v10, s7, 2
	v_cmp_eq_u32_e64 s[34:35], 0, v5
	s_and_b64 s[2:3], s[20:21], s[2:3]
	v_cmp_eq_u32_e64 s[0:1], v7, v34
	v_bfe_u32 v7, v11, s7, 2
	v_cmp_eq_u32_e64 s[36:37], 0, v6
	v_cmp_eq_u32_e64 s[40:41], 1, v4
	;; [unrolled: 1-line block ×4, first 2 shown]
	v_cndmask_b32_e64 v4, 0, 1, s[2:3]
	s_and_b64 s[2:3], s[18:19], s[34:35]
	v_cmp_eq_u32_e64 s[38:39], 0, v7
	v_cmp_eq_u32_e64 s[42:43], 1, v5
	;; [unrolled: 1-line block ×4, first 2 shown]
	v_cndmask_b32_e64 v5, 0, 1, s[2:3]
	s_and_b64 s[2:3], s[16:17], s[36:37]
	v_cmp_eq_u32_e64 s[44:45], 1, v6
	v_cmp_eq_u32_e64 s[52:53], 2, v6
	v_cmp_eq_u32_e64 s[24:25], 3, v6
	v_cndmask_b32_e64 v6, 0, 1, s[2:3]
	s_and_b64 s[2:3], s[0:1], s[38:39]
	v_cmp_eq_u32_e64 s[46:47], 1, v7
	v_cmp_eq_u32_e64 s[54:55], 2, v7
	;; [unrolled: 1-line block ×3, first 2 shown]
	v_cndmask_b32_e64 v7, 0, 1, s[2:3]
	v_cmp_ne_u32_e64 s[2:3], 0, v4
	v_cmp_ne_u32_e64 s[34:35], 0, v5
	;; [unrolled: 1-line block ×4, first 2 shown]
	s_bcnt1_i32_b64 s2, s[2:3]
	s_bcnt1_i32_b64 s3, s[34:35]
	;; [unrolled: 1-line block ×4, first 2 shown]
	s_add_u32 s2, s2, s14
	s_addc_u32 s14, 0, s15
	s_add_u32 s2, s2, s3
	s_addc_u32 s3, s14, 0
	;; [unrolled: 2-line block ×4, first 2 shown]
	s_and_b64 s[2:3], s[20:21], s[40:41]
	v_cndmask_b32_e64 v6, 0, 1, s[2:3]
	s_and_b64 s[2:3], s[18:19], s[42:43]
	v_cndmask_b32_e64 v7, 0, 1, s[2:3]
	;; [unrolled: 2-line block ×4, first 2 shown]
	v_cmp_ne_u32_e64 s[2:3], 0, v6
	v_cmp_ne_u32_e64 s[34:35], 0, v7
	;; [unrolled: 1-line block ×4, first 2 shown]
	s_bcnt1_i32_b64 s2, s[2:3]
	s_bcnt1_i32_b64 s3, s[34:35]
	;; [unrolled: 1-line block ×4, first 2 shown]
	s_add_u32 s2, s2, s8
	s_addc_u32 s8, 0, s9
	s_add_u32 s2, s2, s3
	s_addc_u32 s3, s8, 0
	s_add_u32 s2, s2, s34
	s_addc_u32 s3, s3, 0
	s_add_u32 s8, s2, s35
	s_addc_u32 s9, s3, 0
	s_and_b64 s[2:3], s[20:21], s[48:49]
	v_cndmask_b32_e64 v8, 0, 1, s[2:3]
	s_and_b64 s[2:3], s[18:19], s[50:51]
	v_cndmask_b32_e64 v9, 0, 1, s[2:3]
	;; [unrolled: 2-line block ×4, first 2 shown]
	v_cmp_ne_u32_e64 s[2:3], 0, v8
	v_cmp_ne_u32_e64 s[34:35], 0, v9
	;; [unrolled: 1-line block ×4, first 2 shown]
	s_bcnt1_i32_b64 s2, s[2:3]
	s_bcnt1_i32_b64 s3, s[34:35]
	;; [unrolled: 1-line block ×4, first 2 shown]
	s_add_u32 s2, s2, s30
	s_addc_u32 s30, 0, s31
	s_add_u32 s2, s2, s3
	s_addc_u32 s3, s30, 0
	;; [unrolled: 2-line block ×4, first 2 shown]
	s_and_b64 s[2:3], s[20:21], s[28:29]
	v_cndmask_b32_e64 v10, 0, 1, s[2:3]
	s_and_b64 s[2:3], s[18:19], s[26:27]
	v_cndmask_b32_e64 v11, 0, 1, s[2:3]
	s_and_b64 s[2:3], s[16:17], s[24:25]
	s_and_b64 s[0:1], s[0:1], s[22:23]
	v_cndmask_b32_e64 v24, 0, 1, s[2:3]
	v_cndmask_b32_e64 v42, 0, 1, s[0:1]
	v_cmp_ne_u32_e64 s[0:1], 0, v10
	v_cmp_ne_u32_e64 s[2:3], 0, v11
	;; [unrolled: 1-line block ×4, first 2 shown]
	s_bcnt1_i32_b64 s0, s[0:1]
	s_bcnt1_i32_b64 s1, s[2:3]
	;; [unrolled: 1-line block ×4, first 2 shown]
	s_add_u32 s0, s0, s78
	s_addc_u32 s16, 0, s79
	s_add_u32 s0, s0, s1
	s_addc_u32 s1, s16, 0
	;; [unrolled: 2-line block ×4, first 2 shown]
	v_mov_b64_e32 v[4:5], s[14:15]
	v_mov_b64_e32 v[6:7], s[8:9]
	;; [unrolled: 1-line block ×3, first 2 shown]
	s_or_b64 s[66:67], vcc, s[66:67]
	v_mov_b64_e32 v[10:11], s[78:79]
	s_andn2_b64 exec, exec, s[66:67]
	s_cbranch_execnz .LBB94_80
; %bb.81:                               ;   in Loop: Header=BB94_21 Depth=1
	s_or_b64 exec, exec, s[66:67]
.LBB94_82:                              ;   in Loop: Header=BB94_21 Depth=1
	s_or_b64 exec, exec, s[64:65]
	s_and_b32 s8, s80, 0x7fffffff
	s_mov_b32 s9, s99
	v_lshl_add_u64 v[28:29], s[92:93], 0, v[0:1]
	v_and_b32_e32 v2, 0xffff, v2
	v_cmp_gt_u64_e32 vcc, s[8:9], v[28:29]
	s_and_saveexec_b64 s[14:15], vcc
	s_cbranch_execz .LBB94_86
; %bb.83:                               ;   in Loop: Header=BB94_21 Depth=1
	v_lshl_add_u32 v23, s62, 4, v12
	s_mov_b64 s[22:23], 0
.LBB94_84:                              ;   Parent Loop BB94_21 Depth=1
                                        ; =>  This Inner Loop Header: Depth=2
	ds_read_b32 v24, v23
	v_lshl_add_u64 v[28:29], v[28:29], 0, v[2:3]
	v_cmp_le_u64_e32 vcc, s[8:9], v[28:29]
	v_add_u32_e32 v23, s60, v23
	s_waitcnt lgkmcnt(0)
	v_xor_b32_e32 v42, 0x80000000, v24
	v_bitop3_b32 v24, v24, v39, s6 bitop3:0x48
	v_cmp_eq_u32_e64 s[0:1], v24, v34
	v_bfe_u32 v24, v42, s7, 2
	v_cmp_eq_u32_e64 s[2:3], 0, v24
	v_cmp_eq_u32_e64 s[16:17], 1, v24
	s_and_b64 s[2:3], s[0:1], s[2:3]
	v_cmp_eq_u32_e64 s[18:19], 2, v24
	v_cmp_eq_u32_e64 s[20:21], 3, v24
	v_cndmask_b32_e64 v24, 0, 1, s[2:3]
	s_and_b64 s[2:3], s[0:1], s[16:17]
	v_cndmask_b32_e64 v42, 0, 1, s[2:3]
	s_and_b64 s[2:3], s[0:1], s[18:19]
	s_and_b64 s[0:1], s[0:1], s[20:21]
	v_cndmask_b32_e64 v44, 0, 1, s[0:1]
	v_cmp_ne_u32_e64 s[0:1], 0, v24
	v_cndmask_b32_e64 v43, 0, 1, s[2:3]
	v_cmp_ne_u32_e64 s[2:3], 0, v42
	s_bcnt1_i32_b64 s98, s[0:1]
	v_cmp_ne_u32_e64 s[16:17], 0, v43
	v_lshl_add_u64 v[4:5], s[98:99], 0, v[4:5]
	s_bcnt1_i32_b64 s98, s[2:3]
	v_cmp_ne_u32_e64 s[18:19], 0, v44
	v_lshl_add_u64 v[6:7], s[98:99], 0, v[6:7]
	s_bcnt1_i32_b64 s98, s[16:17]
	v_lshl_add_u64 v[8:9], s[98:99], 0, v[8:9]
	s_bcnt1_i32_b64 s98, s[18:19]
	s_or_b64 s[22:23], vcc, s[22:23]
	v_lshl_add_u64 v[10:11], s[98:99], 0, v[10:11]
	s_andn2_b64 exec, exec, s[22:23]
	s_cbranch_execnz .LBB94_84
; %bb.85:                               ;   in Loop: Header=BB94_21 Depth=1
	s_or_b64 exec, exec, s[22:23]
.LBB94_86:                              ;   in Loop: Header=BB94_21 Depth=1
	s_or_b64 exec, exec, s[14:15]
	v_lshlrev_b32_e32 v2, 6, v38
	s_and_saveexec_b64 s[0:1], s[4:5]
	s_cbranch_execnz .LBB94_57
	s_branch .LBB94_58
.LBB94_87:                              ;   in Loop: Header=BB94_21 Depth=1
                                        ; implicit-def: $sgpr0_sgpr1
	s_branch .LBB94_66
.LBB94_88:                              ;   in Loop: Header=BB94_21 Depth=1
	s_mov_b32 s2, 0
	v_mov_b64_e32 v[4:5], 0
.LBB94_89:                              ;   in Loop: Header=BB94_21 Depth=1
	v_readlane_b32 s8, v54, 53
	v_readlane_b32 s9, v54, 54
	s_andn2_b64 vcc, exec, s[8:9]
	s_cbranch_vccnz .LBB94_92
; %bb.90:                               ;   in Loop: Header=BB94_21 Depth=1
	v_lshlrev_b32_e32 v6, 9, v38
	s_lshl_b32 s2, s2, 5
	v_add_u32_e32 v6, s2, v6
	v_add_u32_e32 v6, v36, v6
	v_readlane_b32 s2, v54, 52
.LBB94_91:                              ;   Parent Loop BB94_21 Depth=1
                                        ; =>  This Inner Loop Header: Depth=2
	ds_read_b64 v[8:9], v6
	s_add_i32 s2, s2, -1
	v_add_u32_e32 v6, 32, v6
	s_cmp_lg_u32 s2, 0
	s_waitcnt lgkmcnt(0)
	v_lshl_add_u64 v[4:5], v[8:9], 0, v[4:5]
	s_cbranch_scc1 .LBB94_91
.LBB94_92:                              ;   in Loop: Header=BB94_21 Depth=1
	v_add_lshl_u32 v6, v2, v30, 3
	ds_write_b64 v6, v[4:5] offset:3072
.LBB94_93:                              ;   in Loop: Header=BB94_21 Depth=1
	s_or_b64 exec, exec, s[0:1]
	v_lshlrev_b32_e32 v2, 3, v2
	s_waitcnt lgkmcnt(0)
	s_barrier
	ds_read_b128 v[8:11], v2 offset:3088
	ds_read_b128 v[4:7], v2 offset:3072
	s_lshl_b32 s62, 3, s7
	v_cmp_eq_u64_e64 s[0:1], 1, v[26:27]
	s_not_b32 s52, s62
	s_waitcnt lgkmcnt(1)
	v_readfirstlane_b32 s22, v8
	s_waitcnt lgkmcnt(0)
	v_cmp_eq_u64_e32 vcc, 1, v[4:5]
	v_readfirstlane_b32 s23, v9
	v_readfirstlane_b32 s2, v10
	;; [unrolled: 1-line block ×3, first 2 shown]
	s_and_b64 s[18:19], vcc, s[0:1]
	s_mov_b64 s[0:1], -1
	s_mov_b64 s[8:9], -1
                                        ; implicit-def: $sgpr24_sgpr25
                                        ; implicit-def: $sgpr20_sgpr21
	s_and_saveexec_b64 s[16:17], s[18:19]
	s_cbranch_execz .LBB94_125
; %bb.94:                               ;   in Loop: Header=BB94_21 Depth=1
	ds_read_b64 v[8:9], v3 offset:5120
	s_waitcnt lgkmcnt(0)
	s_barrier
	v_readfirstlane_b32 s14, v8
	v_readfirstlane_b32 s15, v9
	s_mov_b64 s[8:9], exec
	v_readlane_b32 s20, v54, 38
	v_readlane_b32 s21, v54, 39
	s_and_b64 s[20:21], s[8:9], s[20:21]
	s_mov_b64 exec, s[20:21]
; %bb.95:                               ;   in Loop: Header=BB94_21 Depth=1
	ds_write_b32 v31, v3
; %bb.96:                               ;   in Loop: Header=BB94_21 Depth=1
	s_or_b64 exec, exec, s[8:9]
	v_and_b32_e32 v34, s52, v34
	v_or_b32_e32 v39, s62, v39
	s_mov_b64 s[20:21], -1
	s_mov_b64 s[24:25], 0
	s_cmp_eq_u64 s[14:15], 0
	s_mov_b64 s[8:9], 0
	s_mov_b64 s[26:27], -1
	s_waitcnt lgkmcnt(0)
	s_barrier
                                        ; implicit-def: $vgpr25
	s_cbranch_scc1 .LBB94_110
; %bb.97:                               ;   in Loop: Header=BB94_21 Depth=1
	v_readlane_b32 s8, v54, 44
	s_add_u32 s30, s14, s8
	v_readlane_b32 s8, v54, 45
	s_addc_u32 s9, s15, s8
	s_mov_b32 s8, s99
	s_cmp_lg_u64 s[8:9], 0
	s_cbranch_scc0 .LBB94_151
; %bb.98:                               ;   in Loop: Header=BB94_21 Depth=1
	v_cvt_f32_u32_e32 v2, s96
	s_sub_u32 s8, 0, s96
	s_subb_u32 s28, 0, 0
	v_fmac_f32_e32 v2, 0, v37
	v_rcp_f32_e32 v2, v2
	s_nop 0
	v_mul_f32_e32 v2, 0x5f7ffffc, v2
	v_mul_f32_e32 v8, 0x2f800000, v2
	v_trunc_f32_e32 v8, v8
	v_fmac_f32_e32 v2, 0xcf800000, v8
	v_cvt_u32_f32_e32 v8, v8
	v_cvt_u32_f32_e32 v2, v2
	v_readfirstlane_b32 s29, v8
	v_readfirstlane_b32 s26, v2
	s_mul_i32 s27, s8, s29
	s_mul_hi_u32 s34, s8, s26
	s_mul_i32 s31, s28, s26
	s_add_i32 s27, s34, s27
	s_mul_i32 s35, s8, s26
	s_add_i32 s27, s27, s31
	s_mul_hi_u32 s34, s26, s35
	s_mul_i32 s36, s26, s27
	s_mul_hi_u32 s31, s26, s27
	s_add_u32 s34, s34, s36
	s_addc_u32 s31, 0, s31
	s_mul_hi_u32 s37, s29, s35
	s_mul_i32 s35, s29, s35
	s_add_u32 s34, s34, s35
	s_mul_hi_u32 s36, s29, s27
	s_addc_u32 s31, s31, s37
	s_addc_u32 s34, s36, 0
	s_mul_i32 s27, s29, s27
	s_add_u32 s27, s31, s27
	s_addc_u32 s31, 0, s34
	s_add_u32 s34, s26, s27
	s_cselect_b64 s[26:27], -1, 0
	s_cmp_lg_u64 s[26:27], 0
	s_addc_u32 s29, s29, s31
	s_mul_i32 s26, s8, s29
	s_mul_hi_u32 s27, s8, s34
	s_add_i32 s26, s27, s26
	s_mul_i32 s28, s28, s34
	s_add_i32 s26, s26, s28
	s_mul_i32 s8, s8, s34
	s_mul_hi_u32 s28, s29, s8
	s_mul_i32 s31, s29, s8
	s_mul_i32 s36, s34, s26
	s_mul_hi_u32 s8, s34, s8
	s_mul_hi_u32 s35, s34, s26
	s_add_u32 s8, s8, s36
	s_addc_u32 s35, 0, s35
	s_add_u32 s8, s8, s31
	s_mul_hi_u32 s27, s29, s26
	s_addc_u32 s8, s35, s28
	s_addc_u32 s27, s27, 0
	s_mul_i32 s26, s29, s26
	s_add_u32 s8, s8, s26
	s_addc_u32 s28, 0, s27
	s_add_u32 s8, s34, s8
	s_cselect_b64 s[26:27], -1, 0
	s_cmp_lg_u64 s[26:27], 0
	s_addc_u32 s26, s29, s28
	s_mul_i32 s28, s30, s26
	s_mul_hi_u32 s29, s30, s8
	s_mul_hi_u32 s27, s30, s26
	s_add_u32 s28, s29, s28
	s_addc_u32 s27, 0, s27
	s_mul_hi_u32 s31, s9, s8
	s_mul_i32 s8, s9, s8
	s_add_u32 s8, s28, s8
	s_mul_hi_u32 s29, s9, s26
	s_addc_u32 s8, s27, s31
	s_addc_u32 s27, s29, 0
	s_mul_i32 s26, s9, s26
	s_add_u32 s8, s8, s26
	s_addc_u32 s26, 0, s27
	s_mul_i32 s26, s96, s26
	s_mul_hi_u32 s27, s96, s8
	s_add_i32 s28, s27, s26
	s_mul_i32 s8, s96, s8
	s_sub_u32 s8, s30, s8
	s_cselect_b64 s[26:27], -1, 0
	s_cmp_lg_u64 s[26:27], 0
	s_subb_u32 s28, s9, s28
	s_sub_u32 s29, s8, s96
	s_cselect_b64 s[26:27], -1, 0
	s_cmp_lg_u64 s[26:27], 0
	s_subb_u32 s31, s28, 0
	;; [unrolled: 4-line block ×3, first 2 shown]
	s_cmp_ge_u32 s29, s96
	s_cselect_b32 s27, -1, 0
	s_cmp_eq_u32 s31, 0
	s_cselect_b32 s27, s27, -1
	s_cmp_lg_u32 s27, 0
	s_cselect_b32 s26, s26, s31
	s_cselect_b32 s29, s34, s29
	s_cmp_ge_u32 s8, s96
	s_cselect_b32 s27, -1, 0
	s_cmp_eq_u32 s28, 0
	s_cselect_b32 s27, s27, -1
	s_cmp_lg_u32 s27, 0
	s_cselect_b32 s27, s26, s28
	s_cselect_b32 s26, s29, s8
	s_cbranch_execnz .LBB94_100
.LBB94_99:                              ;   in Loop: Header=BB94_21 Depth=1
	v_cvt_f32_u32_e32 v2, s96
	s_sub_i32 s8, 0, s96
	v_rcp_iflag_f32_e32 v2, v2
	s_nop 0
	v_mul_f32_e32 v2, 0x4f7ffffe, v2
	v_cvt_u32_f32_e32 v2, v2
	s_nop 0
	v_readfirstlane_b32 s26, v2
	s_mul_i32 s8, s8, s26
	s_mul_hi_u32 s8, s26, s8
	s_add_i32 s26, s26, s8
	s_mul_hi_u32 s8, s30, s26
	s_mul_i32 s8, s8, s96
	s_sub_i32 s8, s30, s8
	s_sub_i32 s26, s8, s96
	s_cmp_ge_u32 s8, s96
	s_cselect_b32 s8, s26, s8
	s_sub_i32 s26, s8, s96
	s_cmp_ge_u32 s8, s96
	s_cselect_b32 s98, s26, s8
	s_mov_b64 s[26:27], s[98:99]
.LBB94_100:                             ;   in Loop: Header=BB94_21 Depth=1
	s_sub_u32 s30, s30, s26
	s_subb_u32 s31, s9, s27
	v_cmp_gt_u64_e32 vcc, s[30:31], v[0:1]
	s_mov_b64 s[26:27], 0
	s_mov_b64 s[8:9], 0
                                        ; implicit-def: $vgpr25
	s_and_saveexec_b64 s[28:29], vcc
	s_cbranch_execz .LBB94_109
; %bb.101:                              ;   in Loop: Header=BB94_21 Depth=1
	v_mov_b32_e32 v2, v12
	v_mov_b64_e32 v[8:9], v[0:1]
                                        ; implicit-def: $sgpr34_sgpr35
	s_branch .LBB94_104
.LBB94_102:                             ;   in Loop: Header=BB94_104 Depth=2
	s_or_b64 exec, exec, s[36:37]
	s_waitcnt lgkmcnt(0)
	s_barrier
	ds_read_b64 v[24:25], v3 offset:3072
	s_mov_b64 s[36:37], -1
	s_mov_b64 s[38:39], -1
	s_waitcnt lgkmcnt(0)
	s_barrier
	v_cmp_ne_u32_e32 vcc, 0, v24
	s_cbranch_vccz .LBB94_107
.LBB94_103:                             ;   in Loop: Header=BB94_104 Depth=2
	s_and_b64 s[36:37], exec, s[36:37]
	s_or_b64 s[8:9], s[36:37], s[8:9]
	s_andn2_b64 s[34:35], s[34:35], exec
	s_and_b64 s[36:37], s[38:39], exec
	s_or_b64 s[34:35], s[34:35], s[36:37]
	s_andn2_b64 exec, exec, s[8:9]
	s_cbranch_execz .LBB94_108
.LBB94_104:                             ;   Parent Loop BB94_21 Depth=1
                                        ; =>  This Inner Loop Header: Depth=2
	v_cmp_gt_u64_e32 vcc, s[14:15], v[8:9]
	s_and_saveexec_b64 s[36:37], vcc
	s_cbranch_execz .LBB94_102
; %bb.105:                              ;   in Loop: Header=BB94_104 Depth=2
	ds_read_b32 v23, v2
	s_waitcnt lgkmcnt(0)
	v_bitop3_b32 v10, v23, v39, s6 bitop3:0x48
	v_cmp_eq_u32_e32 vcc, v10, v34
	s_and_b64 exec, exec, vcc
	s_cbranch_execz .LBB94_102
; %bb.106:                              ;   in Loop: Header=BB94_104 Depth=2
	ds_write_b64 v3, v[22:23] offset:3072
	s_branch .LBB94_102
.LBB94_107:                             ;   in Loop: Header=BB94_104 Depth=2
	v_lshl_add_u64 v[8:9], v[8:9], 0, s[96:97]
	v_cmp_le_u64_e32 vcc, s[30:31], v[8:9]
	v_add_u32_e32 v2, s87, v2
	s_mov_b64 s[38:39], 0
	s_orn2_b64 s[36:37], vcc, exec
	s_branch .LBB94_103
.LBB94_108:                             ;   in Loop: Header=BB94_21 Depth=1
	s_or_b64 exec, exec, s[8:9]
	s_and_b64 s[8:9], s[34:35], exec
.LBB94_109:                             ;   in Loop: Header=BB94_21 Depth=1
	s_or_b64 exec, exec, s[28:29]
.LBB94_110:                             ;   in Loop: Header=BB94_21 Depth=1
	s_and_b64 vcc, exec, s[26:27]
	s_cbranch_vccz .LBB94_124
; %bb.111:                              ;   in Loop: Header=BB94_21 Depth=1
	s_mov_b32 s68, s99
	s_cmp_lg_u64 s[68:69], 0
	s_cbranch_scc0 .LBB94_155
; %bb.112:                              ;   in Loop: Header=BB94_21 Depth=1
	v_cvt_f32_u32_e32 v2, s96
	s_sub_u32 s20, 0, s96
	s_subb_u32 s21, 0, 0
	v_fmac_f32_e32 v2, 0, v37
	v_rcp_f32_e32 v2, v2
	s_nop 0
	v_mul_f32_e32 v2, 0x5f7ffffc, v2
	v_mul_f32_e32 v8, 0x2f800000, v2
	v_trunc_f32_e32 v8, v8
	v_fmac_f32_e32 v2, 0xcf800000, v8
	v_cvt_u32_f32_e32 v8, v8
	v_cvt_u32_f32_e32 v2, v2
	v_readfirstlane_b32 s24, v8
	v_readfirstlane_b32 s14, v2
	s_mul_i32 s15, s20, s24
	s_mul_hi_u32 s26, s20, s14
	s_mul_i32 s25, s21, s14
	s_add_i32 s15, s26, s15
	s_mul_i32 s27, s20, s14
	s_add_i32 s15, s15, s25
	s_mul_hi_u32 s26, s14, s27
	s_mul_i32 s28, s14, s15
	s_mul_hi_u32 s25, s14, s15
	s_add_u32 s26, s26, s28
	s_addc_u32 s25, 0, s25
	s_mul_hi_u32 s29, s24, s27
	s_mul_i32 s27, s24, s27
	s_add_u32 s26, s26, s27
	s_mul_hi_u32 s28, s24, s15
	s_addc_u32 s25, s25, s29
	s_addc_u32 s26, s28, 0
	s_mul_i32 s15, s24, s15
	s_add_u32 s15, s25, s15
	s_addc_u32 s25, 0, s26
	s_add_u32 s26, s14, s15
	s_cselect_b64 s[14:15], -1, 0
	s_cmp_lg_u64 s[14:15], 0
	s_addc_u32 s24, s24, s25
	s_mul_i32 s14, s20, s24
	s_mul_hi_u32 s15, s20, s26
	s_add_i32 s14, s15, s14
	s_mul_i32 s21, s21, s26
	s_add_i32 s14, s14, s21
	s_mul_i32 s20, s20, s26
	s_mul_hi_u32 s21, s24, s20
	s_mul_i32 s25, s24, s20
	s_mul_i32 s28, s26, s14
	s_mul_hi_u32 s20, s26, s20
	s_mul_hi_u32 s27, s26, s14
	s_add_u32 s20, s20, s28
	s_addc_u32 s27, 0, s27
	s_add_u32 s20, s20, s25
	s_mul_hi_u32 s15, s24, s14
	s_addc_u32 s20, s27, s21
	s_addc_u32 s15, s15, 0
	s_mul_i32 s14, s24, s14
	s_add_u32 s14, s20, s14
	s_addc_u32 s20, 0, s15
	s_add_u32 s21, s26, s14
	s_cselect_b64 s[14:15], -1, 0
	s_cmp_lg_u64 s[14:15], 0
	s_addc_u32 s14, s24, s20
	s_mul_i32 s20, s76, s14
	s_mul_hi_u32 s24, s76, s21
	s_mul_hi_u32 s15, s76, s14
	s_add_u32 s20, s24, s20
	s_addc_u32 s15, 0, s15
	s_mul_hi_u32 s25, s69, s21
	s_mul_i32 s21, s69, s21
	s_add_u32 s20, s20, s21
	s_mul_hi_u32 s24, s69, s14
	s_addc_u32 s15, s15, s25
	s_addc_u32 s20, s24, 0
	s_mul_i32 s14, s69, s14
	s_add_u32 s14, s15, s14
	s_addc_u32 s15, 0, s20
	s_mul_i32 s15, s96, s15
	s_mul_hi_u32 s20, s96, s14
	s_add_i32 s20, s20, s15
	s_mul_i32 s14, s96, s14
	s_sub_u32 s21, s76, s14
	s_cselect_b64 s[14:15], -1, 0
	s_cmp_lg_u64 s[14:15], 0
	s_subb_u32 s20, s69, s20
	s_sub_u32 s24, s21, s96
	s_cselect_b64 s[14:15], -1, 0
	s_cmp_lg_u64 s[14:15], 0
	s_subb_u32 s25, s20, 0
	;; [unrolled: 4-line block ×3, first 2 shown]
	s_cmp_ge_u32 s24, s96
	s_cselect_b32 s15, -1, 0
	s_cmp_eq_u32 s25, 0
	s_cselect_b32 s15, s15, -1
	s_cmp_lg_u32 s15, 0
	s_cselect_b32 s14, s14, s25
	s_cselect_b32 s24, s26, s24
	s_cmp_ge_u32 s21, s96
	s_cselect_b32 s15, -1, 0
	s_cmp_eq_u32 s20, 0
	s_cselect_b32 s15, s15, -1
	s_cmp_lg_u32 s15, 0
	s_cselect_b32 s15, s14, s20
	s_cselect_b32 s14, s24, s21
	s_cbranch_execnz .LBB94_114
.LBB94_113:                             ;   in Loop: Header=BB94_21 Depth=1
	v_cvt_f32_u32_e32 v2, s96
	s_sub_i32 s14, 0, s96
	v_rcp_iflag_f32_e32 v2, v2
	s_nop 0
	v_mul_f32_e32 v2, 0x4f7ffffe, v2
	v_cvt_u32_f32_e32 v2, v2
	s_nop 0
	v_readfirstlane_b32 s15, v2
	s_mul_i32 s14, s14, s15
	s_mul_hi_u32 s14, s15, s14
	s_add_i32 s15, s15, s14
	s_mul_hi_u32 s14, s76, s15
	s_mul_i32 s14, s14, s96
	s_sub_i32 s14, s76, s14
	s_sub_i32 s15, s14, s96
	s_cmp_ge_u32 s14, s96
	s_cselect_b32 s14, s15, s14
	s_sub_i32 s15, s14, s96
	s_cmp_ge_u32 s14, s96
	s_cselect_b32 s98, s15, s14
	s_mov_b64 s[14:15], s[98:99]
.LBB94_114:                             ;   in Loop: Header=BB94_21 Depth=1
	s_sub_u32 s20, s76, s14
	s_subb_u32 s21, s69, s15
	v_cmp_gt_u64_e32 vcc, s[20:21], v[0:1]
                                        ; implicit-def: $vgpr25
	s_and_saveexec_b64 s[14:15], vcc
	s_cbranch_execz .LBB94_123
; %bb.115:                              ;   in Loop: Header=BB94_21 Depth=1
	s_mov_b64 s[24:25], 0
	v_mov_b64_e32 v[8:9], v[0:1]
                                        ; implicit-def: $sgpr26_sgpr27
	s_branch .LBB94_118
.LBB94_116:                             ;   in Loop: Header=BB94_118 Depth=2
	s_or_b64 exec, exec, s[28:29]
	s_waitcnt lgkmcnt(0)
	s_barrier
	ds_read_b64 v[24:25], v3 offset:3072
	s_mov_b64 s[28:29], -1
	s_mov_b64 s[30:31], -1
	s_waitcnt lgkmcnt(0)
	s_barrier
	v_cmp_ne_u32_e32 vcc, 0, v24
	s_cbranch_vccz .LBB94_121
.LBB94_117:                             ;   in Loop: Header=BB94_118 Depth=2
	s_and_b64 s[28:29], exec, s[28:29]
	s_or_b64 s[24:25], s[28:29], s[24:25]
	s_andn2_b64 s[26:27], s[26:27], exec
	s_and_b64 s[28:29], s[30:31], exec
	s_or_b64 s[26:27], s[26:27], s[28:29]
	s_andn2_b64 exec, exec, s[24:25]
	s_cbranch_execz .LBB94_122
.LBB94_118:                             ;   Parent Loop BB94_21 Depth=1
                                        ; =>  This Inner Loop Header: Depth=2
	v_cmp_gt_u64_e32 vcc, s[56:57], v[8:9]
	s_and_saveexec_b64 s[28:29], vcc
	s_cbranch_execz .LBB94_116
; %bb.119:                              ;   in Loop: Header=BB94_118 Depth=2
	v_mul_lo_u32 v2, v9, s84
	v_mul_lo_u32 v23, v8, s85
	v_mad_u64_u32 v[10:11], s[30:31], v8, s84, 0
	v_add3_u32 v11, v11, v23, v2
	v_lshl_add_u64 v[10:11], v[10:11], 2, s[94:95]
	global_load_dword v23, v[10:11], off
	s_waitcnt vmcnt(0)
	v_bitop3_b32 v2, v23, v39, s6 bitop3:0x48
	v_cmp_eq_u32_e32 vcc, v2, v34
	s_and_b64 exec, exec, vcc
	s_cbranch_execz .LBB94_116
; %bb.120:                              ;   in Loop: Header=BB94_118 Depth=2
	ds_write_b64 v3, v[22:23] offset:3072
	s_branch .LBB94_116
.LBB94_121:                             ;   in Loop: Header=BB94_118 Depth=2
	v_lshl_add_u64 v[8:9], v[8:9], 0, s[96:97]
	v_cmp_le_u64_e32 vcc, s[20:21], v[8:9]
	s_mov_b64 s[30:31], 0
	s_orn2_b64 s[28:29], vcc, exec
	s_branch .LBB94_117
.LBB94_122:                             ;   in Loop: Header=BB94_21 Depth=1
	s_or_b64 exec, exec, s[24:25]
	s_andn2_b64 s[8:9], s[8:9], exec
	s_and_b64 s[20:21], s[26:27], exec
	s_or_b64 s[8:9], s[8:9], s[20:21]
.LBB94_123:                             ;   in Loop: Header=BB94_21 Depth=1
	s_or_b64 exec, exec, s[14:15]
	s_mov_b64 s[20:21], 0
	s_mov_b64 s[24:25], -1
.LBB94_124:                             ;   in Loop: Header=BB94_21 Depth=1
	s_orn2_b64 s[8:9], s[8:9], exec
.LBB94_125:                             ;   in Loop: Header=BB94_21 Depth=1
	s_or_b64 exec, exec, s[16:17]
	s_andn2_b64 s[14:15], s[58:59], exec
	s_and_b64 s[16:17], s[24:25], exec
	s_or_b64 s[58:59], s[14:15], s[16:17]
	s_andn2_b64 s[14:15], s[82:83], exec
	s_and_b64 s[16:17], s[20:21], exec
	s_andn2_b64 s[74:75], s[74:75], exec
	s_or_b64 s[82:83], s[14:15], s[16:17]
                                        ; implicit-def: $vgpr8_vgpr9
	s_and_saveexec_b64 s[16:17], s[8:9]
	s_cbranch_execz .LBB94_20
; %bb.126:                              ;   in Loop: Header=BB94_21 Depth=1
	s_xor_b64 s[8:9], s[18:19], -1
	v_mov_b32_e32 v2, 1
	s_mov_b64 s[14:15], 0
	v_mov_b64_e32 v[8:9], 1
	s_and_saveexec_b64 s[0:1], s[8:9]
	s_cbranch_execz .LBB94_135
; %bb.127:                              ;   in Loop: Header=BB94_21 Depth=1
	v_cmp_le_u64_e32 vcc, v[26:27], v[4:5]
	s_and_saveexec_b64 s[8:9], vcc
	s_xor_b64 s[8:9], exec, s[8:9]
	s_cbranch_execz .LBB94_132
; %bb.128:                              ;   in Loop: Header=BB94_21 Depth=1
	ds_read_b64 v[8:9], v3 offset:5120
	v_and_b32_e32 v34, s52, v34
	v_or_b32_e32 v39, s62, v39
	s_waitcnt lgkmcnt(0)
	v_cmp_ne_u64_e32 vcc, 0, v[8:9]
	s_cbranch_vccnz .LBB94_132
; %bb.129:                              ;   in Loop: Header=BB94_21 Depth=1
	s_mov_b64 s[14:15], exec
	v_readlane_b32 s18, v54, 28
	v_readlane_b32 s19, v54, 29
	s_and_b64 s[18:19], s[14:15], s[18:19]
	s_mov_b64 exec, s[18:19]
; %bb.130:                              ;   in Loop: Header=BB94_21 Depth=1
	ds_write_b64 v3, v[4:5] offset:5128
; %bb.131:                              ;   in Loop: Header=BB94_21 Depth=1
	s_or_b64 exec, exec, s[14:15]
	s_waitcnt lgkmcnt(0)
	s_barrier
.LBB94_132:                             ;   in Loop: Header=BB94_21 Depth=1
	s_or_saveexec_b64 s[8:9], s[8:9]
	s_mov_b64 s[14:15], 0
	v_mov_b32_e32 v2, 8
	s_xor_b64 exec, exec, s[8:9]
; %bb.133:                              ;   in Loop: Header=BB94_21 Depth=1
	v_sub_co_u32_e32 v26, vcc, v26, v4
	s_mov_b64 s[14:15], exec
	s_nop 0
	v_subb_co_u32_e32 v27, vcc, v27, v5, vcc
	v_mov_b32_e32 v2, 0
; %bb.134:                              ;   in Loop: Header=BB94_21 Depth=1
	s_or_b64 exec, exec, s[8:9]
	s_and_b64 s[14:15], s[14:15], exec
	v_mov_b64_e32 v[8:9], v[26:27]
.LBB94_135:                             ;   in Loop: Header=BB94_21 Depth=1
	s_or_b64 exec, exec, s[0:1]
	s_mov_b64 s[18:19], -1
	s_mov_b64 s[8:9], -1
                                        ; implicit-def: $sgpr0_sgpr1
                                        ; implicit-def: $sgpr24_sgpr25
	s_and_saveexec_b64 s[20:21], s[14:15]
	s_xor_b64 s[20:21], exec, s[20:21]
	s_cbranch_execz .LBB94_280
; %bb.136:                              ;   in Loop: Header=BB94_21 Depth=1
	v_cmp_eq_u64_e32 vcc, 1, v[6:7]
	v_cmp_eq_u64_e64 s[0:1], 1, v[8:9]
	s_and_b64 s[28:29], vcc, s[0:1]
                                        ; implicit-def: $sgpr24_sgpr25
                                        ; implicit-def: $sgpr0_sgpr1
	s_and_saveexec_b64 s[26:27], s[28:29]
	s_cbranch_execz .LBB94_173
; %bb.137:                              ;   in Loop: Header=BB94_21 Depth=1
	ds_read_b64 v[4:5], v3 offset:5120
	s_waitcnt lgkmcnt(0)
	s_barrier
	v_readfirstlane_b32 s14, v4
	v_readfirstlane_b32 s15, v5
	s_mov_b64 s[0:1], exec
	v_readlane_b32 s8, v54, 38
	v_readlane_b32 s9, v54, 39
	s_and_b64 s[8:9], s[0:1], s[8:9]
	s_mov_b64 exec, s[8:9]
; %bb.138:                              ;   in Loop: Header=BB94_21 Depth=1
	ds_write_b32 v31, v3
; %bb.139:                              ;   in Loop: Header=BB94_21 Depth=1
	s_or_b64 exec, exec, s[0:1]
	v_and_b32_e32 v4, s52, v34
	v_lshl_or_b32 v34, 1, s7, v4
	v_or_b32_e32 v39, s62, v39
	s_mov_b64 s[0:1], -1
	s_mov_b64 s[24:25], 0
	s_cmp_eq_u64 s[14:15], 0
	s_mov_b64 s[8:9], 0
	s_mov_b64 s[30:31], -1
	s_waitcnt lgkmcnt(0)
	s_barrier
                                        ; implicit-def: $vgpr25
	s_cbranch_scc1 .LBB94_158
; %bb.140:                              ;   in Loop: Header=BB94_21 Depth=1
	v_readlane_b32 s8, v54, 44
	s_add_u32 s36, s14, s8
	v_readlane_b32 s8, v54, 45
	s_addc_u32 s9, s15, s8
	s_mov_b32 s8, s99
	s_cmp_lg_u64 s[8:9], 0
	s_cbranch_scc0 .LBB94_200
; %bb.141:                              ;   in Loop: Header=BB94_21 Depth=1
	v_cvt_f32_u32_e32 v4, s96
	s_sub_u32 s8, 0, s96
	s_subb_u32 s34, 0, 0
	v_fmac_f32_e32 v4, 0, v37
	v_rcp_f32_e32 v4, v4
	s_nop 0
	v_mul_f32_e32 v4, 0x5f7ffffc, v4
	v_mul_f32_e32 v5, 0x2f800000, v4
	v_trunc_f32_e32 v5, v5
	v_fmac_f32_e32 v4, 0xcf800000, v5
	v_cvt_u32_f32_e32 v5, v5
	v_cvt_u32_f32_e32 v4, v4
	v_readfirstlane_b32 s35, v5
	v_readfirstlane_b32 s30, v4
	s_mul_i32 s31, s8, s35
	s_mul_hi_u32 s38, s8, s30
	s_mul_i32 s37, s34, s30
	s_add_i32 s31, s38, s31
	s_mul_i32 s39, s8, s30
	s_add_i32 s31, s31, s37
	s_mul_hi_u32 s38, s30, s39
	s_mul_i32 s40, s30, s31
	s_mul_hi_u32 s37, s30, s31
	s_add_u32 s38, s38, s40
	s_addc_u32 s37, 0, s37
	s_mul_hi_u32 s41, s35, s39
	s_mul_i32 s39, s35, s39
	s_add_u32 s38, s38, s39
	s_mul_hi_u32 s40, s35, s31
	s_addc_u32 s37, s37, s41
	s_addc_u32 s38, s40, 0
	s_mul_i32 s31, s35, s31
	s_add_u32 s31, s37, s31
	s_addc_u32 s37, 0, s38
	s_add_u32 s38, s30, s31
	s_cselect_b64 s[30:31], -1, 0
	s_cmp_lg_u64 s[30:31], 0
	s_addc_u32 s35, s35, s37
	s_mul_i32 s30, s8, s35
	s_mul_hi_u32 s31, s8, s38
	s_add_i32 s30, s31, s30
	s_mul_i32 s34, s34, s38
	s_add_i32 s30, s30, s34
	s_mul_i32 s8, s8, s38
	s_mul_hi_u32 s34, s35, s8
	s_mul_i32 s37, s35, s8
	s_mul_i32 s40, s38, s30
	s_mul_hi_u32 s8, s38, s8
	s_mul_hi_u32 s39, s38, s30
	s_add_u32 s8, s8, s40
	s_addc_u32 s39, 0, s39
	s_add_u32 s8, s8, s37
	s_mul_hi_u32 s31, s35, s30
	s_addc_u32 s8, s39, s34
	s_addc_u32 s31, s31, 0
	s_mul_i32 s30, s35, s30
	s_add_u32 s8, s8, s30
	s_addc_u32 s34, 0, s31
	s_add_u32 s8, s38, s8
	s_cselect_b64 s[30:31], -1, 0
	s_cmp_lg_u64 s[30:31], 0
	s_addc_u32 s30, s35, s34
	s_mul_i32 s34, s36, s30
	s_mul_hi_u32 s35, s36, s8
	s_mul_hi_u32 s31, s36, s30
	s_add_u32 s34, s35, s34
	s_addc_u32 s31, 0, s31
	s_mul_hi_u32 s37, s9, s8
	s_mul_i32 s8, s9, s8
	s_add_u32 s8, s34, s8
	s_mul_hi_u32 s35, s9, s30
	s_addc_u32 s8, s31, s37
	s_addc_u32 s31, s35, 0
	s_mul_i32 s30, s9, s30
	s_add_u32 s8, s8, s30
	s_addc_u32 s30, 0, s31
	s_mul_i32 s30, s96, s30
	s_mul_hi_u32 s31, s96, s8
	s_add_i32 s34, s31, s30
	s_mul_i32 s8, s96, s8
	s_sub_u32 s8, s36, s8
	s_cselect_b64 s[30:31], -1, 0
	s_cmp_lg_u64 s[30:31], 0
	s_subb_u32 s34, s9, s34
	s_sub_u32 s35, s8, s96
	s_cselect_b64 s[30:31], -1, 0
	s_cmp_lg_u64 s[30:31], 0
	s_subb_u32 s37, s34, 0
	;; [unrolled: 4-line block ×3, first 2 shown]
	s_cmp_ge_u32 s35, s96
	s_cselect_b32 s31, -1, 0
	s_cmp_eq_u32 s37, 0
	s_cselect_b32 s31, s31, -1
	s_cmp_lg_u32 s31, 0
	s_cselect_b32 s30, s30, s37
	s_cselect_b32 s35, s38, s35
	s_cmp_ge_u32 s8, s96
	s_cselect_b32 s31, -1, 0
	s_cmp_eq_u32 s34, 0
	s_cselect_b32 s31, s31, -1
	s_cmp_lg_u32 s31, 0
	s_cselect_b32 s31, s30, s34
	s_cselect_b32 s30, s35, s8
	s_cbranch_execnz .LBB94_143
.LBB94_142:                             ;   in Loop: Header=BB94_21 Depth=1
	v_cvt_f32_u32_e32 v4, s96
	s_sub_i32 s8, 0, s96
	v_rcp_iflag_f32_e32 v4, v4
	s_nop 0
	v_mul_f32_e32 v4, 0x4f7ffffe, v4
	v_cvt_u32_f32_e32 v4, v4
	s_nop 0
	v_readfirstlane_b32 s30, v4
	s_mul_i32 s8, s8, s30
	s_mul_hi_u32 s8, s30, s8
	s_add_i32 s30, s30, s8
	s_mul_hi_u32 s8, s36, s30
	s_mul_i32 s8, s8, s96
	s_sub_i32 s8, s36, s8
	s_sub_i32 s30, s8, s96
	s_cmp_ge_u32 s8, s96
	s_cselect_b32 s8, s30, s8
	s_sub_i32 s30, s8, s96
	s_cmp_ge_u32 s8, s96
	s_cselect_b32 s98, s30, s8
	s_mov_b64 s[30:31], s[98:99]
.LBB94_143:                             ;   in Loop: Header=BB94_21 Depth=1
	s_sub_u32 s36, s36, s30
	s_subb_u32 s37, s9, s31
	v_cmp_gt_u64_e32 vcc, s[36:37], v[0:1]
	s_mov_b64 s[30:31], 0
	s_mov_b64 s[8:9], 0
                                        ; implicit-def: $vgpr25
	s_and_saveexec_b64 s[34:35], vcc
	s_cbranch_execz .LBB94_157
; %bb.144:                              ;   in Loop: Header=BB94_21 Depth=1
	v_mov_b32_e32 v10, v12
	v_mov_b64_e32 v[4:5], v[0:1]
                                        ; implicit-def: $sgpr38_sgpr39
	s_branch .LBB94_147
.LBB94_145:                             ;   in Loop: Header=BB94_147 Depth=2
	s_or_b64 exec, exec, s[40:41]
	s_waitcnt lgkmcnt(0)
	s_barrier
	ds_read_b64 v[24:25], v3 offset:3072
	s_mov_b64 s[40:41], -1
	s_mov_b64 s[42:43], -1
	s_waitcnt lgkmcnt(0)
	s_barrier
	v_cmp_ne_u32_e32 vcc, 0, v24
	s_cbranch_vccz .LBB94_150
.LBB94_146:                             ;   in Loop: Header=BB94_147 Depth=2
	s_and_b64 s[40:41], exec, s[40:41]
	s_or_b64 s[8:9], s[40:41], s[8:9]
	s_andn2_b64 s[38:39], s[38:39], exec
	s_and_b64 s[40:41], s[42:43], exec
	s_or_b64 s[38:39], s[38:39], s[40:41]
	s_andn2_b64 exec, exec, s[8:9]
	s_cbranch_execz .LBB94_156
.LBB94_147:                             ;   Parent Loop BB94_21 Depth=1
                                        ; =>  This Inner Loop Header: Depth=2
	v_cmp_gt_u64_e32 vcc, s[14:15], v[4:5]
	s_and_saveexec_b64 s[40:41], vcc
	s_cbranch_execz .LBB94_145
; %bb.148:                              ;   in Loop: Header=BB94_147 Depth=2
	ds_read_b32 v23, v10
	s_waitcnt lgkmcnt(0)
	v_bitop3_b32 v11, v23, v39, s6 bitop3:0x48
	v_cmp_eq_u32_e32 vcc, v11, v34
	s_and_b64 exec, exec, vcc
	s_cbranch_execz .LBB94_145
; %bb.149:                              ;   in Loop: Header=BB94_147 Depth=2
	ds_write_b64 v3, v[22:23] offset:3072
	s_branch .LBB94_145
.LBB94_150:                             ;   in Loop: Header=BB94_147 Depth=2
	v_lshl_add_u64 v[4:5], v[4:5], 0, s[96:97]
	v_cmp_le_u64_e32 vcc, s[36:37], v[4:5]
	v_add_u32_e32 v10, s87, v10
	s_mov_b64 s[42:43], 0
	s_orn2_b64 s[40:41], vcc, exec
	s_branch .LBB94_146
.LBB94_151:                             ;   in Loop: Header=BB94_21 Depth=1
                                        ; implicit-def: $sgpr26_sgpr27
	s_branch .LBB94_99
.LBB94_152:                             ;   in Loop: Header=BB94_21 Depth=1
	s_or_b64 exec, exec, s[14:15]
	s_waitcnt lgkmcnt(0)
	s_barrier
	s_mov_b64 s[0:1], exec
	v_readlane_b32 s2, v54, 28
	v_readlane_b32 s3, v54, 29
	s_and_b64 s[2:3], s[0:1], s[2:3]
	s_mov_b64 exec, s[2:3]
	s_cbranch_execz .LBB94_154
; %bb.153:                              ;   in Loop: Header=BB94_21 Depth=1
	ds_read_b32 v4, v3 offset:5144
	s_waitcnt lgkmcnt(0)
	v_ashrrev_i32_e32 v5, 31, v4
	ds_write_b64 v3, v[4:5] offset:5120
.LBB94_154:                             ;   in Loop: Header=BB94_21 Depth=1
	s_or_b64 exec, exec, s[0:1]
	s_waitcnt lgkmcnt(0)
	s_barrier
	s_mov_b64 s[0:1], -1
	s_and_b64 vcc, exec, s[8:9]
	s_cbranch_vccnz .LBB94_37
	s_branch .LBB94_52
.LBB94_155:                             ;   in Loop: Header=BB94_21 Depth=1
                                        ; implicit-def: $sgpr14_sgpr15
	s_branch .LBB94_113
.LBB94_156:                             ;   in Loop: Header=BB94_21 Depth=1
	s_or_b64 exec, exec, s[8:9]
	s_and_b64 s[8:9], s[38:39], exec
.LBB94_157:                             ;   in Loop: Header=BB94_21 Depth=1
	s_or_b64 exec, exec, s[34:35]
.LBB94_158:                             ;   in Loop: Header=BB94_21 Depth=1
	s_and_b64 vcc, exec, s[30:31]
	s_cbranch_vccz .LBB94_172
; %bb.159:                              ;   in Loop: Header=BB94_21 Depth=1
	s_mov_b32 s68, s99
	s_cmp_lg_u64 s[68:69], 0
	s_cbranch_scc0 .LBB94_201
; %bb.160:                              ;   in Loop: Header=BB94_21 Depth=1
	v_cvt_f32_u32_e32 v4, s96
	s_sub_u32 s14, 0, s96
	s_subb_u32 s15, 0, 0
	v_fmac_f32_e32 v4, 0, v37
	v_rcp_f32_e32 v4, v4
	s_nop 0
	v_mul_f32_e32 v4, 0x5f7ffffc, v4
	v_mul_f32_e32 v5, 0x2f800000, v4
	v_trunc_f32_e32 v5, v5
	v_fmac_f32_e32 v4, 0xcf800000, v5
	v_cvt_u32_f32_e32 v5, v5
	v_cvt_u32_f32_e32 v4, v4
	v_readfirstlane_b32 s24, v5
	v_readfirstlane_b32 s0, v4
	s_mul_i32 s1, s14, s24
	s_mul_hi_u32 s30, s14, s0
	s_mul_i32 s25, s15, s0
	s_add_i32 s1, s30, s1
	s_mul_i32 s31, s14, s0
	s_add_i32 s1, s1, s25
	s_mul_hi_u32 s30, s0, s31
	s_mul_i32 s34, s0, s1
	s_mul_hi_u32 s25, s0, s1
	s_add_u32 s30, s30, s34
	s_addc_u32 s25, 0, s25
	s_mul_hi_u32 s35, s24, s31
	s_mul_i32 s31, s24, s31
	s_add_u32 s30, s30, s31
	s_mul_hi_u32 s34, s24, s1
	s_addc_u32 s25, s25, s35
	s_addc_u32 s30, s34, 0
	s_mul_i32 s1, s24, s1
	s_add_u32 s1, s25, s1
	s_addc_u32 s25, 0, s30
	s_add_u32 s30, s0, s1
	s_cselect_b64 s[0:1], -1, 0
	s_cmp_lg_u64 s[0:1], 0
	s_addc_u32 s24, s24, s25
	s_mul_i32 s0, s14, s24
	s_mul_hi_u32 s1, s14, s30
	s_add_i32 s0, s1, s0
	s_mul_i32 s15, s15, s30
	s_add_i32 s0, s0, s15
	s_mul_i32 s14, s14, s30
	s_mul_hi_u32 s15, s24, s14
	s_mul_i32 s25, s24, s14
	s_mul_i32 s34, s30, s0
	s_mul_hi_u32 s14, s30, s14
	s_mul_hi_u32 s31, s30, s0
	s_add_u32 s14, s14, s34
	s_addc_u32 s31, 0, s31
	s_add_u32 s14, s14, s25
	s_mul_hi_u32 s1, s24, s0
	s_addc_u32 s14, s31, s15
	s_addc_u32 s1, s1, 0
	s_mul_i32 s0, s24, s0
	s_add_u32 s0, s14, s0
	s_addc_u32 s14, 0, s1
	s_add_u32 s15, s30, s0
	s_cselect_b64 s[0:1], -1, 0
	s_cmp_lg_u64 s[0:1], 0
	s_addc_u32 s0, s24, s14
	s_mul_i32 s14, s76, s0
	s_mul_hi_u32 s24, s76, s15
	s_mul_hi_u32 s1, s76, s0
	s_add_u32 s14, s24, s14
	s_addc_u32 s1, 0, s1
	s_mul_hi_u32 s25, s69, s15
	s_mul_i32 s15, s69, s15
	s_add_u32 s14, s14, s15
	s_mul_hi_u32 s24, s69, s0
	s_addc_u32 s1, s1, s25
	s_addc_u32 s14, s24, 0
	s_mul_i32 s0, s69, s0
	s_add_u32 s0, s1, s0
	s_addc_u32 s1, 0, s14
	s_mul_i32 s1, s96, s1
	s_mul_hi_u32 s14, s96, s0
	s_add_i32 s14, s14, s1
	s_mul_i32 s0, s96, s0
	s_sub_u32 s15, s76, s0
	s_cselect_b64 s[0:1], -1, 0
	s_cmp_lg_u64 s[0:1], 0
	s_subb_u32 s14, s69, s14
	s_sub_u32 s24, s15, s96
	s_cselect_b64 s[0:1], -1, 0
	s_cmp_lg_u64 s[0:1], 0
	s_subb_u32 s25, s14, 0
	;; [unrolled: 4-line block ×3, first 2 shown]
	s_cmp_ge_u32 s24, s96
	s_cselect_b32 s1, -1, 0
	s_cmp_eq_u32 s25, 0
	s_cselect_b32 s1, s1, -1
	s_cmp_lg_u32 s1, 0
	s_cselect_b32 s0, s0, s25
	s_cselect_b32 s24, s30, s24
	s_cmp_ge_u32 s15, s96
	s_cselect_b32 s1, -1, 0
	s_cmp_eq_u32 s14, 0
	s_cselect_b32 s1, s1, -1
	s_cmp_lg_u32 s1, 0
	s_cselect_b32 s1, s0, s14
	s_cselect_b32 s0, s24, s15
	s_cbranch_execnz .LBB94_162
.LBB94_161:                             ;   in Loop: Header=BB94_21 Depth=1
	v_cvt_f32_u32_e32 v4, s96
	s_sub_i32 s0, 0, s96
	v_rcp_iflag_f32_e32 v4, v4
	s_nop 0
	v_mul_f32_e32 v4, 0x4f7ffffe, v4
	v_cvt_u32_f32_e32 v4, v4
	s_nop 0
	v_readfirstlane_b32 s1, v4
	s_mul_i32 s0, s0, s1
	s_mul_hi_u32 s0, s1, s0
	s_add_i32 s1, s1, s0
	s_mul_hi_u32 s0, s76, s1
	s_mul_i32 s0, s0, s96
	s_sub_i32 s0, s76, s0
	s_sub_i32 s1, s0, s96
	s_cmp_ge_u32 s0, s96
	s_cselect_b32 s0, s1, s0
	s_sub_i32 s1, s0, s96
	s_cmp_ge_u32 s0, s96
	s_cselect_b32 s98, s1, s0
	s_mov_b64 s[0:1], s[98:99]
.LBB94_162:                             ;   in Loop: Header=BB94_21 Depth=1
	s_sub_u32 s14, s76, s0
	s_subb_u32 s15, s69, s1
	v_cmp_gt_u64_e32 vcc, s[14:15], v[0:1]
                                        ; implicit-def: $vgpr25
	s_and_saveexec_b64 s[0:1], vcc
	s_cbranch_execz .LBB94_171
; %bb.163:                              ;   in Loop: Header=BB94_21 Depth=1
	s_mov_b64 s[24:25], 0
	v_mov_b64_e32 v[4:5], v[0:1]
                                        ; implicit-def: $sgpr30_sgpr31
	s_branch .LBB94_166
.LBB94_164:                             ;   in Loop: Header=BB94_166 Depth=2
	s_or_b64 exec, exec, s[34:35]
	s_waitcnt lgkmcnt(0)
	s_barrier
	ds_read_b64 v[24:25], v3 offset:3072
	s_mov_b64 s[34:35], -1
	s_mov_b64 s[36:37], -1
	s_waitcnt lgkmcnt(0)
	s_barrier
	v_cmp_eq_u32_e32 vcc, 0, v24
	s_cbranch_vccnz .LBB94_169
.LBB94_165:                             ;   in Loop: Header=BB94_166 Depth=2
	s_and_b64 s[34:35], exec, s[34:35]
	s_or_b64 s[24:25], s[34:35], s[24:25]
	s_andn2_b64 s[30:31], s[30:31], exec
	s_and_b64 s[34:35], s[36:37], exec
	s_or_b64 s[30:31], s[30:31], s[34:35]
	s_andn2_b64 exec, exec, s[24:25]
	s_cbranch_execz .LBB94_170
.LBB94_166:                             ;   Parent Loop BB94_21 Depth=1
                                        ; =>  This Inner Loop Header: Depth=2
	v_cmp_gt_u64_e32 vcc, s[56:57], v[4:5]
	s_and_saveexec_b64 s[34:35], vcc
	s_cbranch_execz .LBB94_164
; %bb.167:                              ;   in Loop: Header=BB94_166 Depth=2
	v_mul_lo_u32 v23, v5, s84
	v_mul_lo_u32 v24, v4, s85
	v_mad_u64_u32 v[10:11], s[36:37], v4, s84, 0
	v_add3_u32 v11, v11, v24, v23
	v_lshl_add_u64 v[10:11], v[10:11], 2, s[94:95]
	global_load_dword v23, v[10:11], off
	s_waitcnt vmcnt(0)
	v_bitop3_b32 v10, v23, v39, s6 bitop3:0x48
	v_cmp_eq_u32_e32 vcc, v10, v34
	s_and_b64 exec, exec, vcc
	s_cbranch_execz .LBB94_164
; %bb.168:                              ;   in Loop: Header=BB94_166 Depth=2
	ds_write_b64 v3, v[22:23] offset:3072
	s_branch .LBB94_164
.LBB94_169:                             ;   in Loop: Header=BB94_166 Depth=2
	v_lshl_add_u64 v[4:5], v[4:5], 0, s[96:97]
	v_cmp_le_u64_e32 vcc, s[14:15], v[4:5]
	s_mov_b64 s[36:37], 0
	s_orn2_b64 s[34:35], vcc, exec
	s_branch .LBB94_165
.LBB94_170:                             ;   in Loop: Header=BB94_21 Depth=1
	s_or_b64 exec, exec, s[24:25]
	s_andn2_b64 s[8:9], s[8:9], exec
	s_and_b64 s[14:15], s[30:31], exec
	s_or_b64 s[8:9], s[8:9], s[14:15]
.LBB94_171:                             ;   in Loop: Header=BB94_21 Depth=1
	s_or_b64 exec, exec, s[0:1]
	s_mov_b64 s[0:1], 0
	s_mov_b64 s[24:25], -1
.LBB94_172:                             ;   in Loop: Header=BB94_21 Depth=1
	s_orn2_b64 s[8:9], s[8:9], exec
.LBB94_173:                             ;   in Loop: Header=BB94_21 Depth=1
	s_or_b64 exec, exec, s[26:27]
	s_mov_b64 s[14:15], 0
	s_and_saveexec_b64 s[26:27], s[8:9]
	s_cbranch_execz .LBB94_279
; %bb.174:                              ;   in Loop: Header=BB94_21 Depth=1
	s_xor_b64 s[28:29], s[28:29], -1
	v_mov_b32_e32 v2, 1
	v_mov_b64_e32 v[4:5], 1
	s_and_saveexec_b64 s[8:9], s[28:29]
	s_cbranch_execz .LBB94_184
; %bb.175:                              ;   in Loop: Header=BB94_21 Depth=1
	v_cmp_le_u64_e32 vcc, v[8:9], v[6:7]
	s_and_saveexec_b64 s[14:15], vcc
	s_xor_b64 s[14:15], exec, s[14:15]
	s_cbranch_execz .LBB94_181
; %bb.176:                              ;   in Loop: Header=BB94_21 Depth=1
	ds_read_b64 v[4:5], v3 offset:5120
	v_and_b32_e32 v2, s52, v34
	v_lshl_or_b32 v34, 1, s7, v2
	v_or_b32_e32 v39, s62, v39
	s_waitcnt lgkmcnt(0)
	v_cmp_ne_u64_e32 vcc, 0, v[4:5]
	s_cbranch_vccnz .LBB94_180
; %bb.177:                              ;   in Loop: Header=BB94_21 Depth=1
	s_mov_b64 s[28:29], exec
	v_readlane_b32 s30, v54, 28
	v_readlane_b32 s31, v54, 29
	s_and_b64 s[30:31], s[28:29], s[30:31]
	s_mov_b64 exec, s[30:31]
; %bb.178:                              ;   in Loop: Header=BB94_21 Depth=1
	ds_write_b64 v3, v[6:7] offset:5128
; %bb.179:                              ;   in Loop: Header=BB94_21 Depth=1
	s_or_b64 exec, exec, s[28:29]
	s_waitcnt lgkmcnt(0)
	s_barrier
.LBB94_180:                             ;   in Loop: Header=BB94_21 Depth=1
                                        ; implicit-def: $vgpr4_vgpr5_vgpr6_vgpr7
.LBB94_181:                             ;   in Loop: Header=BB94_21 Depth=1
	s_or_saveexec_b64 s[14:15], s[14:15]
	s_mov_b64 s[28:29], 0
	v_mov_b32_e32 v2, 8
	s_xor_b64 exec, exec, s[14:15]
; %bb.182:                              ;   in Loop: Header=BB94_21 Depth=1
	v_sub_co_u32_e32 v8, vcc, v8, v6
	s_mov_b64 s[28:29], exec
	s_nop 0
	v_subb_co_u32_e32 v9, vcc, v9, v7, vcc
	v_mov_b32_e32 v2, 0
; %bb.183:                              ;   in Loop: Header=BB94_21 Depth=1
	s_or_b64 exec, exec, s[14:15]
	s_and_b64 s[14:15], s[28:29], exec
	v_mov_b64_e32 v[4:5], v[8:9]
.LBB94_184:                             ;   in Loop: Header=BB94_21 Depth=1
	s_or_b64 exec, exec, s[8:9]
	s_mov_b64 s[8:9], -1
                                        ; implicit-def: $sgpr34_sgpr35
                                        ; implicit-def: $sgpr36_sgpr37
	s_and_saveexec_b64 s[28:29], s[14:15]
	s_cbranch_execz .LBB94_278
; %bb.185:                              ;   in Loop: Header=BB94_21 Depth=1
	s_cmp_eq_u64 s[22:23], 1
	s_cselect_b64 s[8:9], -1, 0
	v_cmp_eq_u64_e32 vcc, 1, v[4:5]
	s_and_b64 s[40:41], s[8:9], vcc
	s_mov_b64 s[8:9], -1
                                        ; implicit-def: $sgpr36_sgpr37
                                        ; implicit-def: $sgpr34_sgpr35
	s_and_saveexec_b64 s[38:39], s[40:41]
	s_cbranch_execz .LBB94_219
; %bb.186:                              ;   in Loop: Header=BB94_21 Depth=1
	ds_read_b64 v[6:7], v3 offset:5120
	s_waitcnt lgkmcnt(0)
	s_barrier
	v_readfirstlane_b32 s14, v6
	v_readfirstlane_b32 s15, v7
	s_mov_b64 s[8:9], exec
	v_readlane_b32 s30, v54, 38
	v_readlane_b32 s31, v54, 39
	s_and_b64 s[30:31], s[8:9], s[30:31]
	s_mov_b64 exec, s[30:31]
; %bb.187:                              ;   in Loop: Header=BB94_21 Depth=1
	ds_write_b32 v31, v3
; %bb.188:                              ;   in Loop: Header=BB94_21 Depth=1
	s_or_b64 exec, exec, s[8:9]
	v_and_b32_e32 v6, s52, v34
	v_lshl_or_b32 v34, 2, s7, v6
	v_or_b32_e32 v39, s62, v39
	s_mov_b64 s[34:35], -1
	s_mov_b64 s[36:37], 0
	s_cmp_eq_u64 s[14:15], 0
	s_mov_b64 s[8:9], 0
	s_mov_b64 s[30:31], -1
	s_waitcnt lgkmcnt(0)
	s_barrier
                                        ; implicit-def: $vgpr25
	s_cbranch_scc1 .LBB94_204
; %bb.189:                              ;   in Loop: Header=BB94_21 Depth=1
	v_readlane_b32 s8, v54, 44
	s_add_u32 s44, s14, s8
	v_readlane_b32 s8, v54, 45
	s_addc_u32 s9, s15, s8
	s_mov_b32 s8, s99
	s_cmp_lg_u64 s[8:9], 0
	s_cbranch_scc0 .LBB94_245
; %bb.190:                              ;   in Loop: Header=BB94_21 Depth=1
	v_cvt_f32_u32_e32 v6, s96
	s_sub_u32 s8, 0, s96
	s_subb_u32 s42, 0, 0
	v_fmac_f32_e32 v6, 0, v37
	v_rcp_f32_e32 v6, v6
	s_nop 0
	v_mul_f32_e32 v6, 0x5f7ffffc, v6
	v_mul_f32_e32 v7, 0x2f800000, v6
	v_trunc_f32_e32 v7, v7
	v_fmac_f32_e32 v6, 0xcf800000, v7
	v_cvt_u32_f32_e32 v7, v7
	v_cvt_u32_f32_e32 v6, v6
	v_readfirstlane_b32 s43, v7
	v_readfirstlane_b32 s30, v6
	s_mul_i32 s31, s8, s43
	s_mul_hi_u32 s46, s8, s30
	s_mul_i32 s45, s42, s30
	s_add_i32 s31, s46, s31
	s_mul_i32 s47, s8, s30
	s_add_i32 s31, s31, s45
	s_mul_hi_u32 s46, s30, s47
	s_mul_i32 s48, s30, s31
	s_mul_hi_u32 s45, s30, s31
	s_add_u32 s46, s46, s48
	s_addc_u32 s45, 0, s45
	s_mul_hi_u32 s49, s43, s47
	s_mul_i32 s47, s43, s47
	s_add_u32 s46, s46, s47
	s_mul_hi_u32 s48, s43, s31
	s_addc_u32 s45, s45, s49
	s_addc_u32 s46, s48, 0
	s_mul_i32 s31, s43, s31
	s_add_u32 s31, s45, s31
	s_addc_u32 s45, 0, s46
	s_add_u32 s46, s30, s31
	s_cselect_b64 s[30:31], -1, 0
	s_cmp_lg_u64 s[30:31], 0
	s_addc_u32 s43, s43, s45
	s_mul_i32 s30, s8, s43
	s_mul_hi_u32 s31, s8, s46
	s_add_i32 s30, s31, s30
	s_mul_i32 s42, s42, s46
	s_add_i32 s30, s30, s42
	s_mul_i32 s8, s8, s46
	s_mul_hi_u32 s42, s43, s8
	s_mul_i32 s45, s43, s8
	s_mul_i32 s48, s46, s30
	s_mul_hi_u32 s8, s46, s8
	s_mul_hi_u32 s47, s46, s30
	s_add_u32 s8, s8, s48
	s_addc_u32 s47, 0, s47
	s_add_u32 s8, s8, s45
	s_mul_hi_u32 s31, s43, s30
	s_addc_u32 s8, s47, s42
	s_addc_u32 s31, s31, 0
	s_mul_i32 s30, s43, s30
	s_add_u32 s8, s8, s30
	s_addc_u32 s42, 0, s31
	s_add_u32 s8, s46, s8
	s_cselect_b64 s[30:31], -1, 0
	s_cmp_lg_u64 s[30:31], 0
	s_addc_u32 s30, s43, s42
	s_mul_i32 s42, s44, s30
	s_mul_hi_u32 s43, s44, s8
	s_mul_hi_u32 s31, s44, s30
	s_add_u32 s42, s43, s42
	s_addc_u32 s31, 0, s31
	s_mul_hi_u32 s45, s9, s8
	s_mul_i32 s8, s9, s8
	s_add_u32 s8, s42, s8
	s_mul_hi_u32 s43, s9, s30
	s_addc_u32 s8, s31, s45
	s_addc_u32 s31, s43, 0
	s_mul_i32 s30, s9, s30
	s_add_u32 s8, s8, s30
	s_addc_u32 s30, 0, s31
	s_mul_i32 s30, s96, s30
	s_mul_hi_u32 s31, s96, s8
	s_add_i32 s42, s31, s30
	s_mul_i32 s8, s96, s8
	s_sub_u32 s8, s44, s8
	s_cselect_b64 s[30:31], -1, 0
	s_cmp_lg_u64 s[30:31], 0
	s_subb_u32 s42, s9, s42
	s_sub_u32 s43, s8, s96
	s_cselect_b64 s[30:31], -1, 0
	s_cmp_lg_u64 s[30:31], 0
	s_subb_u32 s45, s42, 0
	;; [unrolled: 4-line block ×3, first 2 shown]
	s_cmp_ge_u32 s43, s96
	s_cselect_b32 s31, -1, 0
	s_cmp_eq_u32 s45, 0
	s_cselect_b32 s31, s31, -1
	s_cmp_lg_u32 s31, 0
	s_cselect_b32 s30, s30, s45
	s_cselect_b32 s43, s46, s43
	s_cmp_ge_u32 s8, s96
	s_cselect_b32 s31, -1, 0
	s_cmp_eq_u32 s42, 0
	s_cselect_b32 s31, s31, -1
	s_cmp_lg_u32 s31, 0
	s_cselect_b32 s31, s30, s42
	s_cselect_b32 s30, s43, s8
	s_cbranch_execnz .LBB94_192
.LBB94_191:                             ;   in Loop: Header=BB94_21 Depth=1
	v_cvt_f32_u32_e32 v6, s96
	s_sub_i32 s8, 0, s96
	v_rcp_iflag_f32_e32 v6, v6
	s_nop 0
	v_mul_f32_e32 v6, 0x4f7ffffe, v6
	v_cvt_u32_f32_e32 v6, v6
	s_nop 0
	v_readfirstlane_b32 s30, v6
	s_mul_i32 s8, s8, s30
	s_mul_hi_u32 s8, s30, s8
	s_add_i32 s30, s30, s8
	s_mul_hi_u32 s8, s44, s30
	s_mul_i32 s8, s8, s96
	s_sub_i32 s8, s44, s8
	s_sub_i32 s30, s8, s96
	s_cmp_ge_u32 s8, s96
	s_cselect_b32 s8, s30, s8
	s_sub_i32 s30, s8, s96
	s_cmp_ge_u32 s8, s96
	s_cselect_b32 s98, s30, s8
	s_mov_b64 s[30:31], s[98:99]
.LBB94_192:                             ;   in Loop: Header=BB94_21 Depth=1
	s_sub_u32 s44, s44, s30
	s_subb_u32 s45, s9, s31
	v_cmp_gt_u64_e32 vcc, s[44:45], v[0:1]
	s_mov_b64 s[30:31], 0
	s_mov_b64 s[8:9], 0
                                        ; implicit-def: $vgpr25
	s_and_saveexec_b64 s[42:43], vcc
	s_cbranch_execz .LBB94_203
; %bb.193:                              ;   in Loop: Header=BB94_21 Depth=1
	v_mov_b32_e32 v8, v12
	v_mov_b64_e32 v[6:7], v[0:1]
                                        ; implicit-def: $sgpr46_sgpr47
	s_branch .LBB94_196
.LBB94_194:                             ;   in Loop: Header=BB94_196 Depth=2
	s_or_b64 exec, exec, s[48:49]
	s_waitcnt lgkmcnt(0)
	s_barrier
	ds_read_b64 v[24:25], v3 offset:3072
	s_mov_b64 s[48:49], -1
	s_mov_b64 s[50:51], -1
	s_waitcnt lgkmcnt(0)
	s_barrier
	v_cmp_ne_u32_e32 vcc, 0, v24
	s_cbranch_vccz .LBB94_199
.LBB94_195:                             ;   in Loop: Header=BB94_196 Depth=2
	s_and_b64 s[48:49], exec, s[48:49]
	s_or_b64 s[8:9], s[48:49], s[8:9]
	s_andn2_b64 s[46:47], s[46:47], exec
	s_and_b64 s[48:49], s[50:51], exec
	s_or_b64 s[46:47], s[46:47], s[48:49]
	s_andn2_b64 exec, exec, s[8:9]
	s_cbranch_execz .LBB94_202
.LBB94_196:                             ;   Parent Loop BB94_21 Depth=1
                                        ; =>  This Inner Loop Header: Depth=2
	v_cmp_gt_u64_e32 vcc, s[14:15], v[6:7]
	s_and_saveexec_b64 s[48:49], vcc
	s_cbranch_execz .LBB94_194
; %bb.197:                              ;   in Loop: Header=BB94_196 Depth=2
	ds_read_b32 v23, v8
	s_waitcnt lgkmcnt(0)
	v_bitop3_b32 v9, v23, v39, s6 bitop3:0x48
	v_cmp_eq_u32_e32 vcc, v9, v34
	s_and_b64 exec, exec, vcc
	s_cbranch_execz .LBB94_194
; %bb.198:                              ;   in Loop: Header=BB94_196 Depth=2
	ds_write_b64 v3, v[22:23] offset:3072
	s_branch .LBB94_194
.LBB94_199:                             ;   in Loop: Header=BB94_196 Depth=2
	v_lshl_add_u64 v[6:7], v[6:7], 0, s[96:97]
	v_cmp_le_u64_e32 vcc, s[44:45], v[6:7]
	v_add_u32_e32 v8, s87, v8
	s_mov_b64 s[50:51], 0
	s_orn2_b64 s[48:49], vcc, exec
	s_branch .LBB94_195
.LBB94_200:                             ;   in Loop: Header=BB94_21 Depth=1
                                        ; implicit-def: $sgpr30_sgpr31
	s_branch .LBB94_142
.LBB94_201:                             ;   in Loop: Header=BB94_21 Depth=1
                                        ; implicit-def: $sgpr0_sgpr1
	s_branch .LBB94_161
.LBB94_202:                             ;   in Loop: Header=BB94_21 Depth=1
	s_or_b64 exec, exec, s[8:9]
	s_and_b64 s[8:9], s[46:47], exec
.LBB94_203:                             ;   in Loop: Header=BB94_21 Depth=1
	s_or_b64 exec, exec, s[42:43]
.LBB94_204:                             ;   in Loop: Header=BB94_21 Depth=1
	s_and_b64 vcc, exec, s[30:31]
	s_cbranch_vccz .LBB94_218
; %bb.205:                              ;   in Loop: Header=BB94_21 Depth=1
	s_mov_b32 s68, s99
	s_cmp_lg_u64 s[68:69], 0
	s_cbranch_scc0 .LBB94_246
; %bb.206:                              ;   in Loop: Header=BB94_21 Depth=1
	v_cvt_f32_u32_e32 v6, s96
	s_sub_u32 s30, 0, s96
	s_subb_u32 s31, 0, 0
	v_fmac_f32_e32 v6, 0, v37
	v_rcp_f32_e32 v6, v6
	s_nop 0
	v_mul_f32_e32 v6, 0x5f7ffffc, v6
	v_mul_f32_e32 v7, 0x2f800000, v6
	v_trunc_f32_e32 v7, v7
	v_fmac_f32_e32 v6, 0xcf800000, v7
	v_cvt_u32_f32_e32 v7, v7
	v_cvt_u32_f32_e32 v6, v6
	v_readfirstlane_b32 s34, v7
	v_readfirstlane_b32 s14, v6
	s_mul_i32 s15, s30, s34
	s_mul_hi_u32 s36, s30, s14
	s_mul_i32 s35, s31, s14
	s_add_i32 s15, s36, s15
	s_mul_i32 s37, s30, s14
	s_add_i32 s15, s15, s35
	s_mul_hi_u32 s36, s14, s37
	s_mul_i32 s42, s14, s15
	s_mul_hi_u32 s35, s14, s15
	s_add_u32 s36, s36, s42
	s_addc_u32 s35, 0, s35
	s_mul_hi_u32 s43, s34, s37
	s_mul_i32 s37, s34, s37
	s_add_u32 s36, s36, s37
	s_mul_hi_u32 s42, s34, s15
	s_addc_u32 s35, s35, s43
	s_addc_u32 s36, s42, 0
	s_mul_i32 s15, s34, s15
	s_add_u32 s15, s35, s15
	s_addc_u32 s35, 0, s36
	s_add_u32 s36, s14, s15
	s_cselect_b64 s[14:15], -1, 0
	s_cmp_lg_u64 s[14:15], 0
	s_addc_u32 s34, s34, s35
	s_mul_i32 s14, s30, s34
	s_mul_hi_u32 s15, s30, s36
	s_add_i32 s14, s15, s14
	s_mul_i32 s31, s31, s36
	s_add_i32 s14, s14, s31
	s_mul_i32 s30, s30, s36
	s_mul_hi_u32 s31, s34, s30
	s_mul_i32 s35, s34, s30
	s_mul_i32 s42, s36, s14
	s_mul_hi_u32 s30, s36, s30
	s_mul_hi_u32 s37, s36, s14
	s_add_u32 s30, s30, s42
	s_addc_u32 s37, 0, s37
	s_add_u32 s30, s30, s35
	s_mul_hi_u32 s15, s34, s14
	s_addc_u32 s30, s37, s31
	s_addc_u32 s15, s15, 0
	s_mul_i32 s14, s34, s14
	s_add_u32 s14, s30, s14
	s_addc_u32 s30, 0, s15
	s_add_u32 s31, s36, s14
	s_cselect_b64 s[14:15], -1, 0
	s_cmp_lg_u64 s[14:15], 0
	s_addc_u32 s14, s34, s30
	s_mul_i32 s30, s76, s14
	s_mul_hi_u32 s34, s76, s31
	s_mul_hi_u32 s15, s76, s14
	s_add_u32 s30, s34, s30
	s_addc_u32 s15, 0, s15
	s_mul_hi_u32 s35, s69, s31
	s_mul_i32 s31, s69, s31
	s_add_u32 s30, s30, s31
	s_mul_hi_u32 s34, s69, s14
	s_addc_u32 s15, s15, s35
	s_addc_u32 s30, s34, 0
	s_mul_i32 s14, s69, s14
	s_add_u32 s14, s15, s14
	s_addc_u32 s15, 0, s30
	s_mul_i32 s15, s96, s15
	s_mul_hi_u32 s30, s96, s14
	s_add_i32 s30, s30, s15
	s_mul_i32 s14, s96, s14
	s_sub_u32 s31, s76, s14
	s_cselect_b64 s[14:15], -1, 0
	s_cmp_lg_u64 s[14:15], 0
	s_subb_u32 s30, s69, s30
	s_sub_u32 s34, s31, s96
	s_cselect_b64 s[14:15], -1, 0
	s_cmp_lg_u64 s[14:15], 0
	s_subb_u32 s35, s30, 0
	;; [unrolled: 4-line block ×3, first 2 shown]
	s_cmp_ge_u32 s34, s96
	s_cselect_b32 s15, -1, 0
	s_cmp_eq_u32 s35, 0
	s_cselect_b32 s15, s15, -1
	s_cmp_lg_u32 s15, 0
	s_cselect_b32 s14, s14, s35
	s_cselect_b32 s34, s36, s34
	s_cmp_ge_u32 s31, s96
	s_cselect_b32 s15, -1, 0
	s_cmp_eq_u32 s30, 0
	s_cselect_b32 s15, s15, -1
	s_cmp_lg_u32 s15, 0
	s_cselect_b32 s15, s14, s30
	s_cselect_b32 s14, s34, s31
	s_cbranch_execnz .LBB94_208
.LBB94_207:                             ;   in Loop: Header=BB94_21 Depth=1
	v_cvt_f32_u32_e32 v6, s96
	s_sub_i32 s14, 0, s96
	v_rcp_iflag_f32_e32 v6, v6
	s_nop 0
	v_mul_f32_e32 v6, 0x4f7ffffe, v6
	v_cvt_u32_f32_e32 v6, v6
	s_nop 0
	v_readfirstlane_b32 s15, v6
	s_mul_i32 s14, s14, s15
	s_mul_hi_u32 s14, s15, s14
	s_add_i32 s15, s15, s14
	s_mul_hi_u32 s14, s76, s15
	s_mul_i32 s14, s14, s96
	s_sub_i32 s14, s76, s14
	s_sub_i32 s15, s14, s96
	s_cmp_ge_u32 s14, s96
	s_cselect_b32 s14, s15, s14
	s_sub_i32 s15, s14, s96
	s_cmp_ge_u32 s14, s96
	s_cselect_b32 s98, s15, s14
	s_mov_b64 s[14:15], s[98:99]
.LBB94_208:                             ;   in Loop: Header=BB94_21 Depth=1
	s_sub_u32 s30, s76, s14
	s_subb_u32 s31, s69, s15
	v_cmp_gt_u64_e32 vcc, s[30:31], v[0:1]
                                        ; implicit-def: $vgpr25
	s_and_saveexec_b64 s[14:15], vcc
	s_cbranch_execz .LBB94_217
; %bb.209:                              ;   in Loop: Header=BB94_21 Depth=1
	s_mov_b64 s[34:35], 0
	v_mov_b64_e32 v[6:7], v[0:1]
                                        ; implicit-def: $sgpr36_sgpr37
	s_branch .LBB94_212
.LBB94_210:                             ;   in Loop: Header=BB94_212 Depth=2
	s_or_b64 exec, exec, s[42:43]
	s_waitcnt lgkmcnt(0)
	s_barrier
	ds_read_b64 v[24:25], v3 offset:3072
	s_mov_b64 s[42:43], -1
	s_mov_b64 s[44:45], -1
	s_waitcnt lgkmcnt(0)
	s_barrier
	v_cmp_eq_u32_e32 vcc, 0, v24
	s_cbranch_vccnz .LBB94_215
.LBB94_211:                             ;   in Loop: Header=BB94_212 Depth=2
	s_and_b64 s[42:43], exec, s[42:43]
	s_or_b64 s[34:35], s[42:43], s[34:35]
	s_andn2_b64 s[36:37], s[36:37], exec
	s_and_b64 s[42:43], s[44:45], exec
	s_or_b64 s[36:37], s[36:37], s[42:43]
	s_andn2_b64 exec, exec, s[34:35]
	s_cbranch_execz .LBB94_216
.LBB94_212:                             ;   Parent Loop BB94_21 Depth=1
                                        ; =>  This Inner Loop Header: Depth=2
	v_cmp_gt_u64_e32 vcc, s[56:57], v[6:7]
	s_and_saveexec_b64 s[42:43], vcc
	s_cbranch_execz .LBB94_210
; %bb.213:                              ;   in Loop: Header=BB94_212 Depth=2
	v_mul_lo_u32 v10, v7, s84
	v_mul_lo_u32 v11, v6, s85
	v_mad_u64_u32 v[8:9], s[44:45], v6, s84, 0
	v_add3_u32 v9, v9, v11, v10
	v_lshl_add_u64 v[8:9], v[8:9], 2, s[94:95]
	global_load_dword v23, v[8:9], off
	s_waitcnt vmcnt(0)
	v_bitop3_b32 v8, v23, v39, s6 bitop3:0x48
	v_cmp_eq_u32_e32 vcc, v8, v34
	s_and_b64 exec, exec, vcc
	s_cbranch_execz .LBB94_210
; %bb.214:                              ;   in Loop: Header=BB94_212 Depth=2
	ds_write_b64 v3, v[22:23] offset:3072
	s_branch .LBB94_210
.LBB94_215:                             ;   in Loop: Header=BB94_212 Depth=2
	v_lshl_add_u64 v[6:7], v[6:7], 0, s[96:97]
	v_cmp_le_u64_e32 vcc, s[30:31], v[6:7]
	s_mov_b64 s[44:45], 0
	s_orn2_b64 s[42:43], vcc, exec
	s_branch .LBB94_211
.LBB94_216:                             ;   in Loop: Header=BB94_21 Depth=1
	s_or_b64 exec, exec, s[34:35]
	s_andn2_b64 s[8:9], s[8:9], exec
	s_and_b64 s[30:31], s[36:37], exec
	s_or_b64 s[8:9], s[8:9], s[30:31]
.LBB94_217:                             ;   in Loop: Header=BB94_21 Depth=1
	s_or_b64 exec, exec, s[14:15]
	s_mov_b64 s[34:35], 0
	s_mov_b64 s[36:37], -1
.LBB94_218:                             ;   in Loop: Header=BB94_21 Depth=1
	s_orn2_b64 s[8:9], s[8:9], exec
.LBB94_219:                             ;   in Loop: Header=BB94_21 Depth=1
	s_or_b64 exec, exec, s[38:39]
	s_mov_b64 s[14:15], 0
	s_and_saveexec_b64 s[38:39], s[8:9]
	s_cbranch_execz .LBB94_277
; %bb.220:                              ;   in Loop: Header=BB94_21 Depth=1
	s_xor_b64 s[30:31], s[40:41], -1
	v_mov_b32_e32 v2, 1
	v_mov_b64_e32 v[6:7], 1
	s_and_saveexec_b64 s[8:9], s[30:31]
	s_cbranch_execz .LBB94_229
; %bb.221:                              ;   in Loop: Header=BB94_21 Depth=1
	v_cmp_ge_u64_e32 vcc, s[22:23], v[4:5]
	s_and_saveexec_b64 s[14:15], vcc
	s_xor_b64 s[14:15], exec, s[14:15]
	s_cbranch_execz .LBB94_226
; %bb.222:                              ;   in Loop: Header=BB94_21 Depth=1
	ds_read_b64 v[6:7], v3 offset:5120
	v_and_b32_e32 v2, s52, v34
	v_lshl_or_b32 v34, 2, s7, v2
	v_or_b32_e32 v39, s62, v39
	s_waitcnt lgkmcnt(0)
	v_cmp_ne_u64_e32 vcc, 0, v[6:7]
	s_cbranch_vccnz .LBB94_226
; %bb.223:                              ;   in Loop: Header=BB94_21 Depth=1
	s_mov_b64 s[30:31], exec
	v_readlane_b32 s40, v54, 28
	v_readlane_b32 s41, v54, 29
	s_and_b64 s[40:41], s[30:31], s[40:41]
	s_mov_b64 exec, s[40:41]
; %bb.224:                              ;   in Loop: Header=BB94_21 Depth=1
	v_mov_b64_e32 v[6:7], s[22:23]
	ds_write_b64 v3, v[6:7] offset:5128
; %bb.225:                              ;   in Loop: Header=BB94_21 Depth=1
	s_or_b64 exec, exec, s[30:31]
	s_waitcnt lgkmcnt(0)
	s_barrier
.LBB94_226:                             ;   in Loop: Header=BB94_21 Depth=1
	s_or_saveexec_b64 s[14:15], s[14:15]
	s_mov_b64 s[30:31], 0
	v_mov_b32_e32 v2, 8
	s_xor_b64 exec, exec, s[14:15]
; %bb.227:                              ;   in Loop: Header=BB94_21 Depth=1
	v_mov_b32_e32 v2, s23
	v_subrev_co_u32_e32 v4, vcc, s22, v4
	s_mov_b64 s[30:31], exec
	s_nop 0
	v_subb_co_u32_e32 v5, vcc, v5, v2, vcc
	v_mov_b32_e32 v2, 0
; %bb.228:                              ;   in Loop: Header=BB94_21 Depth=1
	s_or_b64 exec, exec, s[14:15]
	s_and_b64 s[14:15], s[30:31], exec
	v_mov_b64_e32 v[6:7], v[4:5]
.LBB94_229:                             ;   in Loop: Header=BB94_21 Depth=1
	s_or_b64 exec, exec, s[8:9]
	s_mov_b64 s[8:9], -1
                                        ; implicit-def: $sgpr46_sgpr47
                                        ; implicit-def: $sgpr44_sgpr45
	s_and_saveexec_b64 s[22:23], s[14:15]
	s_cbranch_execz .LBB94_276
; %bb.230:                              ;   in Loop: Header=BB94_21 Depth=1
	s_cmp_eq_u64 s[2:3], 1
	s_cselect_b64 s[8:9], -1, 0
	v_cmp_eq_u64_e32 vcc, 1, v[6:7]
	s_and_b64 s[40:41], s[8:9], vcc
	s_mov_b64 s[14:15], -1
                                        ; implicit-def: $sgpr46_sgpr47
                                        ; implicit-def: $sgpr44_sgpr45
	s_and_saveexec_b64 s[42:43], s[40:41]
	s_cbranch_execz .LBB94_264
; %bb.231:                              ;   in Loop: Header=BB94_21 Depth=1
	ds_read_b64 v[4:5], v3 offset:5120
	s_waitcnt lgkmcnt(0)
	s_barrier
	v_readfirstlane_b32 s14, v4
	v_readfirstlane_b32 s15, v5
	s_mov_b64 s[8:9], exec
	v_readlane_b32 s30, v54, 38
	v_readlane_b32 s31, v54, 39
	s_and_b64 s[30:31], s[8:9], s[30:31]
	s_mov_b64 exec, s[30:31]
; %bb.232:                              ;   in Loop: Header=BB94_21 Depth=1
	ds_write_b32 v31, v3
; %bb.233:                              ;   in Loop: Header=BB94_21 Depth=1
	s_or_b64 exec, exec, s[8:9]
	v_or_b32_e32 v34, s62, v34
	v_or_b32_e32 v39, s62, v39
	s_mov_b64 s[44:45], -1
	s_mov_b64 s[46:47], 0
	s_cmp_eq_u64 s[14:15], 0
	s_mov_b64 s[8:9], 0
	s_mov_b64 s[30:31], -1
	s_waitcnt lgkmcnt(0)
	s_barrier
                                        ; implicit-def: $vgpr25
	s_cbranch_scc1 .LBB94_249
; %bb.234:                              ;   in Loop: Header=BB94_21 Depth=1
	v_readlane_b32 s8, v54, 44
	s_add_u32 s50, s14, s8
	v_readlane_b32 s8, v54, 45
	s_addc_u32 s9, s15, s8
	s_mov_b32 s8, s99
	s_cmp_lg_u64 s[8:9], 0
	s_cbranch_scc0 .LBB94_283
; %bb.235:                              ;   in Loop: Header=BB94_21 Depth=1
	v_cvt_f32_u32_e32 v4, s96
	s_sub_u32 s8, 0, s96
	s_subb_u32 s48, 0, 0
	v_fmac_f32_e32 v4, 0, v37
	v_rcp_f32_e32 v4, v4
	s_nop 0
	v_mul_f32_e32 v4, 0x5f7ffffc, v4
	v_mul_f32_e32 v5, 0x2f800000, v4
	v_trunc_f32_e32 v5, v5
	v_fmac_f32_e32 v4, 0xcf800000, v5
	v_cvt_u32_f32_e32 v5, v5
	v_cvt_u32_f32_e32 v4, v4
	v_readfirstlane_b32 s49, v5
	v_readfirstlane_b32 s30, v4
	s_mul_i32 s31, s8, s49
	s_mul_hi_u32 s52, s8, s30
	s_mul_i32 s51, s48, s30
	s_add_i32 s31, s52, s31
	s_mul_i32 s53, s8, s30
	s_add_i32 s31, s31, s51
	s_mul_hi_u32 s52, s30, s53
	s_mul_i32 s54, s30, s31
	s_mul_hi_u32 s51, s30, s31
	s_add_u32 s52, s52, s54
	s_addc_u32 s51, 0, s51
	s_mul_hi_u32 s55, s49, s53
	s_mul_i32 s53, s49, s53
	s_add_u32 s52, s52, s53
	s_mul_hi_u32 s54, s49, s31
	s_addc_u32 s51, s51, s55
	s_addc_u32 s52, s54, 0
	s_mul_i32 s31, s49, s31
	s_add_u32 s31, s51, s31
	s_addc_u32 s51, 0, s52
	s_add_u32 s52, s30, s31
	s_cselect_b64 s[30:31], -1, 0
	s_cmp_lg_u64 s[30:31], 0
	s_addc_u32 s49, s49, s51
	s_mul_i32 s30, s8, s49
	s_mul_hi_u32 s31, s8, s52
	s_add_i32 s30, s31, s30
	s_mul_i32 s48, s48, s52
	s_add_i32 s30, s30, s48
	s_mul_i32 s8, s8, s52
	s_mul_hi_u32 s48, s49, s8
	s_mul_i32 s51, s49, s8
	s_mul_i32 s54, s52, s30
	s_mul_hi_u32 s8, s52, s8
	s_mul_hi_u32 s53, s52, s30
	s_add_u32 s8, s8, s54
	s_addc_u32 s53, 0, s53
	s_add_u32 s8, s8, s51
	s_mul_hi_u32 s31, s49, s30
	s_addc_u32 s8, s53, s48
	s_addc_u32 s31, s31, 0
	s_mul_i32 s30, s49, s30
	s_add_u32 s8, s8, s30
	s_addc_u32 s48, 0, s31
	s_add_u32 s8, s52, s8
	s_cselect_b64 s[30:31], -1, 0
	s_cmp_lg_u64 s[30:31], 0
	s_addc_u32 s30, s49, s48
	s_mul_i32 s48, s50, s30
	s_mul_hi_u32 s49, s50, s8
	s_mul_hi_u32 s31, s50, s30
	s_add_u32 s48, s49, s48
	s_addc_u32 s31, 0, s31
	s_mul_hi_u32 s51, s9, s8
	s_mul_i32 s8, s9, s8
	s_add_u32 s8, s48, s8
	s_mul_hi_u32 s49, s9, s30
	s_addc_u32 s8, s31, s51
	s_addc_u32 s31, s49, 0
	s_mul_i32 s30, s9, s30
	s_add_u32 s8, s8, s30
	s_addc_u32 s30, 0, s31
	s_mul_i32 s30, s96, s30
	s_mul_hi_u32 s31, s96, s8
	s_add_i32 s48, s31, s30
	s_mul_i32 s8, s96, s8
	s_sub_u32 s8, s50, s8
	s_cselect_b64 s[30:31], -1, 0
	s_cmp_lg_u64 s[30:31], 0
	s_subb_u32 s48, s9, s48
	s_sub_u32 s49, s8, s96
	s_cselect_b64 s[30:31], -1, 0
	s_cmp_lg_u64 s[30:31], 0
	s_subb_u32 s51, s48, 0
	;; [unrolled: 4-line block ×3, first 2 shown]
	s_cmp_ge_u32 s49, s96
	s_cselect_b32 s31, -1, 0
	s_cmp_eq_u32 s51, 0
	s_cselect_b32 s31, s31, -1
	s_cmp_lg_u32 s31, 0
	s_cselect_b32 s30, s30, s51
	s_cselect_b32 s49, s52, s49
	s_cmp_ge_u32 s8, s96
	s_cselect_b32 s31, -1, 0
	s_cmp_eq_u32 s48, 0
	s_cselect_b32 s31, s31, -1
	s_cmp_lg_u32 s31, 0
	s_cselect_b32 s31, s30, s48
	s_cselect_b32 s30, s49, s8
	s_cbranch_execnz .LBB94_237
.LBB94_236:                             ;   in Loop: Header=BB94_21 Depth=1
	v_cvt_f32_u32_e32 v4, s96
	s_sub_i32 s8, 0, s96
	v_rcp_iflag_f32_e32 v4, v4
	s_nop 0
	v_mul_f32_e32 v4, 0x4f7ffffe, v4
	v_cvt_u32_f32_e32 v4, v4
	s_nop 0
	v_readfirstlane_b32 s30, v4
	s_mul_i32 s8, s8, s30
	s_mul_hi_u32 s8, s30, s8
	s_add_i32 s30, s30, s8
	s_mul_hi_u32 s8, s50, s30
	s_mul_i32 s8, s8, s96
	s_sub_i32 s8, s50, s8
	s_sub_i32 s30, s8, s96
	s_cmp_ge_u32 s8, s96
	s_cselect_b32 s8, s30, s8
	s_sub_i32 s30, s8, s96
	s_cmp_ge_u32 s8, s96
	s_cselect_b32 s98, s30, s8
	s_mov_b64 s[30:31], s[98:99]
.LBB94_237:                             ;   in Loop: Header=BB94_21 Depth=1
	s_sub_u32 s50, s50, s30
	s_subb_u32 s51, s9, s31
	v_cmp_gt_u64_e32 vcc, s[50:51], v[0:1]
	s_mov_b64 s[30:31], 0
	s_mov_b64 s[8:9], 0
                                        ; implicit-def: $vgpr25
	s_and_saveexec_b64 s[48:49], vcc
	s_cbranch_execz .LBB94_248
; %bb.238:                              ;   in Loop: Header=BB94_21 Depth=1
	v_mov_b32_e32 v8, v12
	v_mov_b64_e32 v[4:5], v[0:1]
                                        ; implicit-def: $sgpr52_sgpr53
	s_branch .LBB94_241
.LBB94_239:                             ;   in Loop: Header=BB94_241 Depth=2
	s_or_b64 exec, exec, s[54:55]
	s_waitcnt lgkmcnt(0)
	s_barrier
	ds_read_b64 v[24:25], v3 offset:3072
	s_mov_b64 s[54:55], -1
	s_mov_b64 s[60:61], -1
	s_waitcnt lgkmcnt(0)
	s_barrier
	v_cmp_ne_u32_e32 vcc, 0, v24
	s_cbranch_vccz .LBB94_244
.LBB94_240:                             ;   in Loop: Header=BB94_241 Depth=2
	s_and_b64 s[54:55], exec, s[54:55]
	s_or_b64 s[8:9], s[54:55], s[8:9]
	s_andn2_b64 s[52:53], s[52:53], exec
	s_and_b64 s[54:55], s[60:61], exec
	s_or_b64 s[52:53], s[52:53], s[54:55]
	s_andn2_b64 exec, exec, s[8:9]
	s_cbranch_execz .LBB94_247
.LBB94_241:                             ;   Parent Loop BB94_21 Depth=1
                                        ; =>  This Inner Loop Header: Depth=2
	v_cmp_gt_u64_e32 vcc, s[14:15], v[4:5]
	s_and_saveexec_b64 s[54:55], vcc
	s_cbranch_execz .LBB94_239
; %bb.242:                              ;   in Loop: Header=BB94_241 Depth=2
	ds_read_b32 v23, v8
	s_waitcnt lgkmcnt(0)
	v_bitop3_b32 v9, v23, v39, s6 bitop3:0x48
	v_cmp_eq_u32_e32 vcc, v9, v34
	s_and_b64 exec, exec, vcc
	s_cbranch_execz .LBB94_239
; %bb.243:                              ;   in Loop: Header=BB94_241 Depth=2
	ds_write_b64 v3, v[22:23] offset:3072
	s_branch .LBB94_239
.LBB94_244:                             ;   in Loop: Header=BB94_241 Depth=2
	v_lshl_add_u64 v[4:5], v[4:5], 0, s[96:97]
	v_cmp_le_u64_e32 vcc, s[50:51], v[4:5]
	v_add_u32_e32 v8, s87, v8
	s_mov_b64 s[60:61], 0
	s_orn2_b64 s[54:55], vcc, exec
	s_branch .LBB94_240
.LBB94_245:                             ;   in Loop: Header=BB94_21 Depth=1
                                        ; implicit-def: $sgpr30_sgpr31
	s_branch .LBB94_191
.LBB94_246:                             ;   in Loop: Header=BB94_21 Depth=1
                                        ; implicit-def: $sgpr14_sgpr15
	s_branch .LBB94_207
.LBB94_247:                             ;   in Loop: Header=BB94_21 Depth=1
	s_or_b64 exec, exec, s[8:9]
	s_and_b64 s[8:9], s[52:53], exec
.LBB94_248:                             ;   in Loop: Header=BB94_21 Depth=1
	s_or_b64 exec, exec, s[48:49]
.LBB94_249:                             ;   in Loop: Header=BB94_21 Depth=1
	s_and_b64 vcc, exec, s[30:31]
	s_cbranch_vccz .LBB94_263
; %bb.250:                              ;   in Loop: Header=BB94_21 Depth=1
	s_mov_b32 s68, s99
	s_cmp_lg_u64 s[68:69], 0
	s_cbranch_scc0 .LBB94_284
; %bb.251:                              ;   in Loop: Header=BB94_21 Depth=1
	v_cvt_f32_u32_e32 v4, s96
	s_sub_u32 s30, 0, s96
	s_subb_u32 s31, 0, 0
	v_fmac_f32_e32 v4, 0, v37
	v_rcp_f32_e32 v4, v4
	s_nop 0
	v_mul_f32_e32 v4, 0x5f7ffffc, v4
	v_mul_f32_e32 v5, 0x2f800000, v4
	v_trunc_f32_e32 v5, v5
	v_fmac_f32_e32 v4, 0xcf800000, v5
	v_cvt_u32_f32_e32 v5, v5
	v_cvt_u32_f32_e32 v4, v4
	v_readfirstlane_b32 s44, v5
	v_readfirstlane_b32 s14, v4
	s_mul_i32 s15, s30, s44
	s_mul_hi_u32 s46, s30, s14
	s_mul_i32 s45, s31, s14
	s_add_i32 s15, s46, s15
	s_mul_i32 s47, s30, s14
	s_add_i32 s15, s15, s45
	s_mul_hi_u32 s46, s14, s47
	s_mul_i32 s48, s14, s15
	s_mul_hi_u32 s45, s14, s15
	s_add_u32 s46, s46, s48
	s_addc_u32 s45, 0, s45
	s_mul_hi_u32 s49, s44, s47
	s_mul_i32 s47, s44, s47
	s_add_u32 s46, s46, s47
	s_mul_hi_u32 s48, s44, s15
	s_addc_u32 s45, s45, s49
	s_addc_u32 s46, s48, 0
	s_mul_i32 s15, s44, s15
	s_add_u32 s15, s45, s15
	s_addc_u32 s45, 0, s46
	s_add_u32 s46, s14, s15
	s_cselect_b64 s[14:15], -1, 0
	s_cmp_lg_u64 s[14:15], 0
	s_addc_u32 s44, s44, s45
	s_mul_i32 s14, s30, s44
	s_mul_hi_u32 s15, s30, s46
	s_add_i32 s14, s15, s14
	s_mul_i32 s31, s31, s46
	s_add_i32 s14, s14, s31
	s_mul_i32 s30, s30, s46
	s_mul_hi_u32 s31, s44, s30
	s_mul_i32 s45, s44, s30
	s_mul_i32 s48, s46, s14
	s_mul_hi_u32 s30, s46, s30
	s_mul_hi_u32 s47, s46, s14
	s_add_u32 s30, s30, s48
	s_addc_u32 s47, 0, s47
	s_add_u32 s30, s30, s45
	s_mul_hi_u32 s15, s44, s14
	s_addc_u32 s30, s47, s31
	s_addc_u32 s15, s15, 0
	s_mul_i32 s14, s44, s14
	s_add_u32 s14, s30, s14
	s_addc_u32 s30, 0, s15
	s_add_u32 s31, s46, s14
	s_cselect_b64 s[14:15], -1, 0
	s_cmp_lg_u64 s[14:15], 0
	s_addc_u32 s14, s44, s30
	s_mul_i32 s30, s76, s14
	s_mul_hi_u32 s44, s76, s31
	s_mul_hi_u32 s15, s76, s14
	s_add_u32 s30, s44, s30
	s_addc_u32 s15, 0, s15
	s_mul_hi_u32 s45, s69, s31
	s_mul_i32 s31, s69, s31
	s_add_u32 s30, s30, s31
	s_mul_hi_u32 s44, s69, s14
	s_addc_u32 s15, s15, s45
	s_addc_u32 s30, s44, 0
	s_mul_i32 s14, s69, s14
	s_add_u32 s14, s15, s14
	s_addc_u32 s15, 0, s30
	s_mul_i32 s15, s96, s15
	s_mul_hi_u32 s30, s96, s14
	s_add_i32 s30, s30, s15
	s_mul_i32 s14, s96, s14
	s_sub_u32 s31, s76, s14
	s_cselect_b64 s[14:15], -1, 0
	s_cmp_lg_u64 s[14:15], 0
	s_subb_u32 s30, s69, s30
	s_sub_u32 s44, s31, s96
	s_cselect_b64 s[14:15], -1, 0
	s_cmp_lg_u64 s[14:15], 0
	s_subb_u32 s45, s30, 0
	;; [unrolled: 4-line block ×3, first 2 shown]
	s_cmp_ge_u32 s44, s96
	s_cselect_b32 s15, -1, 0
	s_cmp_eq_u32 s45, 0
	s_cselect_b32 s15, s15, -1
	s_cmp_lg_u32 s15, 0
	s_cselect_b32 s14, s14, s45
	s_cselect_b32 s44, s46, s44
	s_cmp_ge_u32 s31, s96
	s_cselect_b32 s15, -1, 0
	s_cmp_eq_u32 s30, 0
	s_cselect_b32 s15, s15, -1
	s_cmp_lg_u32 s15, 0
	s_cselect_b32 s15, s14, s30
	s_cselect_b32 s14, s44, s31
	s_cbranch_execnz .LBB94_253
.LBB94_252:                             ;   in Loop: Header=BB94_21 Depth=1
	v_cvt_f32_u32_e32 v4, s96
	s_sub_i32 s14, 0, s96
	v_rcp_iflag_f32_e32 v4, v4
	s_nop 0
	v_mul_f32_e32 v4, 0x4f7ffffe, v4
	v_cvt_u32_f32_e32 v4, v4
	s_nop 0
	v_readfirstlane_b32 s15, v4
	s_mul_i32 s14, s14, s15
	s_mul_hi_u32 s14, s15, s14
	s_add_i32 s15, s15, s14
	s_mul_hi_u32 s14, s76, s15
	s_mul_i32 s14, s14, s96
	s_sub_i32 s14, s76, s14
	s_sub_i32 s15, s14, s96
	s_cmp_ge_u32 s14, s96
	s_cselect_b32 s14, s15, s14
	s_sub_i32 s15, s14, s96
	s_cmp_ge_u32 s14, s96
	s_cselect_b32 s98, s15, s14
	s_mov_b64 s[14:15], s[98:99]
.LBB94_253:                             ;   in Loop: Header=BB94_21 Depth=1
	s_sub_u32 s30, s76, s14
	s_subb_u32 s31, s69, s15
	v_cmp_gt_u64_e32 vcc, s[30:31], v[0:1]
                                        ; implicit-def: $vgpr25
	s_and_saveexec_b64 s[14:15], vcc
	s_cbranch_execz .LBB94_262
; %bb.254:                              ;   in Loop: Header=BB94_21 Depth=1
	s_mov_b64 s[44:45], 0
	v_mov_b64_e32 v[4:5], v[0:1]
                                        ; implicit-def: $sgpr46_sgpr47
	s_branch .LBB94_257
.LBB94_255:                             ;   in Loop: Header=BB94_257 Depth=2
	s_or_b64 exec, exec, s[48:49]
	s_waitcnt lgkmcnt(0)
	s_barrier
	ds_read_b64 v[24:25], v3 offset:3072
	s_mov_b64 s[48:49], -1
	s_mov_b64 s[50:51], -1
	s_waitcnt lgkmcnt(0)
	s_barrier
	v_cmp_eq_u32_e32 vcc, 0, v24
	s_cbranch_vccnz .LBB94_260
.LBB94_256:                             ;   in Loop: Header=BB94_257 Depth=2
	s_and_b64 s[48:49], exec, s[48:49]
	s_or_b64 s[44:45], s[48:49], s[44:45]
	s_andn2_b64 s[46:47], s[46:47], exec
	s_and_b64 s[48:49], s[50:51], exec
	s_or_b64 s[46:47], s[46:47], s[48:49]
	s_andn2_b64 exec, exec, s[44:45]
	s_cbranch_execz .LBB94_261
.LBB94_257:                             ;   Parent Loop BB94_21 Depth=1
                                        ; =>  This Inner Loop Header: Depth=2
	v_cmp_gt_u64_e32 vcc, s[56:57], v[4:5]
	s_and_saveexec_b64 s[48:49], vcc
	s_cbranch_execz .LBB94_255
; %bb.258:                              ;   in Loop: Header=BB94_257 Depth=2
	v_mul_lo_u32 v10, v5, s84
	v_mul_lo_u32 v11, v4, s85
	v_mad_u64_u32 v[8:9], s[50:51], v4, s84, 0
	v_add3_u32 v9, v9, v11, v10
	v_lshl_add_u64 v[8:9], v[8:9], 2, s[94:95]
	global_load_dword v23, v[8:9], off
	s_waitcnt vmcnt(0)
	v_bitop3_b32 v8, v23, v39, s6 bitop3:0x48
	v_cmp_eq_u32_e32 vcc, v8, v34
	s_and_b64 exec, exec, vcc
	s_cbranch_execz .LBB94_255
; %bb.259:                              ;   in Loop: Header=BB94_257 Depth=2
	ds_write_b64 v3, v[22:23] offset:3072
	s_branch .LBB94_255
.LBB94_260:                             ;   in Loop: Header=BB94_257 Depth=2
	v_lshl_add_u64 v[4:5], v[4:5], 0, s[96:97]
	v_cmp_le_u64_e32 vcc, s[30:31], v[4:5]
	s_mov_b64 s[50:51], 0
	s_orn2_b64 s[48:49], vcc, exec
	s_branch .LBB94_256
.LBB94_261:                             ;   in Loop: Header=BB94_21 Depth=1
	s_or_b64 exec, exec, s[44:45]
	s_andn2_b64 s[8:9], s[8:9], exec
	s_and_b64 s[30:31], s[46:47], exec
	s_or_b64 s[8:9], s[8:9], s[30:31]
.LBB94_262:                             ;   in Loop: Header=BB94_21 Depth=1
	s_or_b64 exec, exec, s[14:15]
	s_mov_b64 s[44:45], 0
	s_mov_b64 s[46:47], -1
.LBB94_263:                             ;   in Loop: Header=BB94_21 Depth=1
	s_orn2_b64 s[14:15], s[8:9], exec
.LBB94_264:                             ;   in Loop: Header=BB94_21 Depth=1
	s_or_b64 exec, exec, s[42:43]
	s_mov_b64 s[30:31], 0
	s_and_saveexec_b64 s[8:9], s[14:15]
	s_cbranch_execz .LBB94_275
; %bb.265:                              ;   in Loop: Header=BB94_21 Depth=1
	s_xor_b64 s[30:31], s[40:41], -1
	v_mov_b64_e32 v[4:5], 1
	v_mov_b32_e32 v2, 1
	s_and_saveexec_b64 s[14:15], s[30:31]
	s_cbranch_execz .LBB94_274
; %bb.266:                              ;   in Loop: Header=BB94_21 Depth=1
	v_cmp_ge_u64_e32 vcc, s[2:3], v[6:7]
	s_and_saveexec_b64 s[30:31], vcc
	s_xor_b64 s[30:31], exec, s[30:31]
	s_cbranch_execz .LBB94_271
; %bb.267:                              ;   in Loop: Header=BB94_21 Depth=1
	ds_read_b64 v[4:5], v3 offset:5120
	v_or_b32_e32 v34, s62, v34
	v_or_b32_e32 v39, s62, v39
	s_waitcnt lgkmcnt(0)
	v_cmp_ne_u64_e32 vcc, 0, v[4:5]
	s_cbranch_vccnz .LBB94_271
; %bb.268:                              ;   in Loop: Header=BB94_21 Depth=1
	s_mov_b64 s[40:41], exec
	v_readlane_b32 s42, v54, 28
	v_readlane_b32 s43, v54, 29
	s_and_b64 s[42:43], s[40:41], s[42:43]
	s_mov_b64 exec, s[42:43]
; %bb.269:                              ;   in Loop: Header=BB94_21 Depth=1
	v_mov_b64_e32 v[4:5], s[2:3]
	ds_write_b64 v3, v[4:5] offset:5128
; %bb.270:                              ;   in Loop: Header=BB94_21 Depth=1
	s_or_b64 exec, exec, s[40:41]
	s_waitcnt lgkmcnt(0)
	s_barrier
.LBB94_271:                             ;   in Loop: Header=BB94_21 Depth=1
	s_andn2_saveexec_b64 s[30:31], s[30:31]
; %bb.272:                              ;   in Loop: Header=BB94_21 Depth=1
	v_mov_b32_e32 v2, s3
	v_subrev_co_u32_e32 v6, vcc, s2, v6
	s_nop 1
	v_subb_co_u32_e32 v7, vcc, v7, v2, vcc
; %bb.273:                              ;   in Loop: Header=BB94_21 Depth=1
	s_or_b64 exec, exec, s[30:31]
	v_mov_b32_e32 v2, 8
	v_mov_b64_e32 v[4:5], v[6:7]
.LBB94_274:                             ;   in Loop: Header=BB94_21 Depth=1
	s_or_b64 exec, exec, s[14:15]
	s_mov_b64 s[30:31], exec
	v_mov_b64_e32 v[6:7], v[4:5]
.LBB94_275:                             ;   in Loop: Header=BB94_21 Depth=1
	s_or_b64 exec, exec, s[8:9]
	s_orn2_b64 s[8:9], s[30:31], exec
.LBB94_276:                             ;   in Loop: Header=BB94_21 Depth=1
	s_or_b64 exec, exec, s[22:23]
	s_andn2_b64 s[2:3], s[36:37], exec
	s_and_b64 s[14:15], s[46:47], exec
	s_or_b64 s[36:37], s[2:3], s[14:15]
	s_andn2_b64 s[2:3], s[34:35], exec
	s_and_b64 s[14:15], s[44:45], exec
	s_or_b64 s[34:35], s[2:3], s[14:15]
	s_and_b64 s[14:15], s[8:9], exec
	v_mov_b64_e32 v[4:5], v[6:7]
.LBB94_277:                             ;   in Loop: Header=BB94_21 Depth=1
	s_or_b64 exec, exec, s[38:39]
	s_orn2_b64 s[8:9], s[14:15], exec
.LBB94_278:                             ;   in Loop: Header=BB94_21 Depth=1
	s_or_b64 exec, exec, s[28:29]
	s_andn2_b64 s[2:3], s[24:25], exec
	s_and_b64 s[14:15], s[36:37], exec
	s_or_b64 s[24:25], s[2:3], s[14:15]
	s_andn2_b64 s[0:1], s[0:1], exec
	s_and_b64 s[2:3], s[34:35], exec
	s_or_b64 s[0:1], s[0:1], s[2:3]
	s_and_b64 s[14:15], s[8:9], exec
	v_mov_b64_e32 v[8:9], v[4:5]
.LBB94_279:                             ;   in Loop: Header=BB94_21 Depth=1
	s_or_b64 exec, exec, s[26:27]
	s_orn2_b64 s[8:9], s[14:15], exec
.LBB94_280:                             ;   in Loop: Header=BB94_21 Depth=1
	s_or_b64 exec, exec, s[20:21]
	s_mov_b64 s[14:15], 0
	s_and_saveexec_b64 s[2:3], s[8:9]
	s_xor_b64 s[2:3], exec, s[2:3]
	s_cbranch_execz .LBB94_19
; %bb.281:                              ;   in Loop: Header=BB94_21 Depth=1
	v_and_b32_e32 v2, 7, v2
	v_cmp_eq_u32_e32 vcc, 0, v2
	s_mov_b64 s[8:9], -1
	s_mov_b64 s[14:15], -1
	s_and_saveexec_b64 s[18:19], vcc
	s_cbranch_execz .LBB94_18
; %bb.282:                              ;   in Loop: Header=BB94_21 Depth=1
	s_add_i32 s20, s7, -2
	s_cmp_eq_u32 s7, 0
	s_cselect_b64 s[8:9], -1, 0
	v_xor_b32_e32 v38, 1, v38
	s_xor_b64 s[14:15], exec, -1
	s_orn2_b64 s[8:9], s[8:9], exec
	s_mov_b32 s7, s20
	s_branch .LBB94_18
.LBB94_283:                             ;   in Loop: Header=BB94_21 Depth=1
                                        ; implicit-def: $sgpr30_sgpr31
	s_branch .LBB94_236
.LBB94_284:                             ;   in Loop: Header=BB94_21 Depth=1
                                        ; implicit-def: $sgpr14_sgpr15
	s_branch .LBB94_252
.LBB94_285:
	s_or_b64 exec, exec, s[12:13]
	s_xor_b64 s[6:7], s[72:73], -1
	s_xor_b64 s[0:1], s[90:91], -1
	;; [unrolled: 1-line block ×3, first 2 shown]
	s_mov_b64 s[2:3], 0
	s_and_saveexec_b64 s[8:9], s[0:1]
	s_xor_b64 s[0:1], exec, s[8:9]
	s_cbranch_execnz .LBB94_290
; %bb.286:
	s_andn2_saveexec_b64 s[0:1], s[0:1]
	s_cbranch_execnz .LBB94_303
.LBB94_287:
	s_or_b64 exec, exec, s[0:1]
	s_and_saveexec_b64 s[0:1], s[2:3]
.LBB94_288:
	; divergent unreachable
.LBB94_289:
	s_endpgm
.LBB94_290:
	s_and_saveexec_b64 s[2:3], s[6:7]
	s_xor_b64 s[2:3], exec, s[2:3]
	s_cbranch_execz .LBB94_301
; %bb.291:
	s_and_saveexec_b64 s[6:7], s[4:5]
	s_xor_b64 s[4:5], exec, s[6:7]
; %bb.292:
	v_xor_b32_e32 v25, 0x80000000, v34
; %bb.293:
	s_or_b64 exec, exec, s[4:5]
	v_readlane_b32 s8, v54, 2
	v_readlane_b32 s4, v54, 0
	;; [unrolled: 1-line block ×4, first 2 shown]
	s_mov_b32 s14, s4
	s_mul_i32 s4, s4, s9
	s_mul_hi_u32 s5, s14, s8
	s_add_i32 s5, s5, s4
	s_mul_i32 s4, s14, s8
	v_readlane_b32 s12, v54, 6
	v_readlane_b32 s16, v54, 24
	;; [unrolled: 1-line block ×3, first 2 shown]
	s_sub_u32 s4, s12, s4
	v_readlane_b32 s18, v54, 26
	v_readlane_b32 s19, v54, 27
	s_subb_u32 s5, s13, s5
	s_mul_i32 s6, s4, s19
	s_mul_hi_u32 s7, s4, s18
	v_readlane_b32 s10, v54, 4
	v_readlane_b32 s11, v54, 5
	;; [unrolled: 1-line block ×3, first 2 shown]
	s_add_i32 s6, s7, s6
	s_mul_i32 s5, s5, s18
	s_add_i32 s5, s6, s5
	s_mul_i32 s6, s14, s17
	s_mul_hi_u32 s7, s14, s16
	s_mul_i32 s8, s12, s11
	s_mul_hi_u32 s9, s12, s10
	s_mul_i32 s4, s4, s18
	s_add_i32 s7, s7, s6
	s_add_i32 s9, s9, s8
	s_mul_i32 s8, s12, s10
	v_readlane_b32 s18, v54, 34
	v_readlane_b32 s12, v54, 22
	s_sub_u32 s8, s18, s8
	v_readlane_b32 s13, v54, 23
	s_subb_u32 s9, 0, s9
	s_mul_i32 s10, s8, s13
	s_mul_hi_u32 s11, s8, s12
	s_mul_i32 s6, s14, s16
	s_add_i32 s10, s11, s10
	s_mul_i32 s9, s9, s12
	s_add_i32 s9, s10, s9
	s_lshl_b64 s[6:7], s[6:7], 2
	v_readlane_b32 s10, v54, 32
	v_readlane_b32 s11, v54, 33
	s_add_u32 s6, s10, s6
	s_addc_u32 s7, s11, s7
	s_lshl_b64 s[4:5], s[4:5], 2
	s_mul_i32 s8, s8, s12
	s_add_u32 s6, s6, s4
	s_addc_u32 s7, s7, s5
	s_lshl_b64 s[4:5], s[8:9], 2
	s_add_u32 s4, s6, s4
	s_addc_u32 s5, s7, s5
	v_mov_b32_e32 v2, 0
	v_readlane_b32 s19, v54, 35
	global_store_dword v2, v25, s[4:5]
	s_mov_b64 s[4:5], exec
	v_readlane_b32 s6, v54, 36
	v_readlane_b32 s7, v54, 37
	s_and_b64 s[6:7], s[4:5], s[6:7]
	s_mov_b64 exec, s[6:7]
	s_cbranch_execz .LBB94_300
; %bb.294:
	s_mov_b64 s[6:7], 0
                                        ; implicit-def: $sgpr8_sgpr9
                                        ; implicit-def: $sgpr12_sgpr13
                                        ; implicit-def: $sgpr10_sgpr11
	s_branch .LBB94_296
.LBB94_295:                             ;   in Loop: Header=BB94_296 Depth=1
	s_or_b64 exec, exec, s[14:15]
	s_and_b64 s[14:15], exec, s[12:13]
	s_or_b64 s[6:7], s[14:15], s[6:7]
	s_andn2_b64 s[8:9], s[8:9], exec
	s_and_b64 s[14:15], s[10:11], exec
	s_or_b64 s[8:9], s[8:9], s[14:15]
	s_andn2_b64 exec, exec, s[6:7]
	s_cbranch_execz .LBB94_298
.LBB94_296:                             ; =>This Inner Loop Header: Depth=1
	v_mov_b64_e32 v[2:3], v[0:1]
	v_mul_lo_u32 v4, v3, s84
	v_mul_lo_u32 v5, v2, s85
	v_mad_u64_u32 v[0:1], s[14:15], v2, s84, 0
	v_add3_u32 v1, v1, v5, v4
	v_lshl_add_u64 v[0:1], v[0:1], 2, s[94:95]
	global_load_dword v0, v[0:1], off
	s_or_b64 s[10:11], s[10:11], exec
	s_or_b64 s[12:13], s[12:13], exec
	s_waitcnt vmcnt(0)
	v_cmp_ne_u32_e32 vcc, v0, v25
                                        ; implicit-def: $vgpr0_vgpr1
	s_and_saveexec_b64 s[14:15], vcc
	s_cbranch_execz .LBB94_295
; %bb.297:                              ;   in Loop: Header=BB94_296 Depth=1
	v_lshl_add_u64 v[0:1], v[2:3], 0, s[96:97]
	v_cmp_le_u64_e32 vcc, s[56:57], v[0:1]
	s_andn2_b64 s[12:13], s[12:13], exec
	s_and_b64 s[16:17], vcc, exec
	s_andn2_b64 s[10:11], s[10:11], exec
	s_or_b64 s[12:13], s[12:13], s[16:17]
	s_branch .LBB94_295
.LBB94_298:
	s_or_b64 exec, exec, s[6:7]
	s_and_saveexec_b64 s[6:7], s[8:9]
	s_xor_b64 s[6:7], exec, s[6:7]
	s_cbranch_execz .LBB94_300
; %bb.299:
	v_readlane_b32 s12, v54, 8
	v_readlane_b32 s6, v54, 12
	;; [unrolled: 1-line block ×4, first 2 shown]
	s_mov_b32 s10, s6
	s_mul_i32 s6, s6, s13
	s_mul_hi_u32 s7, s10, s12
	s_add_i32 s7, s7, s6
	s_mul_i32 s6, s10, s12
	v_readlane_b32 s12, v54, 14
	v_readlane_b32 s20, v54, 18
	;; [unrolled: 1-line block ×3, first 2 shown]
	s_sub_u32 s6, s12, s6
	v_readlane_b32 s22, v54, 20
	v_readlane_b32 s23, v54, 21
	s_subb_u32 s7, s13, s7
	s_mul_i32 s8, s6, s23
	s_mul_hi_u32 s9, s6, s22
	v_readlane_b32 s21, v54, 19
	s_add_i32 s8, s9, s8
	s_mul_i32 s7, s7, s22
	v_readlane_b32 s14, v54, 10
	v_readlane_b32 s15, v54, 11
	s_add_i32 s7, s8, s7
	s_mul_i32 s8, s10, s21
	s_mul_hi_u32 s9, s10, s20
	s_add_i32 s9, s9, s8
	s_mul_i32 s8, s10, s20
	s_mul_i32 s10, s12, s15
	s_mul_hi_u32 s11, s12, s14
	s_add_i32 s11, s11, s10
	s_mul_i32 s10, s12, s14
	v_readlane_b32 s14, v54, 16
	s_sub_u32 s10, s18, s10
	v_readlane_b32 s15, v54, 17
	s_subb_u32 s11, 0, s11
	s_mul_i32 s12, s10, s15
	s_mul_hi_u32 s13, s10, s14
	s_add_i32 s12, s13, s12
	s_mul_i32 s11, s11, s14
	s_add_i32 s11, s12, s11
	s_lshl_b64 s[8:9], s[8:9], 3
	v_readlane_b32 s12, v54, 30
	s_mul_i32 s6, s6, s22
	v_readlane_b32 s13, v54, 31
	s_add_u32 s8, s12, s8
	s_addc_u32 s9, s13, s9
	s_lshl_b64 s[6:7], s[6:7], 3
	s_mul_i32 s10, s10, s14
	s_add_u32 s8, s8, s6
	s_addc_u32 s9, s9, s7
	s_lshl_b64 s[6:7], s[10:11], 3
	s_add_u32 s6, s8, s6
	s_addc_u32 s7, s9, s7
	v_mov_b32_e32 v0, 0
	global_store_dwordx2 v0, v[2:3], s[6:7]
.LBB94_300:
	s_or_b64 exec, exec, s[4:5]
.LBB94_301:
	s_or_saveexec_b64 s[2:3], s[2:3]
	s_mov_b64 s[4:5], 0
	s_xor_b64 exec, exec, s[2:3]
	s_cbranch_execnz .LBB94_304
.LBB94_302:
	s_or_b64 exec, exec, s[2:3]
	s_and_b64 s[2:3], s[4:5], exec
	s_andn2_saveexec_b64 s[0:1], s[0:1]
	s_cbranch_execz .LBB94_287
.LBB94_303:
	s_or_b64 s[2:3], s[2:3], exec
	s_trap 2
	s_or_b64 exec, exec, s[0:1]
	s_and_saveexec_b64 s[0:1], s[2:3]
	s_cbranch_execnz .LBB94_288
	s_branch .LBB94_289
.LBB94_304:
	s_mov_b64 s[4:5], exec
	s_trap 2
	s_branch .LBB94_302
	.section	.rodata,"a",@progbits
	.p2align	6, 0x0
	.amdhsa_kernel _ZN2at6native12_GLOBAL__N_112gatherMedianIimLi3EEEvNS_4cuda6detail10TensorInfoIT_T0_EENS5_IlS7_EENS5_IKS6_S7_EES7_S7_S7_b
		.amdhsa_group_segment_fixed_size 5152
		.amdhsa_private_segment_fixed_size 0
		.amdhsa_kernarg_size 1536
		.amdhsa_user_sgpr_count 2
		.amdhsa_user_sgpr_dispatch_ptr 0
		.amdhsa_user_sgpr_queue_ptr 0
		.amdhsa_user_sgpr_kernarg_segment_ptr 1
		.amdhsa_user_sgpr_dispatch_id 0
		.amdhsa_user_sgpr_kernarg_preload_length 0
		.amdhsa_user_sgpr_kernarg_preload_offset 0
		.amdhsa_user_sgpr_private_segment_size 0
		.amdhsa_uses_dynamic_stack 0
		.amdhsa_enable_private_segment 0
		.amdhsa_system_sgpr_workgroup_id_x 1
		.amdhsa_system_sgpr_workgroup_id_y 1
		.amdhsa_system_sgpr_workgroup_id_z 1
		.amdhsa_system_sgpr_workgroup_info 0
		.amdhsa_system_vgpr_workitem_id 0
		.amdhsa_next_free_vgpr 55
		.amdhsa_next_free_sgpr 100
		.amdhsa_accum_offset 56
		.amdhsa_reserve_vcc 1
		.amdhsa_float_round_mode_32 0
		.amdhsa_float_round_mode_16_64 0
		.amdhsa_float_denorm_mode_32 3
		.amdhsa_float_denorm_mode_16_64 3
		.amdhsa_dx10_clamp 1
		.amdhsa_ieee_mode 1
		.amdhsa_fp16_overflow 0
		.amdhsa_tg_split 0
		.amdhsa_exception_fp_ieee_invalid_op 0
		.amdhsa_exception_fp_denorm_src 0
		.amdhsa_exception_fp_ieee_div_zero 0
		.amdhsa_exception_fp_ieee_overflow 0
		.amdhsa_exception_fp_ieee_underflow 0
		.amdhsa_exception_fp_ieee_inexact 0
		.amdhsa_exception_int_div_zero 0
	.end_amdhsa_kernel
	.section	.text._ZN2at6native12_GLOBAL__N_112gatherMedianIimLi3EEEvNS_4cuda6detail10TensorInfoIT_T0_EENS5_IlS7_EENS5_IKS6_S7_EES7_S7_S7_b,"axG",@progbits,_ZN2at6native12_GLOBAL__N_112gatherMedianIimLi3EEEvNS_4cuda6detail10TensorInfoIT_T0_EENS5_IlS7_EENS5_IKS6_S7_EES7_S7_S7_b,comdat
.Lfunc_end94:
	.size	_ZN2at6native12_GLOBAL__N_112gatherMedianIimLi3EEEvNS_4cuda6detail10TensorInfoIT_T0_EENS5_IlS7_EENS5_IKS6_S7_EES7_S7_S7_b, .Lfunc_end94-_ZN2at6native12_GLOBAL__N_112gatherMedianIimLi3EEEvNS_4cuda6detail10TensorInfoIT_T0_EENS5_IlS7_EENS5_IKS6_S7_EES7_S7_S7_b
                                        ; -- End function
	.set _ZN2at6native12_GLOBAL__N_112gatherMedianIimLi3EEEvNS_4cuda6detail10TensorInfoIT_T0_EENS5_IlS7_EENS5_IKS6_S7_EES7_S7_S7_b.num_vgpr, 55
	.set _ZN2at6native12_GLOBAL__N_112gatherMedianIimLi3EEEvNS_4cuda6detail10TensorInfoIT_T0_EENS5_IlS7_EENS5_IKS6_S7_EES7_S7_S7_b.num_agpr, 0
	.set _ZN2at6native12_GLOBAL__N_112gatherMedianIimLi3EEEvNS_4cuda6detail10TensorInfoIT_T0_EENS5_IlS7_EENS5_IKS6_S7_EES7_S7_S7_b.numbered_sgpr, 100
	.set _ZN2at6native12_GLOBAL__N_112gatherMedianIimLi3EEEvNS_4cuda6detail10TensorInfoIT_T0_EENS5_IlS7_EENS5_IKS6_S7_EES7_S7_S7_b.num_named_barrier, 0
	.set _ZN2at6native12_GLOBAL__N_112gatherMedianIimLi3EEEvNS_4cuda6detail10TensorInfoIT_T0_EENS5_IlS7_EENS5_IKS6_S7_EES7_S7_S7_b.private_seg_size, 0
	.set _ZN2at6native12_GLOBAL__N_112gatherMedianIimLi3EEEvNS_4cuda6detail10TensorInfoIT_T0_EENS5_IlS7_EENS5_IKS6_S7_EES7_S7_S7_b.uses_vcc, 1
	.set _ZN2at6native12_GLOBAL__N_112gatherMedianIimLi3EEEvNS_4cuda6detail10TensorInfoIT_T0_EENS5_IlS7_EENS5_IKS6_S7_EES7_S7_S7_b.uses_flat_scratch, 0
	.set _ZN2at6native12_GLOBAL__N_112gatherMedianIimLi3EEEvNS_4cuda6detail10TensorInfoIT_T0_EENS5_IlS7_EENS5_IKS6_S7_EES7_S7_S7_b.has_dyn_sized_stack, 0
	.set _ZN2at6native12_GLOBAL__N_112gatherMedianIimLi3EEEvNS_4cuda6detail10TensorInfoIT_T0_EENS5_IlS7_EENS5_IKS6_S7_EES7_S7_S7_b.has_recursion, 0
	.set _ZN2at6native12_GLOBAL__N_112gatherMedianIimLi3EEEvNS_4cuda6detail10TensorInfoIT_T0_EENS5_IlS7_EENS5_IKS6_S7_EES7_S7_S7_b.has_indirect_call, 0
	.section	.AMDGPU.csdata,"",@progbits
; Kernel info:
; codeLenInByte = 16232
; TotalNumSgprs: 106
; NumVgprs: 55
; NumAgprs: 0
; TotalNumVgprs: 55
; ScratchSize: 0
; MemoryBound: 0
; FloatMode: 240
; IeeeMode: 1
; LDSByteSize: 5152 bytes/workgroup (compile time only)
; SGPRBlocks: 13
; VGPRBlocks: 6
; NumSGPRsForWavesPerEU: 106
; NumVGPRsForWavesPerEU: 55
; AccumOffset: 56
; Occupancy: 7
; WaveLimiterHint : 1
; COMPUTE_PGM_RSRC2:SCRATCH_EN: 0
; COMPUTE_PGM_RSRC2:USER_SGPR: 2
; COMPUTE_PGM_RSRC2:TRAP_HANDLER: 0
; COMPUTE_PGM_RSRC2:TGID_X_EN: 1
; COMPUTE_PGM_RSRC2:TGID_Y_EN: 1
; COMPUTE_PGM_RSRC2:TGID_Z_EN: 1
; COMPUTE_PGM_RSRC2:TIDIG_COMP_CNT: 0
; COMPUTE_PGM_RSRC3_GFX90A:ACCUM_OFFSET: 13
; COMPUTE_PGM_RSRC3_GFX90A:TG_SPLIT: 0
	.section	.text._ZN2at6native12_GLOBAL__N_112gatherMedianIimLin1EEEvNS_4cuda6detail10TensorInfoIT_T0_EENS5_IlS7_EENS5_IKS6_S7_EES7_S7_S7_b,"axG",@progbits,_ZN2at6native12_GLOBAL__N_112gatherMedianIimLin1EEEvNS_4cuda6detail10TensorInfoIT_T0_EENS5_IlS7_EENS5_IKS6_S7_EES7_S7_S7_b,comdat
	.globl	_ZN2at6native12_GLOBAL__N_112gatherMedianIimLin1EEEvNS_4cuda6detail10TensorInfoIT_T0_EENS5_IlS7_EENS5_IKS6_S7_EES7_S7_S7_b ; -- Begin function _ZN2at6native12_GLOBAL__N_112gatherMedianIimLin1EEEvNS_4cuda6detail10TensorInfoIT_T0_EENS5_IlS7_EENS5_IKS6_S7_EES7_S7_S7_b
	.p2align	8
	.type	_ZN2at6native12_GLOBAL__N_112gatherMedianIimLin1EEEvNS_4cuda6detail10TensorInfoIT_T0_EENS5_IlS7_EENS5_IKS6_S7_EES7_S7_S7_b,@function
_ZN2at6native12_GLOBAL__N_112gatherMedianIimLin1EEEvNS_4cuda6detail10TensorInfoIT_T0_EENS5_IlS7_EENS5_IKS6_S7_EES7_S7_S7_b: ; @_ZN2at6native12_GLOBAL__N_112gatherMedianIimLin1EEEvNS_4cuda6detail10TensorInfoIT_T0_EENS5_IlS7_EENS5_IKS6_S7_EES7_S7_S7_b
; %bb.0:
	s_load_dwordx2 s[10:11], s[0:1], 0x500
	s_load_dwordx4 s[56:59], s[0:1], 0x4e0
	s_add_u32 s12, s0, 0x500
	s_addc_u32 s13, s1, 0
	s_mov_b32 s5, 0
	s_waitcnt lgkmcnt(0)
	s_mul_i32 s4, s11, s4
	s_add_i32 s3, s4, s3
	s_mul_i32 s3, s3, s10
	s_add_i32 s4, s3, s2
	v_mov_b64_e32 v[2:3], s[4:5]
	v_cmp_le_u64_e32 vcc, s[58:59], v[2:3]
	s_cbranch_vccnz .LBB95_302
; %bb.1:
	s_load_dword s6, s[0:1], 0x198
	s_load_dwordx2 s[60:61], s[0:1], 0x4f0
	s_mov_b64 s[58:59], 0
	s_mov_b64 s[20:21], s[4:5]
	s_waitcnt lgkmcnt(0)
	s_cmp_lt_i32 s6, 2
	s_cbranch_scc1 .LBB95_9
; %bb.2:
	s_add_i32 s3, s6, 1
	s_add_i32 s8, s6, -1
	s_mov_b32 s6, 0
	s_mov_b32 s9, s6
	s_lshl_b64 s[8:9], s[8:9], 3
	s_add_u32 s7, s0, s8
	s_addc_u32 s9, s1, s9
	s_add_u32 s8, s7, 8
	s_addc_u32 s9, s9, 0
	s_mov_b64 s[14:15], s[4:5]
.LBB95_3:                               ; =>This Inner Loop Header: Depth=1
	s_load_dwordx2 s[16:17], s[8:9], 0x0
	s_waitcnt lgkmcnt(0)
	s_or_b64 s[18:19], s[14:15], s[16:17]
	s_mov_b32 s7, s19
	s_cmp_lg_u64 s[6:7], 0
	s_cbranch_scc0 .LBB95_8
; %bb.4:                                ;   in Loop: Header=BB95_3 Depth=1
	v_cvt_f32_u32_e32 v1, s16
	v_cvt_f32_u32_e32 v2, s17
	s_sub_u32 s7, 0, s16
	s_subb_u32 s11, 0, s17
	v_fmac_f32_e32 v1, 0x4f800000, v2
	v_rcp_f32_e32 v1, v1
	s_nop 0
	v_mul_f32_e32 v1, 0x5f7ffffc, v1
	v_mul_f32_e32 v2, 0x2f800000, v1
	v_trunc_f32_e32 v2, v2
	v_fmac_f32_e32 v1, 0xcf800000, v2
	v_cvt_u32_f32_e32 v2, v2
	v_cvt_u32_f32_e32 v1, v1
	v_readfirstlane_b32 s20, v2
	v_readfirstlane_b32 s18, v1
	s_mul_i32 s19, s7, s20
	s_mul_hi_u32 s22, s7, s18
	s_mul_i32 s21, s11, s18
	s_add_i32 s19, s22, s19
	s_mul_i32 s23, s7, s18
	s_add_i32 s19, s19, s21
	s_mul_i32 s22, s18, s19
	s_mul_hi_u32 s24, s18, s23
	s_mul_hi_u32 s21, s18, s19
	s_add_u32 s22, s24, s22
	s_addc_u32 s21, 0, s21
	s_mul_hi_u32 s25, s20, s23
	s_mul_i32 s23, s20, s23
	s_add_u32 s22, s22, s23
	s_mul_hi_u32 s24, s20, s19
	s_addc_u32 s21, s21, s25
	s_addc_u32 s22, s24, 0
	s_mul_i32 s19, s20, s19
	s_add_u32 s19, s21, s19
	s_addc_u32 s21, 0, s22
	s_add_u32 s22, s18, s19
	s_cselect_b64 s[18:19], -1, 0
	s_cmp_lg_u64 s[18:19], 0
	s_addc_u32 s20, s20, s21
	s_mul_i32 s18, s7, s20
	s_mul_hi_u32 s19, s7, s22
	s_add_i32 s18, s19, s18
	s_mul_i32 s11, s11, s22
	s_add_i32 s18, s18, s11
	s_mul_i32 s7, s7, s22
	s_mul_hi_u32 s19, s20, s7
	s_mul_i32 s21, s20, s7
	s_mul_i32 s24, s22, s18
	s_mul_hi_u32 s7, s22, s7
	s_mul_hi_u32 s23, s22, s18
	s_add_u32 s7, s7, s24
	s_addc_u32 s23, 0, s23
	s_add_u32 s7, s7, s21
	s_mul_hi_u32 s11, s20, s18
	s_addc_u32 s7, s23, s19
	s_addc_u32 s11, s11, 0
	s_mul_i32 s18, s20, s18
	s_add_u32 s7, s7, s18
	s_addc_u32 s11, 0, s11
	s_add_u32 s7, s22, s7
	s_cselect_b64 s[18:19], -1, 0
	s_cmp_lg_u64 s[18:19], 0
	s_addc_u32 s11, s20, s11
	s_mul_i32 s19, s14, s11
	s_mul_hi_u32 s20, s14, s7
	s_mul_hi_u32 s18, s14, s11
	s_add_u32 s19, s20, s19
	s_addc_u32 s18, 0, s18
	s_mul_hi_u32 s21, s15, s7
	s_mul_i32 s7, s15, s7
	s_add_u32 s7, s19, s7
	s_mul_hi_u32 s20, s15, s11
	s_addc_u32 s7, s18, s21
	s_addc_u32 s18, s20, 0
	s_mul_i32 s11, s15, s11
	s_add_u32 s7, s7, s11
	s_addc_u32 s11, 0, s18
	s_mul_i32 s18, s16, s11
	s_mul_hi_u32 s19, s16, s7
	s_add_i32 s18, s19, s18
	s_mul_i32 s19, s17, s7
	s_add_i32 s22, s18, s19
	s_sub_i32 s20, s15, s22
	s_mul_i32 s18, s16, s7
	s_sub_u32 s23, s14, s18
	s_cselect_b64 s[18:19], -1, 0
	s_cmp_lg_u64 s[18:19], 0
	s_subb_u32 s24, s20, s17
	s_sub_u32 s25, s23, s16
	s_cselect_b64 s[20:21], -1, 0
	s_cmp_lg_u64 s[20:21], 0
	s_subb_u32 s20, s24, 0
	s_cmp_ge_u32 s20, s17
	s_cselect_b32 s21, -1, 0
	s_cmp_ge_u32 s25, s16
	s_cselect_b32 s24, -1, 0
	s_cmp_eq_u32 s20, s17
	s_cselect_b32 s20, s24, s21
	s_add_u32 s21, s7, 1
	s_addc_u32 s24, s11, 0
	s_add_u32 s25, s7, 2
	s_addc_u32 s26, s11, 0
	s_cmp_lg_u32 s20, 0
	s_cselect_b32 s20, s25, s21
	s_cselect_b32 s21, s26, s24
	s_cmp_lg_u64 s[18:19], 0
	s_subb_u32 s18, s15, s22
	s_cmp_ge_u32 s18, s17
	s_cselect_b32 s19, -1, 0
	s_cmp_ge_u32 s23, s16
	s_cselect_b32 s22, -1, 0
	s_cmp_eq_u32 s18, s17
	s_cselect_b32 s18, s22, s19
	s_cmp_lg_u32 s18, 0
	s_cselect_b32 s21, s21, s11
	s_cselect_b32 s20, s20, s7
	s_cbranch_execnz .LBB95_6
.LBB95_5:                               ;   in Loop: Header=BB95_3 Depth=1
	v_cvt_f32_u32_e32 v1, s16
	s_sub_i32 s7, 0, s16
	s_mov_b32 s21, s6
	v_rcp_iflag_f32_e32 v1, v1
	s_nop 0
	v_mul_f32_e32 v1, 0x4f7ffffe, v1
	v_cvt_u32_f32_e32 v1, v1
	s_nop 0
	v_readfirstlane_b32 s11, v1
	s_mul_i32 s7, s7, s11
	s_mul_hi_u32 s7, s11, s7
	s_add_i32 s11, s11, s7
	s_mul_hi_u32 s7, s14, s11
	s_mul_i32 s18, s7, s16
	s_sub_i32 s18, s14, s18
	s_add_i32 s11, s7, 1
	s_sub_i32 s19, s18, s16
	s_cmp_ge_u32 s18, s16
	s_cselect_b32 s7, s11, s7
	s_cselect_b32 s18, s19, s18
	s_add_i32 s11, s7, 1
	s_cmp_ge_u32 s18, s16
	s_cselect_b32 s20, s11, s7
.LBB95_6:                               ;   in Loop: Header=BB95_3 Depth=1
	s_mul_i32 s7, s20, s17
	s_mul_hi_u32 s11, s20, s16
	s_load_dwordx2 s[18:19], s[8:9], 0xc8
	s_add_i32 s7, s11, s7
	s_mul_i32 s11, s21, s16
	s_add_i32 s7, s7, s11
	s_mul_i32 s11, s20, s16
	s_sub_u32 s11, s14, s11
	s_subb_u32 s7, s15, s7
	s_waitcnt lgkmcnt(0)
	s_mul_i32 s7, s18, s7
	s_mul_hi_u32 s14, s18, s11
	s_add_i32 s7, s14, s7
	s_mul_i32 s14, s19, s11
	s_add_i32 s7, s7, s14
	s_mul_i32 s11, s18, s11
	s_add_u32 s58, s11, s58
	s_addc_u32 s59, s7, s59
	s_add_i32 s3, s3, -1
	s_add_u32 s8, s8, -8
	s_addc_u32 s9, s9, -1
	s_cmp_gt_u32 s3, 2
	s_cbranch_scc0 .LBB95_9
; %bb.7:                                ;   in Loop: Header=BB95_3 Depth=1
	s_mov_b64 s[14:15], s[20:21]
	s_branch .LBB95_3
.LBB95_8:                               ;   in Loop: Header=BB95_3 Depth=1
                                        ; implicit-def: $sgpr20_sgpr21
	s_branch .LBB95_5
.LBB95_9:
	s_load_dword s8, s[0:1], 0x338
	s_load_dwordx2 s[6:7], s[0:1], 0xd0
                                        ; implicit-def: $vgpr64 : SGPR spill to VGPR lane
	s_mov_b64 s[62:63], 0
	v_writelane_b32 v64, s20, 0
	s_mov_b64 s[68:69], s[4:5]
	s_nop 0
	v_writelane_b32 v64, s21, 1
	s_waitcnt lgkmcnt(0)
	v_writelane_b32 v64, s6, 2
	s_nop 1
	v_writelane_b32 v64, s7, 3
	s_add_u32 s6, s0, 0x1a0
	s_addc_u32 s7, s1, 0
	s_cmp_lt_i32 s8, 2
	s_cbranch_scc1 .LBB95_17
; %bb.10:
	s_add_i32 s3, s8, 1
	s_add_i32 s14, s8, -1
	s_mov_b32 s8, 0
	s_mov_b32 s15, s8
	s_lshl_b64 s[14:15], s[14:15], 3
	s_add_u32 s9, s6, s14
	s_addc_u32 s11, s7, s15
	s_add_u32 s14, s9, 8
	s_addc_u32 s15, s11, 0
	s_mov_b64 s[16:17], s[4:5]
.LBB95_11:                              ; =>This Inner Loop Header: Depth=1
	s_load_dwordx2 s[18:19], s[14:15], 0x0
	s_waitcnt lgkmcnt(0)
	s_or_b64 s[20:21], s[16:17], s[18:19]
	s_mov_b32 s9, s21
	s_cmp_lg_u64 s[8:9], 0
	s_cbranch_scc0 .LBB95_16
; %bb.12:                               ;   in Loop: Header=BB95_11 Depth=1
	v_cvt_f32_u32_e32 v1, s18
	v_cvt_f32_u32_e32 v2, s19
	s_sub_u32 s9, 0, s18
	s_subb_u32 s11, 0, s19
	v_fmac_f32_e32 v1, 0x4f800000, v2
	v_rcp_f32_e32 v1, v1
	s_nop 0
	v_mul_f32_e32 v1, 0x5f7ffffc, v1
	v_mul_f32_e32 v2, 0x2f800000, v1
	v_trunc_f32_e32 v2, v2
	v_fmac_f32_e32 v1, 0xcf800000, v2
	v_cvt_u32_f32_e32 v2, v2
	v_cvt_u32_f32_e32 v1, v1
	v_readfirstlane_b32 s22, v2
	v_readfirstlane_b32 s20, v1
	s_mul_i32 s21, s9, s22
	s_mul_hi_u32 s24, s9, s20
	s_mul_i32 s23, s11, s20
	s_add_i32 s21, s24, s21
	s_mul_i32 s25, s9, s20
	s_add_i32 s21, s21, s23
	s_mul_i32 s24, s20, s21
	s_mul_hi_u32 s26, s20, s25
	s_mul_hi_u32 s23, s20, s21
	s_add_u32 s24, s26, s24
	s_addc_u32 s23, 0, s23
	s_mul_hi_u32 s27, s22, s25
	s_mul_i32 s25, s22, s25
	s_add_u32 s24, s24, s25
	s_mul_hi_u32 s26, s22, s21
	s_addc_u32 s23, s23, s27
	s_addc_u32 s24, s26, 0
	s_mul_i32 s21, s22, s21
	s_add_u32 s21, s23, s21
	s_addc_u32 s23, 0, s24
	s_add_u32 s24, s20, s21
	s_cselect_b64 s[20:21], -1, 0
	s_cmp_lg_u64 s[20:21], 0
	s_addc_u32 s22, s22, s23
	s_mul_i32 s20, s9, s22
	s_mul_hi_u32 s21, s9, s24
	s_add_i32 s20, s21, s20
	s_mul_i32 s11, s11, s24
	s_add_i32 s20, s20, s11
	s_mul_i32 s9, s9, s24
	s_mul_hi_u32 s21, s22, s9
	s_mul_i32 s23, s22, s9
	s_mul_i32 s26, s24, s20
	s_mul_hi_u32 s9, s24, s9
	s_mul_hi_u32 s25, s24, s20
	s_add_u32 s9, s9, s26
	s_addc_u32 s25, 0, s25
	s_add_u32 s9, s9, s23
	s_mul_hi_u32 s11, s22, s20
	s_addc_u32 s9, s25, s21
	s_addc_u32 s11, s11, 0
	s_mul_i32 s20, s22, s20
	s_add_u32 s9, s9, s20
	s_addc_u32 s11, 0, s11
	s_add_u32 s9, s24, s9
	s_cselect_b64 s[20:21], -1, 0
	s_cmp_lg_u64 s[20:21], 0
	s_addc_u32 s11, s22, s11
	s_mul_i32 s21, s16, s11
	s_mul_hi_u32 s22, s16, s9
	s_mul_hi_u32 s20, s16, s11
	s_add_u32 s21, s22, s21
	s_addc_u32 s20, 0, s20
	s_mul_hi_u32 s23, s17, s9
	s_mul_i32 s9, s17, s9
	s_add_u32 s9, s21, s9
	s_mul_hi_u32 s22, s17, s11
	s_addc_u32 s9, s20, s23
	s_addc_u32 s20, s22, 0
	s_mul_i32 s11, s17, s11
	s_add_u32 s9, s9, s11
	s_addc_u32 s11, 0, s20
	s_mul_i32 s20, s18, s11
	s_mul_hi_u32 s21, s18, s9
	s_add_i32 s20, s21, s20
	s_mul_i32 s21, s19, s9
	s_add_i32 s24, s20, s21
	s_sub_i32 s22, s17, s24
	s_mul_i32 s20, s18, s9
	s_sub_u32 s25, s16, s20
	s_cselect_b64 s[20:21], -1, 0
	s_cmp_lg_u64 s[20:21], 0
	s_subb_u32 s26, s22, s19
	s_sub_u32 s27, s25, s18
	s_cselect_b64 s[22:23], -1, 0
	s_cmp_lg_u64 s[22:23], 0
	s_subb_u32 s22, s26, 0
	s_cmp_ge_u32 s22, s19
	s_cselect_b32 s23, -1, 0
	s_cmp_ge_u32 s27, s18
	s_cselect_b32 s26, -1, 0
	s_cmp_eq_u32 s22, s19
	s_cselect_b32 s22, s26, s23
	s_add_u32 s23, s9, 1
	s_addc_u32 s26, s11, 0
	s_add_u32 s27, s9, 2
	s_addc_u32 s28, s11, 0
	s_cmp_lg_u32 s22, 0
	s_cselect_b32 s22, s27, s23
	s_cselect_b32 s23, s28, s26
	s_cmp_lg_u64 s[20:21], 0
	s_subb_u32 s20, s17, s24
	s_cmp_ge_u32 s20, s19
	s_cselect_b32 s21, -1, 0
	s_cmp_ge_u32 s25, s18
	s_cselect_b32 s24, -1, 0
	s_cmp_eq_u32 s20, s19
	s_cselect_b32 s20, s24, s21
	s_cmp_lg_u32 s20, 0
	s_cselect_b32 s69, s23, s11
	s_cselect_b32 s68, s22, s9
	s_cbranch_execnz .LBB95_14
.LBB95_13:                              ;   in Loop: Header=BB95_11 Depth=1
	v_cvt_f32_u32_e32 v1, s18
	s_sub_i32 s9, 0, s18
	s_mov_b32 s69, s8
	v_rcp_iflag_f32_e32 v1, v1
	s_nop 0
	v_mul_f32_e32 v1, 0x4f7ffffe, v1
	v_cvt_u32_f32_e32 v1, v1
	s_nop 0
	v_readfirstlane_b32 s11, v1
	s_mul_i32 s9, s9, s11
	s_mul_hi_u32 s9, s11, s9
	s_add_i32 s11, s11, s9
	s_mul_hi_u32 s9, s16, s11
	s_mul_i32 s20, s9, s18
	s_sub_i32 s20, s16, s20
	s_add_i32 s11, s9, 1
	s_sub_i32 s21, s20, s18
	s_cmp_ge_u32 s20, s18
	s_cselect_b32 s9, s11, s9
	s_cselect_b32 s20, s21, s20
	s_add_i32 s11, s9, 1
	s_cmp_ge_u32 s20, s18
	s_cselect_b32 s68, s11, s9
.LBB95_14:                              ;   in Loop: Header=BB95_11 Depth=1
	s_mul_i32 s9, s68, s19
	s_mul_hi_u32 s11, s68, s18
	s_load_dwordx2 s[20:21], s[14:15], 0xc8
	s_add_i32 s9, s11, s9
	s_mul_i32 s11, s69, s18
	s_add_i32 s9, s9, s11
	s_mul_i32 s11, s68, s18
	s_sub_u32 s11, s16, s11
	s_subb_u32 s9, s17, s9
	s_waitcnt lgkmcnt(0)
	s_mul_i32 s9, s20, s9
	s_mul_hi_u32 s16, s20, s11
	s_add_i32 s9, s16, s9
	s_mul_i32 s16, s21, s11
	s_add_i32 s9, s9, s16
	s_mul_i32 s11, s20, s11
	s_add_u32 s62, s11, s62
	s_addc_u32 s63, s9, s63
	s_add_i32 s3, s3, -1
	s_add_u32 s14, s14, -8
	s_addc_u32 s15, s15, -1
	s_cmp_gt_u32 s3, 2
	s_cbranch_scc0 .LBB95_17
; %bb.15:                               ;   in Loop: Header=BB95_11 Depth=1
	s_mov_b64 s[16:17], s[68:69]
	s_branch .LBB95_11
.LBB95_16:                              ;   in Loop: Header=BB95_11 Depth=1
                                        ; implicit-def: $sgpr68_sgpr69
	s_branch .LBB95_13
.LBB95_17:
	s_load_dword s8, s[0:1], 0x4d8
	s_load_dwordx2 s[14:15], s[6:7], 0xd0
	s_add_u32 s9, s0, 0x340
	s_addc_u32 s11, s1, 0
                                        ; kill: killed $sgpr6 killed $sgpr7
	s_mov_b64 s[6:7], 0
	s_waitcnt lgkmcnt(0)
	s_cmp_lt_i32 s8, 2
	v_writelane_b32 v64, s14, 4
	s_nop 1
	v_writelane_b32 v64, s15, 5
	s_cbranch_scc1 .LBB95_25
; %bb.18:
	s_add_i32 s3, s8, 1
	s_add_i32 s6, s8, -1
	s_mov_b32 s8, 0
	s_mov_b32 s7, s8
	s_lshl_b64 s[6:7], s[6:7], 3
	s_add_u32 s6, s9, s6
	s_addc_u32 s7, s11, s7
	s_add_u32 s14, s6, 8
	s_addc_u32 s15, s7, 0
	s_mov_b64 s[6:7], 0
.LBB95_19:                              ; =>This Inner Loop Header: Depth=1
	s_load_dwordx2 s[16:17], s[14:15], 0x0
	s_waitcnt lgkmcnt(0)
	s_or_b64 s[18:19], s[4:5], s[16:17]
	s_mov_b32 s9, s19
	s_cmp_lg_u64 s[8:9], 0
	s_cbranch_scc0 .LBB95_24
; %bb.20:                               ;   in Loop: Header=BB95_19 Depth=1
	v_cvt_f32_u32_e32 v1, s16
	v_cvt_f32_u32_e32 v2, s17
	s_sub_u32 s9, 0, s16
	s_subb_u32 s11, 0, s17
	v_fmac_f32_e32 v1, 0x4f800000, v2
	v_rcp_f32_e32 v1, v1
	s_nop 0
	v_mul_f32_e32 v1, 0x5f7ffffc, v1
	v_mul_f32_e32 v2, 0x2f800000, v1
	v_trunc_f32_e32 v2, v2
	v_fmac_f32_e32 v1, 0xcf800000, v2
	v_cvt_u32_f32_e32 v2, v2
	v_cvt_u32_f32_e32 v1, v1
	v_readfirstlane_b32 s20, v2
	v_readfirstlane_b32 s18, v1
	s_mul_i32 s19, s9, s20
	s_mul_hi_u32 s22, s9, s18
	s_mul_i32 s21, s11, s18
	s_add_i32 s19, s22, s19
	s_mul_i32 s23, s9, s18
	s_add_i32 s19, s19, s21
	s_mul_i32 s22, s18, s19
	s_mul_hi_u32 s24, s18, s23
	s_mul_hi_u32 s21, s18, s19
	s_add_u32 s22, s24, s22
	s_addc_u32 s21, 0, s21
	s_mul_hi_u32 s25, s20, s23
	s_mul_i32 s23, s20, s23
	s_add_u32 s22, s22, s23
	s_mul_hi_u32 s24, s20, s19
	s_addc_u32 s21, s21, s25
	s_addc_u32 s22, s24, 0
	s_mul_i32 s19, s20, s19
	s_add_u32 s19, s21, s19
	s_addc_u32 s21, 0, s22
	s_add_u32 s22, s18, s19
	s_cselect_b64 s[18:19], -1, 0
	s_cmp_lg_u64 s[18:19], 0
	s_addc_u32 s20, s20, s21
	s_mul_i32 s18, s9, s20
	s_mul_hi_u32 s19, s9, s22
	s_add_i32 s18, s19, s18
	s_mul_i32 s11, s11, s22
	s_add_i32 s18, s18, s11
	s_mul_i32 s9, s9, s22
	s_mul_hi_u32 s19, s20, s9
	s_mul_i32 s21, s20, s9
	s_mul_i32 s24, s22, s18
	s_mul_hi_u32 s9, s22, s9
	s_mul_hi_u32 s23, s22, s18
	s_add_u32 s9, s9, s24
	s_addc_u32 s23, 0, s23
	s_add_u32 s9, s9, s21
	s_mul_hi_u32 s11, s20, s18
	s_addc_u32 s9, s23, s19
	s_addc_u32 s11, s11, 0
	s_mul_i32 s18, s20, s18
	s_add_u32 s9, s9, s18
	s_addc_u32 s11, 0, s11
	s_add_u32 s9, s22, s9
	s_cselect_b64 s[18:19], -1, 0
	s_cmp_lg_u64 s[18:19], 0
	s_addc_u32 s11, s20, s11
	s_mul_i32 s19, s4, s11
	s_mul_hi_u32 s20, s4, s9
	s_mul_hi_u32 s18, s4, s11
	s_add_u32 s19, s20, s19
	s_addc_u32 s18, 0, s18
	s_mul_hi_u32 s21, s5, s9
	s_mul_i32 s9, s5, s9
	s_add_u32 s9, s19, s9
	s_mul_hi_u32 s20, s5, s11
	s_addc_u32 s9, s18, s21
	s_addc_u32 s18, s20, 0
	s_mul_i32 s11, s5, s11
	s_add_u32 s9, s9, s11
	s_addc_u32 s11, 0, s18
	s_mul_i32 s18, s16, s11
	s_mul_hi_u32 s19, s16, s9
	s_add_i32 s18, s19, s18
	s_mul_i32 s19, s17, s9
	s_add_i32 s22, s18, s19
	s_sub_i32 s20, s5, s22
	s_mul_i32 s18, s16, s9
	s_sub_u32 s23, s4, s18
	s_cselect_b64 s[18:19], -1, 0
	s_cmp_lg_u64 s[18:19], 0
	s_subb_u32 s24, s20, s17
	s_sub_u32 s25, s23, s16
	s_cselect_b64 s[20:21], -1, 0
	s_cmp_lg_u64 s[20:21], 0
	s_subb_u32 s20, s24, 0
	s_cmp_ge_u32 s20, s17
	s_cselect_b32 s21, -1, 0
	s_cmp_ge_u32 s25, s16
	s_cselect_b32 s24, -1, 0
	s_cmp_eq_u32 s20, s17
	s_cselect_b32 s20, s24, s21
	s_add_u32 s21, s9, 1
	s_addc_u32 s24, s11, 0
	s_add_u32 s25, s9, 2
	s_addc_u32 s26, s11, 0
	s_cmp_lg_u32 s20, 0
	s_cselect_b32 s20, s25, s21
	s_cselect_b32 s21, s26, s24
	s_cmp_lg_u64 s[18:19], 0
	s_subb_u32 s18, s5, s22
	s_cmp_ge_u32 s18, s17
	s_cselect_b32 s19, -1, 0
	s_cmp_ge_u32 s23, s16
	s_cselect_b32 s22, -1, 0
	s_cmp_eq_u32 s18, s17
	s_cselect_b32 s18, s22, s19
	s_cmp_lg_u32 s18, 0
	s_cselect_b32 s19, s21, s11
	s_cselect_b32 s18, s20, s9
	s_cbranch_execnz .LBB95_22
.LBB95_21:                              ;   in Loop: Header=BB95_19 Depth=1
	v_cvt_f32_u32_e32 v1, s16
	s_sub_i32 s9, 0, s16
	v_rcp_iflag_f32_e32 v1, v1
	s_nop 0
	v_mul_f32_e32 v1, 0x4f7ffffe, v1
	v_cvt_u32_f32_e32 v1, v1
	s_nop 0
	v_readfirstlane_b32 s11, v1
	s_mul_i32 s9, s9, s11
	s_mul_hi_u32 s9, s11, s9
	s_add_i32 s11, s11, s9
	s_mul_hi_u32 s9, s4, s11
	s_mul_i32 s18, s9, s16
	s_sub_i32 s18, s4, s18
	s_add_i32 s11, s9, 1
	s_sub_i32 s19, s18, s16
	s_cmp_ge_u32 s18, s16
	s_cselect_b32 s9, s11, s9
	s_cselect_b32 s18, s19, s18
	s_add_i32 s11, s9, 1
	s_cmp_ge_u32 s18, s16
	s_cselect_b32 s18, s11, s9
	s_mov_b32 s19, s8
.LBB95_22:                              ;   in Loop: Header=BB95_19 Depth=1
	s_mul_i32 s9, s18, s17
	s_mul_hi_u32 s11, s18, s16
	s_load_dwordx2 s[20:21], s[14:15], 0xc8
	s_add_i32 s9, s11, s9
	s_mul_i32 s11, s19, s16
	s_add_i32 s9, s9, s11
	s_mul_i32 s11, s18, s16
	s_sub_u32 s4, s4, s11
	s_subb_u32 s5, s5, s9
	s_waitcnt lgkmcnt(0)
	s_mul_i32 s5, s20, s5
	s_mul_hi_u32 s9, s20, s4
	s_add_i32 s5, s9, s5
	s_mul_i32 s9, s21, s4
	s_add_i32 s5, s5, s9
	s_mul_i32 s4, s20, s4
	s_add_u32 s6, s4, s6
	s_addc_u32 s7, s5, s7
	s_add_i32 s3, s3, -1
	s_add_u32 s14, s14, -8
	s_addc_u32 s15, s15, -1
	s_cmp_gt_u32 s3, 2
	s_cbranch_scc0 .LBB95_26
; %bb.23:                               ;   in Loop: Header=BB95_19 Depth=1
	s_mov_b64 s[4:5], s[18:19]
	s_branch .LBB95_19
.LBB95_24:                              ;   in Loop: Header=BB95_19 Depth=1
                                        ; implicit-def: $sgpr18_sgpr19
	s_branch .LBB95_21
.LBB95_25:
	s_mov_b64 s[18:19], s[4:5]
.LBB95_26:
	s_load_dwordx2 s[4:5], s[0:1], 0x410
	s_load_dwordx2 s[8:9], s[0:1], 0x340
	v_cmp_eq_u32_e64 s[16:17], 0, v0
	s_mov_b64 s[14:15], exec
	s_nop 0
	v_writelane_b32 v64, s16, 6
	s_nop 1
	v_writelane_b32 v64, s17, 7
	s_and_b64 s[16:17], s[14:15], s[16:17]
	s_mov_b64 exec, s[16:17]
; %bb.27:
	v_mov_b32_e32 v2, 0
	v_mov_b32_e32 v3, v2
	ds_write_b64 v2, v[2:3] offset:5136
; %bb.28:
	s_or_b64 exec, exec, s[14:15]
	s_load_dwordx2 s[14:15], s[0:1], 0x0
	v_mov_b32_e32 v3, 0
	s_waitcnt lgkmcnt(0)
	s_barrier
	v_writelane_b32 v64, s14, 8
	s_barrier
	s_nop 0
	v_writelane_b32 v64, s15, 9
	s_load_dwordx2 s[14:15], s[0:1], 0x1a0
	s_waitcnt lgkmcnt(0)
	ds_read_b64 v[4:5], v3 offset:5136
	v_writelane_b32 v64, s14, 10
	s_nop 1
	v_writelane_b32 v64, s15, 11
	s_waitcnt lgkmcnt(0)
	v_readfirstlane_b32 s14, v4
	v_readfirstlane_b32 s15, v5
	s_mov_b64 s[16:17], exec
	v_readlane_b32 s20, v64, 6
	v_readlane_b32 s21, v64, 7
	s_and_b64 s[20:21], s[16:17], s[20:21]
	s_mov_b64 exec, s[20:21]
	s_cbranch_execz .LBB95_30
; %bb.29:
	v_mov_b32_e32 v4, s56
	v_mov_b32_e32 v5, s57
	;; [unrolled: 1-line block ×3, first 2 shown]
	ds_write_b32 v3, v3 offset:5144
	ds_write_b128 v3, v[2:5] offset:5120
.LBB95_30:
	s_or_b64 exec, exec, s[16:17]
	s_load_dword s3, s[0:1], 0x4f8
	v_cmp_lt_i64_e64 s[0:1], s[14:15], 1
	s_mul_i32 s11, s4, s19
	v_mov_b32_e32 v1, v3
	v_mbcnt_lo_u32_b32 v2, -1, 0
	s_waitcnt lgkmcnt(0)
	s_bitcmp1_b32 s3, 0
	s_cselect_b64 s[16:17], -1, 0
	s_not_b64 s[14:15], s[14:15]
	s_or_b64 s[0:1], s[16:17], s[0:1]
	s_add_u32 s14, s56, s14
	s_addc_u32 s15, s57, s15
	s_lshr_b64 s[14:15], s[14:15], 1
	s_add_u32 s3, s14, 1
	s_addc_u32 s14, s15, 0
	s_and_b64 s[0:1], s[0:1], exec
	s_mul_hi_u32 s0, s4, s18
	s_cselect_b32 s15, s14, s57
	s_cselect_b32 s14, s3, s56
	s_add_i32 s0, s0, s11
	s_mul_i32 s1, s5, s18
	s_add_i32 s1, s0, s1
	s_mul_i32 s0, s4, s18
	s_lshl_b64 s[16:17], s[0:1], 2
	s_add_u32 s18, s8, s16
	v_cmp_gt_u64_e64 s[0:1], s[56:57], v[0:1]
	s_addc_u32 s19, s9, s17
	s_lshl_b64 s[78:79], s[6:7], 2
	v_writelane_b32 v64, s0, 12
	v_mbcnt_hi_u32_b32 v48, -1, v2
	s_add_u32 s80, s18, s78
	v_writelane_b32 v64, s1, 13
	v_cmp_gt_u32_e32 vcc, 64, v0
	v_cmp_gt_i32_e64 s[0:1], 4, v48
	s_addc_u32 s81, s19, s79
	s_and_b64 s[84:85], vcc, s[0:1]
	v_cmp_gt_u32_e64 s[0:1], 2, v0
	v_mov_b64_e32 v[4:5], 0x300
	s_nop 0
	v_writelane_b32 v64, s0, 14
	s_barrier
	s_nop 0
	v_writelane_b32 v64, s1, 15
	v_cmp_gt_u64_e64 s[0:1], s[56:57], v[4:5]
	v_lshlrev_b64 v[8:9], v48, -1
	v_not_b32_e32 v18, v8
	v_writelane_b32 v64, s0, 16
	v_mov_b32_e32 v8, s57
	v_not_b32_e32 v19, v9
	v_writelane_b32 v64, s1, 17
	v_mad_u64_u32 v[6:7], s[0:1], s60, v0, 0
	v_mov_b32_e32 v2, v7
	v_mad_u64_u32 v[4:5], s[0:1], s61, v0, v[2:3]
	s_load_dword s0, s[12:13], 0xc
	v_lshlrev_b32_e32 v2, 2, v48
	v_and_b32_e32 v50, 0x100, v2
	v_lshrrev_b32_e32 v2, 1, v0
	v_and_b32_e32 v2, 0x1e0, v2
	s_waitcnt lgkmcnt(0)
	s_and_b32 s76, s0, 0xffff
	s_bfe_u32 s0, s0, 0xa0006
	s_cmp_gt_u32 s76, 63
	s_cselect_b64 s[4:5], -1, 0
	v_or_b32_e32 v51, 0xc00, v2
	v_add_u32_e32 v2, 2, v0
	v_writelane_b32 v64, s4, 18
	s_add_u32 s1, s76, -1
	v_cmp_gt_u64_e32 vcc, s[56:57], v[2:3]
	v_writelane_b32 v64, s5, 19
	s_addc_u32 s3, 0, -1
	v_cndmask_b32_e32 v9, 0, v8, vcc
	v_mov_b32_e32 v8, s56
	v_writelane_b32 v64, s1, 20
	s_add_u32 s1, s1, s56
	v_cndmask_b32_e32 v8, v2, v8, vcc
	v_mov_b32_e32 v11, -1
	v_not_b32_e32 v10, v0
	v_writelane_b32 v64, s1, 21
	s_addc_u32 s89, s3, s57
	v_lshl_add_u64 v[8:9], v[8:9], 0, v[10:11]
	v_writelane_b32 v64, s3, 22
	s_cmp_lt_u32 s2, s10
	v_cmp_lt_u64_e64 s[2:3], 1, v[8:9]
	s_cselect_b32 s1, 12, 18
	v_and_b32_e32 v20, -2, v8
	v_writelane_b32 v64, s2, 23
	v_mov_b32_e32 v21, v9
	s_add_u32 s64, s12, s1
	v_writelane_b32 v64, s3, 24
	v_cmp_ne_u64_e64 s[2:3], v[8:9], v[20:21]
	s_addc_u32 s65, s13, 0
	s_add_i32 s1, s0, -1
	v_writelane_b32 v64, s2, 25
	s_and_b32 s1, s1, 0xffff
	v_lshlrev_b32_e32 v52, 4, v0
	v_writelane_b32 v64, s3, 26
	s_bfe_u32 s2, s76, 0x30006
	s_cmp_gt_u32 s1, 6
	s_cselect_b64 s[4:5], -1, 0
	v_writelane_b32 v64, s4, 27
	s_and_b32 s33, s0, 0x3f8
	s_cmp_lg_u32 s2, 0
	v_writelane_b32 v64, s5, 28
	v_writelane_b32 v64, s2, 29
	s_cselect_b64 s[0:1], -1, 0
	v_writelane_b32 v64, s0, 30
	v_or_b32_e32 v10, 12, v52
	v_mov_b64_e32 v[8:9], s[18:19]
	v_writelane_b32 v64, s1, 31
	s_add_u32 s0, s16, s78
	s_addc_u32 s1, s17, s79
	s_add_u32 s0, s8, s0
	s_addc_u32 s1, s9, s1
	v_writelane_b32 v64, s0, 32
	s_lshl_b32 s90, s76, 2
	v_cmp_eq_u32_e64 s[70:71], 0, v48
	v_writelane_b32 v64, s1, 33
	s_lshl_b64 s[0:1], s[60:61], 2
	v_writelane_b32 v64, s0, 34
	v_mov_b32_e32 v7, v4
	v_lshlrev_b64 v[4:5], 2, v[6:7]
	v_writelane_b32 v64, s1, 35
	v_mad_u64_u32 v[24:25], s[0:1], s60, v10, v[8:9]
	v_mov_b32_e32 v2, v25
	v_mad_u64_u32 v[10:11], s[0:1], s61, v10, v[2:3]
	s_lshl_b64 s[0:1], s[60:61], 4
	v_mov_b32_e32 v25, v10
	v_writelane_b32 v64, s0, 36
	v_or_b32_e32 v10, 8, v52
	s_mov_b32 s83, 0
	v_writelane_b32 v64, s1, 37
	v_mad_u64_u32 v[26:27], s[0:1], s60, v10, v[8:9]
	v_mov_b32_e32 v2, v27
	v_mad_u64_u32 v[10:11], s[0:1], s61, v10, v[2:3]
	v_mov_b32_e32 v27, v10
	v_or_b32_e32 v10, 4, v52
	v_mad_u64_u32 v[28:29], s[0:1], s60, v10, v[8:9]
	v_mov_b32_e32 v2, v29
	v_mad_u64_u32 v[8:9], s[0:1], s61, v10, v[2:3]
	s_add_u32 s0, s8, s78
	s_addc_u32 s1, s9, s79
	s_add_u32 s0, s0, s16
	s_addc_u32 s1, s1, s17
	v_writelane_b32 v64, s70, 38
	v_lshl_add_u64 v[16:17], s[0:1], 0, v[4:5]
	s_mul_i32 s0, s61, s76
	s_mul_hi_u32 s1, s60, s76
	v_writelane_b32 v64, s71, 39
	s_add_i32 s1, s1, s0
	s_mul_i32 s0, s60, s76
	v_writelane_b32 v64, s84, 40
	s_lshl_b64 s[86:87], s[0:1], 2
	v_lshlrev_b32_e32 v12, 2, v0
	v_writelane_b32 v64, s85, 41
	v_writelane_b32 v64, s86, 42
	s_mov_b32 s92, s60
	v_mov_b32_e32 v2, 0xc00
	v_writelane_b32 v64, s87, 43
	v_writelane_b32 v64, s64, 44
	v_add_u32_e32 v49, 0xc00, v12
	v_lshl_add_u64 v[14:15], s[80:81], 0, v[4:5]
	v_writelane_b32 v64, s65, 45
	v_mov_b32_e32 v13, v3
	s_mov_b32 s77, s83
	v_lshl_add_u64 v[22:23], v[20:21], 0, v[0:1]
	s_mov_b32 s93, s61
	v_mov_b32_e32 v29, v8
	v_lshl_add_u64 v[30:31], v[6:7], 4, s[18:19]
	v_lshl_or_b32 v53, v48, 3, v2
	s_mov_b32 s4, 30
	s_mov_b64 s[74:75], 0
	v_mov_b64_e32 v[36:37], s[14:15]
	s_brev_b32 s91, 1
	v_mov_b64_e32 v[58:59], s[56:57]
	v_mov_b32_e32 v32, 1
	v_mov_b32_e32 v55, 0x4f800000
	;; [unrolled: 1-line block ×6, first 2 shown]
	v_writelane_b32 v64, s92, 46
                                        ; implicit-def: $sgpr12_sgpr13
                                        ; implicit-def: $sgpr10_sgpr11
                                        ; implicit-def: $sgpr66_sgpr67
                                        ; implicit-def: $sgpr94_sgpr95
                                        ; implicit-def: $sgpr96_sgpr97
                                        ; implicit-def: $sgpr98_sgpr99
	v_writelane_b32 v64, s93, 47
	s_branch .LBB95_34
.LBB95_31:                              ;   in Loop: Header=BB95_34 Depth=1
	s_or_b64 exec, exec, s[14:15]
	s_and_b64 s[8:9], s[8:9], exec
	s_andn2_b64 s[24:25], s[24:25], exec
	s_andn2_b64 s[0:1], s[0:1], exec
	s_orn2_b64 s[18:19], s[6:7], exec
.LBB95_32:                              ;   in Loop: Header=BB95_34 Depth=1
	s_or_b64 exec, exec, s[2:3]
	s_andn2_b64 s[2:3], s[98:99], exec
	s_and_b64 s[6:7], s[8:9], exec
	s_or_b64 s[98:99], s[2:3], s[6:7]
	s_andn2_b64 s[2:3], s[96:97], exec
	s_and_b64 s[6:7], s[24:25], exec
	s_or_b64 s[96:97], s[2:3], s[6:7]
	;; [unrolled: 3-line block ×3, first 2 shown]
	s_orn2_b64 s[0:1], s[18:19], exec
.LBB95_33:                              ;   in Loop: Header=BB95_34 Depth=1
	s_or_b64 exec, exec, s[16:17]
	s_and_b64 s[0:1], exec, s[0:1]
	s_or_b64 s[74:75], s[0:1], s[74:75]
	s_andn2_b64 s[0:1], s[66:67], exec
	s_and_b64 s[2:3], s[98:99], exec
	s_or_b64 s[66:67], s[0:1], s[2:3]
	s_andn2_b64 s[0:1], s[10:11], exec
	s_and_b64 s[2:3], s[96:97], exec
	;; [unrolled: 3-line block ×3, first 2 shown]
	s_or_b64 s[12:13], s[0:1], s[2:3]
	v_mov_b64_e32 v[36:37], v[8:9]
	s_andn2_b64 exec, exec, s[74:75]
	s_cbranch_execz .LBB95_298
.LBB95_34:                              ; =>This Loop Header: Depth=1
                                        ;     Child Loop BB95_40 Depth 2
                                        ;     Child Loop BB95_54 Depth 2
	;; [unrolled: 1-line block ×17, first 2 shown]
	ds_read_b128 v[4:7], v3 offset:5120
	s_waitcnt lgkmcnt(0)
	v_readfirstlane_b32 s31, v5
	v_readfirstlane_b32 s30, v4
	s_cmp_lg_u64 s[30:31], 0
	s_cbranch_scc1 .LBB95_67
; %bb.35:                               ;   in Loop: Header=BB95_34 Depth=1
	v_readlane_b32 s0, v64, 16
	v_readlane_b32 s1, v64, 17
	s_and_b64 vcc, exec, s[0:1]
	s_cbranch_vccz .LBB95_48
; %bb.36:                               ;   in Loop: Header=BB95_34 Depth=1
	s_mov_b64 s[0:1], 0x301
	v_cmp_gt_u64_e32 vcc, s[0:1], v[6:7]
	s_mov_b64 s[6:7], 0
	s_mov_b64 s[0:1], 0
	s_cbranch_vccz .LBB95_49
; %bb.37:                               ;   in Loop: Header=BB95_34 Depth=1
	s_mov_b64 s[8:9], exec
	v_readlane_b32 s0, v64, 12
	v_readlane_b32 s1, v64, 13
	s_and_b64 s[0:1], s[8:9], s[0:1]
	s_mov_b64 exec, s[0:1]
	s_cbranch_execz .LBB95_165
; %bb.38:                               ;   in Loop: Header=BB95_34 Depth=1
	global_load_ushort v6, v3, s[64:65]
	global_load_dword v8, v[14:15], off
	v_readlane_b32 s0, v64, 32
	v_readlane_b32 s1, v64, 33
	;; [unrolled: 1-line block ×4, first 2 shown]
	v_mov_b64_e32 v[4:5], s[0:1]
	s_mov_b64 s[14:15], 0
	s_waitcnt vmcnt(1)
	v_and_b32_e32 v2, 0xffff, v6
	v_readfirstlane_b32 s0, v6
	v_lshl_add_u64 v[6:7], v[0:1], 0, v[2:3]
	s_and_b32 s2, 0xffff, s0
	v_mad_u64_u32 v[4:5], s[0:1], s16, v6, v[4:5]
	v_mul_lo_u32 v7, s16, v7
	v_mul_lo_u32 v9, s17, v6
	s_mul_i32 s0, s17, s2
	s_mul_hi_u32 s1, s16, s2
	s_mul_i32 s16, s16, s2
	v_add3_u32 v5, v9, v5, v7
	s_add_i32 s17, s1, s0
	v_mov_b64_e32 v[6:7], v[0:1]
	s_branch .LBB95_40
.LBB95_39:                              ;   in Loop: Header=BB95_40 Depth=2
	s_or_b64 exec, exec, s[2:3]
	v_lshl_add_u64 v[4:5], v[4:5], 0, s[16:17]
	v_mov_b32_e32 v8, v9
	s_andn2_b64 exec, exec, s[14:15]
	s_cbranch_execz .LBB95_165
.LBB95_40:                              ;   Parent Loop BB95_34 Depth=1
                                        ; =>  This Inner Loop Header: Depth=2
	v_lshl_add_u64 v[6:7], v[6:7], 0, v[2:3]
	v_cmp_gt_u64_e64 s[0:1], s[56:57], v[6:7]
	v_cmp_le_u64_e32 vcc, s[56:57], v[6:7]
	s_waitcnt lgkmcnt(0)
	v_mov_b32_e32 v10, 0
	v_mov_b32_e32 v9, 0
	s_and_saveexec_b64 s[2:3], s[0:1]
	s_cbranch_execz .LBB95_42
; %bb.41:                               ;   in Loop: Header=BB95_40 Depth=2
	global_load_dword v9, v[4:5], off
.LBB95_42:                              ;   in Loop: Header=BB95_40 Depth=2
	s_or_b64 exec, exec, s[2:3]
	s_waitcnt vmcnt(0)
	v_bitop3_b32 v11, v8, v57, s91 bitop3:0x48
	v_cmp_eq_u32_e64 s[0:1], v11, v54
	s_cmp_lg_u64 s[0:1], 0
	s_cselect_b64 s[2:3], -1, 0
	s_and_b64 s[2:3], s[70:71], s[2:3]
	s_and_saveexec_b64 s[18:19], s[2:3]
	s_cbranch_execz .LBB95_46
; %bb.43:                               ;   in Loop: Header=BB95_40 Depth=2
	s_mov_b64 s[22:23], exec
	v_mbcnt_lo_u32_b32 v10, s22, 0
	v_mbcnt_hi_u32_b32 v10, s23, v10
	s_bcnt1_i32_b64 s5, s[0:1]
	v_cmp_eq_u32_e64 s[2:3], 0, v10
                                        ; implicit-def: $vgpr11
	s_and_saveexec_b64 s[20:21], s[2:3]
; %bb.44:                               ;   in Loop: Header=BB95_40 Depth=2
	s_bcnt1_i32_b64 s2, s[22:23]
	s_mul_i32 s2, s5, s2
	v_mov_b32_e32 v11, s2
	ds_add_rtn_u32 v11, v3, v11 offset:5144
; %bb.45:                               ;   in Loop: Header=BB95_40 Depth=2
	s_or_b64 exec, exec, s[20:21]
	s_waitcnt lgkmcnt(0)
	v_readfirstlane_b32 s2, v11
	s_nop 1
	v_mov_b32_e32 v11, s2
	v_mad_u32_u24 v10, s5, v10, v11
.LBB95_46:                              ;   in Loop: Header=BB95_40 Depth=2
	s_or_b64 exec, exec, s[18:19]
	ds_bpermute_b32 v10, v50, v10
	s_and_b64 s[2:3], exec, vcc
	s_or_b64 s[14:15], s[2:3], s[14:15]
	s_and_saveexec_b64 s[2:3], s[0:1]
	s_cbranch_execz .LBB95_39
; %bb.47:                               ;   in Loop: Header=BB95_40 Depth=2
	v_and_b32_e32 v33, s0, v18
	v_and_b32_e32 v11, s1, v19
	v_bcnt_u32_b32 v33, v33, 0
	v_bcnt_u32_b32 v11, v11, v33
	v_lshlrev_b32_e32 v11, 2, v11
	s_waitcnt lgkmcnt(0)
	v_lshl_add_u32 v10, v10, 2, v11
	ds_write_b32 v10, v8
	s_branch .LBB95_39
.LBB95_48:                              ;   in Loop: Header=BB95_34 Depth=1
	s_mov_b64 s[6:7], -1
	s_mov_b64 s[0:1], 0
.LBB95_49:                              ;   in Loop: Header=BB95_34 Depth=1
	s_and_b64 vcc, exec, s[6:7]
	s_cbranch_vccz .LBB95_65
.LBB95_50:                              ;   in Loop: Header=BB95_34 Depth=1
	s_mov_b64 s[0:1], exec
	v_readlane_b32 s2, v64, 12
	v_readlane_b32 s3, v64, 13
	s_and_b64 s[2:3], s[0:1], s[2:3]
	s_mov_b64 exec, s[2:3]
	s_cbranch_execz .LBB95_62
; %bb.51:                               ;   in Loop: Header=BB95_34 Depth=1
	global_load_ushort v2, v3, s[64:65]
	global_load_dword v10, v[14:15], off
	v_mov_b32_e32 v8, v0
	s_waitcnt vmcnt(1)
	v_readfirstlane_b32 s5, v2
	v_add_u32_sdwa v2, v2, v0 dst_sel:DWORD dst_unused:UNUSED_PAD src0_sel:WORD_0 src1_sel:DWORD
	v_cmp_gt_u64_e32 vcc, s[56:57], v[2:3]
	s_and_saveexec_b64 s[2:3], vcc
	s_cbranch_execz .LBB95_61
; %bb.52:                               ;   in Loop: Header=BB95_34 Depth=1
	s_and_b32 s82, s5, 0xffff
	s_cmp_eq_u32 s82, 1
	v_readlane_b32 s8, v64, 23
	s_cselect_b64 s[6:7], -1, 0
	v_readlane_b32 s9, v64, 24
	s_and_b64 s[14:15], s[8:9], s[6:7]
	s_mov_b64 s[8:9], -1
	v_mov_b64_e32 v[6:7], v[0:1]
	v_mov_b64_e32 v[4:5], v[2:3]
                                        ; implicit-def: $vgpr11
                                        ; implicit-def: $vgpr8_vgpr9
	s_and_saveexec_b64 s[6:7], s[14:15]
	s_cbranch_execz .LBB95_56
; %bb.53:                               ;   in Loop: Header=BB95_34 Depth=1
	v_lshl_add_u64 v[4:5], v[2:3], 0, 1
	v_mov_b64_e32 v[6:7], v[4:5]
	s_mov_b64 s[8:9], 0
	v_mov_b64_e32 v[8:9], v[20:21]
	v_mov_b32_e32 v33, v12
	v_mov_b64_e32 v[4:5], v[2:3]
.LBB95_54:                              ;   Parent Loop BB95_34 Depth=1
                                        ; =>  This Inner Loop Header: Depth=2
	v_mul_lo_u32 v42, v5, s60
	v_mul_lo_u32 v43, v4, s61
	v_mad_u64_u32 v[40:41], s[14:15], v4, s60, 0
	v_mul_lo_u32 v11, v7, s92
	v_mul_lo_u32 v34, v6, s93
	v_mad_u64_u32 v[38:39], s[14:15], v6, s92, 0
	v_add3_u32 v41, v41, v43, v42
	v_add3_u32 v39, v39, v34, v11
	v_lshl_add_u64 v[40:41], v[40:41], 2, s[80:81]
	v_lshl_add_u64 v[38:39], v[38:39], 2, s[80:81]
	global_load_dword v34, v[40:41], off
	global_load_dword v11, v[38:39], off
	v_lshl_add_u64 v[8:9], v[8:9], 0, -2
	v_cmp_eq_u64_e32 vcc, 0, v[8:9]
	v_lshl_add_u64 v[6:7], v[6:7], 0, 2
	v_lshl_add_u64 v[4:5], v[4:5], 0, 2
	s_or_b64 s[8:9], vcc, s[8:9]
	s_waitcnt vmcnt(1)
	ds_write2_b32 v33, v10, v34 offset1:1
	v_add_u32_e32 v33, 8, v33
	s_waitcnt vmcnt(0)
	v_mov_b32_e32 v10, v11
	s_andn2_b64 exec, exec, s[8:9]
	s_cbranch_execnz .LBB95_54
; %bb.55:                               ;   in Loop: Header=BB95_34 Depth=1
	s_or_b64 exec, exec, s[8:9]
	v_readlane_b32 s8, v64, 25
	v_lshl_add_u64 v[4:5], v[2:3], 0, v[20:21]
	v_readlane_b32 s9, v64, 26
	v_lshl_add_u64 v[8:9], v[4:5], 0, -1
	s_orn2_b64 s[8:9], s[8:9], exec
	v_mov_b32_e32 v10, v11
	v_mov_b64_e32 v[6:7], v[22:23]
.LBB95_56:                              ;   in Loop: Header=BB95_34 Depth=1
	s_or_b64 exec, exec, s[6:7]
	s_and_saveexec_b64 s[6:7], s[8:9]
	s_cbranch_execz .LBB95_60
; %bb.57:                               ;   in Loop: Header=BB95_34 Depth=1
	v_readlane_b32 s16, v64, 32
	v_readlane_b32 s17, v64, 33
	;; [unrolled: 1-line block ×4, first 2 shown]
	v_mov_b64_e32 v[8:9], s[16:17]
	v_mad_u64_u32 v[8:9], s[16:17], s18, v4, v[8:9]
	s_sub_u32 s8, 0, s82
	v_mul_lo_u32 v2, s18, v5
	v_mul_lo_u32 v7, s19, v4
	s_mul_i32 s5, s19, s82
	s_mul_hi_u32 s16, s18, s82
	s_mov_b64 s[14:15], 0
	s_subb_u32 s9, 0, 0
	v_add3_u32 v9, v7, v9, v2
	s_add_i32 s17, s16, s5
	s_mul_i32 s16, s18, s82
.LBB95_58:                              ;   Parent Loop BB95_34 Depth=1
                                        ; =>  This Inner Loop Header: Depth=2
	global_load_dword v11, v[8:9], off
	v_mov_b64_e32 v[38:39], v[4:5]
	v_lshl_add_u64 v[4:5], v[38:39], 0, s[82:83]
	v_lshlrev_b32_e32 v2, 2, v6
	v_cmp_le_u64_e32 vcc, s[56:57], v[4:5]
	v_lshl_add_u64 v[8:9], v[8:9], 0, s[16:17]
	s_waitcnt vmcnt(1)
	ds_write_b32 v2, v10
	v_mov_b64_e32 v[6:7], v[38:39]
	s_or_b64 s[14:15], vcc, s[14:15]
	s_waitcnt vmcnt(0)
	v_mov_b32_e32 v10, v11
	s_andn2_b64 exec, exec, s[14:15]
	s_cbranch_execnz .LBB95_58
; %bb.59:                               ;   in Loop: Header=BB95_34 Depth=1
	s_or_b64 exec, exec, s[14:15]
	v_lshl_add_u64 v[8:9], s[8:9], 0, v[4:5]
.LBB95_60:                              ;   in Loop: Header=BB95_34 Depth=1
	s_or_b64 exec, exec, s[6:7]
	s_waitcnt vmcnt(0)
	v_mov_b32_e32 v10, v11
.LBB95_61:                              ;   in Loop: Header=BB95_34 Depth=1
	s_or_b64 exec, exec, s[2:3]
	v_lshlrev_b32_e32 v2, 2, v8
	s_waitcnt vmcnt(0)
	ds_write_b32 v2, v10
.LBB95_62:                              ;   in Loop: Header=BB95_34 Depth=1
	s_or_b64 exec, exec, s[0:1]
	s_waitcnt lgkmcnt(0)
	s_barrier
	s_mov_b64 s[0:1], exec
	v_readlane_b32 s2, v64, 6
	v_readlane_b32 s3, v64, 7
	s_and_b64 s[2:3], s[0:1], s[2:3]
	s_mov_b64 exec, s[2:3]
; %bb.63:                               ;   in Loop: Header=BB95_34 Depth=1
	ds_write_b64 v3, v[58:59] offset:5120
; %bb.64:                               ;   in Loop: Header=BB95_34 Depth=1
	s_or_b64 exec, exec, s[0:1]
	s_waitcnt lgkmcnt(0)
	s_barrier
	s_mov_b64 s[0:1], -1
.LBB95_65:                              ;   in Loop: Header=BB95_34 Depth=1
	s_mov_b64 s[30:31], 0
	s_and_b64 vcc, exec, s[0:1]
	s_cbranch_vccz .LBB95_67
; %bb.66:                               ;   in Loop: Header=BB95_34 Depth=1
	ds_read_b64 v[4:5], v3 offset:5120
	s_waitcnt lgkmcnt(0)
	v_readfirstlane_b32 s30, v4
.LBB95_67:                              ;   in Loop: Header=BB95_34 Depth=1
	s_cmp_lt_i32 s30, 1
	s_mov_b64 s[0:1], -1
                                        ; implicit-def: $vgpr4_vgpr5
                                        ; implicit-def: $vgpr8_vgpr9
	s_cbranch_scc1 .LBB95_77
; %bb.68:                               ;   in Loop: Header=BB95_34 Depth=1
	s_and_b64 vcc, exec, s[0:1]
	s_cbranch_vccnz .LBB95_91
.LBB95_69:                              ;   in Loop: Header=BB95_34 Depth=1
	v_lshlrev_b32_e32 v2, 6, v56
	s_and_saveexec_b64 s[0:1], s[70:71]
	s_cbranch_execz .LBB95_71
.LBB95_70:                              ;   in Loop: Header=BB95_34 Depth=1
	v_lshl_add_u32 v33, v2, 3, v51
	ds_write_b128 v33, v[4:7]
	ds_write_b128 v33, v[8:11] offset:16
.LBB95_71:                              ;   in Loop: Header=BB95_34 Depth=1
	s_or_b64 exec, exec, s[0:1]
	s_waitcnt lgkmcnt(0)
	s_barrier
	s_and_saveexec_b64 s[0:1], s[84:85]
	s_cbranch_execz .LBB95_106
; %bb.72:                               ;   in Loop: Header=BB95_34 Depth=1
	v_readlane_b32 s2, v64, 18
	v_readlane_b32 s3, v64, 19
	s_andn2_b64 vcc, exec, s[2:3]
	v_mov_b64_e32 v[4:5], 0
	s_cbranch_vccnz .LBB95_105
; %bb.73:                               ;   in Loop: Header=BB95_34 Depth=1
	v_readlane_b32 s2, v64, 27
	v_readlane_b32 s3, v64, 28
	s_andn2_b64 vcc, exec, s[2:3]
	s_cbranch_vccnz .LBB95_101
; %bb.74:                               ;   in Loop: Header=BB95_34 Depth=1
	v_lshl_add_u32 v6, v56, 9, v53
	v_mov_b64_e32 v[4:5], 0
	s_mov_b32 s2, 0
.LBB95_75:                              ;   Parent Loop BB95_34 Depth=1
                                        ; =>  This Inner Loop Header: Depth=2
	ds_read2_b64 v[8:11], v6 offset1:4
	ds_read2_b64 v[38:41], v6 offset0:8 offset1:12
	ds_read2_b64 v[42:45], v6 offset0:16 offset1:20
	ds_read2_b64 v[60:63], v6 offset0:24 offset1:28
	s_add_i32 s2, s2, 8
	s_waitcnt lgkmcnt(3)
	v_lshl_add_u64 v[4:5], v[8:9], 0, v[4:5]
	v_lshl_add_u64 v[4:5], v[10:11], 0, v[4:5]
	s_waitcnt lgkmcnt(2)
	v_lshl_add_u64 v[4:5], v[38:39], 0, v[4:5]
	v_lshl_add_u64 v[4:5], v[40:41], 0, v[4:5]
	;; [unrolled: 3-line block ×3, first 2 shown]
	s_waitcnt lgkmcnt(0)
	v_lshl_add_u64 v[4:5], v[60:61], 0, v[4:5]
	v_add_u32_e32 v6, 0x100, v6
	s_cmp_eq_u32 s33, s2
	v_lshl_add_u64 v[4:5], v[62:63], 0, v[4:5]
	s_cbranch_scc0 .LBB95_75
; %bb.76:                               ;   in Loop: Header=BB95_34 Depth=1
	s_mov_b32 s2, s33
	s_branch .LBB95_102
.LBB95_77:                              ;   in Loop: Header=BB95_34 Depth=1
	global_load_ushort v2, v3, s[64:65]
	s_mov_b32 s0, s83
	s_waitcnt vmcnt(0)
	v_readfirstlane_b32 s1, v2
	s_and_b32 s8, s1, 0xffff
	s_lshl_b32 s82, s8, 2
	s_mov_b32 s1, s57
	s_cmp_lg_u64 s[0:1], 0
	s_cbranch_scc0 .LBB95_100
; %bb.78:                               ;   in Loop: Header=BB95_34 Depth=1
	v_cvt_f32_u32_e32 v2, s82
	s_sub_u32 s2, 0, s82
	s_subb_u32 s3, 0, 0
	v_fmac_f32_e32 v2, 0, v55
	v_rcp_f32_e32 v2, v2
	s_nop 0
	v_mul_f32_e32 v2, 0x5f7ffffc, v2
	v_mul_f32_e32 v4, 0x2f800000, v2
	v_trunc_f32_e32 v4, v4
	v_fmac_f32_e32 v2, 0xcf800000, v4
	v_cvt_u32_f32_e32 v4, v4
	v_cvt_u32_f32_e32 v2, v2
	v_readfirstlane_b32 s5, v4
	v_readfirstlane_b32 s0, v2
	s_mul_i32 s1, s2, s5
	s_mul_hi_u32 s7, s2, s0
	s_mul_i32 s6, s3, s0
	s_add_i32 s1, s7, s1
	s_mul_i32 s9, s2, s0
	s_add_i32 s1, s1, s6
	s_mul_hi_u32 s7, s0, s9
	s_mul_i32 s14, s0, s1
	s_mul_hi_u32 s6, s0, s1
	s_add_u32 s7, s7, s14
	s_addc_u32 s6, 0, s6
	s_mul_hi_u32 s15, s5, s9
	s_mul_i32 s9, s5, s9
	s_add_u32 s7, s7, s9
	s_mul_hi_u32 s14, s5, s1
	s_addc_u32 s6, s6, s15
	s_addc_u32 s7, s14, 0
	s_mul_i32 s1, s5, s1
	s_add_u32 s1, s6, s1
	s_addc_u32 s6, 0, s7
	s_add_u32 s7, s0, s1
	s_cselect_b64 s[0:1], -1, 0
	s_cmp_lg_u64 s[0:1], 0
	s_addc_u32 s5, s5, s6
	s_mul_i32 s0, s2, s5
	s_mul_hi_u32 s1, s2, s7
	s_add_i32 s0, s1, s0
	s_mul_i32 s3, s3, s7
	s_add_i32 s0, s0, s3
	s_mul_i32 s2, s2, s7
	s_mul_hi_u32 s3, s5, s2
	s_mul_i32 s6, s5, s2
	s_mul_i32 s14, s7, s0
	s_mul_hi_u32 s2, s7, s2
	s_mul_hi_u32 s9, s7, s0
	s_add_u32 s2, s2, s14
	s_addc_u32 s9, 0, s9
	s_add_u32 s2, s2, s6
	s_mul_hi_u32 s1, s5, s0
	s_addc_u32 s2, s9, s3
	s_addc_u32 s1, s1, 0
	s_mul_i32 s0, s5, s0
	s_add_u32 s0, s2, s0
	s_addc_u32 s2, 0, s1
	s_add_u32 s3, s7, s0
	s_cselect_b64 s[0:1], -1, 0
	s_cmp_lg_u64 s[0:1], 0
	s_addc_u32 s0, s5, s2
	s_mul_i32 s2, s56, s0
	s_mul_hi_u32 s5, s56, s3
	s_mul_hi_u32 s1, s56, s0
	s_add_u32 s2, s5, s2
	s_addc_u32 s1, 0, s1
	s_mul_hi_u32 s6, s57, s3
	s_mul_i32 s3, s57, s3
	s_add_u32 s2, s2, s3
	s_mul_hi_u32 s5, s57, s0
	s_addc_u32 s1, s1, s6
	s_addc_u32 s2, s5, 0
	s_mul_i32 s0, s57, s0
	s_add_u32 s0, s1, s0
	s_addc_u32 s1, 0, s2
	s_mul_i32 s1, s82, s1
	s_mul_hi_u32 s2, s82, s0
	s_add_i32 s2, s2, s1
	s_mul_i32 s0, s82, s0
	s_sub_u32 s3, s56, s0
	s_cselect_b64 s[0:1], -1, 0
	s_cmp_lg_u64 s[0:1], 0
	s_subb_u32 s2, s57, s2
	s_sub_u32 s5, s3, s82
	s_cselect_b64 s[0:1], -1, 0
	s_cmp_lg_u64 s[0:1], 0
	s_subb_u32 s6, s2, 0
	;; [unrolled: 4-line block ×3, first 2 shown]
	s_cmp_ge_u32 s5, s82
	s_cselect_b32 s1, -1, 0
	s_cmp_eq_u32 s6, 0
	s_cselect_b32 s1, s1, -1
	s_cmp_lg_u32 s1, 0
	s_cselect_b32 s0, s0, s6
	s_cselect_b32 s5, s7, s5
	s_cmp_ge_u32 s3, s82
	s_cselect_b32 s1, -1, 0
	s_cmp_eq_u32 s2, 0
	s_cselect_b32 s1, s1, -1
	s_cmp_lg_u32 s1, 0
	s_cselect_b32 s1, s0, s2
	s_cselect_b32 s0, s5, s3
	s_cbranch_execnz .LBB95_80
.LBB95_79:                              ;   in Loop: Header=BB95_34 Depth=1
	v_cvt_f32_u32_e32 v2, s82
	s_sub_i32 s0, 0, s82
	v_rcp_iflag_f32_e32 v2, v2
	s_nop 0
	v_mul_f32_e32 v2, 0x4f7ffffe, v2
	v_cvt_u32_f32_e32 v2, v2
	s_nop 0
	v_readfirstlane_b32 s1, v2
	s_mul_i32 s0, s0, s1
	s_mul_hi_u32 s0, s1, s0
	s_add_i32 s1, s1, s0
	s_mul_hi_u32 s0, s56, s1
	s_mul_i32 s0, s0, s82
	s_sub_i32 s0, s56, s0
	s_sub_i32 s1, s0, s82
	s_cmp_ge_u32 s0, s82
	s_cselect_b32 s0, s1, s0
	s_sub_i32 s1, s0, s82
	s_cmp_ge_u32 s0, s82
	s_cselect_b32 s0, s1, s0
	s_mov_b32 s1, s83
.LBB95_80:                              ;   in Loop: Header=BB95_34 Depth=1
	s_sub_u32 s14, s56, s0
	s_subb_u32 s15, s57, s1
	s_mov_b32 s9, s83
	v_cmp_gt_u64_e32 vcc, s[14:15], v[12:13]
	v_mov_b64_e32 v[4:5], 0
	v_mov_b64_e32 v[6:7], 0
	;; [unrolled: 1-line block ×4, first 2 shown]
	s_and_saveexec_b64 s[72:73], vcc
	s_cbranch_execz .LBB95_84
; %bb.81:                               ;   in Loop: Header=BB95_34 Depth=1
	v_readlane_b32 s2, v64, 36
	v_readlane_b32 s3, v64, 37
	s_mul_i32 s0, s3, s8
	s_mul_hi_u32 s1, s2, s8
	s_mov_b32 s65, s89
	s_add_i32 s89, s1, s0
	s_mul_i32 s88, s2, s8
	s_mov_b64 s[6:7], 0
	v_mov_b64_e32 v[38:39], v[30:31]
	v_mov_b64_e32 v[40:41], v[28:29]
	v_mov_b64_e32 v[42:43], v[26:27]
	v_mov_b64_e32 v[44:45], v[24:25]
	s_mov_b64 s[70:71], 0
	s_mov_b64 s[84:85], 0
	;; [unrolled: 1-line block ×4, first 2 shown]
	v_mov_b64_e32 v[46:47], v[12:13]
.LBB95_82:                              ;   Parent Loop BB95_34 Depth=1
                                        ; =>  This Inner Loop Header: Depth=2
	v_lshl_add_u64 v[4:5], v[38:39], 0, s[78:79]
	v_lshl_add_u64 v[6:7], v[40:41], 0, s[78:79]
	;; [unrolled: 1-line block ×4, first 2 shown]
	global_load_dword v2, v[4:5], off
	s_nop 0
	global_load_dword v4, v[6:7], off
	global_load_dword v5, v[8:9], off
	s_nop 0
	global_load_dword v6, v[10:11], off
	v_lshl_add_u64 v[46:47], v[46:47], 0, s[82:83]
	v_cmp_le_u64_e32 vcc, s[14:15], v[46:47]
	v_lshl_add_u64 v[44:45], v[44:45], 0, s[88:89]
	v_lshl_add_u64 v[42:43], v[42:43], 0, s[88:89]
	;; [unrolled: 1-line block ×4, first 2 shown]
	s_waitcnt vmcnt(3)
	v_xor_b32_e32 v7, 0x80000000, v2
	v_bitop3_b32 v2, v2, v57, s91 bitop3:0x48
	s_waitcnt vmcnt(2)
	v_xor_b32_e32 v8, 0x80000000, v4
	v_bitop3_b32 v4, v4, v57, s91 bitop3:0x48
	v_cmp_eq_u32_e64 s[20:21], v2, v54
	v_bfe_u32 v2, v7, s4, 2
	s_waitcnt vmcnt(1)
	v_xor_b32_e32 v9, 0x80000000, v5
	v_bitop3_b32 v5, v5, v57, s91 bitop3:0x48
	v_cmp_eq_u32_e64 s[18:19], v4, v54
	v_bfe_u32 v4, v8, s4, 2
	v_cmp_eq_u32_e64 s[2:3], 0, v2
	s_waitcnt vmcnt(0)
	v_xor_b32_e32 v10, 0x80000000, v6
	v_bitop3_b32 v6, v6, v57, s91 bitop3:0x48
	v_cmp_eq_u32_e64 s[16:17], v5, v54
	v_bfe_u32 v5, v9, s4, 2
	v_cmp_eq_u32_e64 s[34:35], 0, v4
	s_and_b64 s[2:3], s[20:21], s[2:3]
	v_cmp_eq_u32_e64 s[0:1], v6, v54
	v_bfe_u32 v6, v10, s4, 2
	v_cmp_eq_u32_e64 s[36:37], 0, v5
	v_cmp_eq_u32_e64 s[40:41], 1, v2
	;; [unrolled: 1-line block ×4, first 2 shown]
	v_cndmask_b32_e64 v2, 0, 1, s[2:3]
	s_and_b64 s[2:3], s[18:19], s[34:35]
	v_cmp_eq_u32_e64 s[38:39], 0, v6
	v_cmp_eq_u32_e64 s[42:43], 1, v4
	;; [unrolled: 1-line block ×4, first 2 shown]
	v_cndmask_b32_e64 v4, 0, 1, s[2:3]
	s_and_b64 s[2:3], s[16:17], s[36:37]
	v_cmp_eq_u32_e64 s[44:45], 1, v5
	v_cmp_eq_u32_e64 s[52:53], 2, v5
	;; [unrolled: 1-line block ×3, first 2 shown]
	v_cndmask_b32_e64 v5, 0, 1, s[2:3]
	s_and_b64 s[2:3], s[0:1], s[38:39]
	v_cmp_eq_u32_e64 s[46:47], 1, v6
	v_cmp_eq_u32_e64 s[54:55], 2, v6
	;; [unrolled: 1-line block ×3, first 2 shown]
	v_cndmask_b32_e64 v6, 0, 1, s[2:3]
	v_cmp_ne_u32_e64 s[2:3], 0, v2
	v_cmp_ne_u32_e64 s[34:35], 0, v4
	;; [unrolled: 1-line block ×4, first 2 shown]
	s_bcnt1_i32_b64 s2, s[2:3]
	s_bcnt1_i32_b64 s3, s[34:35]
	;; [unrolled: 1-line block ×4, first 2 shown]
	s_add_u32 s2, s2, s86
	s_addc_u32 s34, 0, s87
	s_add_u32 s2, s2, s3
	s_addc_u32 s3, s34, 0
	;; [unrolled: 2-line block ×4, first 2 shown]
	s_and_b64 s[2:3], s[20:21], s[40:41]
	v_cndmask_b32_e64 v2, 0, 1, s[2:3]
	s_and_b64 s[2:3], s[18:19], s[42:43]
	v_cndmask_b32_e64 v6, 0, 1, s[2:3]
	;; [unrolled: 2-line block ×4, first 2 shown]
	v_cmp_ne_u32_e64 s[2:3], 0, v2
	v_cmp_ne_u32_e64 s[34:35], 0, v6
	;; [unrolled: 1-line block ×4, first 2 shown]
	s_bcnt1_i32_b64 s2, s[2:3]
	s_bcnt1_i32_b64 s3, s[34:35]
	;; [unrolled: 1-line block ×4, first 2 shown]
	s_add_u32 s2, s2, s92
	s_addc_u32 s34, 0, s93
	s_add_u32 s2, s2, s3
	s_addc_u32 s3, s34, 0
	;; [unrolled: 2-line block ×4, first 2 shown]
	s_and_b64 s[2:3], s[20:21], s[48:49]
	v_cndmask_b32_e64 v2, 0, 1, s[2:3]
	s_and_b64 s[2:3], s[18:19], s[50:51]
	v_cndmask_b32_e64 v8, 0, 1, s[2:3]
	;; [unrolled: 2-line block ×4, first 2 shown]
	v_cmp_ne_u32_e64 s[2:3], 0, v2
	v_cmp_ne_u32_e64 s[34:35], 0, v8
	;; [unrolled: 1-line block ×4, first 2 shown]
	s_bcnt1_i32_b64 s2, s[2:3]
	s_bcnt1_i32_b64 s3, s[34:35]
	;; [unrolled: 1-line block ×4, first 2 shown]
	s_add_u32 s2, s2, s84
	s_addc_u32 s34, 0, s85
	s_add_u32 s2, s2, s3
	s_addc_u32 s3, s34, 0
	;; [unrolled: 2-line block ×4, first 2 shown]
	s_and_b64 s[2:3], s[20:21], s[28:29]
	v_cndmask_b32_e64 v2, 0, 1, s[2:3]
	s_and_b64 s[2:3], s[18:19], s[26:27]
	v_cndmask_b32_e64 v10, 0, 1, s[2:3]
	s_and_b64 s[2:3], s[16:17], s[24:25]
	s_and_b64 s[0:1], s[0:1], s[22:23]
	v_cndmask_b32_e64 v11, 0, 1, s[2:3]
	v_cndmask_b32_e64 v33, 0, 1, s[0:1]
	v_cmp_ne_u32_e64 s[0:1], 0, v2
	v_cmp_ne_u32_e64 s[2:3], 0, v10
	;; [unrolled: 1-line block ×4, first 2 shown]
	s_bcnt1_i32_b64 s0, s[0:1]
	s_bcnt1_i32_b64 s1, s[2:3]
	s_bcnt1_i32_b64 s2, s[16:17]
	s_bcnt1_i32_b64 s3, s[18:19]
	s_add_u32 s0, s0, s70
	s_addc_u32 s5, 0, s71
	s_add_u32 s0, s0, s1
	s_addc_u32 s1, s5, 0
	;; [unrolled: 2-line block ×4, first 2 shown]
	v_mov_b64_e32 v[4:5], s[86:87]
	v_mov_b64_e32 v[6:7], s[92:93]
	;; [unrolled: 1-line block ×3, first 2 shown]
	s_or_b64 s[6:7], vcc, s[6:7]
	v_mov_b64_e32 v[10:11], s[70:71]
	s_andn2_b64 exec, exec, s[6:7]
	s_cbranch_execnz .LBB95_82
; %bb.83:                               ;   in Loop: Header=BB95_34 Depth=1
	s_or_b64 exec, exec, s[6:7]
	v_readlane_b32 s70, v64, 38
	v_readlane_b32 s84, v64, 40
	;; [unrolled: 1-line block ×3, first 2 shown]
	s_mov_b32 s89, s65
	v_readlane_b32 s64, v64, 44
	v_readlane_b32 s71, v64, 39
	;; [unrolled: 1-line block ×7, first 2 shown]
.LBB95_84:                              ;   in Loop: Header=BB95_34 Depth=1
	s_or_b64 exec, exec, s[72:73]
	v_lshl_add_u64 v[38:39], s[14:15], 0, v[0:1]
	v_cmp_gt_u64_e32 vcc, s[56:57], v[38:39]
	s_and_saveexec_b64 s[2:3], vcc
	s_cbranch_execz .LBB95_90
; %bb.85:                               ;   in Loop: Header=BB95_34 Depth=1
	v_mul_lo_u32 v2, v39, s60
	v_mul_lo_u32 v33, v38, s61
	v_mad_u64_u32 v[40:41], s[0:1], v38, s60, 0
	v_add3_u32 v41, v41, v33, v2
	v_lshl_add_u64 v[40:41], v[40:41], 2, s[80:81]
	global_load_dword v33, v[40:41], off
	s_mov_b64 s[6:7], 0
	s_branch .LBB95_87
.LBB95_86:                              ;   in Loop: Header=BB95_87 Depth=2
	s_or_b64 exec, exec, s[14:15]
	s_waitcnt vmcnt(0)
	v_xor_b32_e32 v34, 0x80000000, v33
	v_bitop3_b32 v33, v33, v57, s91 bitop3:0x48
	s_and_b64 s[0:1], exec, vcc
	v_cmp_eq_u32_e32 vcc, v33, v54
	v_bfe_u32 v33, v34, s4, 2
	s_or_b64 s[6:7], s[0:1], s[6:7]
	v_cmp_eq_u32_e64 s[0:1], 0, v33
	s_and_b64 s[0:1], vcc, s[0:1]
	s_nop 0
	v_cndmask_b32_e64 v34, 0, 1, s[0:1]
	v_cmp_ne_u32_e64 s[0:1], 0, v34
	s_bcnt1_i32_b64 s82, s[0:1]
	v_cmp_eq_u32_e64 s[0:1], 1, v33
	s_and_b64 s[0:1], vcc, s[0:1]
	v_lshl_add_u64 v[4:5], s[82:83], 0, v[4:5]
	v_cndmask_b32_e64 v34, 0, 1, s[0:1]
	v_cmp_ne_u32_e64 s[0:1], 0, v34
	s_bcnt1_i32_b64 s82, s[0:1]
	v_cmp_eq_u32_e64 s[0:1], 2, v33
	s_and_b64 s[0:1], vcc, s[0:1]
	v_lshl_add_u64 v[6:7], s[82:83], 0, v[6:7]
	;; [unrolled: 6-line block ×3, first 2 shown]
	v_cndmask_b32_e64 v33, 0, 1, s[0:1]
	v_cmp_ne_u32_e32 vcc, 0, v33
	s_bcnt1_i32_b64 s82, vcc
	v_lshl_add_u64 v[10:11], s[82:83], 0, v[10:11]
	v_mov_b32_e32 v33, v2
	s_andn2_b64 exec, exec, s[6:7]
	s_cbranch_execz .LBB95_89
.LBB95_87:                              ;   Parent Loop BB95_34 Depth=1
                                        ; =>  This Inner Loop Header: Depth=2
	v_lshl_add_u64 v[38:39], v[38:39], 0, s[8:9]
	v_cmp_gt_u64_e64 s[0:1], s[56:57], v[38:39]
	v_cmp_le_u64_e32 vcc, s[56:57], v[38:39]
	v_mov_b32_e32 v2, 0
	s_and_saveexec_b64 s[14:15], s[0:1]
	s_cbranch_execz .LBB95_86
; %bb.88:                               ;   in Loop: Header=BB95_87 Depth=2
	v_mul_lo_u32 v2, v39, s60
	v_mul_lo_u32 v34, v38, s61
	v_mad_u64_u32 v[40:41], s[0:1], v38, s60, 0
	v_add3_u32 v41, v41, v34, v2
	v_lshl_add_u64 v[40:41], v[40:41], 2, s[80:81]
	global_load_dword v2, v[40:41], off
	s_branch .LBB95_86
.LBB95_89:                              ;   in Loop: Header=BB95_34 Depth=1
	s_or_b64 exec, exec, s[6:7]
.LBB95_90:                              ;   in Loop: Header=BB95_34 Depth=1
	s_or_b64 exec, exec, s[2:3]
	s_branch .LBB95_69
.LBB95_91:                              ;   in Loop: Header=BB95_34 Depth=1
	global_load_ushort v2, v3, s[64:65]
	v_mov_b64_e32 v[8:9], 0
	s_waitcnt vmcnt(0)
	v_readfirstlane_b32 s0, v2
	s_and_b32 s0, 0xffff, s0
	s_lshl_b32 s8, s0, 2
	v_cvt_f32_u32_e32 v4, s8
	s_sub_i32 s1, 0, s8
	v_rcp_iflag_f32_e32 v6, v4
	v_mov_b64_e32 v[4:5], 0
	v_mul_f32_e32 v6, 0x4f7ffffe, v6
	v_cvt_u32_f32_e32 v10, v6
	v_mov_b64_e32 v[6:7], 0
	v_readfirstlane_b32 s2, v10
	s_mul_i32 s1, s1, s2
	s_mul_hi_u32 s1, s2, s1
	s_add_i32 s2, s2, s1
	s_mul_hi_u32 s1, s30, s2
	s_mul_i32 s2, s1, s8
	s_sub_i32 s2, s30, s2
	s_add_i32 s3, s1, 1
	s_sub_i32 s5, s2, s8
	s_cmp_ge_u32 s2, s8
	s_cselect_b32 s1, s3, s1
	s_cselect_b32 s2, s5, s2
	s_add_i32 s3, s1, 1
	s_cmp_ge_u32 s2, s8
	s_cselect_b32 s1, s3, s1
	s_mul_hi_u32 s15, s0, s1
	s_mul_i32 s14, s0, s1
	s_lshl_b64 s[72:73], s[14:15], 2
	v_cmp_gt_u64_e32 vcc, s[72:73], v[12:13]
	v_mov_b64_e32 v[10:11], 0
	s_and_saveexec_b64 s[6:7], vcc
	s_cbranch_execz .LBB95_95
; %bb.92:                               ;   in Loop: Header=BB95_34 Depth=1
	s_mov_b32 s9, s83
	s_mov_b32 s65, s89
	s_lshl_b32 s5, s0, 4
	s_mov_b64 s[70:71], 0
	v_mov_b32_e32 v33, v52
	s_mov_b64 s[84:85], 0
	s_mov_b64 s[86:87], 0
	;; [unrolled: 1-line block ×4, first 2 shown]
	v_mov_b64_e32 v[38:39], v[12:13]
.LBB95_93:                              ;   Parent Loop BB95_34 Depth=1
                                        ; =>  This Inner Loop Header: Depth=2
	ds_read_b128 v[4:7], v33
	v_lshl_add_u64 v[38:39], v[38:39], 0, s[8:9]
	v_cmp_le_u64_e32 vcc, s[72:73], v[38:39]
	v_add_u32_e32 v33, s5, v33
	s_waitcnt lgkmcnt(0)
	v_xor_b32_e32 v8, 0x80000000, v4
	v_bitop3_b32 v4, v4, v57, s91 bitop3:0x48
	v_xor_b32_e32 v9, 0x80000000, v5
	v_bitop3_b32 v5, v5, v57, s91 bitop3:0x48
	v_cmp_eq_u32_e64 s[20:21], v4, v54
	v_bfe_u32 v4, v8, s4, 2
	v_xor_b32_e32 v10, 0x80000000, v6
	v_bitop3_b32 v6, v6, v57, s91 bitop3:0x48
	v_cmp_eq_u32_e64 s[18:19], v5, v54
	v_bfe_u32 v5, v9, s4, 2
	v_cmp_eq_u32_e64 s[2:3], 0, v4
	v_xor_b32_e32 v11, 0x80000000, v7
	v_bitop3_b32 v7, v7, v57, s91 bitop3:0x48
	v_cmp_eq_u32_e64 s[16:17], v6, v54
	v_bfe_u32 v6, v10, s4, 2
	v_cmp_eq_u32_e64 s[34:35], 0, v5
	s_and_b64 s[2:3], s[20:21], s[2:3]
	v_cmp_eq_u32_e64 s[0:1], v7, v54
	v_bfe_u32 v7, v11, s4, 2
	v_cmp_eq_u32_e64 s[36:37], 0, v6
	v_cmp_eq_u32_e64 s[40:41], 1, v4
	;; [unrolled: 1-line block ×4, first 2 shown]
	v_cndmask_b32_e64 v4, 0, 1, s[2:3]
	s_and_b64 s[2:3], s[18:19], s[34:35]
	v_cmp_eq_u32_e64 s[38:39], 0, v7
	v_cmp_eq_u32_e64 s[42:43], 1, v5
	;; [unrolled: 1-line block ×4, first 2 shown]
	v_cndmask_b32_e64 v5, 0, 1, s[2:3]
	s_and_b64 s[2:3], s[16:17], s[36:37]
	v_cmp_eq_u32_e64 s[44:45], 1, v6
	v_cmp_eq_u32_e64 s[52:53], 2, v6
	;; [unrolled: 1-line block ×3, first 2 shown]
	v_cndmask_b32_e64 v6, 0, 1, s[2:3]
	s_and_b64 s[2:3], s[0:1], s[38:39]
	v_cmp_eq_u32_e64 s[46:47], 1, v7
	v_cmp_eq_u32_e64 s[54:55], 2, v7
	;; [unrolled: 1-line block ×3, first 2 shown]
	v_cndmask_b32_e64 v7, 0, 1, s[2:3]
	v_cmp_ne_u32_e64 s[2:3], 0, v4
	v_cmp_ne_u32_e64 s[34:35], 0, v5
	;; [unrolled: 1-line block ×4, first 2 shown]
	s_bcnt1_i32_b64 s2, s[2:3]
	s_bcnt1_i32_b64 s3, s[34:35]
	;; [unrolled: 1-line block ×4, first 2 shown]
	s_add_u32 s2, s2, s92
	s_addc_u32 s34, 0, s93
	s_add_u32 s2, s2, s3
	s_addc_u32 s3, s34, 0
	;; [unrolled: 2-line block ×4, first 2 shown]
	s_and_b64 s[2:3], s[20:21], s[40:41]
	v_cndmask_b32_e64 v6, 0, 1, s[2:3]
	s_and_b64 s[2:3], s[18:19], s[42:43]
	v_cndmask_b32_e64 v7, 0, 1, s[2:3]
	;; [unrolled: 2-line block ×4, first 2 shown]
	v_cmp_ne_u32_e64 s[2:3], 0, v6
	v_cmp_ne_u32_e64 s[34:35], 0, v7
	;; [unrolled: 1-line block ×4, first 2 shown]
	s_bcnt1_i32_b64 s2, s[2:3]
	s_bcnt1_i32_b64 s3, s[34:35]
	;; [unrolled: 1-line block ×4, first 2 shown]
	s_add_u32 s2, s2, s88
	s_addc_u32 s34, 0, s89
	s_add_u32 s2, s2, s3
	s_addc_u32 s3, s34, 0
	;; [unrolled: 2-line block ×4, first 2 shown]
	s_and_b64 s[2:3], s[20:21], s[48:49]
	v_cndmask_b32_e64 v8, 0, 1, s[2:3]
	s_and_b64 s[2:3], s[18:19], s[50:51]
	v_cndmask_b32_e64 v9, 0, 1, s[2:3]
	;; [unrolled: 2-line block ×4, first 2 shown]
	v_cmp_ne_u32_e64 s[2:3], 0, v8
	v_cmp_ne_u32_e64 s[34:35], 0, v9
	;; [unrolled: 1-line block ×4, first 2 shown]
	s_bcnt1_i32_b64 s2, s[2:3]
	s_bcnt1_i32_b64 s3, s[34:35]
	;; [unrolled: 1-line block ×4, first 2 shown]
	s_add_u32 s2, s2, s86
	s_addc_u32 s34, 0, s87
	s_add_u32 s2, s2, s3
	s_addc_u32 s3, s34, 0
	;; [unrolled: 2-line block ×4, first 2 shown]
	s_and_b64 s[2:3], s[20:21], s[28:29]
	v_cndmask_b32_e64 v10, 0, 1, s[2:3]
	s_and_b64 s[2:3], s[18:19], s[26:27]
	v_cndmask_b32_e64 v11, 0, 1, s[2:3]
	s_and_b64 s[2:3], s[16:17], s[24:25]
	s_and_b64 s[0:1], s[0:1], s[22:23]
	v_cndmask_b32_e64 v34, 0, 1, s[2:3]
	v_cndmask_b32_e64 v40, 0, 1, s[0:1]
	v_cmp_ne_u32_e64 s[0:1], 0, v10
	v_cmp_ne_u32_e64 s[2:3], 0, v11
	v_cmp_ne_u32_e64 s[16:17], 0, v34
	v_cmp_ne_u32_e64 s[18:19], 0, v40
	s_bcnt1_i32_b64 s0, s[0:1]
	s_bcnt1_i32_b64 s1, s[2:3]
	;; [unrolled: 1-line block ×4, first 2 shown]
	s_add_u32 s0, s0, s84
	s_addc_u32 s15, 0, s85
	s_add_u32 s0, s0, s1
	s_addc_u32 s1, s15, 0
	;; [unrolled: 2-line block ×4, first 2 shown]
	v_mov_b64_e32 v[4:5], s[92:93]
	v_mov_b64_e32 v[6:7], s[88:89]
	;; [unrolled: 1-line block ×3, first 2 shown]
	s_or_b64 s[70:71], vcc, s[70:71]
	v_mov_b64_e32 v[10:11], s[84:85]
	s_andn2_b64 exec, exec, s[70:71]
	s_cbranch_execnz .LBB95_93
; %bb.94:                               ;   in Loop: Header=BB95_34 Depth=1
	s_or_b64 exec, exec, s[70:71]
	v_readlane_b32 s70, v64, 38
	v_readlane_b32 s84, v64, 40
	;; [unrolled: 1-line block ×3, first 2 shown]
	s_mov_b32 s89, s65
	v_readlane_b32 s64, v64, 44
	v_readlane_b32 s71, v64, 39
	;; [unrolled: 1-line block ×7, first 2 shown]
.LBB95_95:                              ;   in Loop: Header=BB95_34 Depth=1
	s_or_b64 exec, exec, s[6:7]
	s_and_b32 s6, s30, 0x7fffffff
	s_mov_b32 s7, s83
	v_lshl_add_u64 v[38:39], s[72:73], 0, v[0:1]
	v_and_b32_e32 v2, 0xffff, v2
	v_cmp_gt_u64_e32 vcc, s[6:7], v[38:39]
	s_and_saveexec_b64 s[22:23], vcc
	s_cbranch_execz .LBB95_99
; %bb.96:                               ;   in Loop: Header=BB95_34 Depth=1
	v_lshl_add_u32 v33, s14, 4, v12
	s_mov_b64 s[14:15], 0
.LBB95_97:                              ;   Parent Loop BB95_34 Depth=1
                                        ; =>  This Inner Loop Header: Depth=2
	ds_read_b32 v34, v33
	v_lshl_add_u64 v[38:39], v[38:39], 0, v[2:3]
	v_cmp_le_u64_e32 vcc, s[6:7], v[38:39]
	v_add_u32_e32 v33, s8, v33
	s_waitcnt lgkmcnt(0)
	v_xor_b32_e32 v40, 0x80000000, v34
	v_bitop3_b32 v34, v34, v57, s91 bitop3:0x48
	v_cmp_eq_u32_e64 s[0:1], v34, v54
	v_bfe_u32 v34, v40, s4, 2
	v_cmp_eq_u32_e64 s[2:3], 0, v34
	v_cmp_eq_u32_e64 s[16:17], 1, v34
	s_and_b64 s[2:3], s[0:1], s[2:3]
	v_cmp_eq_u32_e64 s[18:19], 2, v34
	v_cmp_eq_u32_e64 s[20:21], 3, v34
	v_cndmask_b32_e64 v34, 0, 1, s[2:3]
	s_and_b64 s[2:3], s[0:1], s[16:17]
	v_cndmask_b32_e64 v40, 0, 1, s[2:3]
	s_and_b64 s[2:3], s[0:1], s[18:19]
	s_and_b64 s[0:1], s[0:1], s[20:21]
	v_cndmask_b32_e64 v42, 0, 1, s[0:1]
	v_cmp_ne_u32_e64 s[0:1], 0, v34
	v_cndmask_b32_e64 v41, 0, 1, s[2:3]
	v_cmp_ne_u32_e64 s[2:3], 0, v40
	s_bcnt1_i32_b64 s82, s[0:1]
	v_cmp_ne_u32_e64 s[16:17], 0, v41
	v_lshl_add_u64 v[4:5], s[82:83], 0, v[4:5]
	s_bcnt1_i32_b64 s82, s[2:3]
	v_cmp_ne_u32_e64 s[18:19], 0, v42
	v_lshl_add_u64 v[6:7], s[82:83], 0, v[6:7]
	s_bcnt1_i32_b64 s82, s[16:17]
	v_lshl_add_u64 v[8:9], s[82:83], 0, v[8:9]
	s_bcnt1_i32_b64 s82, s[18:19]
	s_or_b64 s[14:15], vcc, s[14:15]
	v_lshl_add_u64 v[10:11], s[82:83], 0, v[10:11]
	s_andn2_b64 exec, exec, s[14:15]
	s_cbranch_execnz .LBB95_97
; %bb.98:                               ;   in Loop: Header=BB95_34 Depth=1
	s_or_b64 exec, exec, s[14:15]
.LBB95_99:                              ;   in Loop: Header=BB95_34 Depth=1
	s_or_b64 exec, exec, s[22:23]
	v_lshlrev_b32_e32 v2, 6, v56
	s_and_saveexec_b64 s[0:1], s[70:71]
	s_cbranch_execnz .LBB95_70
	s_branch .LBB95_71
.LBB95_100:                             ;   in Loop: Header=BB95_34 Depth=1
                                        ; implicit-def: $sgpr0_sgpr1
	s_branch .LBB95_79
.LBB95_101:                             ;   in Loop: Header=BB95_34 Depth=1
	s_mov_b32 s2, 0
	v_mov_b64_e32 v[4:5], 0
.LBB95_102:                             ;   in Loop: Header=BB95_34 Depth=1
	v_readlane_b32 s6, v64, 30
	v_readlane_b32 s7, v64, 31
	s_andn2_b64 vcc, exec, s[6:7]
	s_cbranch_vccnz .LBB95_105
; %bb.103:                              ;   in Loop: Header=BB95_34 Depth=1
	v_lshlrev_b32_e32 v6, 9, v56
	s_lshl_b32 s2, s2, 5
	v_add_u32_e32 v6, s2, v6
	v_add_u32_e32 v6, v53, v6
	v_readlane_b32 s2, v64, 29
.LBB95_104:                             ;   Parent Loop BB95_34 Depth=1
                                        ; =>  This Inner Loop Header: Depth=2
	ds_read_b64 v[8:9], v6
	s_add_i32 s2, s2, -1
	v_add_u32_e32 v6, 32, v6
	s_cmp_lg_u32 s2, 0
	s_waitcnt lgkmcnt(0)
	v_lshl_add_u64 v[4:5], v[8:9], 0, v[4:5]
	s_cbranch_scc1 .LBB95_104
.LBB95_105:                             ;   in Loop: Header=BB95_34 Depth=1
	v_add_lshl_u32 v6, v2, v48, 3
	ds_write_b64 v6, v[4:5] offset:3072
.LBB95_106:                             ;   in Loop: Header=BB95_34 Depth=1
	s_or_b64 exec, exec, s[0:1]
	v_lshlrev_b32_e32 v2, 3, v2
	s_waitcnt lgkmcnt(0)
	s_barrier
	ds_read_b128 v[8:11], v2 offset:3088
	ds_read_b128 v[4:7], v2 offset:3072
	s_lshl_b32 s5, 3, s4
	v_cmp_eq_u64_e64 s[0:1], 1, v[36:37]
	s_not_b32 s50, s5
	s_waitcnt lgkmcnt(1)
	v_readfirstlane_b32 s22, v8
	s_waitcnt lgkmcnt(0)
	v_cmp_eq_u64_e32 vcc, 1, v[4:5]
	v_readfirstlane_b32 s23, v9
	v_readfirstlane_b32 s2, v10
	v_readfirstlane_b32 s3, v11
	s_and_b64 s[8:9], vcc, s[0:1]
	s_mov_b64 s[0:1], -1
	s_mov_b64 s[18:19], -1
                                        ; implicit-def: $sgpr14_sgpr15
                                        ; implicit-def: $sgpr6_sgpr7
	s_and_saveexec_b64 s[16:17], s[8:9]
	s_cbranch_execz .LBB95_138
; %bb.107:                              ;   in Loop: Header=BB95_34 Depth=1
	ds_read_b64 v[8:9], v3 offset:5120
	s_waitcnt lgkmcnt(0)
	s_barrier
	v_readfirstlane_b32 s20, v8
	v_readfirstlane_b32 s21, v9
	s_mov_b64 s[6:7], exec
	v_readlane_b32 s14, v64, 14
	v_readlane_b32 s15, v64, 15
	s_and_b64 s[14:15], s[6:7], s[14:15]
	s_mov_b64 exec, s[14:15]
; %bb.108:                              ;   in Loop: Header=BB95_34 Depth=1
	ds_write_b32 v49, v3
; %bb.109:                              ;   in Loop: Header=BB95_34 Depth=1
	s_or_b64 exec, exec, s[6:7]
	v_and_b32_e32 v54, s50, v54
	v_or_b32_e32 v57, s5, v57
	s_mov_b64 s[6:7], -1
	s_mov_b64 s[14:15], 0
	s_cmp_eq_u64 s[20:21], 0
	s_mov_b64 s[18:19], 0
	s_mov_b64 s[24:25], -1
	s_waitcnt lgkmcnt(0)
	s_barrier
                                        ; implicit-def: $vgpr35
	s_cbranch_scc1 .LBB95_123
; %bb.110:                              ;   in Loop: Header=BB95_34 Depth=1
	v_readlane_b32 s18, v64, 20
	s_add_u32 s28, s20, s18
	v_readlane_b32 s18, v64, 22
	s_addc_u32 s19, s21, s18
	s_mov_b32 s18, s83
	s_cmp_lg_u64 s[18:19], 0
	s_cbranch_scc0 .LBB95_164
; %bb.111:                              ;   in Loop: Header=BB95_34 Depth=1
	v_cvt_f32_u32_e32 v2, s76
	s_sub_u32 s18, 0, s76
	s_subb_u32 s26, 0, 0
	v_fmac_f32_e32 v2, 0, v55
	v_rcp_f32_e32 v2, v2
	s_nop 0
	v_mul_f32_e32 v2, 0x5f7ffffc, v2
	v_mul_f32_e32 v8, 0x2f800000, v2
	v_trunc_f32_e32 v8, v8
	v_fmac_f32_e32 v2, 0xcf800000, v8
	v_cvt_u32_f32_e32 v8, v8
	v_cvt_u32_f32_e32 v2, v2
	v_readfirstlane_b32 s27, v8
	v_readfirstlane_b32 s24, v2
	s_mul_i32 s25, s18, s27
	s_mul_hi_u32 s30, s18, s24
	s_mul_i32 s29, s26, s24
	s_add_i32 s25, s30, s25
	s_mul_i32 s31, s18, s24
	s_add_i32 s25, s25, s29
	s_mul_hi_u32 s30, s24, s31
	s_mul_i32 s34, s24, s25
	s_mul_hi_u32 s29, s24, s25
	s_add_u32 s30, s30, s34
	s_addc_u32 s29, 0, s29
	s_mul_hi_u32 s35, s27, s31
	s_mul_i32 s31, s27, s31
	s_add_u32 s30, s30, s31
	s_mul_hi_u32 s34, s27, s25
	s_addc_u32 s29, s29, s35
	s_addc_u32 s30, s34, 0
	s_mul_i32 s25, s27, s25
	s_add_u32 s25, s29, s25
	s_addc_u32 s29, 0, s30
	s_add_u32 s30, s24, s25
	s_cselect_b64 s[24:25], -1, 0
	s_cmp_lg_u64 s[24:25], 0
	s_addc_u32 s27, s27, s29
	s_mul_i32 s24, s18, s27
	s_mul_hi_u32 s25, s18, s30
	s_add_i32 s24, s25, s24
	s_mul_i32 s26, s26, s30
	s_add_i32 s24, s24, s26
	s_mul_i32 s18, s18, s30
	s_mul_hi_u32 s26, s27, s18
	s_mul_i32 s29, s27, s18
	s_mul_i32 s34, s30, s24
	s_mul_hi_u32 s18, s30, s18
	s_mul_hi_u32 s31, s30, s24
	s_add_u32 s18, s18, s34
	s_addc_u32 s31, 0, s31
	s_add_u32 s18, s18, s29
	s_mul_hi_u32 s25, s27, s24
	s_addc_u32 s18, s31, s26
	s_addc_u32 s25, s25, 0
	s_mul_i32 s24, s27, s24
	s_add_u32 s18, s18, s24
	s_addc_u32 s26, 0, s25
	s_add_u32 s18, s30, s18
	s_cselect_b64 s[24:25], -1, 0
	s_cmp_lg_u64 s[24:25], 0
	s_addc_u32 s24, s27, s26
	s_mul_i32 s26, s28, s24
	s_mul_hi_u32 s27, s28, s18
	s_mul_hi_u32 s25, s28, s24
	s_add_u32 s26, s27, s26
	s_addc_u32 s25, 0, s25
	s_mul_hi_u32 s29, s19, s18
	s_mul_i32 s18, s19, s18
	s_add_u32 s18, s26, s18
	s_mul_hi_u32 s27, s19, s24
	s_addc_u32 s18, s25, s29
	s_addc_u32 s25, s27, 0
	s_mul_i32 s24, s19, s24
	s_add_u32 s18, s18, s24
	s_addc_u32 s24, 0, s25
	s_mul_i32 s24, s76, s24
	s_mul_hi_u32 s25, s76, s18
	s_add_i32 s26, s25, s24
	s_mul_i32 s18, s76, s18
	s_sub_u32 s18, s28, s18
	s_cselect_b64 s[24:25], -1, 0
	s_cmp_lg_u64 s[24:25], 0
	s_subb_u32 s26, s19, s26
	s_sub_u32 s27, s18, s76
	s_cselect_b64 s[24:25], -1, 0
	s_cmp_lg_u64 s[24:25], 0
	s_subb_u32 s29, s26, 0
	;; [unrolled: 4-line block ×3, first 2 shown]
	s_cmp_ge_u32 s27, s76
	s_cselect_b32 s25, -1, 0
	s_cmp_eq_u32 s29, 0
	s_cselect_b32 s25, s25, -1
	s_cmp_lg_u32 s25, 0
	s_cselect_b32 s24, s24, s29
	s_cselect_b32 s27, s30, s27
	s_cmp_ge_u32 s18, s76
	s_cselect_b32 s25, -1, 0
	s_cmp_eq_u32 s26, 0
	s_cselect_b32 s25, s25, -1
	s_cmp_lg_u32 s25, 0
	s_cselect_b32 s25, s24, s26
	s_cselect_b32 s24, s27, s18
	s_cbranch_execnz .LBB95_113
.LBB95_112:                             ;   in Loop: Header=BB95_34 Depth=1
	v_cvt_f32_u32_e32 v2, s76
	s_sub_i32 s18, 0, s76
	v_rcp_iflag_f32_e32 v2, v2
	s_nop 0
	v_mul_f32_e32 v2, 0x4f7ffffe, v2
	v_cvt_u32_f32_e32 v2, v2
	s_nop 0
	v_readfirstlane_b32 s24, v2
	s_mul_i32 s18, s18, s24
	s_mul_hi_u32 s18, s24, s18
	s_add_i32 s24, s24, s18
	s_mul_hi_u32 s18, s28, s24
	s_mul_i32 s18, s18, s76
	s_sub_i32 s18, s28, s18
	s_sub_i32 s24, s18, s76
	s_cmp_ge_u32 s18, s76
	s_cselect_b32 s18, s24, s18
	s_sub_i32 s24, s18, s76
	s_cmp_ge_u32 s18, s76
	s_cselect_b32 s82, s24, s18
	s_mov_b64 s[24:25], s[82:83]
.LBB95_113:                             ;   in Loop: Header=BB95_34 Depth=1
	s_sub_u32 s28, s28, s24
	s_subb_u32 s29, s19, s25
	v_cmp_gt_u64_e32 vcc, s[28:29], v[0:1]
	s_mov_b64 s[24:25], 0
	s_mov_b64 s[18:19], 0
                                        ; implicit-def: $vgpr35
	s_and_saveexec_b64 s[26:27], vcc
	s_cbranch_execz .LBB95_122
; %bb.114:                              ;   in Loop: Header=BB95_34 Depth=1
	v_mov_b32_e32 v2, v12
	v_mov_b64_e32 v[8:9], v[0:1]
                                        ; implicit-def: $sgpr30_sgpr31
	s_branch .LBB95_117
.LBB95_115:                             ;   in Loop: Header=BB95_117 Depth=2
	s_or_b64 exec, exec, s[34:35]
	s_waitcnt lgkmcnt(0)
	s_barrier
	ds_read_b64 v[34:35], v3 offset:3072
	s_mov_b64 s[34:35], -1
	s_mov_b64 s[36:37], -1
	s_waitcnt lgkmcnt(0)
	s_barrier
	v_cmp_ne_u32_e32 vcc, 0, v34
	s_cbranch_vccz .LBB95_120
.LBB95_116:                             ;   in Loop: Header=BB95_117 Depth=2
	s_and_b64 s[34:35], exec, s[34:35]
	s_or_b64 s[18:19], s[34:35], s[18:19]
	s_andn2_b64 s[30:31], s[30:31], exec
	s_and_b64 s[34:35], s[36:37], exec
	s_or_b64 s[30:31], s[30:31], s[34:35]
	s_andn2_b64 exec, exec, s[18:19]
	s_cbranch_execz .LBB95_121
.LBB95_117:                             ;   Parent Loop BB95_34 Depth=1
                                        ; =>  This Inner Loop Header: Depth=2
	v_cmp_gt_u64_e32 vcc, s[20:21], v[8:9]
	s_and_saveexec_b64 s[34:35], vcc
	s_cbranch_execz .LBB95_115
; %bb.118:                              ;   in Loop: Header=BB95_117 Depth=2
	ds_read_b32 v33, v2
	s_waitcnt lgkmcnt(0)
	v_bitop3_b32 v10, v33, v57, s91 bitop3:0x48
	v_cmp_eq_u32_e32 vcc, v10, v54
	s_and_b64 exec, exec, vcc
	s_cbranch_execz .LBB95_115
; %bb.119:                              ;   in Loop: Header=BB95_117 Depth=2
	ds_write_b64 v3, v[32:33] offset:3072
	s_branch .LBB95_115
.LBB95_120:                             ;   in Loop: Header=BB95_117 Depth=2
	v_lshl_add_u64 v[8:9], v[8:9], 0, s[76:77]
	v_cmp_le_u64_e32 vcc, s[28:29], v[8:9]
	v_add_u32_e32 v2, s90, v2
	s_mov_b64 s[36:37], 0
	s_orn2_b64 s[34:35], vcc, exec
	s_branch .LBB95_116
.LBB95_121:                             ;   in Loop: Header=BB95_34 Depth=1
	s_or_b64 exec, exec, s[18:19]
	s_and_b64 s[18:19], s[30:31], exec
.LBB95_122:                             ;   in Loop: Header=BB95_34 Depth=1
	s_or_b64 exec, exec, s[26:27]
.LBB95_123:                             ;   in Loop: Header=BB95_34 Depth=1
	s_and_b64 vcc, exec, s[24:25]
	s_cbranch_vccz .LBB95_137
; %bb.124:                              ;   in Loop: Header=BB95_34 Depth=1
	s_mov_b32 s88, s83
	s_cmp_lg_u64 s[88:89], 0
	s_cbranch_scc0 .LBB95_168
; %bb.125:                              ;   in Loop: Header=BB95_34 Depth=1
	v_cvt_f32_u32_e32 v2, s76
	s_sub_u32 s14, 0, s76
	s_subb_u32 s15, 0, 0
	v_fmac_f32_e32 v2, 0, v55
	v_rcp_f32_e32 v2, v2
	s_nop 0
	v_mul_f32_e32 v2, 0x5f7ffffc, v2
	v_mul_f32_e32 v8, 0x2f800000, v2
	v_trunc_f32_e32 v8, v8
	v_fmac_f32_e32 v2, 0xcf800000, v8
	v_cvt_u32_f32_e32 v8, v8
	v_cvt_u32_f32_e32 v2, v2
	v_readfirstlane_b32 s20, v8
	v_readfirstlane_b32 s6, v2
	s_mul_i32 s7, s14, s20
	s_mul_hi_u32 s24, s14, s6
	s_mul_i32 s21, s15, s6
	s_add_i32 s7, s24, s7
	s_mul_i32 s25, s14, s6
	s_add_i32 s7, s7, s21
	s_mul_hi_u32 s24, s6, s25
	s_mul_i32 s26, s6, s7
	s_mul_hi_u32 s21, s6, s7
	s_add_u32 s24, s24, s26
	s_addc_u32 s21, 0, s21
	s_mul_hi_u32 s27, s20, s25
	s_mul_i32 s25, s20, s25
	s_add_u32 s24, s24, s25
	s_mul_hi_u32 s26, s20, s7
	s_addc_u32 s21, s21, s27
	s_addc_u32 s24, s26, 0
	s_mul_i32 s7, s20, s7
	s_add_u32 s7, s21, s7
	s_addc_u32 s21, 0, s24
	s_add_u32 s24, s6, s7
	s_cselect_b64 s[6:7], -1, 0
	s_cmp_lg_u64 s[6:7], 0
	s_addc_u32 s20, s20, s21
	s_mul_i32 s6, s14, s20
	s_mul_hi_u32 s7, s14, s24
	s_add_i32 s6, s7, s6
	s_mul_i32 s15, s15, s24
	s_add_i32 s6, s6, s15
	s_mul_i32 s14, s14, s24
	s_mul_hi_u32 s15, s20, s14
	s_mul_i32 s21, s20, s14
	s_mul_i32 s26, s24, s6
	s_mul_hi_u32 s14, s24, s14
	s_mul_hi_u32 s25, s24, s6
	s_add_u32 s14, s14, s26
	s_addc_u32 s25, 0, s25
	s_add_u32 s14, s14, s21
	s_mul_hi_u32 s7, s20, s6
	s_addc_u32 s14, s25, s15
	s_addc_u32 s7, s7, 0
	s_mul_i32 s6, s20, s6
	s_add_u32 s6, s14, s6
	s_addc_u32 s14, 0, s7
	s_add_u32 s15, s24, s6
	s_cselect_b64 s[6:7], -1, 0
	s_cmp_lg_u64 s[6:7], 0
	s_addc_u32 s6, s20, s14
	v_readlane_b32 s24, v64, 21
	s_mul_i32 s14, s24, s6
	s_mul_hi_u32 s20, s24, s15
	s_mul_hi_u32 s7, s24, s6
	s_add_u32 s14, s20, s14
	s_addc_u32 s7, 0, s7
	s_mul_hi_u32 s21, s89, s15
	s_mul_i32 s15, s89, s15
	s_add_u32 s14, s14, s15
	s_mul_hi_u32 s20, s89, s6
	s_addc_u32 s7, s7, s21
	s_addc_u32 s14, s20, 0
	s_mul_i32 s6, s89, s6
	s_add_u32 s6, s7, s6
	s_addc_u32 s7, 0, s14
	s_mul_i32 s7, s76, s7
	s_mul_hi_u32 s14, s76, s6
	s_add_i32 s14, s14, s7
	s_mul_i32 s6, s76, s6
	s_sub_u32 s15, s24, s6
	s_cselect_b64 s[6:7], -1, 0
	s_cmp_lg_u64 s[6:7], 0
	s_subb_u32 s14, s89, s14
	s_sub_u32 s20, s15, s76
	s_cselect_b64 s[6:7], -1, 0
	s_cmp_lg_u64 s[6:7], 0
	s_subb_u32 s21, s14, 0
	;; [unrolled: 4-line block ×3, first 2 shown]
	s_cmp_ge_u32 s20, s76
	s_cselect_b32 s7, -1, 0
	s_cmp_eq_u32 s21, 0
	s_cselect_b32 s7, s7, -1
	s_cmp_lg_u32 s7, 0
	s_cselect_b32 s6, s6, s21
	s_cselect_b32 s20, s24, s20
	s_cmp_ge_u32 s15, s76
	s_cselect_b32 s7, -1, 0
	s_cmp_eq_u32 s14, 0
	s_cselect_b32 s7, s7, -1
	s_cmp_lg_u32 s7, 0
	s_cselect_b32 s7, s6, s14
	s_cselect_b32 s6, s20, s15
	s_cbranch_execnz .LBB95_127
.LBB95_126:                             ;   in Loop: Header=BB95_34 Depth=1
	v_cvt_f32_u32_e32 v2, s76
	s_sub_i32 s6, 0, s76
	v_readlane_b32 s14, v64, 21
	v_rcp_iflag_f32_e32 v2, v2
	s_nop 0
	v_mul_f32_e32 v2, 0x4f7ffffe, v2
	v_cvt_u32_f32_e32 v2, v2
	s_nop 0
	v_readfirstlane_b32 s7, v2
	s_mul_i32 s6, s6, s7
	s_mul_hi_u32 s6, s7, s6
	s_add_i32 s7, s7, s6
	s_mul_hi_u32 s6, s14, s7
	s_mul_i32 s6, s6, s76
	s_sub_i32 s6, s14, s6
	s_sub_i32 s7, s6, s76
	s_cmp_ge_u32 s6, s76
	s_cselect_b32 s6, s7, s6
	s_sub_i32 s7, s6, s76
	s_cmp_ge_u32 s6, s76
	s_cselect_b32 s82, s7, s6
	s_mov_b64 s[6:7], s[82:83]
.LBB95_127:                             ;   in Loop: Header=BB95_34 Depth=1
	v_readlane_b32 s14, v64, 21
	s_sub_u32 s14, s14, s6
	s_subb_u32 s15, s89, s7
	v_cmp_gt_u64_e32 vcc, s[14:15], v[0:1]
                                        ; implicit-def: $vgpr35
	s_and_saveexec_b64 s[6:7], vcc
	s_cbranch_execz .LBB95_136
; %bb.128:                              ;   in Loop: Header=BB95_34 Depth=1
	s_mov_b64 s[20:21], 0
	v_mov_b64_e32 v[8:9], v[16:17]
	v_mov_b64_e32 v[10:11], v[0:1]
                                        ; implicit-def: $sgpr24_sgpr25
	s_branch .LBB95_131
.LBB95_129:                             ;   in Loop: Header=BB95_131 Depth=2
	s_or_b64 exec, exec, s[26:27]
	s_waitcnt lgkmcnt(0)
	s_barrier
	ds_read_b64 v[34:35], v3 offset:3072
	s_mov_b64 s[26:27], -1
	s_mov_b64 s[28:29], -1
	s_waitcnt lgkmcnt(0)
	s_barrier
	v_cmp_ne_u32_e32 vcc, 0, v34
	s_cbranch_vccz .LBB95_134
.LBB95_130:                             ;   in Loop: Header=BB95_131 Depth=2
	s_and_b64 s[26:27], exec, s[26:27]
	s_or_b64 s[20:21], s[26:27], s[20:21]
	s_andn2_b64 s[24:25], s[24:25], exec
	s_and_b64 s[26:27], s[28:29], exec
	s_or_b64 s[24:25], s[24:25], s[26:27]
	s_andn2_b64 exec, exec, s[20:21]
	s_cbranch_execz .LBB95_135
.LBB95_131:                             ;   Parent Loop BB95_34 Depth=1
                                        ; =>  This Inner Loop Header: Depth=2
	v_cmp_gt_u64_e32 vcc, s[56:57], v[10:11]
	s_and_saveexec_b64 s[26:27], vcc
	s_cbranch_execz .LBB95_129
; %bb.132:                              ;   in Loop: Header=BB95_131 Depth=2
	global_load_dword v33, v[8:9], off
	s_waitcnt vmcnt(0)
	v_bitop3_b32 v2, v33, v57, s91 bitop3:0x48
	v_cmp_eq_u32_e32 vcc, v2, v54
	s_and_b64 exec, exec, vcc
	s_cbranch_execz .LBB95_129
; %bb.133:                              ;   in Loop: Header=BB95_131 Depth=2
	ds_write_b64 v3, v[32:33] offset:3072
	s_branch .LBB95_129
.LBB95_134:                             ;   in Loop: Header=BB95_131 Depth=2
	v_lshl_add_u64 v[10:11], v[10:11], 0, s[76:77]
	v_cmp_le_u64_e32 vcc, s[14:15], v[10:11]
	v_lshl_add_u64 v[8:9], v[8:9], 0, s[86:87]
	s_mov_b64 s[28:29], 0
	s_orn2_b64 s[26:27], vcc, exec
	s_branch .LBB95_130
.LBB95_135:                             ;   in Loop: Header=BB95_34 Depth=1
	s_or_b64 exec, exec, s[20:21]
	s_andn2_b64 s[14:15], s[18:19], exec
	s_and_b64 s[18:19], s[24:25], exec
	s_or_b64 s[18:19], s[14:15], s[18:19]
.LBB95_136:                             ;   in Loop: Header=BB95_34 Depth=1
	s_or_b64 exec, exec, s[6:7]
	s_mov_b64 s[6:7], 0
	s_mov_b64 s[14:15], -1
.LBB95_137:                             ;   in Loop: Header=BB95_34 Depth=1
	s_orn2_b64 s[18:19], s[18:19], exec
.LBB95_138:                             ;   in Loop: Header=BB95_34 Depth=1
	s_or_b64 exec, exec, s[16:17]
	s_andn2_b64 s[16:17], s[96:97], exec
	s_and_b64 s[14:15], s[14:15], exec
	s_or_b64 s[96:97], s[16:17], s[14:15]
	s_andn2_b64 s[14:15], s[94:95], exec
	s_and_b64 s[6:7], s[6:7], exec
	s_andn2_b64 s[98:99], s[98:99], exec
	s_or_b64 s[94:95], s[14:15], s[6:7]
                                        ; implicit-def: $vgpr8_vgpr9
	s_and_saveexec_b64 s[16:17], s[18:19]
	s_cbranch_execz .LBB95_33
; %bb.139:                              ;   in Loop: Header=BB95_34 Depth=1
	s_xor_b64 s[6:7], s[8:9], -1
	v_mov_b32_e32 v2, 1
	s_mov_b64 s[8:9], 0
	v_mov_b64_e32 v[8:9], 1
	s_and_saveexec_b64 s[0:1], s[6:7]
	s_cbranch_execz .LBB95_148
; %bb.140:                              ;   in Loop: Header=BB95_34 Depth=1
	v_cmp_le_u64_e32 vcc, v[36:37], v[4:5]
	s_and_saveexec_b64 s[6:7], vcc
	s_xor_b64 s[6:7], exec, s[6:7]
	s_cbranch_execz .LBB95_145
; %bb.141:                              ;   in Loop: Header=BB95_34 Depth=1
	ds_read_b64 v[8:9], v3 offset:5120
	v_and_b32_e32 v54, s50, v54
	v_or_b32_e32 v57, s5, v57
	s_waitcnt lgkmcnt(0)
	v_cmp_ne_u64_e32 vcc, 0, v[8:9]
	s_cbranch_vccnz .LBB95_145
; %bb.142:                              ;   in Loop: Header=BB95_34 Depth=1
	s_mov_b64 s[8:9], exec
	v_readlane_b32 s14, v64, 6
	v_readlane_b32 s15, v64, 7
	s_and_b64 s[14:15], s[8:9], s[14:15]
	s_mov_b64 exec, s[14:15]
; %bb.143:                              ;   in Loop: Header=BB95_34 Depth=1
	ds_write_b64 v3, v[4:5] offset:5128
; %bb.144:                              ;   in Loop: Header=BB95_34 Depth=1
	s_or_b64 exec, exec, s[8:9]
	s_waitcnt lgkmcnt(0)
	s_barrier
.LBB95_145:                             ;   in Loop: Header=BB95_34 Depth=1
	s_or_saveexec_b64 s[6:7], s[6:7]
	s_mov_b64 s[8:9], 0
	v_mov_b32_e32 v2, 8
	s_xor_b64 exec, exec, s[6:7]
; %bb.146:                              ;   in Loop: Header=BB95_34 Depth=1
	v_sub_co_u32_e32 v36, vcc, v36, v4
	s_mov_b64 s[8:9], exec
	s_nop 0
	v_subb_co_u32_e32 v37, vcc, v37, v5, vcc
	v_mov_b32_e32 v2, 0
; %bb.147:                              ;   in Loop: Header=BB95_34 Depth=1
	s_or_b64 exec, exec, s[6:7]
	s_and_b64 s[8:9], s[8:9], exec
	v_mov_b64_e32 v[8:9], v[36:37]
.LBB95_148:                             ;   in Loop: Header=BB95_34 Depth=1
	s_or_b64 exec, exec, s[0:1]
	s_mov_b64 s[18:19], -1
	s_mov_b64 s[6:7], -1
                                        ; implicit-def: $sgpr0_sgpr1
                                        ; implicit-def: $sgpr24_sgpr25
	s_and_saveexec_b64 s[14:15], s[8:9]
	s_xor_b64 s[20:21], exec, s[14:15]
	s_cbranch_execz .LBB95_293
; %bb.149:                              ;   in Loop: Header=BB95_34 Depth=1
	v_cmp_eq_u64_e32 vcc, 1, v[6:7]
	v_cmp_eq_u64_e64 s[0:1], 1, v[8:9]
	s_and_b64 s[8:9], vcc, s[0:1]
                                        ; implicit-def: $sgpr24_sgpr25
                                        ; implicit-def: $sgpr0_sgpr1
	s_and_saveexec_b64 s[26:27], s[8:9]
	s_cbranch_execz .LBB95_186
; %bb.150:                              ;   in Loop: Header=BB95_34 Depth=1
	ds_read_b64 v[4:5], v3 offset:5120
	s_waitcnt lgkmcnt(0)
	s_barrier
	v_readfirstlane_b32 s14, v4
	v_readfirstlane_b32 s15, v5
	s_mov_b64 s[0:1], exec
	v_readlane_b32 s6, v64, 14
	v_readlane_b32 s7, v64, 15
	s_and_b64 s[6:7], s[0:1], s[6:7]
	s_mov_b64 exec, s[6:7]
; %bb.151:                              ;   in Loop: Header=BB95_34 Depth=1
	ds_write_b32 v49, v3
; %bb.152:                              ;   in Loop: Header=BB95_34 Depth=1
	s_or_b64 exec, exec, s[0:1]
	v_and_b32_e32 v4, s50, v54
	v_lshl_or_b32 v54, 1, s4, v4
	v_or_b32_e32 v57, s5, v57
	s_mov_b64 s[0:1], -1
	s_mov_b64 s[24:25], 0
	s_cmp_eq_u64 s[14:15], 0
	s_mov_b64 s[6:7], 0
	s_mov_b64 s[28:29], -1
	s_waitcnt lgkmcnt(0)
	s_barrier
                                        ; implicit-def: $vgpr35
	s_cbranch_scc1 .LBB95_171
; %bb.153:                              ;   in Loop: Header=BB95_34 Depth=1
	v_readlane_b32 s6, v64, 20
	s_add_u32 s34, s14, s6
	v_readlane_b32 s6, v64, 22
	s_addc_u32 s7, s15, s6
	s_mov_b32 s6, s83
	s_cmp_lg_u64 s[6:7], 0
	s_cbranch_scc0 .LBB95_213
; %bb.154:                              ;   in Loop: Header=BB95_34 Depth=1
	v_cvt_f32_u32_e32 v4, s76
	s_sub_u32 s6, 0, s76
	s_subb_u32 s30, 0, 0
	v_fmac_f32_e32 v4, 0, v55
	v_rcp_f32_e32 v4, v4
	s_nop 0
	v_mul_f32_e32 v4, 0x5f7ffffc, v4
	v_mul_f32_e32 v5, 0x2f800000, v4
	v_trunc_f32_e32 v5, v5
	v_fmac_f32_e32 v4, 0xcf800000, v5
	v_cvt_u32_f32_e32 v5, v5
	v_cvt_u32_f32_e32 v4, v4
	v_readfirstlane_b32 s31, v5
	v_readfirstlane_b32 s28, v4
	s_mul_i32 s29, s6, s31
	s_mul_hi_u32 s36, s6, s28
	s_mul_i32 s35, s30, s28
	s_add_i32 s29, s36, s29
	s_mul_i32 s37, s6, s28
	s_add_i32 s29, s29, s35
	s_mul_hi_u32 s36, s28, s37
	s_mul_i32 s38, s28, s29
	s_mul_hi_u32 s35, s28, s29
	s_add_u32 s36, s36, s38
	s_addc_u32 s35, 0, s35
	s_mul_hi_u32 s39, s31, s37
	s_mul_i32 s37, s31, s37
	s_add_u32 s36, s36, s37
	s_mul_hi_u32 s38, s31, s29
	s_addc_u32 s35, s35, s39
	s_addc_u32 s36, s38, 0
	s_mul_i32 s29, s31, s29
	s_add_u32 s29, s35, s29
	s_addc_u32 s35, 0, s36
	s_add_u32 s36, s28, s29
	s_cselect_b64 s[28:29], -1, 0
	s_cmp_lg_u64 s[28:29], 0
	s_addc_u32 s31, s31, s35
	s_mul_i32 s28, s6, s31
	s_mul_hi_u32 s29, s6, s36
	s_add_i32 s28, s29, s28
	s_mul_i32 s30, s30, s36
	s_add_i32 s28, s28, s30
	s_mul_i32 s6, s6, s36
	s_mul_hi_u32 s30, s31, s6
	s_mul_i32 s35, s31, s6
	s_mul_i32 s38, s36, s28
	s_mul_hi_u32 s6, s36, s6
	s_mul_hi_u32 s37, s36, s28
	s_add_u32 s6, s6, s38
	s_addc_u32 s37, 0, s37
	s_add_u32 s6, s6, s35
	s_mul_hi_u32 s29, s31, s28
	s_addc_u32 s6, s37, s30
	s_addc_u32 s29, s29, 0
	s_mul_i32 s28, s31, s28
	s_add_u32 s6, s6, s28
	s_addc_u32 s30, 0, s29
	s_add_u32 s6, s36, s6
	s_cselect_b64 s[28:29], -1, 0
	s_cmp_lg_u64 s[28:29], 0
	s_addc_u32 s28, s31, s30
	s_mul_i32 s30, s34, s28
	s_mul_hi_u32 s31, s34, s6
	s_mul_hi_u32 s29, s34, s28
	s_add_u32 s30, s31, s30
	s_addc_u32 s29, 0, s29
	s_mul_hi_u32 s35, s7, s6
	s_mul_i32 s6, s7, s6
	s_add_u32 s6, s30, s6
	s_mul_hi_u32 s31, s7, s28
	s_addc_u32 s6, s29, s35
	s_addc_u32 s29, s31, 0
	s_mul_i32 s28, s7, s28
	s_add_u32 s6, s6, s28
	s_addc_u32 s28, 0, s29
	s_mul_i32 s28, s76, s28
	s_mul_hi_u32 s29, s76, s6
	s_add_i32 s30, s29, s28
	s_mul_i32 s6, s76, s6
	s_sub_u32 s6, s34, s6
	s_cselect_b64 s[28:29], -1, 0
	s_cmp_lg_u64 s[28:29], 0
	s_subb_u32 s30, s7, s30
	s_sub_u32 s31, s6, s76
	s_cselect_b64 s[28:29], -1, 0
	s_cmp_lg_u64 s[28:29], 0
	s_subb_u32 s35, s30, 0
	;; [unrolled: 4-line block ×3, first 2 shown]
	s_cmp_ge_u32 s31, s76
	s_cselect_b32 s29, -1, 0
	s_cmp_eq_u32 s35, 0
	s_cselect_b32 s29, s29, -1
	s_cmp_lg_u32 s29, 0
	s_cselect_b32 s28, s28, s35
	s_cselect_b32 s31, s36, s31
	s_cmp_ge_u32 s6, s76
	s_cselect_b32 s29, -1, 0
	s_cmp_eq_u32 s30, 0
	s_cselect_b32 s29, s29, -1
	s_cmp_lg_u32 s29, 0
	s_cselect_b32 s29, s28, s30
	s_cselect_b32 s28, s31, s6
	s_cbranch_execnz .LBB95_156
.LBB95_155:                             ;   in Loop: Header=BB95_34 Depth=1
	v_cvt_f32_u32_e32 v4, s76
	s_sub_i32 s6, 0, s76
	v_rcp_iflag_f32_e32 v4, v4
	s_nop 0
	v_mul_f32_e32 v4, 0x4f7ffffe, v4
	v_cvt_u32_f32_e32 v4, v4
	s_nop 0
	v_readfirstlane_b32 s28, v4
	s_mul_i32 s6, s6, s28
	s_mul_hi_u32 s6, s28, s6
	s_add_i32 s28, s28, s6
	s_mul_hi_u32 s6, s34, s28
	s_mul_i32 s6, s6, s76
	s_sub_i32 s6, s34, s6
	s_sub_i32 s28, s6, s76
	s_cmp_ge_u32 s6, s76
	s_cselect_b32 s6, s28, s6
	s_sub_i32 s28, s6, s76
	s_cmp_ge_u32 s6, s76
	s_cselect_b32 s82, s28, s6
	s_mov_b64 s[28:29], s[82:83]
.LBB95_156:                             ;   in Loop: Header=BB95_34 Depth=1
	s_sub_u32 s34, s34, s28
	s_subb_u32 s35, s7, s29
	v_cmp_gt_u64_e32 vcc, s[34:35], v[0:1]
	s_mov_b64 s[28:29], 0
	s_mov_b64 s[6:7], 0
                                        ; implicit-def: $vgpr35
	s_and_saveexec_b64 s[30:31], vcc
	s_cbranch_execz .LBB95_170
; %bb.157:                              ;   in Loop: Header=BB95_34 Depth=1
	v_mov_b32_e32 v10, v12
	v_mov_b64_e32 v[4:5], v[0:1]
                                        ; implicit-def: $sgpr36_sgpr37
	s_branch .LBB95_160
.LBB95_158:                             ;   in Loop: Header=BB95_160 Depth=2
	s_or_b64 exec, exec, s[38:39]
	s_waitcnt lgkmcnt(0)
	s_barrier
	ds_read_b64 v[34:35], v3 offset:3072
	s_mov_b64 s[38:39], -1
	s_mov_b64 s[40:41], -1
	s_waitcnt lgkmcnt(0)
	s_barrier
	v_cmp_ne_u32_e32 vcc, 0, v34
	s_cbranch_vccz .LBB95_163
.LBB95_159:                             ;   in Loop: Header=BB95_160 Depth=2
	s_and_b64 s[38:39], exec, s[38:39]
	s_or_b64 s[6:7], s[38:39], s[6:7]
	s_andn2_b64 s[36:37], s[36:37], exec
	s_and_b64 s[38:39], s[40:41], exec
	s_or_b64 s[36:37], s[36:37], s[38:39]
	s_andn2_b64 exec, exec, s[6:7]
	s_cbranch_execz .LBB95_169
.LBB95_160:                             ;   Parent Loop BB95_34 Depth=1
                                        ; =>  This Inner Loop Header: Depth=2
	v_cmp_gt_u64_e32 vcc, s[14:15], v[4:5]
	s_and_saveexec_b64 s[38:39], vcc
	s_cbranch_execz .LBB95_158
; %bb.161:                              ;   in Loop: Header=BB95_160 Depth=2
	ds_read_b32 v33, v10
	s_waitcnt lgkmcnt(0)
	v_bitop3_b32 v11, v33, v57, s91 bitop3:0x48
	v_cmp_eq_u32_e32 vcc, v11, v54
	s_and_b64 exec, exec, vcc
	s_cbranch_execz .LBB95_158
; %bb.162:                              ;   in Loop: Header=BB95_160 Depth=2
	ds_write_b64 v3, v[32:33] offset:3072
	s_branch .LBB95_158
.LBB95_163:                             ;   in Loop: Header=BB95_160 Depth=2
	v_lshl_add_u64 v[4:5], v[4:5], 0, s[76:77]
	v_cmp_le_u64_e32 vcc, s[34:35], v[4:5]
	v_add_u32_e32 v10, s90, v10
	s_mov_b64 s[40:41], 0
	s_orn2_b64 s[38:39], vcc, exec
	s_branch .LBB95_159
.LBB95_164:                             ;   in Loop: Header=BB95_34 Depth=1
                                        ; implicit-def: $sgpr24_sgpr25
	s_branch .LBB95_112
.LBB95_165:                             ;   in Loop: Header=BB95_34 Depth=1
	s_or_b64 exec, exec, s[8:9]
	s_waitcnt lgkmcnt(0)
	s_barrier
	s_mov_b64 s[0:1], exec
	v_readlane_b32 s2, v64, 6
	v_readlane_b32 s3, v64, 7
	s_and_b64 s[2:3], s[0:1], s[2:3]
	s_mov_b64 exec, s[2:3]
	s_cbranch_execz .LBB95_167
; %bb.166:                              ;   in Loop: Header=BB95_34 Depth=1
	ds_read_b32 v4, v3 offset:5144
	s_waitcnt lgkmcnt(0)
	v_ashrrev_i32_e32 v5, 31, v4
	ds_write_b64 v3, v[4:5] offset:5120
.LBB95_167:                             ;   in Loop: Header=BB95_34 Depth=1
	s_or_b64 exec, exec, s[0:1]
	s_waitcnt lgkmcnt(0)
	s_barrier
	s_mov_b64 s[0:1], -1
	s_and_b64 vcc, exec, s[6:7]
	s_cbranch_vccnz .LBB95_50
	s_branch .LBB95_65
.LBB95_168:                             ;   in Loop: Header=BB95_34 Depth=1
                                        ; implicit-def: $sgpr6_sgpr7
	s_branch .LBB95_126
.LBB95_169:                             ;   in Loop: Header=BB95_34 Depth=1
	s_or_b64 exec, exec, s[6:7]
	s_and_b64 s[6:7], s[36:37], exec
.LBB95_170:                             ;   in Loop: Header=BB95_34 Depth=1
	s_or_b64 exec, exec, s[30:31]
.LBB95_171:                             ;   in Loop: Header=BB95_34 Depth=1
	s_and_b64 vcc, exec, s[28:29]
	s_cbranch_vccz .LBB95_185
; %bb.172:                              ;   in Loop: Header=BB95_34 Depth=1
	s_mov_b32 s88, s83
	s_cmp_lg_u64 s[88:89], 0
	s_cbranch_scc0 .LBB95_214
; %bb.173:                              ;   in Loop: Header=BB95_34 Depth=1
	v_cvt_f32_u32_e32 v4, s76
	s_sub_u32 s14, 0, s76
	s_subb_u32 s15, 0, 0
	v_fmac_f32_e32 v4, 0, v55
	v_rcp_f32_e32 v4, v4
	s_nop 0
	v_mul_f32_e32 v4, 0x5f7ffffc, v4
	v_mul_f32_e32 v5, 0x2f800000, v4
	v_trunc_f32_e32 v5, v5
	v_fmac_f32_e32 v4, 0xcf800000, v5
	v_cvt_u32_f32_e32 v5, v5
	v_cvt_u32_f32_e32 v4, v4
	v_readfirstlane_b32 s24, v5
	v_readfirstlane_b32 s0, v4
	s_mul_i32 s1, s14, s24
	s_mul_hi_u32 s28, s14, s0
	s_mul_i32 s25, s15, s0
	s_add_i32 s1, s28, s1
	s_mul_i32 s29, s14, s0
	s_add_i32 s1, s1, s25
	s_mul_hi_u32 s28, s0, s29
	s_mul_i32 s30, s0, s1
	s_mul_hi_u32 s25, s0, s1
	s_add_u32 s28, s28, s30
	s_addc_u32 s25, 0, s25
	s_mul_hi_u32 s31, s24, s29
	s_mul_i32 s29, s24, s29
	s_add_u32 s28, s28, s29
	s_mul_hi_u32 s30, s24, s1
	s_addc_u32 s25, s25, s31
	s_addc_u32 s28, s30, 0
	s_mul_i32 s1, s24, s1
	s_add_u32 s1, s25, s1
	s_addc_u32 s25, 0, s28
	s_add_u32 s28, s0, s1
	s_cselect_b64 s[0:1], -1, 0
	s_cmp_lg_u64 s[0:1], 0
	s_addc_u32 s24, s24, s25
	s_mul_i32 s0, s14, s24
	s_mul_hi_u32 s1, s14, s28
	s_add_i32 s0, s1, s0
	s_mul_i32 s15, s15, s28
	s_add_i32 s0, s0, s15
	s_mul_i32 s14, s14, s28
	s_mul_hi_u32 s15, s24, s14
	s_mul_i32 s25, s24, s14
	s_mul_i32 s30, s28, s0
	s_mul_hi_u32 s14, s28, s14
	s_mul_hi_u32 s29, s28, s0
	s_add_u32 s14, s14, s30
	s_addc_u32 s29, 0, s29
	s_add_u32 s14, s14, s25
	s_mul_hi_u32 s1, s24, s0
	s_addc_u32 s14, s29, s15
	s_addc_u32 s1, s1, 0
	s_mul_i32 s0, s24, s0
	s_add_u32 s0, s14, s0
	s_addc_u32 s14, 0, s1
	s_add_u32 s15, s28, s0
	s_cselect_b64 s[0:1], -1, 0
	s_cmp_lg_u64 s[0:1], 0
	s_addc_u32 s0, s24, s14
	v_readlane_b32 s28, v64, 21
	s_mul_i32 s14, s28, s0
	s_mul_hi_u32 s24, s28, s15
	s_mul_hi_u32 s1, s28, s0
	s_add_u32 s14, s24, s14
	s_addc_u32 s1, 0, s1
	s_mul_hi_u32 s25, s89, s15
	s_mul_i32 s15, s89, s15
	s_add_u32 s14, s14, s15
	s_mul_hi_u32 s24, s89, s0
	s_addc_u32 s1, s1, s25
	s_addc_u32 s14, s24, 0
	s_mul_i32 s0, s89, s0
	s_add_u32 s0, s1, s0
	s_addc_u32 s1, 0, s14
	s_mul_i32 s1, s76, s1
	s_mul_hi_u32 s14, s76, s0
	s_add_i32 s14, s14, s1
	s_mul_i32 s0, s76, s0
	s_sub_u32 s15, s28, s0
	s_cselect_b64 s[0:1], -1, 0
	s_cmp_lg_u64 s[0:1], 0
	s_subb_u32 s14, s89, s14
	s_sub_u32 s24, s15, s76
	s_cselect_b64 s[0:1], -1, 0
	s_cmp_lg_u64 s[0:1], 0
	s_subb_u32 s25, s14, 0
	;; [unrolled: 4-line block ×3, first 2 shown]
	s_cmp_ge_u32 s24, s76
	s_cselect_b32 s1, -1, 0
	s_cmp_eq_u32 s25, 0
	s_cselect_b32 s1, s1, -1
	s_cmp_lg_u32 s1, 0
	s_cselect_b32 s0, s0, s25
	s_cselect_b32 s24, s28, s24
	s_cmp_ge_u32 s15, s76
	s_cselect_b32 s1, -1, 0
	s_cmp_eq_u32 s14, 0
	s_cselect_b32 s1, s1, -1
	s_cmp_lg_u32 s1, 0
	s_cselect_b32 s1, s0, s14
	s_cselect_b32 s0, s24, s15
	s_cbranch_execnz .LBB95_175
.LBB95_174:                             ;   in Loop: Header=BB95_34 Depth=1
	v_cvt_f32_u32_e32 v4, s76
	s_sub_i32 s0, 0, s76
	v_readlane_b32 s14, v64, 21
	v_rcp_iflag_f32_e32 v4, v4
	s_nop 0
	v_mul_f32_e32 v4, 0x4f7ffffe, v4
	v_cvt_u32_f32_e32 v4, v4
	s_nop 0
	v_readfirstlane_b32 s1, v4
	s_mul_i32 s0, s0, s1
	s_mul_hi_u32 s0, s1, s0
	s_add_i32 s1, s1, s0
	s_mul_hi_u32 s0, s14, s1
	s_mul_i32 s0, s0, s76
	s_sub_i32 s0, s14, s0
	s_sub_i32 s1, s0, s76
	s_cmp_ge_u32 s0, s76
	s_cselect_b32 s0, s1, s0
	s_sub_i32 s1, s0, s76
	s_cmp_ge_u32 s0, s76
	s_cselect_b32 s82, s1, s0
	s_mov_b64 s[0:1], s[82:83]
.LBB95_175:                             ;   in Loop: Header=BB95_34 Depth=1
	v_readlane_b32 s14, v64, 21
	s_sub_u32 s14, s14, s0
	s_subb_u32 s15, s89, s1
	v_cmp_gt_u64_e32 vcc, s[14:15], v[0:1]
                                        ; implicit-def: $vgpr35
	s_and_saveexec_b64 s[0:1], vcc
	s_cbranch_execz .LBB95_184
; %bb.176:                              ;   in Loop: Header=BB95_34 Depth=1
	s_mov_b64 s[24:25], 0
	v_mov_b64_e32 v[4:5], v[16:17]
	v_mov_b64_e32 v[10:11], v[0:1]
                                        ; implicit-def: $sgpr28_sgpr29
	s_branch .LBB95_179
.LBB95_177:                             ;   in Loop: Header=BB95_179 Depth=2
	s_or_b64 exec, exec, s[30:31]
	s_waitcnt lgkmcnt(0)
	s_barrier
	ds_read_b64 v[34:35], v3 offset:3072
	s_mov_b64 s[30:31], -1
	s_mov_b64 s[34:35], -1
	s_waitcnt lgkmcnt(0)
	s_barrier
	v_cmp_eq_u32_e32 vcc, 0, v34
	s_cbranch_vccnz .LBB95_182
.LBB95_178:                             ;   in Loop: Header=BB95_179 Depth=2
	s_and_b64 s[30:31], exec, s[30:31]
	s_or_b64 s[24:25], s[30:31], s[24:25]
	s_andn2_b64 s[28:29], s[28:29], exec
	s_and_b64 s[30:31], s[34:35], exec
	s_or_b64 s[28:29], s[28:29], s[30:31]
	s_andn2_b64 exec, exec, s[24:25]
	s_cbranch_execz .LBB95_183
.LBB95_179:                             ;   Parent Loop BB95_34 Depth=1
                                        ; =>  This Inner Loop Header: Depth=2
	v_cmp_gt_u64_e32 vcc, s[56:57], v[10:11]
	s_and_saveexec_b64 s[30:31], vcc
	s_cbranch_execz .LBB95_177
; %bb.180:                              ;   in Loop: Header=BB95_179 Depth=2
	global_load_dword v33, v[4:5], off
	s_waitcnt vmcnt(0)
	v_bitop3_b32 v34, v33, v57, s91 bitop3:0x48
	v_cmp_eq_u32_e32 vcc, v34, v54
	s_and_b64 exec, exec, vcc
	s_cbranch_execz .LBB95_177
; %bb.181:                              ;   in Loop: Header=BB95_179 Depth=2
	ds_write_b64 v3, v[32:33] offset:3072
	s_branch .LBB95_177
.LBB95_182:                             ;   in Loop: Header=BB95_179 Depth=2
	v_lshl_add_u64 v[10:11], v[10:11], 0, s[76:77]
	v_cmp_le_u64_e32 vcc, s[14:15], v[10:11]
	v_lshl_add_u64 v[4:5], v[4:5], 0, s[86:87]
	s_mov_b64 s[34:35], 0
	s_orn2_b64 s[30:31], vcc, exec
	s_branch .LBB95_178
.LBB95_183:                             ;   in Loop: Header=BB95_34 Depth=1
	s_or_b64 exec, exec, s[24:25]
	s_andn2_b64 s[6:7], s[6:7], exec
	s_and_b64 s[14:15], s[28:29], exec
	s_or_b64 s[6:7], s[6:7], s[14:15]
.LBB95_184:                             ;   in Loop: Header=BB95_34 Depth=1
	s_or_b64 exec, exec, s[0:1]
	s_mov_b64 s[0:1], 0
	s_mov_b64 s[24:25], -1
.LBB95_185:                             ;   in Loop: Header=BB95_34 Depth=1
	s_orn2_b64 s[6:7], s[6:7], exec
.LBB95_186:                             ;   in Loop: Header=BB95_34 Depth=1
	s_or_b64 exec, exec, s[26:27]
	s_mov_b64 s[14:15], 0
	s_and_saveexec_b64 s[26:27], s[6:7]
	s_cbranch_execz .LBB95_292
; %bb.187:                              ;   in Loop: Header=BB95_34 Depth=1
	s_xor_b64 s[14:15], s[8:9], -1
	v_mov_b32_e32 v2, 1
	s_mov_b64 s[8:9], 0
	v_mov_b64_e32 v[4:5], 1
	s_and_saveexec_b64 s[6:7], s[14:15]
	s_cbranch_execz .LBB95_197
; %bb.188:                              ;   in Loop: Header=BB95_34 Depth=1
	v_cmp_le_u64_e32 vcc, v[8:9], v[6:7]
	s_and_saveexec_b64 s[8:9], vcc
	s_xor_b64 s[8:9], exec, s[8:9]
	s_cbranch_execz .LBB95_194
; %bb.189:                              ;   in Loop: Header=BB95_34 Depth=1
	ds_read_b64 v[4:5], v3 offset:5120
	v_and_b32_e32 v2, s50, v54
	v_lshl_or_b32 v54, 1, s4, v2
	v_or_b32_e32 v57, s5, v57
	s_waitcnt lgkmcnt(0)
	v_cmp_ne_u64_e32 vcc, 0, v[4:5]
	s_cbranch_vccnz .LBB95_193
; %bb.190:                              ;   in Loop: Header=BB95_34 Depth=1
	s_mov_b64 s[14:15], exec
	v_readlane_b32 s28, v64, 6
	v_readlane_b32 s29, v64, 7
	s_and_b64 s[28:29], s[14:15], s[28:29]
	s_mov_b64 exec, s[28:29]
; %bb.191:                              ;   in Loop: Header=BB95_34 Depth=1
	ds_write_b64 v3, v[6:7] offset:5128
; %bb.192:                              ;   in Loop: Header=BB95_34 Depth=1
	s_or_b64 exec, exec, s[14:15]
	s_waitcnt lgkmcnt(0)
	s_barrier
.LBB95_193:                             ;   in Loop: Header=BB95_34 Depth=1
                                        ; implicit-def: $vgpr4_vgpr5_vgpr6_vgpr7
.LBB95_194:                             ;   in Loop: Header=BB95_34 Depth=1
	s_or_saveexec_b64 s[8:9], s[8:9]
	s_mov_b64 s[14:15], 0
	v_mov_b32_e32 v2, 8
	s_xor_b64 exec, exec, s[8:9]
; %bb.195:                              ;   in Loop: Header=BB95_34 Depth=1
	v_sub_co_u32_e32 v8, vcc, v8, v6
	s_mov_b64 s[14:15], exec
	s_nop 0
	v_subb_co_u32_e32 v9, vcc, v9, v7, vcc
	v_mov_b32_e32 v2, 0
; %bb.196:                              ;   in Loop: Header=BB95_34 Depth=1
	s_or_b64 exec, exec, s[8:9]
	s_and_b64 s[8:9], s[14:15], exec
	v_mov_b64_e32 v[4:5], v[8:9]
.LBB95_197:                             ;   in Loop: Header=BB95_34 Depth=1
	s_or_b64 exec, exec, s[6:7]
	s_mov_b64 s[6:7], -1
                                        ; implicit-def: $sgpr34_sgpr35
                                        ; implicit-def: $sgpr36_sgpr37
	s_and_saveexec_b64 s[28:29], s[8:9]
	s_cbranch_execz .LBB95_291
; %bb.198:                              ;   in Loop: Header=BB95_34 Depth=1
	s_cmp_eq_u64 s[22:23], 1
	s_cselect_b64 s[6:7], -1, 0
	v_cmp_eq_u64_e32 vcc, 1, v[4:5]
	s_and_b64 s[8:9], s[6:7], vcc
	s_mov_b64 s[6:7], -1
                                        ; implicit-def: $sgpr36_sgpr37
                                        ; implicit-def: $sgpr34_sgpr35
	s_and_saveexec_b64 s[30:31], s[8:9]
	s_cbranch_execz .LBB95_232
; %bb.199:                              ;   in Loop: Header=BB95_34 Depth=1
	ds_read_b64 v[6:7], v3 offset:5120
	s_waitcnt lgkmcnt(0)
	s_barrier
	v_readfirstlane_b32 s14, v6
	v_readfirstlane_b32 s15, v7
	s_mov_b64 s[6:7], exec
	v_readlane_b32 s34, v64, 14
	v_readlane_b32 s35, v64, 15
	s_and_b64 s[34:35], s[6:7], s[34:35]
	s_mov_b64 exec, s[34:35]
; %bb.200:                              ;   in Loop: Header=BB95_34 Depth=1
	ds_write_b32 v49, v3
; %bb.201:                              ;   in Loop: Header=BB95_34 Depth=1
	s_or_b64 exec, exec, s[6:7]
	v_and_b32_e32 v6, s50, v54
	v_lshl_or_b32 v54, 2, s4, v6
	v_or_b32_e32 v57, s5, v57
	s_mov_b64 s[34:35], -1
	s_mov_b64 s[36:37], 0
	s_cmp_eq_u64 s[14:15], 0
	s_mov_b64 s[6:7], 0
	s_mov_b64 s[38:39], -1
	s_waitcnt lgkmcnt(0)
	s_barrier
                                        ; implicit-def: $vgpr35
	s_cbranch_scc1 .LBB95_217
; %bb.202:                              ;   in Loop: Header=BB95_34 Depth=1
	v_readlane_b32 s6, v64, 20
	s_add_u32 s42, s14, s6
	v_readlane_b32 s6, v64, 22
	s_addc_u32 s7, s15, s6
	s_mov_b32 s6, s83
	s_cmp_lg_u64 s[6:7], 0
	s_cbranch_scc0 .LBB95_258
; %bb.203:                              ;   in Loop: Header=BB95_34 Depth=1
	v_cvt_f32_u32_e32 v6, s76
	s_sub_u32 s6, 0, s76
	s_subb_u32 s40, 0, 0
	v_fmac_f32_e32 v6, 0, v55
	v_rcp_f32_e32 v6, v6
	s_nop 0
	v_mul_f32_e32 v6, 0x5f7ffffc, v6
	v_mul_f32_e32 v7, 0x2f800000, v6
	v_trunc_f32_e32 v7, v7
	v_fmac_f32_e32 v6, 0xcf800000, v7
	v_cvt_u32_f32_e32 v7, v7
	v_cvt_u32_f32_e32 v6, v6
	v_readfirstlane_b32 s41, v7
	v_readfirstlane_b32 s38, v6
	s_mul_i32 s39, s6, s41
	s_mul_hi_u32 s44, s6, s38
	s_mul_i32 s43, s40, s38
	s_add_i32 s39, s44, s39
	s_mul_i32 s45, s6, s38
	s_add_i32 s39, s39, s43
	s_mul_hi_u32 s44, s38, s45
	s_mul_i32 s46, s38, s39
	s_mul_hi_u32 s43, s38, s39
	s_add_u32 s44, s44, s46
	s_addc_u32 s43, 0, s43
	s_mul_hi_u32 s47, s41, s45
	s_mul_i32 s45, s41, s45
	s_add_u32 s44, s44, s45
	s_mul_hi_u32 s46, s41, s39
	s_addc_u32 s43, s43, s47
	s_addc_u32 s44, s46, 0
	s_mul_i32 s39, s41, s39
	s_add_u32 s39, s43, s39
	s_addc_u32 s43, 0, s44
	s_add_u32 s44, s38, s39
	s_cselect_b64 s[38:39], -1, 0
	s_cmp_lg_u64 s[38:39], 0
	s_addc_u32 s41, s41, s43
	s_mul_i32 s38, s6, s41
	s_mul_hi_u32 s39, s6, s44
	s_add_i32 s38, s39, s38
	s_mul_i32 s40, s40, s44
	s_add_i32 s38, s38, s40
	s_mul_i32 s6, s6, s44
	s_mul_hi_u32 s40, s41, s6
	s_mul_i32 s43, s41, s6
	s_mul_i32 s46, s44, s38
	s_mul_hi_u32 s6, s44, s6
	s_mul_hi_u32 s45, s44, s38
	s_add_u32 s6, s6, s46
	s_addc_u32 s45, 0, s45
	s_add_u32 s6, s6, s43
	s_mul_hi_u32 s39, s41, s38
	s_addc_u32 s6, s45, s40
	s_addc_u32 s39, s39, 0
	s_mul_i32 s38, s41, s38
	s_add_u32 s6, s6, s38
	s_addc_u32 s40, 0, s39
	s_add_u32 s6, s44, s6
	s_cselect_b64 s[38:39], -1, 0
	s_cmp_lg_u64 s[38:39], 0
	s_addc_u32 s38, s41, s40
	s_mul_i32 s40, s42, s38
	s_mul_hi_u32 s41, s42, s6
	s_mul_hi_u32 s39, s42, s38
	s_add_u32 s40, s41, s40
	s_addc_u32 s39, 0, s39
	s_mul_hi_u32 s43, s7, s6
	s_mul_i32 s6, s7, s6
	s_add_u32 s6, s40, s6
	s_mul_hi_u32 s41, s7, s38
	s_addc_u32 s6, s39, s43
	s_addc_u32 s39, s41, 0
	s_mul_i32 s38, s7, s38
	s_add_u32 s6, s6, s38
	s_addc_u32 s38, 0, s39
	s_mul_i32 s38, s76, s38
	s_mul_hi_u32 s39, s76, s6
	s_add_i32 s40, s39, s38
	s_mul_i32 s6, s76, s6
	s_sub_u32 s6, s42, s6
	s_cselect_b64 s[38:39], -1, 0
	s_cmp_lg_u64 s[38:39], 0
	s_subb_u32 s40, s7, s40
	s_sub_u32 s41, s6, s76
	s_cselect_b64 s[38:39], -1, 0
	s_cmp_lg_u64 s[38:39], 0
	s_subb_u32 s43, s40, 0
	;; [unrolled: 4-line block ×3, first 2 shown]
	s_cmp_ge_u32 s41, s76
	s_cselect_b32 s39, -1, 0
	s_cmp_eq_u32 s43, 0
	s_cselect_b32 s39, s39, -1
	s_cmp_lg_u32 s39, 0
	s_cselect_b32 s38, s38, s43
	s_cselect_b32 s41, s44, s41
	s_cmp_ge_u32 s6, s76
	s_cselect_b32 s39, -1, 0
	s_cmp_eq_u32 s40, 0
	s_cselect_b32 s39, s39, -1
	s_cmp_lg_u32 s39, 0
	s_cselect_b32 s39, s38, s40
	s_cselect_b32 s38, s41, s6
	s_cbranch_execnz .LBB95_205
.LBB95_204:                             ;   in Loop: Header=BB95_34 Depth=1
	v_cvt_f32_u32_e32 v6, s76
	s_sub_i32 s6, 0, s76
	v_rcp_iflag_f32_e32 v6, v6
	s_nop 0
	v_mul_f32_e32 v6, 0x4f7ffffe, v6
	v_cvt_u32_f32_e32 v6, v6
	s_nop 0
	v_readfirstlane_b32 s38, v6
	s_mul_i32 s6, s6, s38
	s_mul_hi_u32 s6, s38, s6
	s_add_i32 s38, s38, s6
	s_mul_hi_u32 s6, s42, s38
	s_mul_i32 s6, s6, s76
	s_sub_i32 s6, s42, s6
	s_sub_i32 s38, s6, s76
	s_cmp_ge_u32 s6, s76
	s_cselect_b32 s6, s38, s6
	s_sub_i32 s38, s6, s76
	s_cmp_ge_u32 s6, s76
	s_cselect_b32 s82, s38, s6
	s_mov_b64 s[38:39], s[82:83]
.LBB95_205:                             ;   in Loop: Header=BB95_34 Depth=1
	s_sub_u32 s42, s42, s38
	s_subb_u32 s43, s7, s39
	v_cmp_gt_u64_e32 vcc, s[42:43], v[0:1]
	s_mov_b64 s[38:39], 0
	s_mov_b64 s[6:7], 0
                                        ; implicit-def: $vgpr35
	s_and_saveexec_b64 s[40:41], vcc
	s_cbranch_execz .LBB95_216
; %bb.206:                              ;   in Loop: Header=BB95_34 Depth=1
	v_mov_b32_e32 v8, v12
	v_mov_b64_e32 v[6:7], v[0:1]
                                        ; implicit-def: $sgpr44_sgpr45
	s_branch .LBB95_209
.LBB95_207:                             ;   in Loop: Header=BB95_209 Depth=2
	s_or_b64 exec, exec, s[46:47]
	s_waitcnt lgkmcnt(0)
	s_barrier
	ds_read_b64 v[34:35], v3 offset:3072
	s_mov_b64 s[46:47], -1
	s_mov_b64 s[48:49], -1
	s_waitcnt lgkmcnt(0)
	s_barrier
	v_cmp_ne_u32_e32 vcc, 0, v34
	s_cbranch_vccz .LBB95_212
.LBB95_208:                             ;   in Loop: Header=BB95_209 Depth=2
	s_and_b64 s[46:47], exec, s[46:47]
	s_or_b64 s[6:7], s[46:47], s[6:7]
	s_andn2_b64 s[44:45], s[44:45], exec
	s_and_b64 s[46:47], s[48:49], exec
	s_or_b64 s[44:45], s[44:45], s[46:47]
	s_andn2_b64 exec, exec, s[6:7]
	s_cbranch_execz .LBB95_215
.LBB95_209:                             ;   Parent Loop BB95_34 Depth=1
                                        ; =>  This Inner Loop Header: Depth=2
	v_cmp_gt_u64_e32 vcc, s[14:15], v[6:7]
	s_and_saveexec_b64 s[46:47], vcc
	s_cbranch_execz .LBB95_207
; %bb.210:                              ;   in Loop: Header=BB95_209 Depth=2
	ds_read_b32 v33, v8
	s_waitcnt lgkmcnt(0)
	v_bitop3_b32 v9, v33, v57, s91 bitop3:0x48
	v_cmp_eq_u32_e32 vcc, v9, v54
	s_and_b64 exec, exec, vcc
	s_cbranch_execz .LBB95_207
; %bb.211:                              ;   in Loop: Header=BB95_209 Depth=2
	ds_write_b64 v3, v[32:33] offset:3072
	s_branch .LBB95_207
.LBB95_212:                             ;   in Loop: Header=BB95_209 Depth=2
	v_lshl_add_u64 v[6:7], v[6:7], 0, s[76:77]
	v_cmp_le_u64_e32 vcc, s[42:43], v[6:7]
	v_add_u32_e32 v8, s90, v8
	s_mov_b64 s[48:49], 0
	s_orn2_b64 s[46:47], vcc, exec
	s_branch .LBB95_208
.LBB95_213:                             ;   in Loop: Header=BB95_34 Depth=1
                                        ; implicit-def: $sgpr28_sgpr29
	s_branch .LBB95_155
.LBB95_214:                             ;   in Loop: Header=BB95_34 Depth=1
                                        ; implicit-def: $sgpr0_sgpr1
	s_branch .LBB95_174
.LBB95_215:                             ;   in Loop: Header=BB95_34 Depth=1
	s_or_b64 exec, exec, s[6:7]
	s_and_b64 s[6:7], s[44:45], exec
.LBB95_216:                             ;   in Loop: Header=BB95_34 Depth=1
	s_or_b64 exec, exec, s[40:41]
.LBB95_217:                             ;   in Loop: Header=BB95_34 Depth=1
	s_and_b64 vcc, exec, s[38:39]
	s_cbranch_vccz .LBB95_231
; %bb.218:                              ;   in Loop: Header=BB95_34 Depth=1
	s_mov_b32 s88, s83
	s_cmp_lg_u64 s[88:89], 0
	s_cbranch_scc0 .LBB95_259
; %bb.219:                              ;   in Loop: Header=BB95_34 Depth=1
	v_cvt_f32_u32_e32 v6, s76
	s_sub_u32 s34, 0, s76
	s_subb_u32 s35, 0, 0
	v_fmac_f32_e32 v6, 0, v55
	v_rcp_f32_e32 v6, v6
	s_nop 0
	v_mul_f32_e32 v6, 0x5f7ffffc, v6
	v_mul_f32_e32 v7, 0x2f800000, v6
	v_trunc_f32_e32 v7, v7
	v_fmac_f32_e32 v6, 0xcf800000, v7
	v_cvt_u32_f32_e32 v7, v7
	v_cvt_u32_f32_e32 v6, v6
	v_readfirstlane_b32 s36, v7
	v_readfirstlane_b32 s14, v6
	s_mul_i32 s15, s34, s36
	s_mul_hi_u32 s38, s34, s14
	s_mul_i32 s37, s35, s14
	s_add_i32 s15, s38, s15
	s_mul_i32 s39, s34, s14
	s_add_i32 s15, s15, s37
	s_mul_hi_u32 s38, s14, s39
	s_mul_i32 s40, s14, s15
	s_mul_hi_u32 s37, s14, s15
	s_add_u32 s38, s38, s40
	s_addc_u32 s37, 0, s37
	s_mul_hi_u32 s41, s36, s39
	s_mul_i32 s39, s36, s39
	s_add_u32 s38, s38, s39
	s_mul_hi_u32 s40, s36, s15
	s_addc_u32 s37, s37, s41
	s_addc_u32 s38, s40, 0
	s_mul_i32 s15, s36, s15
	s_add_u32 s15, s37, s15
	s_addc_u32 s37, 0, s38
	s_add_u32 s38, s14, s15
	s_cselect_b64 s[14:15], -1, 0
	s_cmp_lg_u64 s[14:15], 0
	s_addc_u32 s36, s36, s37
	s_mul_i32 s14, s34, s36
	s_mul_hi_u32 s15, s34, s38
	s_add_i32 s14, s15, s14
	s_mul_i32 s35, s35, s38
	s_add_i32 s14, s14, s35
	s_mul_i32 s34, s34, s38
	s_mul_hi_u32 s35, s36, s34
	s_mul_i32 s37, s36, s34
	s_mul_i32 s40, s38, s14
	s_mul_hi_u32 s34, s38, s34
	s_mul_hi_u32 s39, s38, s14
	s_add_u32 s34, s34, s40
	s_addc_u32 s39, 0, s39
	s_add_u32 s34, s34, s37
	s_mul_hi_u32 s15, s36, s14
	s_addc_u32 s34, s39, s35
	s_addc_u32 s15, s15, 0
	s_mul_i32 s14, s36, s14
	s_add_u32 s14, s34, s14
	s_addc_u32 s34, 0, s15
	s_add_u32 s35, s38, s14
	s_cselect_b64 s[14:15], -1, 0
	s_cmp_lg_u64 s[14:15], 0
	s_addc_u32 s14, s36, s34
	v_readlane_b32 s38, v64, 21
	s_mul_i32 s34, s38, s14
	s_mul_hi_u32 s36, s38, s35
	s_mul_hi_u32 s15, s38, s14
	s_add_u32 s34, s36, s34
	s_addc_u32 s15, 0, s15
	s_mul_hi_u32 s37, s89, s35
	s_mul_i32 s35, s89, s35
	s_add_u32 s34, s34, s35
	s_mul_hi_u32 s36, s89, s14
	s_addc_u32 s15, s15, s37
	s_addc_u32 s34, s36, 0
	s_mul_i32 s14, s89, s14
	s_add_u32 s14, s15, s14
	s_addc_u32 s15, 0, s34
	s_mul_i32 s15, s76, s15
	s_mul_hi_u32 s34, s76, s14
	s_add_i32 s34, s34, s15
	s_mul_i32 s14, s76, s14
	s_sub_u32 s35, s38, s14
	s_cselect_b64 s[14:15], -1, 0
	s_cmp_lg_u64 s[14:15], 0
	s_subb_u32 s34, s89, s34
	s_sub_u32 s36, s35, s76
	s_cselect_b64 s[14:15], -1, 0
	s_cmp_lg_u64 s[14:15], 0
	s_subb_u32 s37, s34, 0
	s_sub_u32 s38, s36, s76
	s_cselect_b64 s[14:15], -1, 0
	s_cmp_lg_u64 s[14:15], 0
	s_subb_u32 s14, s37, 0
	s_cmp_ge_u32 s36, s76
	s_cselect_b32 s15, -1, 0
	s_cmp_eq_u32 s37, 0
	s_cselect_b32 s15, s15, -1
	s_cmp_lg_u32 s15, 0
	s_cselect_b32 s14, s14, s37
	s_cselect_b32 s36, s38, s36
	s_cmp_ge_u32 s35, s76
	s_cselect_b32 s15, -1, 0
	s_cmp_eq_u32 s34, 0
	s_cselect_b32 s15, s15, -1
	s_cmp_lg_u32 s15, 0
	s_cselect_b32 s15, s14, s34
	s_cselect_b32 s14, s36, s35
	s_cbranch_execnz .LBB95_221
.LBB95_220:                             ;   in Loop: Header=BB95_34 Depth=1
	v_cvt_f32_u32_e32 v6, s76
	s_sub_i32 s14, 0, s76
	v_readlane_b32 s34, v64, 21
	v_rcp_iflag_f32_e32 v6, v6
	s_nop 0
	v_mul_f32_e32 v6, 0x4f7ffffe, v6
	v_cvt_u32_f32_e32 v6, v6
	s_nop 0
	v_readfirstlane_b32 s15, v6
	s_mul_i32 s14, s14, s15
	s_mul_hi_u32 s14, s15, s14
	s_add_i32 s15, s15, s14
	s_mul_hi_u32 s14, s34, s15
	s_mul_i32 s14, s14, s76
	s_sub_i32 s14, s34, s14
	s_sub_i32 s15, s14, s76
	s_cmp_ge_u32 s14, s76
	s_cselect_b32 s14, s15, s14
	s_sub_i32 s15, s14, s76
	s_cmp_ge_u32 s14, s76
	s_cselect_b32 s82, s15, s14
	s_mov_b64 s[14:15], s[82:83]
.LBB95_221:                             ;   in Loop: Header=BB95_34 Depth=1
	v_readlane_b32 s34, v64, 21
	s_sub_u32 s34, s34, s14
	s_subb_u32 s35, s89, s15
	v_cmp_gt_u64_e32 vcc, s[34:35], v[0:1]
                                        ; implicit-def: $vgpr35
	s_and_saveexec_b64 s[14:15], vcc
	s_cbranch_execz .LBB95_230
; %bb.222:                              ;   in Loop: Header=BB95_34 Depth=1
	s_mov_b64 s[36:37], 0
	v_mov_b64_e32 v[6:7], v[16:17]
	v_mov_b64_e32 v[8:9], v[0:1]
                                        ; implicit-def: $sgpr38_sgpr39
	s_branch .LBB95_225
.LBB95_223:                             ;   in Loop: Header=BB95_225 Depth=2
	s_or_b64 exec, exec, s[40:41]
	s_waitcnt lgkmcnt(0)
	s_barrier
	ds_read_b64 v[34:35], v3 offset:3072
	s_mov_b64 s[40:41], -1
	s_mov_b64 s[42:43], -1
	s_waitcnt lgkmcnt(0)
	s_barrier
	v_cmp_eq_u32_e32 vcc, 0, v34
	s_cbranch_vccnz .LBB95_228
.LBB95_224:                             ;   in Loop: Header=BB95_225 Depth=2
	s_and_b64 s[40:41], exec, s[40:41]
	s_or_b64 s[36:37], s[40:41], s[36:37]
	s_andn2_b64 s[38:39], s[38:39], exec
	s_and_b64 s[40:41], s[42:43], exec
	s_or_b64 s[38:39], s[38:39], s[40:41]
	s_andn2_b64 exec, exec, s[36:37]
	s_cbranch_execz .LBB95_229
.LBB95_225:                             ;   Parent Loop BB95_34 Depth=1
                                        ; =>  This Inner Loop Header: Depth=2
	v_cmp_gt_u64_e32 vcc, s[56:57], v[8:9]
	s_and_saveexec_b64 s[40:41], vcc
	s_cbranch_execz .LBB95_223
; %bb.226:                              ;   in Loop: Header=BB95_225 Depth=2
	global_load_dword v33, v[6:7], off
	s_waitcnt vmcnt(0)
	v_bitop3_b32 v10, v33, v57, s91 bitop3:0x48
	v_cmp_eq_u32_e32 vcc, v10, v54
	s_and_b64 exec, exec, vcc
	s_cbranch_execz .LBB95_223
; %bb.227:                              ;   in Loop: Header=BB95_225 Depth=2
	ds_write_b64 v3, v[32:33] offset:3072
	s_branch .LBB95_223
.LBB95_228:                             ;   in Loop: Header=BB95_225 Depth=2
	v_lshl_add_u64 v[8:9], v[8:9], 0, s[76:77]
	v_cmp_le_u64_e32 vcc, s[34:35], v[8:9]
	v_lshl_add_u64 v[6:7], v[6:7], 0, s[86:87]
	s_mov_b64 s[42:43], 0
	s_orn2_b64 s[40:41], vcc, exec
	s_branch .LBB95_224
.LBB95_229:                             ;   in Loop: Header=BB95_34 Depth=1
	s_or_b64 exec, exec, s[36:37]
	s_andn2_b64 s[6:7], s[6:7], exec
	s_and_b64 s[34:35], s[38:39], exec
	s_or_b64 s[6:7], s[6:7], s[34:35]
.LBB95_230:                             ;   in Loop: Header=BB95_34 Depth=1
	s_or_b64 exec, exec, s[14:15]
	s_mov_b64 s[34:35], 0
	s_mov_b64 s[36:37], -1
.LBB95_231:                             ;   in Loop: Header=BB95_34 Depth=1
	s_orn2_b64 s[6:7], s[6:7], exec
.LBB95_232:                             ;   in Loop: Header=BB95_34 Depth=1
	s_or_b64 exec, exec, s[30:31]
	s_mov_b64 s[14:15], 0
	s_and_saveexec_b64 s[30:31], s[6:7]
	s_cbranch_execz .LBB95_290
; %bb.233:                              ;   in Loop: Header=BB95_34 Depth=1
	s_xor_b64 s[14:15], s[8:9], -1
	v_mov_b32_e32 v2, 1
	s_mov_b64 s[8:9], 0
	v_mov_b64_e32 v[6:7], 1
	s_and_saveexec_b64 s[6:7], s[14:15]
	s_cbranch_execz .LBB95_242
; %bb.234:                              ;   in Loop: Header=BB95_34 Depth=1
	v_cmp_ge_u64_e32 vcc, s[22:23], v[4:5]
	s_and_saveexec_b64 s[8:9], vcc
	s_xor_b64 s[8:9], exec, s[8:9]
	s_cbranch_execz .LBB95_239
; %bb.235:                              ;   in Loop: Header=BB95_34 Depth=1
	ds_read_b64 v[6:7], v3 offset:5120
	v_and_b32_e32 v2, s50, v54
	v_lshl_or_b32 v54, 2, s4, v2
	v_or_b32_e32 v57, s5, v57
	s_waitcnt lgkmcnt(0)
	v_cmp_ne_u64_e32 vcc, 0, v[6:7]
	s_cbranch_vccnz .LBB95_239
; %bb.236:                              ;   in Loop: Header=BB95_34 Depth=1
	s_mov_b64 s[14:15], exec
	v_readlane_b32 s38, v64, 6
	v_readlane_b32 s39, v64, 7
	s_and_b64 s[38:39], s[14:15], s[38:39]
	s_mov_b64 exec, s[38:39]
; %bb.237:                              ;   in Loop: Header=BB95_34 Depth=1
	v_mov_b64_e32 v[6:7], s[22:23]
	ds_write_b64 v3, v[6:7] offset:5128
; %bb.238:                              ;   in Loop: Header=BB95_34 Depth=1
	s_or_b64 exec, exec, s[14:15]
	s_waitcnt lgkmcnt(0)
	s_barrier
.LBB95_239:                             ;   in Loop: Header=BB95_34 Depth=1
	s_or_saveexec_b64 s[8:9], s[8:9]
	s_mov_b64 s[14:15], 0
	v_mov_b32_e32 v2, 8
	s_xor_b64 exec, exec, s[8:9]
; %bb.240:                              ;   in Loop: Header=BB95_34 Depth=1
	v_mov_b32_e32 v2, s23
	v_subrev_co_u32_e32 v4, vcc, s22, v4
	s_mov_b64 s[14:15], exec
	s_nop 0
	v_subb_co_u32_e32 v5, vcc, v5, v2, vcc
	v_mov_b32_e32 v2, 0
; %bb.241:                              ;   in Loop: Header=BB95_34 Depth=1
	s_or_b64 exec, exec, s[8:9]
	s_and_b64 s[8:9], s[14:15], exec
	v_mov_b64_e32 v[6:7], v[4:5]
.LBB95_242:                             ;   in Loop: Header=BB95_34 Depth=1
	s_or_b64 exec, exec, s[6:7]
	s_mov_b64 s[6:7], -1
                                        ; implicit-def: $sgpr42_sgpr43
                                        ; implicit-def: $sgpr40_sgpr41
	s_and_saveexec_b64 s[22:23], s[8:9]
	s_cbranch_execz .LBB95_289
; %bb.243:                              ;   in Loop: Header=BB95_34 Depth=1
	s_cmp_eq_u64 s[2:3], 1
	s_cselect_b64 s[6:7], -1, 0
	v_cmp_eq_u64_e32 vcc, 1, v[6:7]
	s_and_b64 s[8:9], s[6:7], vcc
	s_mov_b64 s[14:15], -1
                                        ; implicit-def: $sgpr42_sgpr43
                                        ; implicit-def: $sgpr40_sgpr41
	s_and_saveexec_b64 s[38:39], s[8:9]
	s_cbranch_execz .LBB95_277
; %bb.244:                              ;   in Loop: Header=BB95_34 Depth=1
	ds_read_b64 v[4:5], v3 offset:5120
	s_waitcnt lgkmcnt(0)
	s_barrier
	v_readfirstlane_b32 s14, v4
	v_readfirstlane_b32 s15, v5
	s_mov_b64 s[6:7], exec
	v_readlane_b32 s40, v64, 14
	v_readlane_b32 s41, v64, 15
	s_and_b64 s[40:41], s[6:7], s[40:41]
	s_mov_b64 exec, s[40:41]
; %bb.245:                              ;   in Loop: Header=BB95_34 Depth=1
	ds_write_b32 v49, v3
; %bb.246:                              ;   in Loop: Header=BB95_34 Depth=1
	s_or_b64 exec, exec, s[6:7]
	v_or_b32_e32 v54, s5, v54
	v_or_b32_e32 v57, s5, v57
	s_mov_b64 s[40:41], -1
	s_mov_b64 s[42:43], 0
	s_cmp_eq_u64 s[14:15], 0
	s_mov_b64 s[6:7], 0
	s_mov_b64 s[44:45], -1
	s_waitcnt lgkmcnt(0)
	s_barrier
                                        ; implicit-def: $vgpr35
	s_cbranch_scc1 .LBB95_262
; %bb.247:                              ;   in Loop: Header=BB95_34 Depth=1
	v_readlane_b32 s6, v64, 20
	s_add_u32 s48, s14, s6
	v_readlane_b32 s6, v64, 22
	s_addc_u32 s7, s15, s6
	s_mov_b32 s6, s83
	s_cmp_lg_u64 s[6:7], 0
	s_cbranch_scc0 .LBB95_296
; %bb.248:                              ;   in Loop: Header=BB95_34 Depth=1
	v_cvt_f32_u32_e32 v4, s76
	s_sub_u32 s6, 0, s76
	s_subb_u32 s46, 0, 0
	v_fmac_f32_e32 v4, 0, v55
	v_rcp_f32_e32 v4, v4
	s_nop 0
	v_mul_f32_e32 v4, 0x5f7ffffc, v4
	v_mul_f32_e32 v5, 0x2f800000, v4
	v_trunc_f32_e32 v5, v5
	v_fmac_f32_e32 v4, 0xcf800000, v5
	v_cvt_u32_f32_e32 v5, v5
	v_cvt_u32_f32_e32 v4, v4
	v_readfirstlane_b32 s47, v5
	v_readfirstlane_b32 s44, v4
	s_mul_i32 s45, s6, s47
	s_mul_hi_u32 s50, s6, s44
	s_mul_i32 s49, s46, s44
	s_add_i32 s45, s50, s45
	s_mul_i32 s51, s6, s44
	s_add_i32 s45, s45, s49
	s_mul_hi_u32 s50, s44, s51
	s_mul_i32 s52, s44, s45
	s_mul_hi_u32 s49, s44, s45
	s_add_u32 s50, s50, s52
	s_addc_u32 s49, 0, s49
	s_mul_hi_u32 s53, s47, s51
	s_mul_i32 s51, s47, s51
	s_add_u32 s50, s50, s51
	s_mul_hi_u32 s52, s47, s45
	s_addc_u32 s49, s49, s53
	s_addc_u32 s50, s52, 0
	s_mul_i32 s45, s47, s45
	s_add_u32 s45, s49, s45
	s_addc_u32 s49, 0, s50
	s_add_u32 s50, s44, s45
	s_cselect_b64 s[44:45], -1, 0
	s_cmp_lg_u64 s[44:45], 0
	s_addc_u32 s47, s47, s49
	s_mul_i32 s44, s6, s47
	s_mul_hi_u32 s45, s6, s50
	s_add_i32 s44, s45, s44
	s_mul_i32 s46, s46, s50
	s_add_i32 s44, s44, s46
	s_mul_i32 s6, s6, s50
	s_mul_hi_u32 s46, s47, s6
	s_mul_i32 s49, s47, s6
	s_mul_i32 s52, s50, s44
	s_mul_hi_u32 s6, s50, s6
	s_mul_hi_u32 s51, s50, s44
	s_add_u32 s6, s6, s52
	s_addc_u32 s51, 0, s51
	s_add_u32 s6, s6, s49
	s_mul_hi_u32 s45, s47, s44
	s_addc_u32 s6, s51, s46
	s_addc_u32 s45, s45, 0
	s_mul_i32 s44, s47, s44
	s_add_u32 s6, s6, s44
	s_addc_u32 s46, 0, s45
	s_add_u32 s6, s50, s6
	s_cselect_b64 s[44:45], -1, 0
	s_cmp_lg_u64 s[44:45], 0
	s_addc_u32 s44, s47, s46
	s_mul_i32 s46, s48, s44
	s_mul_hi_u32 s47, s48, s6
	s_mul_hi_u32 s45, s48, s44
	s_add_u32 s46, s47, s46
	s_addc_u32 s45, 0, s45
	s_mul_hi_u32 s49, s7, s6
	s_mul_i32 s6, s7, s6
	s_add_u32 s6, s46, s6
	s_mul_hi_u32 s47, s7, s44
	s_addc_u32 s6, s45, s49
	s_addc_u32 s45, s47, 0
	s_mul_i32 s44, s7, s44
	s_add_u32 s6, s6, s44
	s_addc_u32 s44, 0, s45
	s_mul_i32 s44, s76, s44
	s_mul_hi_u32 s45, s76, s6
	s_add_i32 s46, s45, s44
	s_mul_i32 s6, s76, s6
	s_sub_u32 s6, s48, s6
	s_cselect_b64 s[44:45], -1, 0
	s_cmp_lg_u64 s[44:45], 0
	s_subb_u32 s46, s7, s46
	s_sub_u32 s47, s6, s76
	s_cselect_b64 s[44:45], -1, 0
	s_cmp_lg_u64 s[44:45], 0
	s_subb_u32 s49, s46, 0
	;; [unrolled: 4-line block ×3, first 2 shown]
	s_cmp_ge_u32 s47, s76
	s_cselect_b32 s45, -1, 0
	s_cmp_eq_u32 s49, 0
	s_cselect_b32 s45, s45, -1
	s_cmp_lg_u32 s45, 0
	s_cselect_b32 s44, s44, s49
	s_cselect_b32 s47, s50, s47
	s_cmp_ge_u32 s6, s76
	s_cselect_b32 s45, -1, 0
	s_cmp_eq_u32 s46, 0
	s_cselect_b32 s45, s45, -1
	s_cmp_lg_u32 s45, 0
	s_cselect_b32 s45, s44, s46
	s_cselect_b32 s44, s47, s6
	s_cbranch_execnz .LBB95_250
.LBB95_249:                             ;   in Loop: Header=BB95_34 Depth=1
	v_cvt_f32_u32_e32 v4, s76
	s_sub_i32 s6, 0, s76
	v_rcp_iflag_f32_e32 v4, v4
	s_nop 0
	v_mul_f32_e32 v4, 0x4f7ffffe, v4
	v_cvt_u32_f32_e32 v4, v4
	s_nop 0
	v_readfirstlane_b32 s44, v4
	s_mul_i32 s6, s6, s44
	s_mul_hi_u32 s6, s44, s6
	s_add_i32 s44, s44, s6
	s_mul_hi_u32 s6, s48, s44
	s_mul_i32 s6, s6, s76
	s_sub_i32 s6, s48, s6
	s_sub_i32 s44, s6, s76
	s_cmp_ge_u32 s6, s76
	s_cselect_b32 s6, s44, s6
	s_sub_i32 s44, s6, s76
	s_cmp_ge_u32 s6, s76
	s_cselect_b32 s82, s44, s6
	s_mov_b64 s[44:45], s[82:83]
.LBB95_250:                             ;   in Loop: Header=BB95_34 Depth=1
	s_sub_u32 s48, s48, s44
	s_subb_u32 s49, s7, s45
	v_cmp_gt_u64_e32 vcc, s[48:49], v[0:1]
	s_mov_b64 s[44:45], 0
	s_mov_b64 s[6:7], 0
                                        ; implicit-def: $vgpr35
	s_and_saveexec_b64 s[46:47], vcc
	s_cbranch_execz .LBB95_261
; %bb.251:                              ;   in Loop: Header=BB95_34 Depth=1
	v_mov_b32_e32 v8, v12
	v_mov_b64_e32 v[4:5], v[0:1]
                                        ; implicit-def: $sgpr50_sgpr51
	s_branch .LBB95_254
.LBB95_252:                             ;   in Loop: Header=BB95_254 Depth=2
	s_or_b64 exec, exec, s[52:53]
	s_waitcnt lgkmcnt(0)
	s_barrier
	ds_read_b64 v[34:35], v3 offset:3072
	s_mov_b64 s[52:53], -1
	s_mov_b64 s[54:55], -1
	s_waitcnt lgkmcnt(0)
	s_barrier
	v_cmp_ne_u32_e32 vcc, 0, v34
	s_cbranch_vccz .LBB95_257
.LBB95_253:                             ;   in Loop: Header=BB95_254 Depth=2
	s_and_b64 s[52:53], exec, s[52:53]
	s_or_b64 s[6:7], s[52:53], s[6:7]
	s_andn2_b64 s[50:51], s[50:51], exec
	s_and_b64 s[52:53], s[54:55], exec
	s_or_b64 s[50:51], s[50:51], s[52:53]
	s_andn2_b64 exec, exec, s[6:7]
	s_cbranch_execz .LBB95_260
.LBB95_254:                             ;   Parent Loop BB95_34 Depth=1
                                        ; =>  This Inner Loop Header: Depth=2
	v_cmp_gt_u64_e32 vcc, s[14:15], v[4:5]
	s_and_saveexec_b64 s[52:53], vcc
	s_cbranch_execz .LBB95_252
; %bb.255:                              ;   in Loop: Header=BB95_254 Depth=2
	ds_read_b32 v33, v8
	s_waitcnt lgkmcnt(0)
	v_bitop3_b32 v9, v33, v57, s91 bitop3:0x48
	v_cmp_eq_u32_e32 vcc, v9, v54
	s_and_b64 exec, exec, vcc
	s_cbranch_execz .LBB95_252
; %bb.256:                              ;   in Loop: Header=BB95_254 Depth=2
	ds_write_b64 v3, v[32:33] offset:3072
	s_branch .LBB95_252
.LBB95_257:                             ;   in Loop: Header=BB95_254 Depth=2
	v_lshl_add_u64 v[4:5], v[4:5], 0, s[76:77]
	v_cmp_le_u64_e32 vcc, s[48:49], v[4:5]
	v_add_u32_e32 v8, s90, v8
	s_mov_b64 s[54:55], 0
	s_orn2_b64 s[52:53], vcc, exec
	s_branch .LBB95_253
.LBB95_258:                             ;   in Loop: Header=BB95_34 Depth=1
                                        ; implicit-def: $sgpr38_sgpr39
	s_branch .LBB95_204
.LBB95_259:                             ;   in Loop: Header=BB95_34 Depth=1
                                        ; implicit-def: $sgpr14_sgpr15
	s_branch .LBB95_220
.LBB95_260:                             ;   in Loop: Header=BB95_34 Depth=1
	s_or_b64 exec, exec, s[6:7]
	s_and_b64 s[6:7], s[50:51], exec
.LBB95_261:                             ;   in Loop: Header=BB95_34 Depth=1
	s_or_b64 exec, exec, s[46:47]
.LBB95_262:                             ;   in Loop: Header=BB95_34 Depth=1
	s_and_b64 vcc, exec, s[44:45]
	s_cbranch_vccz .LBB95_276
; %bb.263:                              ;   in Loop: Header=BB95_34 Depth=1
	s_mov_b32 s88, s83
	s_cmp_lg_u64 s[88:89], 0
	s_cbranch_scc0 .LBB95_297
; %bb.264:                              ;   in Loop: Header=BB95_34 Depth=1
	v_cvt_f32_u32_e32 v4, s76
	s_sub_u32 s40, 0, s76
	s_subb_u32 s41, 0, 0
	v_fmac_f32_e32 v4, 0, v55
	v_rcp_f32_e32 v4, v4
	s_nop 0
	v_mul_f32_e32 v4, 0x5f7ffffc, v4
	v_mul_f32_e32 v5, 0x2f800000, v4
	v_trunc_f32_e32 v5, v5
	v_fmac_f32_e32 v4, 0xcf800000, v5
	v_cvt_u32_f32_e32 v5, v5
	v_cvt_u32_f32_e32 v4, v4
	v_readfirstlane_b32 s42, v5
	v_readfirstlane_b32 s14, v4
	s_mul_i32 s15, s40, s42
	s_mul_hi_u32 s44, s40, s14
	s_mul_i32 s43, s41, s14
	s_add_i32 s15, s44, s15
	s_mul_i32 s45, s40, s14
	s_add_i32 s15, s15, s43
	s_mul_hi_u32 s44, s14, s45
	s_mul_i32 s46, s14, s15
	s_mul_hi_u32 s43, s14, s15
	s_add_u32 s44, s44, s46
	s_addc_u32 s43, 0, s43
	s_mul_hi_u32 s47, s42, s45
	s_mul_i32 s45, s42, s45
	s_add_u32 s44, s44, s45
	s_mul_hi_u32 s46, s42, s15
	s_addc_u32 s43, s43, s47
	s_addc_u32 s44, s46, 0
	s_mul_i32 s15, s42, s15
	s_add_u32 s15, s43, s15
	s_addc_u32 s43, 0, s44
	s_add_u32 s44, s14, s15
	s_cselect_b64 s[14:15], -1, 0
	s_cmp_lg_u64 s[14:15], 0
	s_addc_u32 s42, s42, s43
	s_mul_i32 s14, s40, s42
	s_mul_hi_u32 s15, s40, s44
	s_add_i32 s14, s15, s14
	s_mul_i32 s41, s41, s44
	s_add_i32 s14, s14, s41
	s_mul_i32 s40, s40, s44
	s_mul_hi_u32 s41, s42, s40
	s_mul_i32 s43, s42, s40
	s_mul_i32 s46, s44, s14
	s_mul_hi_u32 s40, s44, s40
	s_mul_hi_u32 s45, s44, s14
	s_add_u32 s40, s40, s46
	s_addc_u32 s45, 0, s45
	s_add_u32 s40, s40, s43
	s_mul_hi_u32 s15, s42, s14
	s_addc_u32 s40, s45, s41
	s_addc_u32 s15, s15, 0
	s_mul_i32 s14, s42, s14
	s_add_u32 s14, s40, s14
	s_addc_u32 s40, 0, s15
	s_add_u32 s41, s44, s14
	s_cselect_b64 s[14:15], -1, 0
	s_cmp_lg_u64 s[14:15], 0
	s_addc_u32 s14, s42, s40
	v_readlane_b32 s44, v64, 21
	s_mul_i32 s40, s44, s14
	s_mul_hi_u32 s42, s44, s41
	s_mul_hi_u32 s15, s44, s14
	s_add_u32 s40, s42, s40
	s_addc_u32 s15, 0, s15
	s_mul_hi_u32 s43, s89, s41
	s_mul_i32 s41, s89, s41
	s_add_u32 s40, s40, s41
	s_mul_hi_u32 s42, s89, s14
	s_addc_u32 s15, s15, s43
	s_addc_u32 s40, s42, 0
	s_mul_i32 s14, s89, s14
	s_add_u32 s14, s15, s14
	s_addc_u32 s15, 0, s40
	s_mul_i32 s15, s76, s15
	s_mul_hi_u32 s40, s76, s14
	s_add_i32 s40, s40, s15
	s_mul_i32 s14, s76, s14
	s_sub_u32 s41, s44, s14
	s_cselect_b64 s[14:15], -1, 0
	s_cmp_lg_u64 s[14:15], 0
	s_subb_u32 s40, s89, s40
	s_sub_u32 s42, s41, s76
	s_cselect_b64 s[14:15], -1, 0
	s_cmp_lg_u64 s[14:15], 0
	s_subb_u32 s43, s40, 0
	;; [unrolled: 4-line block ×3, first 2 shown]
	s_cmp_ge_u32 s42, s76
	s_cselect_b32 s15, -1, 0
	s_cmp_eq_u32 s43, 0
	s_cselect_b32 s15, s15, -1
	s_cmp_lg_u32 s15, 0
	s_cselect_b32 s14, s14, s43
	s_cselect_b32 s42, s44, s42
	s_cmp_ge_u32 s41, s76
	s_cselect_b32 s15, -1, 0
	s_cmp_eq_u32 s40, 0
	s_cselect_b32 s15, s15, -1
	s_cmp_lg_u32 s15, 0
	s_cselect_b32 s15, s14, s40
	s_cselect_b32 s14, s42, s41
	s_cbranch_execnz .LBB95_266
.LBB95_265:                             ;   in Loop: Header=BB95_34 Depth=1
	v_cvt_f32_u32_e32 v4, s76
	s_sub_i32 s14, 0, s76
	v_readlane_b32 s40, v64, 21
	v_rcp_iflag_f32_e32 v4, v4
	s_nop 0
	v_mul_f32_e32 v4, 0x4f7ffffe, v4
	v_cvt_u32_f32_e32 v4, v4
	s_nop 0
	v_readfirstlane_b32 s15, v4
	s_mul_i32 s14, s14, s15
	s_mul_hi_u32 s14, s15, s14
	s_add_i32 s15, s15, s14
	s_mul_hi_u32 s14, s40, s15
	s_mul_i32 s14, s14, s76
	s_sub_i32 s14, s40, s14
	s_sub_i32 s15, s14, s76
	s_cmp_ge_u32 s14, s76
	s_cselect_b32 s14, s15, s14
	s_sub_i32 s15, s14, s76
	s_cmp_ge_u32 s14, s76
	s_cselect_b32 s82, s15, s14
	s_mov_b64 s[14:15], s[82:83]
.LBB95_266:                             ;   in Loop: Header=BB95_34 Depth=1
	v_readlane_b32 s40, v64, 21
	s_sub_u32 s40, s40, s14
	s_subb_u32 s41, s89, s15
	v_cmp_gt_u64_e32 vcc, s[40:41], v[0:1]
                                        ; implicit-def: $vgpr35
	s_and_saveexec_b64 s[14:15], vcc
	s_cbranch_execz .LBB95_275
; %bb.267:                              ;   in Loop: Header=BB95_34 Depth=1
	s_mov_b64 s[42:43], 0
	v_mov_b64_e32 v[4:5], v[16:17]
	v_mov_b64_e32 v[8:9], v[0:1]
                                        ; implicit-def: $sgpr44_sgpr45
	s_branch .LBB95_270
.LBB95_268:                             ;   in Loop: Header=BB95_270 Depth=2
	s_or_b64 exec, exec, s[46:47]
	s_waitcnt lgkmcnt(0)
	s_barrier
	ds_read_b64 v[34:35], v3 offset:3072
	s_mov_b64 s[46:47], -1
	s_mov_b64 s[48:49], -1
	s_waitcnt lgkmcnt(0)
	s_barrier
	v_cmp_eq_u32_e32 vcc, 0, v34
	s_cbranch_vccnz .LBB95_273
.LBB95_269:                             ;   in Loop: Header=BB95_270 Depth=2
	s_and_b64 s[46:47], exec, s[46:47]
	s_or_b64 s[42:43], s[46:47], s[42:43]
	s_andn2_b64 s[44:45], s[44:45], exec
	s_and_b64 s[46:47], s[48:49], exec
	s_or_b64 s[44:45], s[44:45], s[46:47]
	s_andn2_b64 exec, exec, s[42:43]
	s_cbranch_execz .LBB95_274
.LBB95_270:                             ;   Parent Loop BB95_34 Depth=1
                                        ; =>  This Inner Loop Header: Depth=2
	v_cmp_gt_u64_e32 vcc, s[56:57], v[8:9]
	s_and_saveexec_b64 s[46:47], vcc
	s_cbranch_execz .LBB95_268
; %bb.271:                              ;   in Loop: Header=BB95_270 Depth=2
	global_load_dword v33, v[4:5], off
	s_waitcnt vmcnt(0)
	v_bitop3_b32 v10, v33, v57, s91 bitop3:0x48
	v_cmp_eq_u32_e32 vcc, v10, v54
	s_and_b64 exec, exec, vcc
	s_cbranch_execz .LBB95_268
; %bb.272:                              ;   in Loop: Header=BB95_270 Depth=2
	ds_write_b64 v3, v[32:33] offset:3072
	s_branch .LBB95_268
.LBB95_273:                             ;   in Loop: Header=BB95_270 Depth=2
	v_lshl_add_u64 v[8:9], v[8:9], 0, s[76:77]
	v_cmp_le_u64_e32 vcc, s[40:41], v[8:9]
	v_lshl_add_u64 v[4:5], v[4:5], 0, s[86:87]
	s_mov_b64 s[48:49], 0
	s_orn2_b64 s[46:47], vcc, exec
	s_branch .LBB95_269
.LBB95_274:                             ;   in Loop: Header=BB95_34 Depth=1
	s_or_b64 exec, exec, s[42:43]
	s_andn2_b64 s[6:7], s[6:7], exec
	s_and_b64 s[40:41], s[44:45], exec
	s_or_b64 s[6:7], s[6:7], s[40:41]
.LBB95_275:                             ;   in Loop: Header=BB95_34 Depth=1
	s_or_b64 exec, exec, s[14:15]
	s_mov_b64 s[40:41], 0
	s_mov_b64 s[42:43], -1
.LBB95_276:                             ;   in Loop: Header=BB95_34 Depth=1
	s_orn2_b64 s[14:15], s[6:7], exec
.LBB95_277:                             ;   in Loop: Header=BB95_34 Depth=1
	s_or_b64 exec, exec, s[38:39]
	s_mov_b64 s[38:39], 0
	s_and_saveexec_b64 s[6:7], s[14:15]
	s_cbranch_execz .LBB95_288
; %bb.278:                              ;   in Loop: Header=BB95_34 Depth=1
	s_xor_b64 s[14:15], s[8:9], -1
	v_mov_b64_e32 v[4:5], 1
	v_mov_b32_e32 v2, 1
	s_and_saveexec_b64 s[8:9], s[14:15]
	s_cbranch_execz .LBB95_287
; %bb.279:                              ;   in Loop: Header=BB95_34 Depth=1
	v_cmp_ge_u64_e32 vcc, s[2:3], v[6:7]
	s_and_saveexec_b64 s[14:15], vcc
	s_xor_b64 s[14:15], exec, s[14:15]
	s_cbranch_execz .LBB95_284
; %bb.280:                              ;   in Loop: Header=BB95_34 Depth=1
	ds_read_b64 v[4:5], v3 offset:5120
	v_or_b32_e32 v54, s5, v54
	v_or_b32_e32 v57, s5, v57
	s_waitcnt lgkmcnt(0)
	v_cmp_ne_u64_e32 vcc, 0, v[4:5]
	s_cbranch_vccnz .LBB95_284
; %bb.281:                              ;   in Loop: Header=BB95_34 Depth=1
	s_mov_b64 s[38:39], exec
	v_readlane_b32 s44, v64, 6
	v_readlane_b32 s45, v64, 7
	s_and_b64 s[44:45], s[38:39], s[44:45]
	s_mov_b64 exec, s[44:45]
; %bb.282:                              ;   in Loop: Header=BB95_34 Depth=1
	v_mov_b64_e32 v[4:5], s[2:3]
	ds_write_b64 v3, v[4:5] offset:5128
; %bb.283:                              ;   in Loop: Header=BB95_34 Depth=1
	s_or_b64 exec, exec, s[38:39]
	s_waitcnt lgkmcnt(0)
	s_barrier
.LBB95_284:                             ;   in Loop: Header=BB95_34 Depth=1
	s_andn2_saveexec_b64 s[14:15], s[14:15]
; %bb.285:                              ;   in Loop: Header=BB95_34 Depth=1
	v_mov_b32_e32 v2, s3
	v_subrev_co_u32_e32 v6, vcc, s2, v6
	s_nop 1
	v_subb_co_u32_e32 v7, vcc, v7, v2, vcc
; %bb.286:                              ;   in Loop: Header=BB95_34 Depth=1
	s_or_b64 exec, exec, s[14:15]
	v_mov_b32_e32 v2, 8
	v_mov_b64_e32 v[4:5], v[6:7]
.LBB95_287:                             ;   in Loop: Header=BB95_34 Depth=1
	s_or_b64 exec, exec, s[8:9]
	s_mov_b64 s[38:39], exec
	v_mov_b64_e32 v[6:7], v[4:5]
.LBB95_288:                             ;   in Loop: Header=BB95_34 Depth=1
	s_or_b64 exec, exec, s[6:7]
	s_orn2_b64 s[6:7], s[38:39], exec
.LBB95_289:                             ;   in Loop: Header=BB95_34 Depth=1
	s_or_b64 exec, exec, s[22:23]
	s_andn2_b64 s[2:3], s[36:37], exec
	s_and_b64 s[8:9], s[42:43], exec
	s_or_b64 s[36:37], s[2:3], s[8:9]
	s_andn2_b64 s[2:3], s[34:35], exec
	s_and_b64 s[8:9], s[40:41], exec
	s_or_b64 s[34:35], s[2:3], s[8:9]
	s_and_b64 s[14:15], s[6:7], exec
	v_mov_b64_e32 v[4:5], v[6:7]
.LBB95_290:                             ;   in Loop: Header=BB95_34 Depth=1
	s_or_b64 exec, exec, s[30:31]
	s_orn2_b64 s[6:7], s[14:15], exec
.LBB95_291:                             ;   in Loop: Header=BB95_34 Depth=1
	s_or_b64 exec, exec, s[28:29]
	s_andn2_b64 s[2:3], s[24:25], exec
	s_and_b64 s[8:9], s[36:37], exec
	s_or_b64 s[24:25], s[2:3], s[8:9]
	s_andn2_b64 s[0:1], s[0:1], exec
	s_and_b64 s[2:3], s[34:35], exec
	s_or_b64 s[0:1], s[0:1], s[2:3]
	s_and_b64 s[14:15], s[6:7], exec
	v_mov_b64_e32 v[8:9], v[4:5]
.LBB95_292:                             ;   in Loop: Header=BB95_34 Depth=1
	s_or_b64 exec, exec, s[26:27]
	s_orn2_b64 s[6:7], s[14:15], exec
.LBB95_293:                             ;   in Loop: Header=BB95_34 Depth=1
	s_or_b64 exec, exec, s[20:21]
	s_mov_b64 s[8:9], 0
	s_and_saveexec_b64 s[2:3], s[6:7]
	s_xor_b64 s[2:3], exec, s[2:3]
	s_cbranch_execz .LBB95_32
; %bb.294:                              ;   in Loop: Header=BB95_34 Depth=1
	v_and_b32_e32 v2, 7, v2
	v_cmp_eq_u32_e32 vcc, 0, v2
	s_mov_b64 s[6:7], -1
	s_mov_b64 s[8:9], -1
	s_and_saveexec_b64 s[14:15], vcc
	s_cbranch_execz .LBB95_31
; %bb.295:                              ;   in Loop: Header=BB95_34 Depth=1
	s_add_i32 s18, s4, -2
	s_cmp_eq_u32 s4, 0
	s_cselect_b64 s[4:5], -1, 0
	v_xor_b32_e32 v56, 1, v56
	s_xor_b64 s[8:9], exec, -1
	s_orn2_b64 s[6:7], s[4:5], exec
	s_mov_b32 s4, s18
	s_branch .LBB95_31
.LBB95_296:                             ;   in Loop: Header=BB95_34 Depth=1
                                        ; implicit-def: $sgpr44_sgpr45
	s_branch .LBB95_249
.LBB95_297:                             ;   in Loop: Header=BB95_34 Depth=1
                                        ; implicit-def: $sgpr14_sgpr15
	s_branch .LBB95_265
.LBB95_298:
	s_or_b64 exec, exec, s[74:75]
	s_xor_b64 s[6:7], s[10:11], -1
	s_xor_b64 s[0:1], s[12:13], -1
	;; [unrolled: 1-line block ×3, first 2 shown]
	s_mov_b64 s[2:3], 0
	s_and_saveexec_b64 s[8:9], s[0:1]
	s_xor_b64 s[0:1], exec, s[8:9]
	s_cbranch_execnz .LBB95_303
; %bb.299:
	s_andn2_saveexec_b64 s[0:1], s[0:1]
	s_cbranch_execnz .LBB95_316
.LBB95_300:
	s_or_b64 exec, exec, s[0:1]
	s_and_saveexec_b64 s[0:1], s[2:3]
.LBB95_301:
	; divergent unreachable
.LBB95_302:
	s_endpgm
.LBB95_303:
	s_and_saveexec_b64 s[2:3], s[6:7]
	s_xor_b64 s[2:3], exec, s[2:3]
	s_cbranch_execz .LBB95_314
; %bb.304:
	s_and_saveexec_b64 s[6:7], s[4:5]
	s_xor_b64 s[4:5], exec, s[6:7]
; %bb.305:
	v_xor_b32_e32 v35, 0x80000000, v54
; %bb.306:
	s_or_b64 exec, exec, s[4:5]
	v_readlane_b32 s8, v64, 0
	v_readlane_b32 s6, v64, 2
	;; [unrolled: 1-line block ×4, first 2 shown]
	s_mul_i32 s4, s6, s9
	s_mul_hi_u32 s5, s6, s8
	s_add_i32 s4, s5, s4
	s_mul_i32 s5, s7, s8
	s_add_i32 s5, s4, s5
	s_mul_i32 s4, s6, s8
	s_lshl_b64 s[4:5], s[4:5], 2
	v_readlane_b32 s6, v64, 8
	v_readlane_b32 s7, v64, 9
	s_add_u32 s6, s6, s4
	s_addc_u32 s7, s7, s5
	s_lshl_b64 s[4:5], s[58:59], 2
	s_add_u32 s4, s6, s4
	s_addc_u32 s5, s7, s5
	v_mov_b32_e32 v2, 0
	global_store_dword v2, v35, s[4:5]
	s_mov_b64 s[4:5], exec
	v_readlane_b32 s6, v64, 12
	v_readlane_b32 s7, v64, 13
	s_and_b64 s[6:7], s[4:5], s[6:7]
	s_mov_b64 exec, s[6:7]
	s_cbranch_execz .LBB95_313
; %bb.307:
	s_mov_b64 s[6:7], 0
                                        ; implicit-def: $sgpr8_sgpr9
                                        ; implicit-def: $sgpr12_sgpr13
                                        ; implicit-def: $sgpr10_sgpr11
	s_branch .LBB95_309
.LBB95_308:                             ;   in Loop: Header=BB95_309 Depth=1
	s_or_b64 exec, exec, s[14:15]
	s_and_b64 s[14:15], exec, s[12:13]
	s_or_b64 s[6:7], s[14:15], s[6:7]
	s_andn2_b64 s[8:9], s[8:9], exec
	s_and_b64 s[14:15], s[10:11], exec
	s_or_b64 s[8:9], s[8:9], s[14:15]
	s_andn2_b64 exec, exec, s[6:7]
	s_cbranch_execz .LBB95_311
.LBB95_309:                             ; =>This Inner Loop Header: Depth=1
	global_load_dword v4, v[16:17], off
	v_mov_b64_e32 v[2:3], v[0:1]
	s_or_b64 s[10:11], s[10:11], exec
	s_or_b64 s[12:13], s[12:13], exec
                                        ; implicit-def: $vgpr0_vgpr1
	s_waitcnt vmcnt(0)
	v_cmp_ne_u32_e32 vcc, v4, v35
	s_and_saveexec_b64 s[14:15], vcc
	s_cbranch_execz .LBB95_308
; %bb.310:                              ;   in Loop: Header=BB95_309 Depth=1
	v_lshl_add_u64 v[0:1], v[2:3], 0, s[76:77]
	v_cmp_le_u64_e32 vcc, s[56:57], v[0:1]
	s_andn2_b64 s[12:13], s[12:13], exec
	s_and_b64 s[16:17], vcc, exec
	v_lshl_add_u64 v[16:17], v[16:17], 0, s[86:87]
	s_andn2_b64 s[10:11], s[10:11], exec
	s_or_b64 s[12:13], s[12:13], s[16:17]
	s_branch .LBB95_308
.LBB95_311:
	s_or_b64 exec, exec, s[6:7]
	s_and_saveexec_b64 s[6:7], s[8:9]
	s_xor_b64 s[6:7], exec, s[6:7]
	s_cbranch_execz .LBB95_313
; %bb.312:
	v_readlane_b32 s8, v64, 4
	v_readlane_b32 s9, v64, 5
	s_mul_i32 s6, s8, s69
	s_mul_hi_u32 s7, s8, s68
	s_add_i32 s6, s7, s6
	s_mul_i32 s7, s9, s68
	s_add_i32 s7, s6, s7
	s_mul_i32 s6, s8, s68
	s_lshl_b64 s[6:7], s[6:7], 3
	v_readlane_b32 s8, v64, 10
	v_readlane_b32 s9, v64, 11
	s_add_u32 s8, s8, s6
	s_addc_u32 s9, s9, s7
	s_lshl_b64 s[6:7], s[62:63], 3
	s_add_u32 s6, s8, s6
	s_addc_u32 s7, s9, s7
	v_mov_b32_e32 v0, 0
	global_store_dwordx2 v0, v[2:3], s[6:7]
.LBB95_313:
	s_or_b64 exec, exec, s[4:5]
.LBB95_314:
	s_or_saveexec_b64 s[2:3], s[2:3]
	s_mov_b64 s[4:5], 0
	s_xor_b64 exec, exec, s[2:3]
	s_cbranch_execnz .LBB95_317
.LBB95_315:
	s_or_b64 exec, exec, s[2:3]
	s_and_b64 s[2:3], s[4:5], exec
	s_andn2_saveexec_b64 s[0:1], s[0:1]
	s_cbranch_execz .LBB95_300
.LBB95_316:
	s_or_b64 s[2:3], s[2:3], exec
	s_trap 2
	s_or_b64 exec, exec, s[0:1]
	s_and_saveexec_b64 s[0:1], s[2:3]
	s_cbranch_execnz .LBB95_301
	s_branch .LBB95_302
.LBB95_317:
	s_mov_b64 s[4:5], exec
	s_trap 2
	s_branch .LBB95_315
	.section	.rodata,"a",@progbits
	.p2align	6, 0x0
	.amdhsa_kernel _ZN2at6native12_GLOBAL__N_112gatherMedianIimLin1EEEvNS_4cuda6detail10TensorInfoIT_T0_EENS5_IlS7_EENS5_IKS6_S7_EES7_S7_S7_b
		.amdhsa_group_segment_fixed_size 5152
		.amdhsa_private_segment_fixed_size 0
		.amdhsa_kernarg_size 1536
		.amdhsa_user_sgpr_count 2
		.amdhsa_user_sgpr_dispatch_ptr 0
		.amdhsa_user_sgpr_queue_ptr 0
		.amdhsa_user_sgpr_kernarg_segment_ptr 1
		.amdhsa_user_sgpr_dispatch_id 0
		.amdhsa_user_sgpr_kernarg_preload_length 0
		.amdhsa_user_sgpr_kernarg_preload_offset 0
		.amdhsa_user_sgpr_private_segment_size 0
		.amdhsa_uses_dynamic_stack 0
		.amdhsa_enable_private_segment 0
		.amdhsa_system_sgpr_workgroup_id_x 1
		.amdhsa_system_sgpr_workgroup_id_y 1
		.amdhsa_system_sgpr_workgroup_id_z 1
		.amdhsa_system_sgpr_workgroup_info 0
		.amdhsa_system_vgpr_workitem_id 0
		.amdhsa_next_free_vgpr 65
		.amdhsa_next_free_sgpr 100
		.amdhsa_accum_offset 68
		.amdhsa_reserve_vcc 1
		.amdhsa_float_round_mode_32 0
		.amdhsa_float_round_mode_16_64 0
		.amdhsa_float_denorm_mode_32 3
		.amdhsa_float_denorm_mode_16_64 3
		.amdhsa_dx10_clamp 1
		.amdhsa_ieee_mode 1
		.amdhsa_fp16_overflow 0
		.amdhsa_tg_split 0
		.amdhsa_exception_fp_ieee_invalid_op 0
		.amdhsa_exception_fp_denorm_src 0
		.amdhsa_exception_fp_ieee_div_zero 0
		.amdhsa_exception_fp_ieee_overflow 0
		.amdhsa_exception_fp_ieee_underflow 0
		.amdhsa_exception_fp_ieee_inexact 0
		.amdhsa_exception_int_div_zero 0
	.end_amdhsa_kernel
	.section	.text._ZN2at6native12_GLOBAL__N_112gatherMedianIimLin1EEEvNS_4cuda6detail10TensorInfoIT_T0_EENS5_IlS7_EENS5_IKS6_S7_EES7_S7_S7_b,"axG",@progbits,_ZN2at6native12_GLOBAL__N_112gatherMedianIimLin1EEEvNS_4cuda6detail10TensorInfoIT_T0_EENS5_IlS7_EENS5_IKS6_S7_EES7_S7_S7_b,comdat
.Lfunc_end95:
	.size	_ZN2at6native12_GLOBAL__N_112gatherMedianIimLin1EEEvNS_4cuda6detail10TensorInfoIT_T0_EENS5_IlS7_EENS5_IKS6_S7_EES7_S7_S7_b, .Lfunc_end95-_ZN2at6native12_GLOBAL__N_112gatherMedianIimLin1EEEvNS_4cuda6detail10TensorInfoIT_T0_EENS5_IlS7_EENS5_IKS6_S7_EES7_S7_S7_b
                                        ; -- End function
	.set _ZN2at6native12_GLOBAL__N_112gatherMedianIimLin1EEEvNS_4cuda6detail10TensorInfoIT_T0_EENS5_IlS7_EENS5_IKS6_S7_EES7_S7_S7_b.num_vgpr, 65
	.set _ZN2at6native12_GLOBAL__N_112gatherMedianIimLin1EEEvNS_4cuda6detail10TensorInfoIT_T0_EENS5_IlS7_EENS5_IKS6_S7_EES7_S7_S7_b.num_agpr, 0
	.set _ZN2at6native12_GLOBAL__N_112gatherMedianIimLin1EEEvNS_4cuda6detail10TensorInfoIT_T0_EENS5_IlS7_EENS5_IKS6_S7_EES7_S7_S7_b.numbered_sgpr, 100
	.set _ZN2at6native12_GLOBAL__N_112gatherMedianIimLin1EEEvNS_4cuda6detail10TensorInfoIT_T0_EENS5_IlS7_EENS5_IKS6_S7_EES7_S7_S7_b.num_named_barrier, 0
	.set _ZN2at6native12_GLOBAL__N_112gatherMedianIimLin1EEEvNS_4cuda6detail10TensorInfoIT_T0_EENS5_IlS7_EENS5_IKS6_S7_EES7_S7_S7_b.private_seg_size, 0
	.set _ZN2at6native12_GLOBAL__N_112gatherMedianIimLin1EEEvNS_4cuda6detail10TensorInfoIT_T0_EENS5_IlS7_EENS5_IKS6_S7_EES7_S7_S7_b.uses_vcc, 1
	.set _ZN2at6native12_GLOBAL__N_112gatherMedianIimLin1EEEvNS_4cuda6detail10TensorInfoIT_T0_EENS5_IlS7_EENS5_IKS6_S7_EES7_S7_S7_b.uses_flat_scratch, 0
	.set _ZN2at6native12_GLOBAL__N_112gatherMedianIimLin1EEEvNS_4cuda6detail10TensorInfoIT_T0_EENS5_IlS7_EENS5_IKS6_S7_EES7_S7_S7_b.has_dyn_sized_stack, 0
	.set _ZN2at6native12_GLOBAL__N_112gatherMedianIimLin1EEEvNS_4cuda6detail10TensorInfoIT_T0_EENS5_IlS7_EENS5_IKS6_S7_EES7_S7_S7_b.has_recursion, 0
	.set _ZN2at6native12_GLOBAL__N_112gatherMedianIimLin1EEEvNS_4cuda6detail10TensorInfoIT_T0_EENS5_IlS7_EENS5_IKS6_S7_EES7_S7_S7_b.has_indirect_call, 0
	.section	.AMDGPU.csdata,"",@progbits
; Kernel info:
; codeLenInByte = 17604
; TotalNumSgprs: 106
; NumVgprs: 65
; NumAgprs: 0
; TotalNumVgprs: 65
; ScratchSize: 0
; MemoryBound: 0
; FloatMode: 240
; IeeeMode: 1
; LDSByteSize: 5152 bytes/workgroup (compile time only)
; SGPRBlocks: 13
; VGPRBlocks: 8
; NumSGPRsForWavesPerEU: 106
; NumVGPRsForWavesPerEU: 65
; AccumOffset: 68
; Occupancy: 7
; WaveLimiterHint : 1
; COMPUTE_PGM_RSRC2:SCRATCH_EN: 0
; COMPUTE_PGM_RSRC2:USER_SGPR: 2
; COMPUTE_PGM_RSRC2:TRAP_HANDLER: 0
; COMPUTE_PGM_RSRC2:TGID_X_EN: 1
; COMPUTE_PGM_RSRC2:TGID_Y_EN: 1
; COMPUTE_PGM_RSRC2:TGID_Z_EN: 1
; COMPUTE_PGM_RSRC2:TIDIG_COMP_CNT: 0
; COMPUTE_PGM_RSRC3_GFX90A:ACCUM_OFFSET: 16
; COMPUTE_PGM_RSRC3_GFX90A:TG_SPLIT: 0
	.section	.text._ZN2at6native12_GLOBAL__N_112gatherMedianIljLi1EEEvNS_4cuda6detail10TensorInfoIT_T0_EENS5_IlS7_EENS5_IKS6_S7_EES7_S7_S7_b,"axG",@progbits,_ZN2at6native12_GLOBAL__N_112gatherMedianIljLi1EEEvNS_4cuda6detail10TensorInfoIT_T0_EENS5_IlS7_EENS5_IKS6_S7_EES7_S7_S7_b,comdat
	.globl	_ZN2at6native12_GLOBAL__N_112gatherMedianIljLi1EEEvNS_4cuda6detail10TensorInfoIT_T0_EENS5_IlS7_EENS5_IKS6_S7_EES7_S7_S7_b ; -- Begin function _ZN2at6native12_GLOBAL__N_112gatherMedianIljLi1EEEvNS_4cuda6detail10TensorInfoIT_T0_EENS5_IlS7_EENS5_IKS6_S7_EES7_S7_S7_b
	.p2align	8
	.type	_ZN2at6native12_GLOBAL__N_112gatherMedianIljLi1EEEvNS_4cuda6detail10TensorInfoIT_T0_EENS5_IlS7_EENS5_IKS6_S7_EES7_S7_S7_b,@function
_ZN2at6native12_GLOBAL__N_112gatherMedianIljLi1EEEvNS_4cuda6detail10TensorInfoIT_T0_EENS5_IlS7_EENS5_IKS6_S7_EES7_S7_S7_b: ; @_ZN2at6native12_GLOBAL__N_112gatherMedianIljLi1EEEvNS_4cuda6detail10TensorInfoIT_T0_EENS5_IlS7_EENS5_IKS6_S7_EES7_S7_S7_b
; %bb.0:
	s_load_dwordx2 s[10:11], s[0:1], 0x298
	s_load_dwordx4 s[56:59], s[0:1], 0x288
	s_add_u32 s8, s0, 0x298
	s_addc_u32 s9, s1, 0
	s_waitcnt lgkmcnt(0)
	s_mul_i32 s4, s11, s4
	s_add_i32 s3, s4, s3
	s_mul_i32 s3, s3, s10
	s_add_i32 s18, s3, s2
	s_cmp_ge_u32 s18, s57
	s_cbranch_scc1 .LBB96_239
; %bb.1:
	v_cmp_eq_u32_e64 s[14:15], 0, v0
	s_and_saveexec_b64 s[4:5], s[14:15]
; %bb.2:
	v_mov_b32_e32 v2, 0
	v_mov_b32_e32 v3, v2
	ds_write_b64 v2, v[2:3] offset:4096
; %bb.3:
	s_or_b64 exec, exec, s[4:5]
	v_mov_b32_e32 v1, 0
	s_waitcnt lgkmcnt(0)
	s_barrier
	s_barrier
	ds_read_b64 v[2:3], v1 offset:4096
	s_load_dwordx2 s[4:5], s[0:1], 0x1b0
	s_bitcmp1_b32 s59, 0
	s_cselect_b64 s[12:13], -1, 0
	s_mov_b32 s3, s56
	s_waitcnt lgkmcnt(0)
	v_readfirstlane_b32 s6, v2
	v_readfirstlane_b32 s7, v3
	s_nop 1
	v_cmp_lt_i64_e64 s[16:17], s[6:7], 1
	s_or_b64 s[12:13], s[12:13], s[16:17]
	s_andn2_b64 vcc, exec, s[12:13]
	s_cbranch_vccnz .LBB96_5
; %bb.4:
	s_not_b64 s[6:7], s[6:7]
	s_add_u32 s3, s6, s56
	s_addc_u32 s7, s7, 0
	s_lshr_b32 s6, s7, 31
	s_add_u32 s6, s3, s6
	s_addc_u32 s7, s7, 0
	s_lshr_b64 s[6:7], s[6:7], 1
	s_add_i32 s3, s6, 1
.LBB96_5:
	s_load_dwordx2 s[6:7], s[0:1], 0xd8
                                        ; implicit-def: $vgpr60 : SGPR spill to VGPR lane
	s_waitcnt lgkmcnt(0)
	v_writelane_b32 v60, s6, 0
	s_nop 1
	v_writelane_b32 v60, s7, 1
	s_load_dword s11, s[0:1], 0x21c
	s_load_dwordx2 s[6:7], s[0:1], 0x0
	s_waitcnt lgkmcnt(0)
	v_writelane_b32 v60, s6, 2
	s_nop 1
	v_writelane_b32 v60, s7, 3
	s_and_saveexec_b64 s[6:7], s[14:15]
	s_cbranch_execz .LBB96_7
; %bb.6:
	v_mov_b32_e32 v2, 0
	v_mov_b32_e32 v3, s56
	ds_write_b32 v2, v2 offset:4112
	ds_write_b64 v2, v[2:3] offset:4104
.LBB96_7:
	s_or_b64 exec, exec, s[6:7]
	s_load_dword s6, s[0:1], 0x144
                                        ; kill: killed $sgpr0 killed $sgpr1
	s_mov_b32 s16, 0
	s_waitcnt lgkmcnt(0)
	s_barrier
	v_writelane_b32 v60, s6, 4
	s_load_dword s6, s[0:1], 0x6c
	s_mul_i32 s0, s11, s18
	s_load_dword s11, s[8:9], 0xc
	s_mov_b32 s17, 1
	s_mov_b32 s1, s16
	s_lshl_b64 s[0:1], s[0:1], 3
	s_waitcnt lgkmcnt(0)
	v_writelane_b32 v60, s6, 5
	s_add_u32 s62, s4, s0
	v_writelane_b32 v60, s18, 6
	s_addc_u32 s63, s5, s1
	v_cmp_gt_u32_e64 s[0:1], s56, v0
	v_mbcnt_lo_u32_b32 v1, -1, 0
	s_and_b32 s59, s11, 0xffff
	v_writelane_b32 v60, s0, 7
	v_mbcnt_hi_u32_b32 v34, -1, v1
	v_cmp_gt_u32_e32 vcc, 64, v0
	v_writelane_b32 v60, s1, 8
	v_cmp_gt_i32_e64 s[0:1], 4, v34
	s_add_i32 s78, s59, -1
	s_lshl_b32 s33, s59, 2
	s_and_b64 s[68:69], vcc, s[0:1]
	s_add_i32 s0, s78, s56
	s_cmpk_gt_u32 s56, 0x180
	s_cselect_b64 s[70:71], -1, 0
	s_cmp_gt_u32 s59, 63
	s_cselect_b64 s[72:73], -1, 0
	s_cmp_lt_u32 s2, s10
	s_cselect_b32 s1, 12, 18
	s_add_u32 s8, s8, s1
	s_addc_u32 s9, s9, 0
	v_writelane_b32 v60, s8, 9
	v_lshlrev_b64 v[2:3], v34, -1
	v_not_b32_e32 v22, v2
	v_writelane_b32 v60, s9, 10
	s_bfe_u32 s8, s11, 0xa0006
	v_lshrrev_b32_e32 v2, 2, v0
	s_add_i32 s1, s8, -2
	v_and_b32_e32 v2, 0xf0, v2
	s_lshr_b32 s2, s1, 1
	v_or_b32_e32 v37, 0xc00, v2
	s_add_i32 s2, s2, 1
	v_cvt_f32_u32_e32 v2, s33
	s_cmpk_gt_u32 s59, 0x7f
	s_cselect_b64 s[10:11], -1, 0
	v_writelane_b32 v60, s10, 11
	s_and_b32 s9, s8, 0x3fe
	v_rcp_iflag_f32_e32 v2, v2
	v_writelane_b32 v60, s11, 12
	s_and_b32 s10, s2, 7
	s_cmp_gt_u32 s1, 13
	s_cselect_b64 s[12:13], -1, 0
	v_writelane_b32 v60, s12, 13
	s_and_b32 s1, s2, -8
	v_mul_f32_e32 v2, 0x4f7ffffe, v2
	v_writelane_b32 v60, s13, 14
	v_writelane_b32 v60, s1, 15
	s_cmp_lg_u32 s10, 0
	v_cvt_u32_f32_e32 v2, v2
	v_writelane_b32 v60, s10, 16
	s_cselect_b64 s[10:11], -1, 0
	v_writelane_b32 v60, s10, 17
	s_cmp_lg_u32 s9, s8
	v_readfirstlane_b32 s2, v2
	v_writelane_b32 v60, s11, 18
	v_writelane_b32 v60, s8, 19
	v_cvt_f32_u32_e32 v2, s59
	v_writelane_b32 v60, s9, 20
	s_cselect_b64 s[8:9], -1, 0
	s_sub_i32 s1, 0, s33
	s_mul_i32 s1, s1, s2
	s_mul_hi_u32 s1, s2, s1
	s_add_i32 s82, s2, s1
	v_rcp_iflag_f32_e32 v2, v2
	s_mul_hi_u32 s1, s56, s82
	s_mul_i32 s1, s1, s33
	s_sub_i32 s1, s56, s1
	s_sub_i32 s2, s1, s33
	v_mul_f32_e32 v2, 0x4f7ffffe, v2
	s_cmp_ge_u32 s1, s33
	v_cvt_u32_f32_e32 v2, v2
	s_cselect_b32 s1, s2, s1
	s_sub_i32 s2, s1, s33
	s_cmp_ge_u32 s1, s33
	s_cselect_b32 s1, s2, s1
	s_sub_i32 s2, 0, s59
	v_readfirstlane_b32 s12, v2
	s_mul_i32 s2, s2, s12
	s_mul_hi_u32 s2, s12, s2
	s_add_i32 s80, s12, s2
	s_mul_hi_u32 s2, s0, s80
	s_mul_i32 s2, s2, s59
	s_sub_i32 s2, s0, s2
	s_sub_i32 s83, s56, s1
	;; [unrolled: 1-line block ×3, first 2 shown]
	s_cmp_ge_u32 s2, s59
	s_cselect_b32 s2, s12, s2
	v_lshlrev_b32_e32 v23, 2, v0
	s_sub_i32 s12, s2, s59
	s_cmp_ge_u32 s2, s59
	v_mul_lo_u32 v2, s58, v23
	s_cselect_b32 s2, s12, s2
	v_add_u32_e32 v39, s58, v2
	v_or_b32_e32 v2, 2, v23
	s_sub_i32 s81, s0, s2
	v_mul_lo_u32 v40, s58, v2
	v_or_b32_e32 v2, 3, v23
	s_add_i32 s0, s59, s56
	v_mov_b32_e32 v19, 0
	v_add_u32_e32 v38, s83, v0
	v_mul_lo_u32 v41, s58, v2
	v_add_u32_e32 v2, s0, v0
	v_lshlrev_b32_e32 v35, 3, v0
	v_mul_lo_u32 v16, s58, v0
	v_mov_b32_e32 v17, v19
	v_lshlrev_b32_e32 v4, 2, v34
	v_writelane_b32 v60, s8, 21
	v_mul_lo_u32 v18, v38, s58
	s_mul_i32 s57, s58, s59
	v_subrev_u32_e32 v2, s1, v2
	v_cmp_eq_u32_e64 s[4:5], 0, v34
	v_cmp_gt_u32_e64 s[6:7], 2, v0
	v_add_u32_e32 v36, 0xc00, v35
	v_lshl_add_u64 v[20:21], v[16:17], 3, s[62:63]
	v_and_b32_e32 v17, 0x100, v4
	v_not_b32_e32 v1, v3
	v_writelane_b32 v60, s9, 22
	v_cmp_gt_u32_e64 s[8:9], s83, v23
	v_cmp_gt_u32_e64 s[10:11], s56, v38
	v_lshl_add_u64 v[24:25], v[18:19], 3, s[62:63]
	v_cmp_gt_u32_e64 s[12:13], s81, v0
	s_lshl_b32 s74, s57, 2
	v_lshlrev_b32_e32 v42, 2, v16
	v_mul_lo_u32 v43, s58, v2
	v_lshlrev_b32_e32 v44, 5, v0
	s_lshl_b32 s75, s59, 5
	s_lshl_b32 s79, s59, 3
	v_or_b32_e32 v45, 0xc00, v4
	s_mov_b32 s76, 62
	s_mov_b64 s[84:85], 0
	v_mov_b64_e32 v[6:7], 0
	v_mov_b32_e32 v47, s3
	v_mov_b64_e32 v[26:27], 0
	v_mov_b64_e32 v[28:29], 0
	v_mov_b32_e32 v49, s56
	v_mov_b32_e32 v2, 1
	;; [unrolled: 1-line block ×5, first 2 shown]
	s_mov_b32 s77, s16
                                        ; implicit-def: $sgpr86_sgpr87
                                        ; implicit-def: $sgpr90_sgpr91
                                        ; implicit-def: $sgpr88_sgpr89
                                        ; implicit-def: $sgpr94_sgpr95
                                        ; implicit-def: $sgpr96_sgpr97
                                        ; implicit-def: $sgpr92_sgpr93
	s_branch .LBB96_11
.LBB96_8:                               ;   in Loop: Header=BB96_11 Depth=1
	s_or_b64 exec, exec, s[26:27]
	s_and_b64 s[20:21], s[20:21], exec
	s_andn2_b64 s[24:25], s[24:25], exec
	s_andn2_b64 s[22:23], s[22:23], exec
	s_orn2_b64 s[18:19], s[18:19], exec
.LBB96_9:                               ;   in Loop: Header=BB96_11 Depth=1
	s_or_b64 exec, exec, s[0:1]
	s_andn2_b64 s[0:1], s[92:93], exec
	s_and_b64 s[16:17], s[20:21], exec
	s_or_b64 s[92:93], s[0:1], s[16:17]
	s_andn2_b64 s[0:1], s[96:97], exec
	s_and_b64 s[16:17], s[24:25], exec
	s_or_b64 s[96:97], s[0:1], s[16:17]
	;; [unrolled: 3-line block ×3, first 2 shown]
	s_orn2_b64 s[18:19], s[18:19], exec
.LBB96_10:                              ;   in Loop: Header=BB96_11 Depth=1
	s_or_b64 exec, exec, s[2:3]
	s_and_b64 s[0:1], exec, s[18:19]
	s_or_b64 s[84:85], s[0:1], s[84:85]
	s_andn2_b64 s[0:1], s[88:89], exec
	s_and_b64 s[2:3], s[92:93], exec
	s_or_b64 s[88:89], s[0:1], s[2:3]
	s_andn2_b64 s[0:1], s[90:91], exec
	s_and_b64 s[2:3], s[96:97], exec
	;; [unrolled: 3-line block ×3, first 2 shown]
	s_or_b64 s[86:87], s[0:1], s[2:3]
	s_mov_b32 s77, s31
	s_mov_b32 s76, s30
	v_mov_b32_e32 v47, v9
	s_andn2_b64 exec, exec, s[84:85]
	s_cbranch_execz .LBB96_235
.LBB96_11:                              ; =>This Loop Header: Depth=1
                                        ;     Child Loop BB96_17 Depth 2
                                        ;     Child Loop BB96_30 Depth 2
	;; [unrolled: 1-line block ×17, first 2 shown]
	ds_read_b64 v[4:5], v19 offset:4104
	s_waitcnt lgkmcnt(0)
	v_readfirstlane_b32 s16, v4
	s_cmp_lg_u32 s16, 0
	s_cbranch_scc1 .LBB96_38
; %bb.12:                               ;   in Loop: Header=BB96_11 Depth=1
	s_and_b64 vcc, exec, s[70:71]
	s_cbranch_vccz .LBB96_25
; %bb.13:                               ;   in Loop: Header=BB96_11 Depth=1
	s_movk_i32 s0, 0x181
	v_cmp_gt_u32_e32 vcc, s0, v5
	s_mov_b64 s[18:19], 0
	s_mov_b64 s[0:1], 0
	s_cbranch_vccz .LBB96_26
; %bb.14:                               ;   in Loop: Header=BB96_11 Depth=1
	s_mov_b64 s[20:21], exec
	v_readlane_b32 s0, v60, 7
	v_readlane_b32 s1, v60, 8
	s_and_b64 s[0:1], s[20:21], s[0:1]
	s_mov_b64 exec, s[0:1]
	s_cbranch_execz .LBB96_69
; %bb.15:                               ;   in Loop: Header=BB96_11 Depth=1
	v_readlane_b32 s0, v60, 9
	v_readlane_b32 s1, v60, 10
	s_nop 4
	global_load_ushort v3, v19, s[0:1]
	global_load_dwordx2 v[4:5], v[20:21], off
	s_mov_b64 s[22:23], 0
	v_mov_b32_e32 v11, v0
	s_waitcnt vmcnt(1)
	v_add_u32_e32 v8, v0, v3
	v_mul_lo_u32 v10, s58, v3
	v_mul_lo_u32 v18, s58, v8
	s_branch .LBB96_17
.LBB96_16:                              ;   in Loop: Header=BB96_17 Depth=2
	s_or_b64 exec, exec, s[2:3]
	v_add_u32_e32 v18, v18, v10
	v_mov_b64_e32 v[4:5], v[8:9]
	s_andn2_b64 exec, exec, s[22:23]
	s_cbranch_execz .LBB96_69
.LBB96_17:                              ;   Parent Loop BB96_11 Depth=1
                                        ; =>  This Inner Loop Header: Depth=2
	v_add_u32_e32 v11, v11, v3
	v_cmp_gt_u32_e64 s[0:1], s56, v11
	v_cmp_le_u32_e32 vcc, s56, v11
	v_mov_b64_e32 v[8:9], 0
	s_and_saveexec_b64 s[2:3], s[0:1]
	s_cbranch_execz .LBB96_19
; %bb.18:                               ;   in Loop: Header=BB96_17 Depth=2
	v_lshl_add_u64 v[8:9], v[18:19], 3, s[62:63]
	global_load_dwordx2 v[8:9], v[8:9], off
.LBB96_19:                              ;   in Loop: Header=BB96_17 Depth=2
	s_or_b64 exec, exec, s[2:3]
	s_waitcnt vmcnt(0) lgkmcnt(0)
	v_xor_b32_e32 v12, 0x80000000, v5
	v_and_b32_e32 v13, v12, v29
	v_and_b32_e32 v12, v4, v28
	v_cmp_eq_u64_e64 s[0:1], v[12:13], v[26:27]
	s_cmp_lg_u64 s[0:1], 0
	s_cselect_b64 s[2:3], -1, 0
	s_and_b64 s[2:3], s[4:5], s[2:3]
	v_mov_b32_e32 v12, 0
	s_and_saveexec_b64 s[24:25], s[2:3]
	s_cbranch_execz .LBB96_23
; %bb.20:                               ;   in Loop: Header=BB96_17 Depth=2
	s_mov_b64 s[28:29], exec
	v_mbcnt_lo_u32_b32 v12, s28, 0
	v_mbcnt_hi_u32_b32 v12, s29, v12
	s_bcnt1_i32_b64 s16, s[0:1]
	v_cmp_eq_u32_e64 s[2:3], 0, v12
                                        ; implicit-def: $vgpr13
	s_and_saveexec_b64 s[26:27], s[2:3]
; %bb.21:                               ;   in Loop: Header=BB96_17 Depth=2
	s_bcnt1_i32_b64 s2, s[28:29]
	s_mul_i32 s2, s16, s2
	v_mov_b32_e32 v13, s2
	ds_add_rtn_u32 v13, v19, v13 offset:4112
; %bb.22:                               ;   in Loop: Header=BB96_17 Depth=2
	s_or_b64 exec, exec, s[26:27]
	s_waitcnt lgkmcnt(0)
	v_readfirstlane_b32 s2, v13
	s_nop 1
	v_mov_b32_e32 v13, s2
	v_mad_u32_u24 v12, s16, v12, v13
.LBB96_23:                              ;   in Loop: Header=BB96_17 Depth=2
	s_or_b64 exec, exec, s[24:25]
	ds_bpermute_b32 v12, v17, v12
	s_and_b64 s[2:3], exec, vcc
	s_or_b64 s[22:23], s[2:3], s[22:23]
	s_and_saveexec_b64 s[2:3], s[0:1]
	s_cbranch_execz .LBB96_16
; %bb.24:                               ;   in Loop: Header=BB96_17 Depth=2
	v_and_b32_e32 v14, s0, v22
	v_and_b32_e32 v13, s1, v1
	v_bcnt_u32_b32 v14, v14, 0
	v_bcnt_u32_b32 v13, v13, v14
	v_lshlrev_b32_e32 v13, 3, v13
	s_waitcnt lgkmcnt(0)
	v_lshl_add_u32 v12, v12, 3, v13
	ds_write_b64 v12, v[4:5]
	s_branch .LBB96_16
.LBB96_25:                              ;   in Loop: Header=BB96_11 Depth=1
	s_mov_b64 s[18:19], -1
	s_mov_b64 s[0:1], 0
.LBB96_26:                              ;   in Loop: Header=BB96_11 Depth=1
	s_and_b64 vcc, exec, s[18:19]
	s_cbranch_vccz .LBB96_36
.LBB96_27:                              ;   in Loop: Header=BB96_11 Depth=1
	s_mov_b64 s[0:1], exec
	v_readlane_b32 s2, v60, 7
	v_readlane_b32 s3, v60, 8
	s_and_b64 s[2:3], s[0:1], s[2:3]
	s_mov_b64 exec, s[2:3]
	s_cbranch_execz .LBB96_33
; %bb.28:                               ;   in Loop: Header=BB96_11 Depth=1
	v_readlane_b32 s2, v60, 9
	v_readlane_b32 s3, v60, 10
	s_nop 4
	global_load_ushort v3, v19, s[2:3]
	global_load_dwordx2 v[4:5], v[20:21], off
	v_mov_b32_e32 v10, v0
	s_waitcnt vmcnt(1)
	v_add_u32_e32 v8, v0, v3
	v_cmp_gt_u32_e32 vcc, s56, v8
	s_and_saveexec_b64 s[2:3], vcc
	s_cbranch_execz .LBB96_32
; %bb.29:                               ;   in Loop: Header=BB96_11 Depth=1
	v_lshlrev_b32_e32 v11, 3, v3
	v_mul_lo_u32 v18, s58, v8
	v_mul_lo_u32 v12, s58, v3
	s_mov_b64 s[18:19], 0
	v_mov_b32_e32 v13, v35
	v_mov_b32_e32 v10, v0
.LBB96_30:                              ;   Parent Loop BB96_11 Depth=1
                                        ; =>  This Inner Loop Header: Depth=2
	v_lshl_add_u64 v[8:9], v[18:19], 3, s[62:63]
	global_load_dwordx2 v[8:9], v[8:9], off
	v_add_u32_e32 v10, v10, v3
	s_waitcnt vmcnt(1)
	ds_write_b64 v13, v[4:5]
	v_add_u32_e32 v4, v3, v10
	v_cmp_le_u32_e32 vcc, s56, v4
	v_add_u32_e32 v13, v13, v11
	v_add_u32_e32 v18, v18, v12
	s_or_b64 s[18:19], vcc, s[18:19]
	s_waitcnt vmcnt(0)
	v_mov_b64_e32 v[4:5], v[8:9]
	s_andn2_b64 exec, exec, s[18:19]
	s_cbranch_execnz .LBB96_30
; %bb.31:                               ;   in Loop: Header=BB96_11 Depth=1
	s_or_b64 exec, exec, s[18:19]
	v_mov_b64_e32 v[4:5], v[8:9]
.LBB96_32:                              ;   in Loop: Header=BB96_11 Depth=1
	s_or_b64 exec, exec, s[2:3]
	v_lshlrev_b32_e32 v3, 3, v10
	s_waitcnt vmcnt(0)
	ds_write_b64 v3, v[4:5]
.LBB96_33:                              ;   in Loop: Header=BB96_11 Depth=1
	s_or_b64 exec, exec, s[0:1]
	s_waitcnt lgkmcnt(0)
	s_barrier
	s_and_saveexec_b64 s[0:1], s[14:15]
; %bb.34:                               ;   in Loop: Header=BB96_11 Depth=1
	ds_write_b32 v19, v49 offset:4104
; %bb.35:                               ;   in Loop: Header=BB96_11 Depth=1
	s_or_b64 exec, exec, s[0:1]
	s_mov_b64 s[0:1], -1
	s_waitcnt lgkmcnt(0)
	s_barrier
.LBB96_36:                              ;   in Loop: Header=BB96_11 Depth=1
	s_mov_b32 s16, 0
	s_and_b64 vcc, exec, s[0:1]
	s_cbranch_vccz .LBB96_38
; %bb.37:                               ;   in Loop: Header=BB96_11 Depth=1
	ds_read_b32 v3, v19 offset:4104
	s_waitcnt lgkmcnt(0)
	v_readfirstlane_b32 s16, v3
.LBB96_38:                              ;   in Loop: Header=BB96_11 Depth=1
	s_cmp_lt_i32 s16, 1
	s_mov_b64 s[0:1], -1
                                        ; implicit-def: $vgpr10_vgpr11
	s_cbranch_scc1 .LBB96_48
; %bb.39:                               ;   in Loop: Header=BB96_11 Depth=1
	s_and_b64 vcc, exec, s[0:1]
	s_cbranch_vccnz .LBB96_59
.LBB96_40:                              ;   in Loop: Header=BB96_11 Depth=1
	s_lshl_b32 s16, s77, 6
	s_and_saveexec_b64 s[0:1], s[4:5]
.LBB96_41:                              ;   in Loop: Header=BB96_11 Depth=1
	v_lshl_add_u32 v3, s16, 2, v37
	ds_write_b128 v3, v[8:11]
.LBB96_42:                              ;   in Loop: Header=BB96_11 Depth=1
	s_or_b64 exec, exec, s[0:1]
	s_waitcnt lgkmcnt(0)
	s_barrier
	s_and_saveexec_b64 s[0:1], s[68:69]
	s_cbranch_execz .LBB96_79
; %bb.43:                               ;   in Loop: Header=BB96_11 Depth=1
	v_add_u32_e32 v3, s16, v34
	s_andn2_b64 vcc, exec, s[72:73]
	v_mov_b32_e32 v4, 0
	s_cbranch_vccnz .LBB96_78
; %bb.44:                               ;   in Loop: Header=BB96_11 Depth=1
	v_readlane_b32 s2, v60, 11
	v_readlane_b32 s3, v60, 12
	s_andn2_b64 vcc, exec, s[2:3]
	s_cbranch_vccnz .LBB96_68
; %bb.45:                               ;   in Loop: Header=BB96_11 Depth=1
	v_readlane_b32 s2, v60, 13
	v_readlane_b32 s3, v60, 14
	s_andn2_b64 vcc, exec, s[2:3]
	v_lshl_add_u32 v8, v3, 2, v46
	s_cbranch_vccnz .LBB96_72
; %bb.46:                               ;   in Loop: Header=BB96_11 Depth=1
	s_mov_b32 s3, 1
	s_mov_b32 s2, 0
	v_mov_b32_e32 v4, 0
	v_mov_b32_e32 v5, 0
	v_readlane_b32 s17, v60, 15
.LBB96_47:                              ;   Parent Loop BB96_11 Depth=1
                                        ; =>  This Inner Loop Header: Depth=2
	v_lshl_add_u32 v9, s2, 4, v8
	v_lshl_add_u32 v18, s3, 4, v8
	ds_read2_b32 v[10:11], v9 offset1:8
	ds_read2_b32 v[12:13], v18 offset1:8
	ds_read2_b32 v[14:15], v9 offset0:16 offset1:24
	ds_read2_b32 v[30:31], v18 offset0:16 offset1:24
	;; [unrolled: 1-line block ×6, first 2 shown]
	s_waitcnt lgkmcnt(7)
	v_add3_u32 v4, v10, v4, v11
	s_waitcnt lgkmcnt(6)
	v_add3_u32 v5, v12, v5, v13
	s_waitcnt lgkmcnt(4)
	v_add3_u32 v5, v30, v5, v31
	v_add3_u32 v4, v14, v4, v15
	s_add_i32 s3, s3, 16
	s_add_i32 s2, s2, 16
	s_add_i32 s17, s17, -8
	s_waitcnt lgkmcnt(3)
	v_add3_u32 v4, v32, v4, v33
	s_waitcnt lgkmcnt(2)
	v_add3_u32 v5, v52, v5, v53
	s_cmp_lg_u32 s17, 0
	s_waitcnt lgkmcnt(0)
	v_add3_u32 v5, v56, v5, v57
	v_add3_u32 v4, v54, v4, v55
	s_cbranch_scc1 .LBB96_47
	s_branch .LBB96_73
.LBB96_48:                              ;   in Loop: Header=BB96_11 Depth=1
	v_mov_b32_e32 v18, v19
	v_mov_b64_e32 v[10:11], v[18:19]
	v_mov_b64_e32 v[8:9], v[18:19]
	s_and_saveexec_b64 s[44:45], s[8:9]
	s_cbranch_execz .LBB96_52
; %bb.49:                               ;   in Loop: Header=BB96_11 Depth=1
	s_mov_b32 s17, 0
	s_mov_b64 s[46:47], 0
	v_mov_b32_e32 v3, v23
	s_mov_b32 s50, 0
	s_mov_b32 s51, s17
	;; [unrolled: 1-line block ×4, first 2 shown]
.LBB96_50:                              ;   Parent Loop BB96_11 Depth=1
                                        ; =>  This Inner Loop Header: Depth=2
	v_add_u32_e32 v18, s17, v42
	v_lshl_add_u64 v[12:13], v[18:19], 3, s[62:63]
	v_add_u32_e32 v18, s17, v39
	global_load_dwordx2 v[12:13], v[12:13], off
	v_lshl_add_u64 v[14:15], v[18:19], 3, s[62:63]
	v_add_u32_e32 v18, s17, v40
	global_load_dwordx2 v[14:15], v[14:15], off
	;; [unrolled: 3-line block ×3, first 2 shown]
	v_lshl_add_u64 v[32:33], v[18:19], 3, s[62:63]
	global_load_dwordx2 v[32:33], v[32:33], off
	v_mov_b32_e32 v11, v19
	v_mov_b32_e32 v9, v19
	;; [unrolled: 1-line block ×3, first 2 shown]
	v_add_u32_e32 v3, s33, v3
	v_cmp_le_u32_e32 vcc, s83, v3
	s_add_i32 s17, s17, s74
	s_waitcnt vmcnt(3)
	v_xor_b32_e32 v13, 0x80000000, v13
	v_and_b32_e32 v52, v12, v28
	v_and_b32_e32 v53, v13, v29
	v_lshrrev_b64 v[12:13], s76, v[12:13]
	s_waitcnt vmcnt(2)
	v_xor_b32_e32 v15, 0x80000000, v15
	v_and_b32_e32 v18, 3, v12
	v_cmp_eq_u64_e64 s[0:1], v[52:53], v[26:27]
	v_lshrrev_b64 v[12:13], s76, v[14:15]
	v_cmp_eq_u64_e64 s[18:19], 0, v[18:19]
	s_waitcnt vmcnt(1)
	v_xor_b32_e32 v31, 0x80000000, v31
	v_and_b32_e32 v10, 3, v12
	v_cmp_eq_u64_e64 s[20:21], 1, v[18:19]
	s_and_b64 s[18:19], s[0:1], s[18:19]
	v_and_b32_e32 v54, v14, v28
	v_and_b32_e32 v55, v15, v29
	s_waitcnt vmcnt(0)
	v_xor_b32_e32 v33, 0x80000000, v33
	v_lshrrev_b64 v[12:13], s76, v[30:31]
	v_cmp_eq_u64_e64 s[22:23], 2, v[18:19]
	v_cmp_eq_u64_e64 s[28:29], 0, v[10:11]
	;; [unrolled: 1-line block ×5, first 2 shown]
	v_cndmask_b32_e64 v10, 0, 1, s[18:19]
	s_and_b64 s[18:19], s[0:1], s[20:21]
	v_and_b32_e32 v52, v30, v28
	v_cmp_eq_u64_e64 s[2:3], v[54:55], v[26:27]
	v_and_b32_e32 v53, v31, v29
	v_cmp_eq_u64_e64 s[24:25], 3, v[18:19]
	v_and_b32_e32 v8, 3, v12
	v_lshrrev_b64 v[12:13], s76, v[32:33]
	v_cndmask_b32_e64 v11, 0, 1, s[18:19]
	s_and_b64 s[18:19], s[0:1], s[22:23]
	v_cmp_eq_u64_e64 s[26:27], v[52:53], v[26:27]
	v_cndmask_b32_e64 v13, 0, 1, s[18:19]
	s_and_b64 s[0:1], s[0:1], s[24:25]
	v_cmp_eq_u64_e64 s[18:19], 0, v[8:9]
	v_cmp_eq_u64_e64 s[20:21], 1, v[8:9]
	s_and_b64 s[30:31], s[2:3], s[30:31]
	s_and_b64 s[34:35], s[2:3], s[34:35]
	v_and_b32_e32 v14, v32, v28
	v_and_b32_e32 v15, v33, v29
	v_cndmask_b32_e64 v18, 0, 1, s[0:1]
	v_and_b32_e32 v4, 3, v12
	v_cmp_eq_u64_e64 s[22:23], 2, v[8:9]
	v_cmp_eq_u64_e64 s[24:25], 3, v[8:9]
	v_cmp_ne_u32_e64 s[38:39], 0, v10
	s_and_b64 s[28:29], s[2:3], s[28:29]
	v_cndmask_b32_e64 v9, 0, 1, s[30:31]
	v_cndmask_b32_e64 v10, 0, 1, s[34:35]
	s_and_b64 s[2:3], s[2:3], s[36:37]
	s_and_b64 s[18:19], s[26:27], s[18:19]
	;; [unrolled: 1-line block ×3, first 2 shown]
	v_cmp_eq_u64_e64 s[0:1], v[14:15], v[26:27]
	v_cndmask_b32_e64 v8, 0, 1, s[28:29]
	v_cmp_ne_u32_e64 s[28:29], 0, v11
	v_cmp_ne_u32_e64 s[30:31], 0, v13
	;; [unrolled: 1-line block ×3, first 2 shown]
	v_cndmask_b32_e64 v11, 0, 1, s[2:3]
	v_cmp_eq_u64_e64 s[2:3], 0, v[4:5]
	v_cmp_eq_u64_e64 s[36:37], 1, v[4:5]
	;; [unrolled: 1-line block ×4, first 2 shown]
	v_cndmask_b32_e64 v4, 0, 1, s[18:19]
	v_cmp_ne_u32_e64 s[18:19], 0, v9
	v_cndmask_b32_e64 v5, 0, 1, s[20:21]
	v_cmp_ne_u32_e64 s[20:21], 0, v10
	s_and_b64 s[22:23], s[26:27], s[22:23]
	s_and_b64 s[24:25], s[26:27], s[24:25]
	s_bcnt1_i32_b64 s52, s[38:39]
	v_cmp_ne_u32_e64 s[38:39], 0, v8
	s_bcnt1_i32_b64 s28, s[28:29]
	s_bcnt1_i32_b64 s29, s[30:31]
	v_cndmask_b32_e64 v8, 0, 1, s[22:23]
	s_bcnt1_i32_b64 s30, s[34:35]
	v_cmp_ne_u32_e64 s[22:23], 0, v11
	v_cndmask_b32_e64 v9, 0, 1, s[24:25]
	s_and_b64 s[2:3], s[0:1], s[2:3]
	s_bcnt1_i32_b64 s27, s[18:19]
	s_and_b64 s[18:19], s[0:1], s[36:37]
	s_bcnt1_i32_b64 s34, s[20:21]
	s_and_b64 s[20:21], s[0:1], s[40:41]
	s_and_b64 s[0:1], s[0:1], s[42:43]
	s_bcnt1_i32_b64 s26, s[38:39]
	v_cmp_ne_u32_e64 s[24:25], 0, v4
	v_cndmask_b32_e64 v4, 0, 1, s[2:3]
	v_cmp_ne_u32_e64 s[2:3], 0, v5
	v_cndmask_b32_e64 v5, 0, 1, s[18:19]
	s_add_i32 s31, s50, s52
	s_add_i32 s28, s51, s28
	v_cmp_ne_u32_e64 s[18:19], 0, v8
	v_cndmask_b32_e64 v8, 0, 1, s[20:21]
	s_bcnt1_i32_b64 s22, s[22:23]
	v_cmp_ne_u32_e64 s[20:21], 0, v9
	v_cndmask_b32_e64 v9, 0, 1, s[0:1]
	s_add_i32 s23, s48, s29
	s_add_i32 s29, s49, s30
	s_bcnt1_i32_b64 s24, s[24:25]
	v_cmp_ne_u32_e64 s[0:1], 0, v4
	s_bcnt1_i32_b64 s25, s[2:3]
	v_cmp_ne_u32_e64 s[2:3], 0, v5
	s_add_i32 s27, s28, s27
	s_add_i32 s26, s31, s26
	s_bcnt1_i32_b64 s28, s[18:19]
	v_cmp_ne_u32_e64 s[18:19], 0, v8
	s_bcnt1_i32_b64 s30, s[20:21]
	v_cmp_ne_u32_e64 s[20:21], 0, v9
	s_add_i32 s22, s29, s22
	s_add_i32 s23, s23, s34
	s_bcnt1_i32_b64 s0, s[0:1]
	s_bcnt1_i32_b64 s1, s[2:3]
	s_add_i32 s2, s26, s24
	s_add_i32 s3, s27, s25
	s_bcnt1_i32_b64 s18, s[18:19]
	s_bcnt1_i32_b64 s19, s[20:21]
	s_add_i32 s20, s23, s28
	s_add_i32 s21, s22, s30
	;; [unrolled: 1-line block ×6, first 2 shown]
	s_or_b64 s[46:47], vcc, s[46:47]
	v_mov_b64_e32 v[8:9], s[50:51]
	v_mov_b64_e32 v[10:11], s[48:49]
	s_andn2_b64 exec, exec, s[46:47]
	s_cbranch_execnz .LBB96_50
; %bb.51:                               ;   in Loop: Header=BB96_11 Depth=1
	s_or_b64 exec, exec, s[46:47]
.LBB96_52:                              ;   in Loop: Header=BB96_11 Depth=1
	s_or_b64 exec, exec, s[44:45]
	s_and_saveexec_b64 s[2:3], s[10:11]
	s_cbranch_execz .LBB96_58
; %bb.53:                               ;   in Loop: Header=BB96_11 Depth=1
	global_load_dwordx2 v[14:15], v[24:25], off
	s_mov_b64 s[18:19], 0
	v_mov_b32_e32 v4, v43
	v_mov_b32_e32 v3, v38
	s_branch .LBB96_55
.LBB96_54:                              ;   in Loop: Header=BB96_55 Depth=2
	s_or_b64 exec, exec, s[20:21]
	s_waitcnt vmcnt(0)
	v_xor_b32_e32 v15, 0x80000000, v15
	v_and_b32_e32 v31, v15, v29
	v_and_b32_e32 v30, v14, v28
	v_lshrrev_b64 v[14:15], s76, v[14:15]
	s_and_b64 s[0:1], exec, vcc
	v_and_b32_e32 v18, 3, v14
	s_or_b64 s[18:19], s[0:1], s[18:19]
	v_cmp_eq_u64_e32 vcc, v[30:31], v[26:27]
	v_cmp_eq_u64_e64 s[0:1], 0, v[18:19]
	s_and_b64 s[0:1], vcc, s[0:1]
	v_add_u32_e32 v4, s57, v4
	v_cndmask_b32_e64 v5, 0, 1, s[0:1]
	v_cmp_ne_u32_e64 s[0:1], 0, v5
	s_bcnt1_i32_b64 s17, s[0:1]
	v_cmp_eq_u64_e64 s[0:1], 1, v[18:19]
	s_and_b64 s[0:1], vcc, s[0:1]
	v_add_u32_e32 v8, s17, v8
	v_cndmask_b32_e64 v5, 0, 1, s[0:1]
	v_cmp_ne_u32_e64 s[0:1], 0, v5
	s_bcnt1_i32_b64 s0, s[0:1]
	v_mov_b64_e32 v[14:15], v[12:13]
	v_add_u32_e32 v9, s0, v9
	v_cmp_eq_u64_e64 s[0:1], 2, v[18:19]
	s_and_b64 s[0:1], vcc, s[0:1]
	s_nop 0
	v_cndmask_b32_e64 v5, 0, 1, s[0:1]
	v_cmp_ne_u32_e64 s[0:1], 0, v5
	s_bcnt1_i32_b64 s17, s[0:1]
	v_cmp_eq_u64_e64 s[0:1], 3, v[18:19]
	s_and_b64 s[0:1], vcc, s[0:1]
	v_add_u32_e32 v10, s17, v10
	v_cndmask_b32_e64 v5, 0, 1, s[0:1]
	v_cmp_ne_u32_e32 vcc, 0, v5
	s_bcnt1_i32_b64 s0, vcc
	v_add_u32_e32 v11, s0, v11
	s_andn2_b64 exec, exec, s[18:19]
	s_cbranch_execz .LBB96_57
.LBB96_55:                              ;   Parent Loop BB96_11 Depth=1
                                        ; =>  This Inner Loop Header: Depth=2
	v_add_u32_e32 v3, s59, v3
	v_cmp_gt_u32_e64 s[0:1], s56, v3
	v_cmp_le_u32_e32 vcc, s56, v3
	v_mov_b64_e32 v[12:13], 0
	s_and_saveexec_b64 s[20:21], s[0:1]
	s_cbranch_execz .LBB96_54
; %bb.56:                               ;   in Loop: Header=BB96_55 Depth=2
	v_mov_b32_e32 v5, v19
	v_lshl_add_u64 v[12:13], v[4:5], 3, s[62:63]
	global_load_dwordx2 v[12:13], v[12:13], off
	s_branch .LBB96_54
.LBB96_57:                              ;   in Loop: Header=BB96_11 Depth=1
	s_or_b64 exec, exec, s[18:19]
.LBB96_58:                              ;   in Loop: Header=BB96_11 Depth=1
	s_or_b64 exec, exec, s[2:3]
	s_branch .LBB96_40
.LBB96_59:                              ;   in Loop: Header=BB96_11 Depth=1
	s_mul_hi_u32 s0, s16, s82
	s_mul_i32 s0, s0, s33
	s_sub_i32 s0, s16, s0
	s_sub_i32 s1, s0, s33
	s_cmp_ge_u32 s0, s33
	s_cselect_b32 s0, s1, s0
	s_sub_i32 s1, s0, s33
	s_cmp_ge_u32 s0, s33
	s_cselect_b32 s0, s1, s0
	s_sub_i32 s17, s16, s0
	v_mov_b32_e32 v18, v19
	v_cmp_gt_u32_e32 vcc, s17, v23
	v_mov_b64_e32 v[10:11], v[18:19]
	v_mov_b64_e32 v[8:9], v[18:19]
	s_and_saveexec_b64 s[98:99], vcc
	s_cbranch_execz .LBB96_63
; %bb.60:                               ;   in Loop: Header=BB96_11 Depth=1
	s_mov_b32 s66, 0
	s_mov_b64 s[60:61], 0
	v_mov_b32_e32 v3, v44
	v_mov_b32_e32 v48, v23
	s_mov_b32 s67, s66
	s_mov_b32 s64, s66
	;; [unrolled: 1-line block ×3, first 2 shown]
.LBB96_61:                              ;   Parent Loop BB96_11 Depth=1
                                        ; =>  This Inner Loop Header: Depth=2
	ds_read_b128 v[12:15], v3
	ds_read_b128 v[8:11], v3 offset:16
	v_mov_b32_e32 v5, v19
	v_mov_b32_e32 v31, v19
	;; [unrolled: 1-line block ×3, first 2 shown]
	s_waitcnt lgkmcnt(1)
	v_xor_b32_e32 v13, 0x80000000, v13
	v_xor_b32_e32 v15, 0x80000000, v15
	v_and_b32_e32 v52, v12, v28
	v_and_b32_e32 v53, v13, v29
	v_lshrrev_b64 v[12:13], s76, v[12:13]
	s_waitcnt lgkmcnt(0)
	v_xor_b32_e32 v9, 0x80000000, v9
	v_and_b32_e32 v54, v14, v28
	v_and_b32_e32 v55, v15, v29
	v_lshrrev_b64 v[14:15], s76, v[14:15]
	v_and_b32_e32 v18, 3, v12
	v_xor_b32_e32 v11, 0x80000000, v11
	v_and_b32_e32 v56, v8, v28
	v_and_b32_e32 v57, v9, v29
	v_lshrrev_b64 v[8:9], s76, v[8:9]
	v_cmp_eq_u64_e64 s[0:1], v[52:53], v[26:27]
	v_and_b32_e32 v4, 3, v14
	v_cmp_eq_u64_e64 s[22:23], 0, v[18:19]
	v_and_b32_e32 v58, v10, v28
	v_and_b32_e32 v59, v11, v29
	v_lshrrev_b64 v[10:11], s76, v[10:11]
	v_cmp_eq_u64_e64 s[2:3], v[54:55], v[26:27]
	v_and_b32_e32 v30, 3, v8
	v_cmp_eq_u64_e64 s[24:25], 0, v[4:5]
	s_and_b64 s[22:23], s[0:1], s[22:23]
	v_cmp_eq_u64_e64 s[18:19], v[56:57], v[26:27]
	v_and_b32_e32 v32, 3, v10
	v_cmp_eq_u64_e64 s[26:27], 0, v[30:31]
	v_cmp_eq_u64_e64 s[34:35], 1, v[4:5]
	;; [unrolled: 1-line block ×4, first 2 shown]
	v_cndmask_b32_e64 v4, 0, 1, s[22:23]
	s_and_b64 s[22:23], s[2:3], s[24:25]
	v_cmp_eq_u64_e64 s[20:21], v[58:59], v[26:27]
	v_cmp_eq_u64_e64 s[28:29], 0, v[32:33]
	v_cndmask_b32_e64 v5, 0, 1, s[22:23]
	s_and_b64 s[22:23], s[18:19], s[26:27]
	v_cmp_eq_u64_e64 s[30:31], 1, v[18:19]
	v_cndmask_b32_e64 v8, 0, 1, s[22:23]
	s_and_b64 s[22:23], s[20:21], s[28:29]
	v_cndmask_b32_e64 v9, 0, 1, s[22:23]
	s_and_b64 s[22:23], s[0:1], s[30:31]
	v_cmp_eq_u64_e64 s[36:37], 1, v[30:31]
	v_cndmask_b32_e64 v10, 0, 1, s[22:23]
	s_and_b64 s[22:23], s[2:3], s[34:35]
	v_cmp_eq_u64_e64 s[38:39], 1, v[32:33]
	;; [unrolled: 3-line block ×3, first 2 shown]
	v_cmp_eq_u64_e64 s[48:49], 3, v[18:19]
	v_cndmask_b32_e64 v12, 0, 1, s[22:23]
	s_and_b64 s[22:23], s[20:21], s[38:39]
	v_cndmask_b32_e64 v13, 0, 1, s[22:23]
	s_and_b64 s[22:23], s[0:1], s[40:41]
	s_and_b64 s[0:1], s[0:1], s[48:49]
	v_cmp_eq_u64_e64 s[44:45], 2, v[30:31]
	v_cmp_eq_u64_e64 s[52:53], 3, v[30:31]
	v_cndmask_b32_e64 v14, 0, 1, s[22:23]
	s_and_b64 s[22:23], s[2:3], s[42:43]
	v_cndmask_b32_e64 v31, 0, 1, s[0:1]
	s_and_b64 s[0:1], s[2:3], s[50:51]
	v_cmp_eq_u64_e64 s[46:47], 2, v[32:33]
	v_cmp_eq_u64_e64 s[54:55], 3, v[32:33]
	v_cndmask_b32_e64 v15, 0, 1, s[22:23]
	s_and_b64 s[22:23], s[18:19], s[44:45]
	v_cndmask_b32_e64 v32, 0, 1, s[0:1]
	s_and_b64 s[0:1], s[18:19], s[52:53]
	;; [unrolled: 2-line block ×4, first 2 shown]
	v_cndmask_b32_e64 v30, 0, 1, s[22:23]
	v_cndmask_b32_e64 v52, 0, 1, s[0:1]
	v_cmp_ne_u32_e64 s[0:1], 0, v4
	v_cmp_ne_u32_e64 s[2:3], 0, v5
	;; [unrolled: 1-line block ×11, first 2 shown]
	s_bcnt1_i32_b64 s0, s[0:1]
	s_bcnt1_i32_b64 s1, s[2:3]
	;; [unrolled: 1-line block ×8, first 2 shown]
	v_cmp_ne_u32_e64 s[28:29], 0, v13
	v_cmp_ne_u32_e64 s[36:37], 0, v18
	;; [unrolled: 1-line block ×3, first 2 shown]
	s_bcnt1_i32_b64 s19, s[24:25]
	s_bcnt1_i32_b64 s23, s[34:35]
	;; [unrolled: 1-line block ×3, first 2 shown]
	s_add_i32 s0, s66, s0
	s_add_i32 s18, s67, s18
	;; [unrolled: 1-line block ×4, first 2 shown]
	v_cmp_ne_u32_e64 s[38:39], 0, v30
	v_cmp_ne_u32_e64 s[46:47], 0, v52
	s_bcnt1_i32_b64 s21, s[28:29]
	s_bcnt1_i32_b64 s24, s[36:37]
	;; [unrolled: 1-line block ×3, first 2 shown]
	s_add_i32 s18, s18, s19
	s_add_i32 s0, s0, s1
	s_add_i32 s1, s26, s27
	s_add_i32 s19, s22, s23
	v_add_u32_e32 v48, s33, v48
	s_bcnt1_i32_b64 s25, s[38:39]
	s_bcnt1_i32_b64 s29, s[46:47]
	s_add_i32 s0, s0, s2
	s_add_i32 s2, s18, s20
	s_add_i32 s18, s19, s24
	s_add_i32 s1, s1, s28
	v_cmp_le_u32_e32 vcc, s17, v48
	s_add_i32 s67, s2, s21
	s_add_i32 s66, s0, s3
	;; [unrolled: 1-line block ×4, first 2 shown]
	v_add_u32_e32 v3, s75, v3
	s_or_b64 s[60:61], vcc, s[60:61]
	v_mov_b64_e32 v[8:9], s[66:67]
	v_mov_b64_e32 v[10:11], s[64:65]
	s_andn2_b64 exec, exec, s[60:61]
	s_cbranch_execnz .LBB96_61
; %bb.62:                               ;   in Loop: Header=BB96_11 Depth=1
	s_or_b64 exec, exec, s[60:61]
.LBB96_63:                              ;   in Loop: Header=BB96_11 Depth=1
	s_or_b64 exec, exec, s[98:99]
	v_add_u32_e32 v3, s17, v0
	v_cmp_gt_u32_e32 vcc, s16, v3
	s_and_saveexec_b64 s[24:25], vcc
	s_cbranch_execz .LBB96_67
; %bb.64:                               ;   in Loop: Header=BB96_11 Depth=1
	v_lshlrev_b32_e32 v4, 3, v3
	s_mov_b64 s[26:27], 0
.LBB96_65:                              ;   Parent Loop BB96_11 Depth=1
                                        ; =>  This Inner Loop Header: Depth=2
	ds_read_b64 v[12:13], v4
	v_add_u32_e32 v3, s59, v3
	v_cmp_le_u32_e32 vcc, s16, v3
	v_add_u32_e32 v4, s79, v4
	s_waitcnt lgkmcnt(0)
	v_xor_b32_e32 v13, 0x80000000, v13
	v_and_b32_e32 v14, v12, v28
	v_and_b32_e32 v15, v13, v29
	v_lshrrev_b64 v[12:13], s76, v[12:13]
	v_and_b32_e32 v18, 3, v12
	v_cmp_eq_u64_e64 s[0:1], v[14:15], v[26:27]
	v_cmp_eq_u64_e64 s[2:3], 0, v[18:19]
	;; [unrolled: 1-line block ×3, first 2 shown]
	s_and_b64 s[2:3], s[0:1], s[2:3]
	v_cmp_eq_u64_e64 s[20:21], 2, v[18:19]
	v_cmp_eq_u64_e64 s[22:23], 3, v[18:19]
	v_cndmask_b32_e64 v5, 0, 1, s[2:3]
	s_and_b64 s[2:3], s[0:1], s[18:19]
	v_cndmask_b32_e64 v12, 0, 1, s[2:3]
	s_and_b64 s[2:3], s[0:1], s[20:21]
	s_and_b64 s[0:1], s[0:1], s[22:23]
	v_cndmask_b32_e64 v13, 0, 1, s[2:3]
	v_cndmask_b32_e64 v14, 0, 1, s[0:1]
	v_cmp_ne_u32_e64 s[0:1], 0, v5
	v_cmp_ne_u32_e64 s[2:3], 0, v12
	;; [unrolled: 1-line block ×4, first 2 shown]
	s_bcnt1_i32_b64 s0, s[0:1]
	s_bcnt1_i32_b64 s1, s[2:3]
	;; [unrolled: 1-line block ×4, first 2 shown]
	v_add_u32_e32 v9, s1, v9
	v_add_u32_e32 v8, s0, v8
	;; [unrolled: 1-line block ×3, first 2 shown]
	s_or_b64 s[26:27], vcc, s[26:27]
	v_add_u32_e32 v10, s2, v10
	s_andn2_b64 exec, exec, s[26:27]
	s_cbranch_execnz .LBB96_65
; %bb.66:                               ;   in Loop: Header=BB96_11 Depth=1
	s_or_b64 exec, exec, s[26:27]
.LBB96_67:                              ;   in Loop: Header=BB96_11 Depth=1
	s_or_b64 exec, exec, s[24:25]
	s_lshl_b32 s16, s77, 6
	s_and_saveexec_b64 s[0:1], s[4:5]
	s_cbranch_execnz .LBB96_41
	s_branch .LBB96_42
.LBB96_68:                              ;   in Loop: Header=BB96_11 Depth=1
	v_mov_b32_e32 v4, 0
	s_mov_b32 s17, 0
	s_cbranch_execnz .LBB96_76
	s_branch .LBB96_78
.LBB96_69:                              ;   in Loop: Header=BB96_11 Depth=1
	s_or_b64 exec, exec, s[20:21]
	s_waitcnt lgkmcnt(0)
	s_barrier
	s_and_saveexec_b64 s[0:1], s[14:15]
	s_cbranch_execz .LBB96_71
; %bb.70:                               ;   in Loop: Header=BB96_11 Depth=1
	ds_read_b32 v3, v19 offset:4112
	s_waitcnt lgkmcnt(0)
	ds_write_b32 v19, v3 offset:4104
.LBB96_71:                              ;   in Loop: Header=BB96_11 Depth=1
	s_or_b64 exec, exec, s[0:1]
	s_waitcnt lgkmcnt(0)
	s_barrier
	s_mov_b64 s[0:1], -1
	s_and_b64 vcc, exec, s[18:19]
	s_cbranch_vccnz .LBB96_27
	s_branch .LBB96_36
.LBB96_72:                              ;   in Loop: Header=BB96_11 Depth=1
	v_mov_b32_e32 v18, v19
	s_mov_b32 s2, 0
	v_mov_b64_e32 v[4:5], v[18:19]
	s_mov_b32 s3, 1
.LBB96_73:                              ;   in Loop: Header=BB96_11 Depth=1
	v_readlane_b32 s18, v60, 17
	v_readlane_b32 s19, v60, 18
	s_andn2_b64 vcc, exec, s[18:19]
	v_readlane_b32 s17, v60, 16
	s_cbranch_vccnz .LBB96_75
.LBB96_74:                              ;   Parent Loop BB96_11 Depth=1
                                        ; =>  This Inner Loop Header: Depth=2
	v_lshl_add_u32 v9, s2, 4, v8
	v_lshl_add_u32 v10, s3, 4, v8
	ds_read_b32 v10, v10
	ds_read_b32 v9, v9
	s_add_i32 s3, s3, 2
	s_add_i32 s2, s2, 2
	s_add_i32 s17, s17, -1
	s_cmp_lg_u32 s17, 0
	s_waitcnt lgkmcnt(1)
	v_add_u32_e32 v5, v10, v5
	s_waitcnt lgkmcnt(0)
	v_add_u32_e32 v4, v9, v4
	s_cbranch_scc1 .LBB96_74
.LBB96_75:                              ;   in Loop: Header=BB96_11 Depth=1
	v_readlane_b32 s2, v60, 21
	v_add_u32_e32 v4, v4, v5
	v_readlane_b32 s17, v60, 20
	v_readlane_b32 s3, v60, 22
	s_and_b64 vcc, exec, s[2:3]
	s_cbranch_vccz .LBB96_78
.LBB96_76:                              ;   in Loop: Header=BB96_11 Depth=1
	s_lshl_b32 s2, s77, 8
	s_lshl_b32 s3, s17, 4
	s_add_i32 s2, s2, s3
	v_add_u32_e32 v5, s2, v45
	v_readlane_b32 s2, v60, 19
	s_sub_i32 s2, s2, s17
.LBB96_77:                              ;   Parent Loop BB96_11 Depth=1
                                        ; =>  This Inner Loop Header: Depth=2
	ds_read_b32 v8, v5
	s_add_i32 s2, s2, -1
	v_add_u32_e32 v5, 16, v5
	s_cmp_eq_u32 s2, 0
	s_waitcnt lgkmcnt(0)
	v_add_u32_e32 v4, v8, v4
	s_cbranch_scc0 .LBB96_77
.LBB96_78:                              ;   in Loop: Header=BB96_11 Depth=1
	v_lshlrev_b32_e32 v3, 2, v3
	ds_write_b32 v3, v4 offset:3072
.LBB96_79:                              ;   in Loop: Header=BB96_11 Depth=1
	s_or_b64 exec, exec, s[0:1]
	s_lshl_b32 s0, s16, 2
	v_mov_b32_e32 v3, s0
	s_waitcnt lgkmcnt(0)
	s_barrier
	ds_read_b128 v[8:11], v3 offset:3072
	s_lshl_b64 s[0:1], 3, s76
	s_not_b64 s[26:27], s[0:1]
	v_cmp_eq_u32_e32 vcc, 1, v47
	s_mov_b64 s[18:19], -1
	s_waitcnt lgkmcnt(0)
	v_readfirstlane_b32 s17, v8
	s_cmp_eq_u32 s17, 1
	s_cselect_b64 s[2:3], -1, 0
	v_readfirstlane_b32 s16, v9
	v_readfirstlane_b32 s54, v10
	;; [unrolled: 1-line block ×3, first 2 shown]
	s_and_b64 s[20:21], s[2:3], vcc
	s_mov_b64 s[28:29], -1
                                        ; implicit-def: $sgpr24_sgpr25
                                        ; implicit-def: $sgpr22_sgpr23
	s_and_saveexec_b64 s[2:3], s[20:21]
	s_cbranch_execz .LBB96_105
; %bb.80:                               ;   in Loop: Header=BB96_11 Depth=1
	ds_read_b32 v3, v19 offset:4104
	s_waitcnt lgkmcnt(0)
	s_barrier
	v_readfirstlane_b32 s42, v3
	s_and_saveexec_b64 s[22:23], s[6:7]
; %bb.81:                               ;   in Loop: Header=BB96_11 Depth=1
	ds_write_b64 v36, v[50:51]
; %bb.82:                               ;   in Loop: Header=BB96_11 Depth=1
	s_or_b64 exec, exec, s[22:23]
	v_and_b32_e32 v27, s27, v27
	v_and_b32_e32 v26, s26, v26
	v_or_b32_e32 v29, s1, v29
	v_or_b32_e32 v28, s0, v28
	s_mov_b64 s[22:23], -1
	s_mov_b64 s[24:25], 0
	s_cmp_eq_u32 s42, 0
	s_mov_b64 s[28:29], 0
	s_mov_b64 s[30:31], -1
	s_waitcnt lgkmcnt(0)
	s_barrier
                                        ; implicit-def: $vgpr6_vgpr7
	s_cbranch_scc1 .LBB96_93
; %bb.83:                               ;   in Loop: Header=BB96_11 Depth=1
	s_add_i32 s28, s42, s78
	s_mul_hi_u32 s29, s28, s80
	s_mul_i32 s29, s29, s59
	s_sub_i32 s29, s28, s29
	s_sub_i32 s30, s29, s59
	s_cmp_ge_u32 s29, s59
	s_cselect_b32 s29, s30, s29
	s_sub_i32 s30, s29, s59
	s_cmp_ge_u32 s29, s59
	s_cselect_b32 s29, s30, s29
	s_sub_i32 s43, s28, s29
	v_cmp_gt_u32_e32 vcc, s43, v0
	s_mov_b64 s[30:31], 0
	s_mov_b64 s[28:29], 0
                                        ; implicit-def: $vgpr6_vgpr7
	s_and_saveexec_b64 s[34:35], vcc
	s_cbranch_execz .LBB96_92
; %bb.84:                               ;   in Loop: Header=BB96_11 Depth=1
	v_mov_b32_e32 v8, v35
	v_mov_b32_e32 v9, v0
                                        ; implicit-def: $sgpr36_sgpr37
	s_branch .LBB96_87
.LBB96_85:                              ;   in Loop: Header=BB96_87 Depth=2
	s_or_b64 exec, exec, s[38:39]
	s_waitcnt lgkmcnt(0)
	s_barrier
	ds_read_b128 v[4:7], v19 offset:3072
	s_mov_b64 s[38:39], -1
	s_mov_b64 s[40:41], -1
	s_waitcnt lgkmcnt(0)
	s_barrier
	v_cmp_ne_u64_e32 vcc, 0, v[4:5]
	s_cbranch_vccz .LBB96_90
.LBB96_86:                              ;   in Loop: Header=BB96_87 Depth=2
	s_and_b64 s[38:39], exec, s[38:39]
	s_or_b64 s[28:29], s[38:39], s[28:29]
	s_andn2_b64 s[36:37], s[36:37], exec
	s_and_b64 s[38:39], s[40:41], exec
	s_or_b64 s[36:37], s[36:37], s[38:39]
	s_andn2_b64 exec, exec, s[28:29]
	s_cbranch_execz .LBB96_91
.LBB96_87:                              ;   Parent Loop BB96_11 Depth=1
                                        ; =>  This Inner Loop Header: Depth=2
	v_cmp_gt_u32_e32 vcc, s42, v9
	s_and_saveexec_b64 s[38:39], vcc
	s_cbranch_execz .LBB96_85
; %bb.88:                               ;   in Loop: Header=BB96_87 Depth=2
	ds_read_b64 v[4:5], v8
	s_waitcnt lgkmcnt(0)
	v_xor_b32_e32 v3, 0x80000000, v5
	v_and_b32_e32 v7, v3, v29
	v_and_b32_e32 v6, v4, v28
	v_cmp_eq_u64_e32 vcc, v[6:7], v[26:27]
	s_and_b64 exec, exec, vcc
	s_cbranch_execz .LBB96_85
; %bb.89:                               ;   in Loop: Header=BB96_87 Depth=2
	v_mov_b32_e32 v3, v19
	ds_write_b128 v19, v[2:5] offset:3072
	s_branch .LBB96_85
.LBB96_90:                              ;   in Loop: Header=BB96_87 Depth=2
	v_add_u32_e32 v9, s59, v9
	v_cmp_le_u32_e32 vcc, s43, v9
	v_add_u32_e32 v8, s79, v8
	s_mov_b64 s[40:41], 0
	s_orn2_b64 s[38:39], vcc, exec
	s_branch .LBB96_86
.LBB96_91:                              ;   in Loop: Header=BB96_11 Depth=1
	s_or_b64 exec, exec, s[28:29]
	s_and_b64 s[28:29], s[36:37], exec
.LBB96_92:                              ;   in Loop: Header=BB96_11 Depth=1
	s_or_b64 exec, exec, s[34:35]
.LBB96_93:                              ;   in Loop: Header=BB96_11 Depth=1
	s_and_b64 vcc, exec, s[30:31]
	s_cbranch_vccz .LBB96_104
; %bb.94:                               ;   in Loop: Header=BB96_11 Depth=1
                                        ; implicit-def: $vgpr6_vgpr7
	s_and_saveexec_b64 s[22:23], s[12:13]
	s_cbranch_execz .LBB96_103
; %bb.95:                               ;   in Loop: Header=BB96_11 Depth=1
	s_mov_b64 s[30:31], 0
	v_mov_b32_e32 v18, v16
	v_mov_b32_e32 v8, v0
                                        ; implicit-def: $sgpr24_sgpr25
	s_branch .LBB96_98
.LBB96_96:                              ;   in Loop: Header=BB96_98 Depth=2
	s_or_b64 exec, exec, s[34:35]
	s_waitcnt lgkmcnt(0)
	s_barrier
	ds_read_b128 v[4:7], v19 offset:3072
	s_mov_b64 s[34:35], -1
	s_mov_b64 s[36:37], -1
	s_waitcnt lgkmcnt(0)
	s_barrier
	v_cmp_ne_u64_e32 vcc, 0, v[4:5]
	s_cbranch_vccz .LBB96_101
.LBB96_97:                              ;   in Loop: Header=BB96_98 Depth=2
	s_and_b64 s[34:35], exec, s[34:35]
	s_or_b64 s[30:31], s[34:35], s[30:31]
	s_andn2_b64 s[24:25], s[24:25], exec
	s_and_b64 s[34:35], s[36:37], exec
	s_or_b64 s[24:25], s[24:25], s[34:35]
	s_andn2_b64 exec, exec, s[30:31]
	s_cbranch_execz .LBB96_102
.LBB96_98:                              ;   Parent Loop BB96_11 Depth=1
                                        ; =>  This Inner Loop Header: Depth=2
	v_cmp_gt_u32_e32 vcc, s56, v8
	s_and_saveexec_b64 s[34:35], vcc
	s_cbranch_execz .LBB96_96
; %bb.99:                               ;   in Loop: Header=BB96_98 Depth=2
	v_lshl_add_u64 v[4:5], v[18:19], 3, s[62:63]
	global_load_dwordx2 v[4:5], v[4:5], off
	s_waitcnt vmcnt(0)
	v_xor_b32_e32 v3, 0x80000000, v5
	v_and_b32_e32 v7, v3, v29
	v_and_b32_e32 v6, v4, v28
	v_cmp_eq_u64_e32 vcc, v[6:7], v[26:27]
	s_and_b64 exec, exec, vcc
	s_cbranch_execz .LBB96_96
; %bb.100:                              ;   in Loop: Header=BB96_98 Depth=2
	v_mov_b32_e32 v3, v19
	ds_write_b128 v19, v[2:5] offset:3072
	s_branch .LBB96_96
.LBB96_101:                             ;   in Loop: Header=BB96_98 Depth=2
	v_add_u32_e32 v8, s59, v8
	v_cmp_le_u32_e32 vcc, s81, v8
	v_add_u32_e32 v18, s57, v18
	s_mov_b64 s[36:37], 0
	s_orn2_b64 s[34:35], vcc, exec
	s_branch .LBB96_97
.LBB96_102:                             ;   in Loop: Header=BB96_11 Depth=1
	s_or_b64 exec, exec, s[30:31]
	s_andn2_b64 s[28:29], s[28:29], exec
	s_and_b64 s[24:25], s[24:25], exec
	s_or_b64 s[28:29], s[28:29], s[24:25]
.LBB96_103:                             ;   in Loop: Header=BB96_11 Depth=1
	s_or_b64 exec, exec, s[22:23]
	s_mov_b64 s[22:23], 0
	s_mov_b64 s[24:25], -1
.LBB96_104:                             ;   in Loop: Header=BB96_11 Depth=1
	s_orn2_b64 s[28:29], s[28:29], exec
.LBB96_105:                             ;   in Loop: Header=BB96_11 Depth=1
	s_or_b64 exec, exec, s[2:3]
	s_andn2_b64 s[2:3], s[96:97], exec
	s_and_b64 s[24:25], s[24:25], exec
	s_or_b64 s[96:97], s[2:3], s[24:25]
	s_andn2_b64 s[2:3], s[94:95], exec
	s_and_b64 s[22:23], s[22:23], exec
	v_readfirstlane_b32 s30, v0
	v_readfirstlane_b32 s31, v0
	s_andn2_b64 s[92:93], s[92:93], exec
	s_or_b64 s[94:95], s[2:3], s[22:23]
                                        ; implicit-def: $vgpr9
	s_and_saveexec_b64 s[2:3], s[28:29]
	s_cbranch_execz .LBB96_10
; %bb.106:                              ;   in Loop: Header=BB96_11 Depth=1
	s_xor_b64 s[22:23], s[20:21], -1
	s_mov_b64 s[20:21], 0
	v_mov_b32_e32 v9, 1
	v_mov_b32_e32 v8, 1
	s_and_saveexec_b64 s[18:19], s[22:23]
	s_cbranch_execz .LBB96_115
; %bb.107:                              ;   in Loop: Header=BB96_11 Depth=1
	v_cmp_ge_u32_e32 vcc, s17, v47
	s_and_saveexec_b64 s[20:21], vcc
	s_xor_b64 s[20:21], exec, s[20:21]
	s_cbranch_execz .LBB96_112
; %bb.108:                              ;   in Loop: Header=BB96_11 Depth=1
	ds_read_b32 v3, v19 offset:4104
	v_and_b32_e32 v27, s27, v27
	v_and_b32_e32 v26, s26, v26
	v_or_b32_e32 v29, s1, v29
	v_or_b32_e32 v28, s0, v28
	s_waitcnt lgkmcnt(0)
	v_cmp_ne_u32_e32 vcc, 0, v3
	s_cbranch_vccnz .LBB96_112
; %bb.109:                              ;   in Loop: Header=BB96_11 Depth=1
	s_and_saveexec_b64 s[22:23], s[14:15]
; %bb.110:                              ;   in Loop: Header=BB96_11 Depth=1
	v_mov_b32_e32 v3, s17
	ds_write_b32 v19, v3 offset:4108
; %bb.111:                              ;   in Loop: Header=BB96_11 Depth=1
	s_or_b64 exec, exec, s[22:23]
	s_waitcnt lgkmcnt(0)
	s_barrier
.LBB96_112:                             ;   in Loop: Header=BB96_11 Depth=1
	s_or_saveexec_b64 s[20:21], s[20:21]
	s_mov_b64 s[22:23], 0
	v_mov_b32_e32 v8, 8
	s_xor_b64 exec, exec, s[20:21]
; %bb.113:                              ;   in Loop: Header=BB96_11 Depth=1
	s_mov_b64 s[22:23], exec
	v_subrev_u32_e32 v47, s17, v47
	v_mov_b32_e32 v8, 0
; %bb.114:                              ;   in Loop: Header=BB96_11 Depth=1
	s_or_b64 exec, exec, s[20:21]
	s_and_b64 s[20:21], s[22:23], exec
	v_mov_b32_e32 v9, v47
.LBB96_115:                             ;   in Loop: Header=BB96_11 Depth=1
	s_or_b64 exec, exec, s[18:19]
	s_mov_b64 s[18:19], -1
	s_mov_b64 s[28:29], -1
                                        ; implicit-def: $sgpr22_sgpr23
                                        ; implicit-def: $sgpr24_sgpr25
	s_and_saveexec_b64 s[30:31], s[20:21]
	s_xor_b64 s[20:21], exec, s[30:31]
	s_cbranch_execz .LBB96_232
; %bb.116:                              ;   in Loop: Header=BB96_11 Depth=1
	s_cmp_eq_u32 s16, 1
	s_cselect_b64 s[22:23], -1, 0
	v_cmp_eq_u32_e32 vcc, 1, v9
	s_and_b64 s[30:31], s[22:23], vcc
	s_mov_b64 s[34:35], -1
                                        ; implicit-def: $sgpr24_sgpr25
                                        ; implicit-def: $sgpr22_sgpr23
	s_and_saveexec_b64 s[28:29], s[30:31]
	s_cbranch_execz .LBB96_142
; %bb.117:                              ;   in Loop: Header=BB96_11 Depth=1
	ds_read_b32 v3, v19 offset:4104
	s_waitcnt lgkmcnt(0)
	s_barrier
	v_readfirstlane_b32 s17, v3
	s_and_saveexec_b64 s[22:23], s[6:7]
; %bb.118:                              ;   in Loop: Header=BB96_11 Depth=1
	ds_write_b64 v36, v[50:51]
; %bb.119:                              ;   in Loop: Header=BB96_11 Depth=1
	s_or_b64 exec, exec, s[22:23]
	s_lshl_b64 s[22:23], 1, s76
	v_and_b32_e32 v3, s27, v27
	v_and_b32_e32 v4, s26, v26
	v_or_b32_e32 v27, s23, v3
	v_or_b32_e32 v26, s22, v4
	v_or_b32_e32 v29, s1, v29
	v_or_b32_e32 v28, s0, v28
	s_mov_b64 s[22:23], -1
	s_mov_b64 s[24:25], 0
	s_cmp_eq_u32 s17, 0
	s_mov_b64 s[34:35], 0
	s_mov_b64 s[36:37], -1
	s_waitcnt lgkmcnt(0)
	s_barrier
                                        ; implicit-def: $vgpr6_vgpr7
	s_cbranch_scc1 .LBB96_130
; %bb.120:                              ;   in Loop: Header=BB96_11 Depth=1
	s_add_i32 s34, s17, s78
	s_mul_hi_u32 s35, s34, s80
	s_mul_i32 s35, s35, s59
	s_sub_i32 s35, s34, s35
	s_sub_i32 s36, s35, s59
	s_cmp_ge_u32 s35, s59
	s_cselect_b32 s35, s36, s35
	s_sub_i32 s36, s35, s59
	s_cmp_ge_u32 s35, s59
	s_cselect_b32 s35, s36, s35
	s_sub_i32 s46, s34, s35
	v_cmp_gt_u32_e32 vcc, s46, v0
	s_mov_b64 s[36:37], 0
	s_mov_b64 s[34:35], 0
                                        ; implicit-def: $vgpr6_vgpr7
	s_and_saveexec_b64 s[38:39], vcc
	s_cbranch_execz .LBB96_129
; %bb.121:                              ;   in Loop: Header=BB96_11 Depth=1
	v_mov_b32_e32 v10, v35
	v_mov_b32_e32 v11, v0
                                        ; implicit-def: $sgpr40_sgpr41
	s_branch .LBB96_124
.LBB96_122:                             ;   in Loop: Header=BB96_124 Depth=2
	s_or_b64 exec, exec, s[42:43]
	s_waitcnt lgkmcnt(0)
	s_barrier
	ds_read_b128 v[4:7], v19 offset:3072
	s_mov_b64 s[42:43], -1
	s_mov_b64 s[44:45], -1
	s_waitcnt lgkmcnt(0)
	s_barrier
	v_cmp_ne_u64_e32 vcc, 0, v[4:5]
	s_cbranch_vccz .LBB96_127
.LBB96_123:                             ;   in Loop: Header=BB96_124 Depth=2
	s_and_b64 s[42:43], exec, s[42:43]
	s_or_b64 s[34:35], s[42:43], s[34:35]
	s_andn2_b64 s[40:41], s[40:41], exec
	s_and_b64 s[42:43], s[44:45], exec
	s_or_b64 s[40:41], s[40:41], s[42:43]
	s_andn2_b64 exec, exec, s[34:35]
	s_cbranch_execz .LBB96_128
.LBB96_124:                             ;   Parent Loop BB96_11 Depth=1
                                        ; =>  This Inner Loop Header: Depth=2
	v_cmp_gt_u32_e32 vcc, s17, v11
	s_and_saveexec_b64 s[42:43], vcc
	s_cbranch_execz .LBB96_122
; %bb.125:                              ;   in Loop: Header=BB96_124 Depth=2
	ds_read_b64 v[4:5], v10
	s_waitcnt lgkmcnt(0)
	v_xor_b32_e32 v3, 0x80000000, v5
	v_and_b32_e32 v7, v3, v29
	v_and_b32_e32 v6, v4, v28
	v_cmp_eq_u64_e32 vcc, v[6:7], v[26:27]
	s_and_b64 exec, exec, vcc
	s_cbranch_execz .LBB96_122
; %bb.126:                              ;   in Loop: Header=BB96_124 Depth=2
	v_mov_b32_e32 v3, v19
	ds_write_b128 v19, v[2:5] offset:3072
	s_branch .LBB96_122
.LBB96_127:                             ;   in Loop: Header=BB96_124 Depth=2
	v_add_u32_e32 v11, s59, v11
	v_cmp_le_u32_e32 vcc, s46, v11
	v_add_u32_e32 v10, s79, v10
	s_mov_b64 s[44:45], 0
	s_orn2_b64 s[42:43], vcc, exec
	s_branch .LBB96_123
.LBB96_128:                             ;   in Loop: Header=BB96_11 Depth=1
	s_or_b64 exec, exec, s[34:35]
	s_and_b64 s[34:35], s[40:41], exec
.LBB96_129:                             ;   in Loop: Header=BB96_11 Depth=1
	s_or_b64 exec, exec, s[38:39]
.LBB96_130:                             ;   in Loop: Header=BB96_11 Depth=1
	s_and_b64 vcc, exec, s[36:37]
	s_cbranch_vccz .LBB96_141
; %bb.131:                              ;   in Loop: Header=BB96_11 Depth=1
                                        ; implicit-def: $vgpr6_vgpr7
	s_and_saveexec_b64 s[22:23], s[12:13]
	s_cbranch_execz .LBB96_140
; %bb.132:                              ;   in Loop: Header=BB96_11 Depth=1
	s_mov_b64 s[24:25], 0
	v_mov_b32_e32 v18, v16
	v_mov_b32_e32 v10, v0
                                        ; implicit-def: $sgpr36_sgpr37
	s_branch .LBB96_135
.LBB96_133:                             ;   in Loop: Header=BB96_135 Depth=2
	s_or_b64 exec, exec, s[38:39]
	s_waitcnt lgkmcnt(0)
	s_barrier
	ds_read_b128 v[4:7], v19 offset:3072
	s_mov_b64 s[38:39], -1
	s_mov_b64 s[40:41], -1
	s_waitcnt lgkmcnt(0)
	s_barrier
	v_cmp_eq_u64_e32 vcc, 0, v[4:5]
	s_cbranch_vccnz .LBB96_138
.LBB96_134:                             ;   in Loop: Header=BB96_135 Depth=2
	s_and_b64 s[38:39], exec, s[38:39]
	s_or_b64 s[24:25], s[38:39], s[24:25]
	s_andn2_b64 s[36:37], s[36:37], exec
	s_and_b64 s[38:39], s[40:41], exec
	s_or_b64 s[36:37], s[36:37], s[38:39]
	s_andn2_b64 exec, exec, s[24:25]
	s_cbranch_execz .LBB96_139
.LBB96_135:                             ;   Parent Loop BB96_11 Depth=1
                                        ; =>  This Inner Loop Header: Depth=2
	v_cmp_gt_u32_e32 vcc, s56, v10
	s_and_saveexec_b64 s[38:39], vcc
	s_cbranch_execz .LBB96_133
; %bb.136:                              ;   in Loop: Header=BB96_135 Depth=2
	v_lshl_add_u64 v[4:5], v[18:19], 3, s[62:63]
	global_load_dwordx2 v[4:5], v[4:5], off
	s_waitcnt vmcnt(0)
	v_xor_b32_e32 v3, 0x80000000, v5
	v_and_b32_e32 v7, v3, v29
	v_and_b32_e32 v6, v4, v28
	v_cmp_eq_u64_e32 vcc, v[6:7], v[26:27]
	s_and_b64 exec, exec, vcc
	s_cbranch_execz .LBB96_133
; %bb.137:                              ;   in Loop: Header=BB96_135 Depth=2
	v_mov_b32_e32 v3, v19
	ds_write_b128 v19, v[2:5] offset:3072
	s_branch .LBB96_133
.LBB96_138:                             ;   in Loop: Header=BB96_135 Depth=2
	v_add_u32_e32 v10, s59, v10
	v_cmp_le_u32_e32 vcc, s81, v10
	v_add_u32_e32 v18, s57, v18
	s_mov_b64 s[40:41], 0
	s_orn2_b64 s[38:39], vcc, exec
	s_branch .LBB96_134
.LBB96_139:                             ;   in Loop: Header=BB96_11 Depth=1
	s_or_b64 exec, exec, s[24:25]
	s_andn2_b64 s[24:25], s[34:35], exec
	s_and_b64 s[34:35], s[36:37], exec
	s_or_b64 s[34:35], s[24:25], s[34:35]
.LBB96_140:                             ;   in Loop: Header=BB96_11 Depth=1
	s_or_b64 exec, exec, s[22:23]
	s_mov_b64 s[22:23], 0
	s_mov_b64 s[24:25], -1
.LBB96_141:                             ;   in Loop: Header=BB96_11 Depth=1
	s_orn2_b64 s[34:35], s[34:35], exec
.LBB96_142:                             ;   in Loop: Header=BB96_11 Depth=1
	s_or_b64 exec, exec, s[28:29]
	s_mov_b64 s[36:37], 0
	s_and_saveexec_b64 s[28:29], s[34:35]
	s_cbranch_execz .LBB96_231
; %bb.143:                              ;   in Loop: Header=BB96_11 Depth=1
	s_xor_b64 s[34:35], s[30:31], -1
	s_mov_b64 s[40:41], 0
	v_mov_b32_e32 v10, 1
	v_mov_b32_e32 v8, 1
	s_and_saveexec_b64 s[30:31], s[34:35]
	s_cbranch_execz .LBB96_152
; %bb.144:                              ;   in Loop: Header=BB96_11 Depth=1
	v_cmp_ge_u32_e32 vcc, s16, v9
	s_and_saveexec_b64 s[34:35], vcc
	s_xor_b64 s[34:35], exec, s[34:35]
	s_cbranch_execz .LBB96_149
; %bb.145:                              ;   in Loop: Header=BB96_11 Depth=1
	ds_read_b32 v4, v19 offset:4104
	s_lshl_b64 s[36:37], 1, s76
	v_and_b32_e32 v3, s27, v27
	v_and_b32_e32 v5, s26, v26
	v_or_b32_e32 v27, s37, v3
	s_waitcnt lgkmcnt(0)
	v_cmp_ne_u32_e32 vcc, 0, v4
	v_or_b32_e32 v26, s36, v5
	v_or_b32_e32 v29, s1, v29
	;; [unrolled: 1-line block ×3, first 2 shown]
	s_cbranch_vccnz .LBB96_149
; %bb.146:                              ;   in Loop: Header=BB96_11 Depth=1
	s_and_saveexec_b64 s[36:37], s[14:15]
; %bb.147:                              ;   in Loop: Header=BB96_11 Depth=1
	v_mov_b32_e32 v3, s16
	ds_write_b32 v19, v3 offset:4108
; %bb.148:                              ;   in Loop: Header=BB96_11 Depth=1
	s_or_b64 exec, exec, s[36:37]
	s_waitcnt lgkmcnt(0)
	s_barrier
.LBB96_149:                             ;   in Loop: Header=BB96_11 Depth=1
	s_or_saveexec_b64 s[34:35], s[34:35]
	s_mov_b64 s[36:37], 0
	v_mov_b32_e32 v8, 8
	s_xor_b64 exec, exec, s[34:35]
; %bb.150:                              ;   in Loop: Header=BB96_11 Depth=1
	s_mov_b64 s[36:37], exec
	v_subrev_u32_e32 v9, s16, v9
	v_mov_b32_e32 v8, 0
; %bb.151:                              ;   in Loop: Header=BB96_11 Depth=1
	s_or_b64 exec, exec, s[34:35]
	s_and_b64 s[40:41], s[36:37], exec
	v_mov_b32_e32 v10, v9
.LBB96_152:                             ;   in Loop: Header=BB96_11 Depth=1
	s_or_b64 exec, exec, s[30:31]
	s_mov_b64 s[38:39], -1
                                        ; implicit-def: $sgpr34_sgpr35
                                        ; implicit-def: $sgpr36_sgpr37
	s_and_saveexec_b64 s[30:31], s[40:41]
	s_cbranch_execz .LBB96_230
; %bb.153:                              ;   in Loop: Header=BB96_11 Depth=1
	s_cmp_eq_u32 s54, 1
	s_cselect_b64 s[16:17], -1, 0
	v_cmp_eq_u32_e32 vcc, 1, v10
	s_and_b64 s[40:41], s[16:17], vcc
	s_mov_b64 s[42:43], -1
                                        ; implicit-def: $sgpr36_sgpr37
                                        ; implicit-def: $sgpr34_sgpr35
	s_and_saveexec_b64 s[38:39], s[40:41]
	s_cbranch_execz .LBB96_179
; %bb.154:                              ;   in Loop: Header=BB96_11 Depth=1
	ds_read_b32 v3, v19 offset:4104
	s_waitcnt lgkmcnt(0)
	s_barrier
	v_readfirstlane_b32 s16, v3
	s_and_saveexec_b64 s[34:35], s[6:7]
; %bb.155:                              ;   in Loop: Header=BB96_11 Depth=1
	ds_write_b64 v36, v[50:51]
; %bb.156:                              ;   in Loop: Header=BB96_11 Depth=1
	s_or_b64 exec, exec, s[34:35]
	s_lshl_b64 s[34:35], 2, s76
	v_and_b32_e32 v3, s27, v27
	v_and_b32_e32 v4, s26, v26
	v_or_b32_e32 v27, s35, v3
	v_or_b32_e32 v26, s34, v4
	;; [unrolled: 1-line block ×4, first 2 shown]
	s_mov_b64 s[34:35], -1
	s_mov_b64 s[36:37], 0
	s_cmp_eq_u32 s16, 0
	s_mov_b64 s[42:43], 0
	s_mov_b64 s[44:45], -1
	s_waitcnt lgkmcnt(0)
	s_barrier
                                        ; implicit-def: $vgpr6_vgpr7
	s_cbranch_scc1 .LBB96_167
; %bb.157:                              ;   in Loop: Header=BB96_11 Depth=1
	s_add_i32 s17, s16, s78
	s_mul_hi_u32 s42, s17, s80
	s_mul_i32 s42, s42, s59
	s_sub_i32 s42, s17, s42
	s_sub_i32 s43, s42, s59
	s_cmp_ge_u32 s42, s59
	s_cselect_b32 s42, s43, s42
	s_sub_i32 s43, s42, s59
	s_cmp_ge_u32 s42, s59
	s_cselect_b32 s42, s43, s42
	s_sub_i32 s17, s17, s42
	v_cmp_gt_u32_e32 vcc, s17, v0
	s_mov_b64 s[44:45], 0
	s_mov_b64 s[42:43], 0
                                        ; implicit-def: $vgpr6_vgpr7
	s_and_saveexec_b64 s[46:47], vcc
	s_cbranch_execz .LBB96_166
; %bb.158:                              ;   in Loop: Header=BB96_11 Depth=1
	v_mov_b32_e32 v9, v35
	v_mov_b32_e32 v11, v0
                                        ; implicit-def: $sgpr48_sgpr49
	s_branch .LBB96_161
.LBB96_159:                             ;   in Loop: Header=BB96_161 Depth=2
	s_or_b64 exec, exec, s[50:51]
	s_waitcnt lgkmcnt(0)
	s_barrier
	ds_read_b128 v[4:7], v19 offset:3072
	s_mov_b64 s[50:51], -1
	s_mov_b64 s[52:53], -1
	s_waitcnt lgkmcnt(0)
	s_barrier
	v_cmp_ne_u64_e32 vcc, 0, v[4:5]
	s_cbranch_vccz .LBB96_164
.LBB96_160:                             ;   in Loop: Header=BB96_161 Depth=2
	s_and_b64 s[50:51], exec, s[50:51]
	s_or_b64 s[42:43], s[50:51], s[42:43]
	s_andn2_b64 s[48:49], s[48:49], exec
	s_and_b64 s[50:51], s[52:53], exec
	s_or_b64 s[48:49], s[48:49], s[50:51]
	s_andn2_b64 exec, exec, s[42:43]
	s_cbranch_execz .LBB96_165
.LBB96_161:                             ;   Parent Loop BB96_11 Depth=1
                                        ; =>  This Inner Loop Header: Depth=2
	v_cmp_gt_u32_e32 vcc, s16, v11
	s_and_saveexec_b64 s[50:51], vcc
	s_cbranch_execz .LBB96_159
; %bb.162:                              ;   in Loop: Header=BB96_161 Depth=2
	ds_read_b64 v[4:5], v9
	s_waitcnt lgkmcnt(0)
	v_xor_b32_e32 v3, 0x80000000, v5
	v_and_b32_e32 v7, v3, v29
	v_and_b32_e32 v6, v4, v28
	v_cmp_eq_u64_e32 vcc, v[6:7], v[26:27]
	s_and_b64 exec, exec, vcc
	s_cbranch_execz .LBB96_159
; %bb.163:                              ;   in Loop: Header=BB96_161 Depth=2
	v_mov_b32_e32 v3, v19
	ds_write_b128 v19, v[2:5] offset:3072
	s_branch .LBB96_159
.LBB96_164:                             ;   in Loop: Header=BB96_161 Depth=2
	v_add_u32_e32 v11, s59, v11
	v_cmp_le_u32_e32 vcc, s17, v11
	v_add_u32_e32 v9, s79, v9
	s_mov_b64 s[52:53], 0
	s_orn2_b64 s[50:51], vcc, exec
	s_branch .LBB96_160
.LBB96_165:                             ;   in Loop: Header=BB96_11 Depth=1
	s_or_b64 exec, exec, s[42:43]
	s_and_b64 s[42:43], s[48:49], exec
.LBB96_166:                             ;   in Loop: Header=BB96_11 Depth=1
	s_or_b64 exec, exec, s[46:47]
.LBB96_167:                             ;   in Loop: Header=BB96_11 Depth=1
	s_and_b64 vcc, exec, s[44:45]
	s_cbranch_vccz .LBB96_178
; %bb.168:                              ;   in Loop: Header=BB96_11 Depth=1
                                        ; implicit-def: $vgpr6_vgpr7
	s_and_saveexec_b64 s[34:35], s[12:13]
	s_cbranch_execz .LBB96_177
; %bb.169:                              ;   in Loop: Header=BB96_11 Depth=1
	s_mov_b64 s[36:37], 0
	v_mov_b32_e32 v18, v16
	v_mov_b32_e32 v9, v0
                                        ; implicit-def: $sgpr44_sgpr45
	s_branch .LBB96_172
.LBB96_170:                             ;   in Loop: Header=BB96_172 Depth=2
	s_or_b64 exec, exec, s[46:47]
	s_waitcnt lgkmcnt(0)
	s_barrier
	ds_read_b128 v[4:7], v19 offset:3072
	s_mov_b64 s[46:47], -1
	s_mov_b64 s[48:49], -1
	s_waitcnt lgkmcnt(0)
	s_barrier
	v_cmp_eq_u64_e32 vcc, 0, v[4:5]
	s_cbranch_vccnz .LBB96_175
.LBB96_171:                             ;   in Loop: Header=BB96_172 Depth=2
	s_and_b64 s[16:17], exec, s[46:47]
	s_or_b64 s[36:37], s[16:17], s[36:37]
	s_andn2_b64 s[16:17], s[44:45], exec
	s_and_b64 s[44:45], s[48:49], exec
	s_or_b64 s[44:45], s[16:17], s[44:45]
	s_andn2_b64 exec, exec, s[36:37]
	s_cbranch_execz .LBB96_176
.LBB96_172:                             ;   Parent Loop BB96_11 Depth=1
                                        ; =>  This Inner Loop Header: Depth=2
	v_cmp_gt_u32_e32 vcc, s56, v9
	s_and_saveexec_b64 s[46:47], vcc
	s_cbranch_execz .LBB96_170
; %bb.173:                              ;   in Loop: Header=BB96_172 Depth=2
	v_lshl_add_u64 v[4:5], v[18:19], 3, s[62:63]
	global_load_dwordx2 v[4:5], v[4:5], off
	s_waitcnt vmcnt(0)
	v_xor_b32_e32 v3, 0x80000000, v5
	v_and_b32_e32 v7, v3, v29
	v_and_b32_e32 v6, v4, v28
	v_cmp_eq_u64_e32 vcc, v[6:7], v[26:27]
	s_and_b64 exec, exec, vcc
	s_cbranch_execz .LBB96_170
; %bb.174:                              ;   in Loop: Header=BB96_172 Depth=2
	v_mov_b32_e32 v3, v19
	ds_write_b128 v19, v[2:5] offset:3072
	s_branch .LBB96_170
.LBB96_175:                             ;   in Loop: Header=BB96_172 Depth=2
	v_add_u32_e32 v9, s59, v9
	v_cmp_le_u32_e32 vcc, s81, v9
	v_add_u32_e32 v18, s57, v18
	s_mov_b64 s[48:49], 0
	s_orn2_b64 s[46:47], vcc, exec
	s_branch .LBB96_171
.LBB96_176:                             ;   in Loop: Header=BB96_11 Depth=1
	s_or_b64 exec, exec, s[36:37]
	s_andn2_b64 s[16:17], s[42:43], exec
	s_and_b64 s[36:37], s[44:45], exec
	s_or_b64 s[42:43], s[16:17], s[36:37]
.LBB96_177:                             ;   in Loop: Header=BB96_11 Depth=1
	s_or_b64 exec, exec, s[34:35]
	s_mov_b64 s[34:35], 0
	s_mov_b64 s[36:37], -1
.LBB96_178:                             ;   in Loop: Header=BB96_11 Depth=1
	s_orn2_b64 s[42:43], s[42:43], exec
.LBB96_179:                             ;   in Loop: Header=BB96_11 Depth=1
	s_or_b64 exec, exec, s[38:39]
	s_mov_b64 s[44:45], 0
	s_and_saveexec_b64 s[38:39], s[42:43]
	s_cbranch_execz .LBB96_229
; %bb.180:                              ;   in Loop: Header=BB96_11 Depth=1
	s_xor_b64 s[16:17], s[40:41], -1
	s_mov_b64 s[46:47], 0
	v_mov_b32_e32 v9, 1
	v_mov_b32_e32 v8, 1
	s_and_saveexec_b64 s[40:41], s[16:17]
	s_cbranch_execz .LBB96_189
; %bb.181:                              ;   in Loop: Header=BB96_11 Depth=1
	v_cmp_ge_u32_e32 vcc, s54, v10
	s_and_saveexec_b64 s[16:17], vcc
	s_xor_b64 s[42:43], exec, s[16:17]
	s_cbranch_execz .LBB96_186
; %bb.182:                              ;   in Loop: Header=BB96_11 Depth=1
	ds_read_b32 v4, v19 offset:4104
	s_lshl_b64 s[16:17], 2, s76
	v_and_b32_e32 v3, s27, v27
	v_and_b32_e32 v5, s26, v26
	v_or_b32_e32 v27, s17, v3
	s_waitcnt lgkmcnt(0)
	v_cmp_ne_u32_e32 vcc, 0, v4
	v_or_b32_e32 v26, s16, v5
	v_or_b32_e32 v29, s1, v29
	;; [unrolled: 1-line block ×3, first 2 shown]
	s_cbranch_vccnz .LBB96_186
; %bb.183:                              ;   in Loop: Header=BB96_11 Depth=1
	s_and_saveexec_b64 s[26:27], s[14:15]
; %bb.184:                              ;   in Loop: Header=BB96_11 Depth=1
	v_mov_b32_e32 v3, s54
	ds_write_b32 v19, v3 offset:4108
; %bb.185:                              ;   in Loop: Header=BB96_11 Depth=1
	s_or_b64 exec, exec, s[26:27]
	s_waitcnt lgkmcnt(0)
	s_barrier
.LBB96_186:                             ;   in Loop: Header=BB96_11 Depth=1
	s_or_saveexec_b64 s[26:27], s[42:43]
	s_mov_b64 s[42:43], 0
	v_mov_b32_e32 v8, 8
	s_xor_b64 exec, exec, s[26:27]
; %bb.187:                              ;   in Loop: Header=BB96_11 Depth=1
	s_mov_b64 s[42:43], exec
	v_subrev_u32_e32 v10, s54, v10
	v_mov_b32_e32 v8, 0
; %bb.188:                              ;   in Loop: Header=BB96_11 Depth=1
	s_or_b64 exec, exec, s[26:27]
	s_and_b64 s[46:47], s[42:43], exec
	v_mov_b32_e32 v9, v10
.LBB96_189:                             ;   in Loop: Header=BB96_11 Depth=1
	s_or_b64 exec, exec, s[40:41]
	s_mov_b64 s[44:45], -1
                                        ; implicit-def: $sgpr42_sgpr43
                                        ; implicit-def: $sgpr40_sgpr41
	s_and_saveexec_b64 s[26:27], s[46:47]
	s_cbranch_execz .LBB96_228
; %bb.190:                              ;   in Loop: Header=BB96_11 Depth=1
	s_cmp_eq_u32 s66, 1
	s_cselect_b64 s[16:17], -1, 0
	v_cmp_eq_u32_e32 vcc, 1, v9
	s_and_b64 s[44:45], s[16:17], vcc
	s_mov_b64 s[48:49], -1
                                        ; implicit-def: $sgpr42_sgpr43
                                        ; implicit-def: $sgpr40_sgpr41
	s_and_saveexec_b64 s[46:47], s[44:45]
	s_cbranch_execz .LBB96_216
; %bb.191:                              ;   in Loop: Header=BB96_11 Depth=1
	ds_read_b32 v3, v19 offset:4104
	s_waitcnt lgkmcnt(0)
	s_barrier
	v_readfirstlane_b32 s16, v3
	s_and_saveexec_b64 s[40:41], s[6:7]
; %bb.192:                              ;   in Loop: Header=BB96_11 Depth=1
	ds_write_b64 v36, v[50:51]
; %bb.193:                              ;   in Loop: Header=BB96_11 Depth=1
	s_or_b64 exec, exec, s[40:41]
	v_or_b32_e32 v27, s1, v27
	v_or_b32_e32 v26, s0, v26
	v_or_b32_e32 v29, s1, v29
	v_or_b32_e32 v28, s0, v28
	s_mov_b64 s[40:41], -1
	s_mov_b64 s[42:43], 0
	s_cmp_eq_u32 s16, 0
	s_mov_b64 s[48:49], 0
	s_mov_b64 s[50:51], -1
	s_waitcnt lgkmcnt(0)
	s_barrier
                                        ; implicit-def: $vgpr6_vgpr7
	s_cbranch_scc1 .LBB96_204
; %bb.194:                              ;   in Loop: Header=BB96_11 Depth=1
	s_add_i32 s17, s16, s78
	s_mul_hi_u32 s48, s17, s80
	s_mul_i32 s48, s48, s59
	s_sub_i32 s48, s17, s48
	s_sub_i32 s49, s48, s59
	s_cmp_ge_u32 s48, s59
	s_cselect_b32 s48, s49, s48
	s_sub_i32 s49, s48, s59
	s_cmp_ge_u32 s48, s59
	s_cselect_b32 s48, s49, s48
	s_sub_i32 s17, s17, s48
	v_cmp_gt_u32_e32 vcc, s17, v0
	s_mov_b64 s[50:51], 0
	s_mov_b64 s[48:49], 0
                                        ; implicit-def: $vgpr6_vgpr7
	s_and_saveexec_b64 s[52:53], vcc
	s_cbranch_execz .LBB96_203
; %bb.195:                              ;   in Loop: Header=BB96_11 Depth=1
	v_mov_b32_e32 v10, v35
	v_mov_b32_e32 v11, v0
                                        ; implicit-def: $sgpr54_sgpr55
	s_branch .LBB96_198
.LBB96_196:                             ;   in Loop: Header=BB96_198 Depth=2
	s_or_b64 exec, exec, s[60:61]
	s_waitcnt lgkmcnt(0)
	s_barrier
	ds_read_b128 v[4:7], v19 offset:3072
	s_mov_b64 s[60:61], -1
	s_mov_b64 s[64:65], -1
	s_waitcnt lgkmcnt(0)
	s_barrier
	v_cmp_ne_u64_e32 vcc, 0, v[4:5]
	s_cbranch_vccz .LBB96_201
.LBB96_197:                             ;   in Loop: Header=BB96_198 Depth=2
	s_and_b64 s[60:61], exec, s[60:61]
	s_or_b64 s[48:49], s[60:61], s[48:49]
	s_andn2_b64 s[54:55], s[54:55], exec
	s_and_b64 s[60:61], s[64:65], exec
	s_or_b64 s[54:55], s[54:55], s[60:61]
	s_andn2_b64 exec, exec, s[48:49]
	s_cbranch_execz .LBB96_202
.LBB96_198:                             ;   Parent Loop BB96_11 Depth=1
                                        ; =>  This Inner Loop Header: Depth=2
	v_cmp_gt_u32_e32 vcc, s16, v11
	s_and_saveexec_b64 s[60:61], vcc
	s_cbranch_execz .LBB96_196
; %bb.199:                              ;   in Loop: Header=BB96_198 Depth=2
	ds_read_b64 v[4:5], v10
	s_waitcnt lgkmcnt(0)
	v_xor_b32_e32 v3, 0x80000000, v5
	v_and_b32_e32 v7, v3, v29
	v_and_b32_e32 v6, v4, v28
	v_cmp_eq_u64_e32 vcc, v[6:7], v[26:27]
	s_and_b64 exec, exec, vcc
	s_cbranch_execz .LBB96_196
; %bb.200:                              ;   in Loop: Header=BB96_198 Depth=2
	v_mov_b32_e32 v3, v19
	ds_write_b128 v19, v[2:5] offset:3072
	s_branch .LBB96_196
.LBB96_201:                             ;   in Loop: Header=BB96_198 Depth=2
	v_add_u32_e32 v11, s59, v11
	v_cmp_le_u32_e32 vcc, s17, v11
	v_add_u32_e32 v10, s79, v10
	s_mov_b64 s[64:65], 0
	s_orn2_b64 s[60:61], vcc, exec
	s_branch .LBB96_197
.LBB96_202:                             ;   in Loop: Header=BB96_11 Depth=1
	s_or_b64 exec, exec, s[48:49]
	s_and_b64 s[48:49], s[54:55], exec
.LBB96_203:                             ;   in Loop: Header=BB96_11 Depth=1
	s_or_b64 exec, exec, s[52:53]
.LBB96_204:                             ;   in Loop: Header=BB96_11 Depth=1
	s_and_b64 vcc, exec, s[50:51]
	s_cbranch_vccz .LBB96_215
; %bb.205:                              ;   in Loop: Header=BB96_11 Depth=1
                                        ; implicit-def: $vgpr6_vgpr7
	s_and_saveexec_b64 s[40:41], s[12:13]
	s_cbranch_execz .LBB96_214
; %bb.206:                              ;   in Loop: Header=BB96_11 Depth=1
	s_mov_b64 s[42:43], 0
	v_mov_b32_e32 v18, v16
	v_mov_b32_e32 v10, v0
                                        ; implicit-def: $sgpr50_sgpr51
	s_branch .LBB96_209
.LBB96_207:                             ;   in Loop: Header=BB96_209 Depth=2
	s_or_b64 exec, exec, s[52:53]
	s_waitcnt lgkmcnt(0)
	s_barrier
	ds_read_b128 v[4:7], v19 offset:3072
	s_mov_b64 s[52:53], -1
	s_mov_b64 s[54:55], -1
	s_waitcnt lgkmcnt(0)
	s_barrier
	v_cmp_eq_u64_e32 vcc, 0, v[4:5]
	s_cbranch_vccnz .LBB96_212
.LBB96_208:                             ;   in Loop: Header=BB96_209 Depth=2
	s_and_b64 s[16:17], exec, s[52:53]
	s_or_b64 s[42:43], s[16:17], s[42:43]
	s_andn2_b64 s[16:17], s[50:51], exec
	s_and_b64 s[50:51], s[54:55], exec
	s_or_b64 s[50:51], s[16:17], s[50:51]
	s_andn2_b64 exec, exec, s[42:43]
	s_cbranch_execz .LBB96_213
.LBB96_209:                             ;   Parent Loop BB96_11 Depth=1
                                        ; =>  This Inner Loop Header: Depth=2
	v_cmp_gt_u32_e32 vcc, s56, v10
	s_and_saveexec_b64 s[52:53], vcc
	s_cbranch_execz .LBB96_207
; %bb.210:                              ;   in Loop: Header=BB96_209 Depth=2
	v_lshl_add_u64 v[4:5], v[18:19], 3, s[62:63]
	global_load_dwordx2 v[4:5], v[4:5], off
	s_waitcnt vmcnt(0)
	v_xor_b32_e32 v3, 0x80000000, v5
	v_and_b32_e32 v7, v3, v29
	v_and_b32_e32 v6, v4, v28
	v_cmp_eq_u64_e32 vcc, v[6:7], v[26:27]
	s_and_b64 exec, exec, vcc
	s_cbranch_execz .LBB96_207
; %bb.211:                              ;   in Loop: Header=BB96_209 Depth=2
	v_mov_b32_e32 v3, v19
	ds_write_b128 v19, v[2:5] offset:3072
	s_branch .LBB96_207
.LBB96_212:                             ;   in Loop: Header=BB96_209 Depth=2
	v_add_u32_e32 v10, s59, v10
	v_cmp_le_u32_e32 vcc, s81, v10
	v_add_u32_e32 v18, s57, v18
	s_mov_b64 s[54:55], 0
	s_orn2_b64 s[52:53], vcc, exec
	s_branch .LBB96_208
.LBB96_213:                             ;   in Loop: Header=BB96_11 Depth=1
	s_or_b64 exec, exec, s[42:43]
	s_andn2_b64 s[16:17], s[48:49], exec
	s_and_b64 s[42:43], s[50:51], exec
	s_or_b64 s[48:49], s[16:17], s[42:43]
.LBB96_214:                             ;   in Loop: Header=BB96_11 Depth=1
	s_or_b64 exec, exec, s[40:41]
	s_mov_b64 s[40:41], 0
	s_mov_b64 s[42:43], -1
.LBB96_215:                             ;   in Loop: Header=BB96_11 Depth=1
	s_orn2_b64 s[48:49], s[48:49], exec
.LBB96_216:                             ;   in Loop: Header=BB96_11 Depth=1
	s_or_b64 exec, exec, s[46:47]
	s_mov_b64 s[50:51], 0
	s_and_saveexec_b64 s[46:47], s[48:49]
	s_cbranch_execz .LBB96_227
; %bb.217:                              ;   in Loop: Header=BB96_11 Depth=1
	s_xor_b64 s[16:17], s[44:45], -1
	v_mov_b32_e32 v8, 1
	v_mov_b32_e32 v3, 1
	s_and_saveexec_b64 s[44:45], s[16:17]
	s_cbranch_execz .LBB96_226
; %bb.218:                              ;   in Loop: Header=BB96_11 Depth=1
	v_cmp_ge_u32_e32 vcc, s66, v9
	s_and_saveexec_b64 s[16:17], vcc
	s_xor_b64 s[48:49], exec, s[16:17]
	s_cbranch_execz .LBB96_223
; %bb.219:                              ;   in Loop: Header=BB96_11 Depth=1
	ds_read_b32 v3, v19 offset:4104
	v_or_b32_e32 v27, s1, v27
	v_or_b32_e32 v26, s0, v26
	v_or_b32_e32 v29, s1, v29
	v_or_b32_e32 v28, s0, v28
	s_waitcnt lgkmcnt(0)
	v_cmp_ne_u32_e32 vcc, 0, v3
	s_cbranch_vccnz .LBB96_223
; %bb.220:                              ;   in Loop: Header=BB96_11 Depth=1
	s_and_saveexec_b64 s[0:1], s[14:15]
; %bb.221:                              ;   in Loop: Header=BB96_11 Depth=1
	v_mov_b32_e32 v3, s66
	ds_write_b32 v19, v3 offset:4108
; %bb.222:                              ;   in Loop: Header=BB96_11 Depth=1
	s_or_b64 exec, exec, s[0:1]
	s_waitcnt lgkmcnt(0)
	s_barrier
.LBB96_223:                             ;   in Loop: Header=BB96_11 Depth=1
	s_andn2_saveexec_b64 s[0:1], s[48:49]
; %bb.224:                              ;   in Loop: Header=BB96_11 Depth=1
	v_subrev_u32_e32 v9, s66, v9
; %bb.225:                              ;   in Loop: Header=BB96_11 Depth=1
	s_or_b64 exec, exec, s[0:1]
	v_mov_b32_e32 v8, 8
	v_mov_b32_e32 v3, v9
.LBB96_226:                             ;   in Loop: Header=BB96_11 Depth=1
	s_or_b64 exec, exec, s[44:45]
	s_mov_b64 s[50:51], exec
	v_mov_b32_e32 v9, v3
.LBB96_227:                             ;   in Loop: Header=BB96_11 Depth=1
	s_or_b64 exec, exec, s[46:47]
	s_orn2_b64 s[44:45], s[50:51], exec
.LBB96_228:                             ;   in Loop: Header=BB96_11 Depth=1
	s_or_b64 exec, exec, s[26:27]
	s_andn2_b64 s[0:1], s[36:37], exec
	s_and_b64 s[16:17], s[42:43], exec
	s_or_b64 s[36:37], s[0:1], s[16:17]
	s_andn2_b64 s[0:1], s[34:35], exec
	s_and_b64 s[16:17], s[40:41], exec
	s_or_b64 s[34:35], s[0:1], s[16:17]
	s_and_b64 s[44:45], s[44:45], exec
	v_mov_b32_e32 v10, v9
.LBB96_229:                             ;   in Loop: Header=BB96_11 Depth=1
	s_or_b64 exec, exec, s[38:39]
	s_orn2_b64 s[38:39], s[44:45], exec
.LBB96_230:                             ;   in Loop: Header=BB96_11 Depth=1
	s_or_b64 exec, exec, s[30:31]
	s_andn2_b64 s[0:1], s[24:25], exec
	s_and_b64 s[16:17], s[36:37], exec
	s_or_b64 s[24:25], s[0:1], s[16:17]
	s_andn2_b64 s[0:1], s[22:23], exec
	s_and_b64 s[16:17], s[34:35], exec
	s_or_b64 s[22:23], s[0:1], s[16:17]
	s_and_b64 s[36:37], s[38:39], exec
	v_mov_b32_e32 v9, v10
.LBB96_231:                             ;   in Loop: Header=BB96_11 Depth=1
	s_or_b64 exec, exec, s[28:29]
	s_orn2_b64 s[28:29], s[36:37], exec
.LBB96_232:                             ;   in Loop: Header=BB96_11 Depth=1
	s_or_b64 exec, exec, s[20:21]
	s_mov_b64 s[20:21], 0
                                        ; implicit-def: $sgpr30
                                        ; implicit-def: $sgpr31
	s_and_saveexec_b64 s[0:1], s[28:29]
	s_xor_b64 s[0:1], exec, s[0:1]
	s_cbranch_execz .LBB96_9
; %bb.233:                              ;   in Loop: Header=BB96_11 Depth=1
	v_and_b32_e32 v3, 7, v8
	v_cmp_eq_u32_e32 vcc, 0, v3
	s_mov_b64 s[18:19], -1
	s_mov_b64 s[20:21], -1
                                        ; implicit-def: $sgpr30
                                        ; implicit-def: $sgpr31
	s_and_saveexec_b64 s[26:27], vcc
	s_cbranch_execz .LBB96_8
; %bb.234:                              ;   in Loop: Header=BB96_11 Depth=1
	s_xor_b32 s31, s77, 1
	s_add_i32 s30, s76, -2
	s_cmp_eq_u32 s76, 0
	s_cselect_b64 s[16:17], -1, 0
	s_xor_b64 s[20:21], exec, -1
	s_orn2_b64 s[18:19], s[16:17], exec
	s_branch .LBB96_8
.LBB96_235:
	s_or_b64 exec, exec, s[84:85]
	s_xor_b64 s[6:7], s[90:91], -1
	s_xor_b64 s[0:1], s[86:87], -1
	;; [unrolled: 1-line block ×3, first 2 shown]
	s_mov_b64 s[2:3], 0
	s_and_saveexec_b64 s[8:9], s[0:1]
	s_xor_b64 s[0:1], exec, s[8:9]
	s_cbranch_execnz .LBB96_240
; %bb.236:
	s_andn2_saveexec_b64 s[0:1], s[0:1]
	s_cbranch_execnz .LBB96_253
.LBB96_237:
	s_or_b64 exec, exec, s[0:1]
	s_and_saveexec_b64 s[0:1], s[2:3]
.LBB96_238:
	; divergent unreachable
.LBB96_239:
	s_endpgm
.LBB96_240:
	s_and_saveexec_b64 s[2:3], s[6:7]
	s_xor_b64 s[2:3], exec, s[2:3]
	s_cbranch_execz .LBB96_251
; %bb.241:
	s_and_saveexec_b64 s[6:7], s[4:5]
	s_xor_b64 s[4:5], exec, s[6:7]
; %bb.242:
	v_xor_b32_e32 v27, 0x80000000, v27
	v_mov_b64_e32 v[6:7], v[26:27]
; %bb.243:
	s_or_b64 exec, exec, s[4:5]
	v_readlane_b32 s18, v60, 6
	v_readlane_b32 s4, v60, 5
	s_mul_i32 s4, s4, s18
	s_mov_b32 s5, 0
	s_lshl_b64 s[4:5], s[4:5], 3
	v_readlane_b32 s6, v60, 2
	v_readlane_b32 s7, v60, 3
	s_add_u32 s4, s6, s4
	s_addc_u32 s5, s7, s5
	v_mov_b32_e32 v17, 0
	global_store_dwordx2 v17, v[6:7], s[4:5]
	s_mov_b64 s[4:5], exec
	v_readlane_b32 s6, v60, 7
	v_readlane_b32 s7, v60, 8
	s_and_b64 s[6:7], s[4:5], s[6:7]
	s_mov_b64 exec, s[6:7]
	s_cbranch_execz .LBB96_250
; %bb.244:
	s_mov_b64 s[6:7], 0
                                        ; implicit-def: $sgpr8_sgpr9
                                        ; implicit-def: $sgpr12_sgpr13
                                        ; implicit-def: $sgpr10_sgpr11
	s_branch .LBB96_246
.LBB96_245:                             ;   in Loop: Header=BB96_246 Depth=1
	s_or_b64 exec, exec, s[14:15]
	s_and_b64 s[14:15], exec, s[12:13]
	s_or_b64 s[6:7], s[14:15], s[6:7]
	s_andn2_b64 s[8:9], s[8:9], exec
	s_and_b64 s[14:15], s[10:11], exec
	s_or_b64 s[8:9], s[8:9], s[14:15]
	s_andn2_b64 exec, exec, s[6:7]
	s_cbranch_execz .LBB96_248
.LBB96_246:                             ; =>This Inner Loop Header: Depth=1
	v_lshl_add_u64 v[2:3], v[16:17], 3, s[62:63]
	global_load_dwordx2 v[4:5], v[2:3], off
	v_mov_b32_e32 v2, v0
	s_or_b64 s[10:11], s[10:11], exec
	s_or_b64 s[12:13], s[12:13], exec
                                        ; implicit-def: $vgpr0
	s_waitcnt vmcnt(0)
	v_cmp_ne_u64_e32 vcc, v[4:5], v[6:7]
	s_and_saveexec_b64 s[14:15], vcc
	s_cbranch_execz .LBB96_245
; %bb.247:                              ;   in Loop: Header=BB96_246 Depth=1
	v_add_u32_e32 v0, s59, v2
	v_cmp_le_u32_e32 vcc, s56, v0
	s_andn2_b64 s[12:13], s[12:13], exec
	s_and_b64 s[16:17], vcc, exec
	v_add_u32_e32 v16, s57, v16
	s_andn2_b64 s[10:11], s[10:11], exec
	s_or_b64 s[12:13], s[12:13], s[16:17]
	s_branch .LBB96_245
.LBB96_248:
	s_or_b64 exec, exec, s[6:7]
	s_and_saveexec_b64 s[6:7], s[8:9]
	s_xor_b64 s[6:7], exec, s[6:7]
	s_cbranch_execz .LBB96_250
; %bb.249:
	v_readlane_b32 s6, v60, 4
	s_mul_i32 s6, s6, s18
	s_mov_b32 s7, 0
	s_lshl_b64 s[6:7], s[6:7], 3
	v_readlane_b32 s8, v60, 0
	v_readlane_b32 s9, v60, 1
	s_add_u32 s6, s8, s6
	s_addc_u32 s7, s9, s7
	v_mov_b32_e32 v3, 0
	global_store_dwordx2 v3, v[2:3], s[6:7]
.LBB96_250:
	s_or_b64 exec, exec, s[4:5]
.LBB96_251:
	s_or_saveexec_b64 s[2:3], s[2:3]
	s_mov_b64 s[4:5], 0
	s_xor_b64 exec, exec, s[2:3]
	s_cbranch_execnz .LBB96_254
.LBB96_252:
	s_or_b64 exec, exec, s[2:3]
	s_and_b64 s[2:3], s[4:5], exec
	s_andn2_saveexec_b64 s[0:1], s[0:1]
	s_cbranch_execz .LBB96_237
.LBB96_253:
	s_or_b64 s[2:3], s[2:3], exec
	s_trap 2
	s_or_b64 exec, exec, s[0:1]
	s_and_saveexec_b64 s[0:1], s[2:3]
	s_cbranch_execnz .LBB96_238
	s_branch .LBB96_239
.LBB96_254:
	s_mov_b64 s[4:5], exec
	s_trap 2
	s_branch .LBB96_252
	.section	.rodata,"a",@progbits
	.p2align	6, 0x0
	.amdhsa_kernel _ZN2at6native12_GLOBAL__N_112gatherMedianIljLi1EEEvNS_4cuda6detail10TensorInfoIT_T0_EENS5_IlS7_EENS5_IKS6_S7_EES7_S7_S7_b
		.amdhsa_group_segment_fixed_size 4120
		.amdhsa_private_segment_fixed_size 0
		.amdhsa_kernarg_size 920
		.amdhsa_user_sgpr_count 2
		.amdhsa_user_sgpr_dispatch_ptr 0
		.amdhsa_user_sgpr_queue_ptr 0
		.amdhsa_user_sgpr_kernarg_segment_ptr 1
		.amdhsa_user_sgpr_dispatch_id 0
		.amdhsa_user_sgpr_kernarg_preload_length 0
		.amdhsa_user_sgpr_kernarg_preload_offset 0
		.amdhsa_user_sgpr_private_segment_size 0
		.amdhsa_uses_dynamic_stack 0
		.amdhsa_enable_private_segment 0
		.amdhsa_system_sgpr_workgroup_id_x 1
		.amdhsa_system_sgpr_workgroup_id_y 1
		.amdhsa_system_sgpr_workgroup_id_z 1
		.amdhsa_system_sgpr_workgroup_info 0
		.amdhsa_system_vgpr_workitem_id 0
		.amdhsa_next_free_vgpr 61
		.amdhsa_next_free_sgpr 100
		.amdhsa_accum_offset 64
		.amdhsa_reserve_vcc 1
		.amdhsa_float_round_mode_32 0
		.amdhsa_float_round_mode_16_64 0
		.amdhsa_float_denorm_mode_32 3
		.amdhsa_float_denorm_mode_16_64 3
		.amdhsa_dx10_clamp 1
		.amdhsa_ieee_mode 1
		.amdhsa_fp16_overflow 0
		.amdhsa_tg_split 0
		.amdhsa_exception_fp_ieee_invalid_op 0
		.amdhsa_exception_fp_denorm_src 0
		.amdhsa_exception_fp_ieee_div_zero 0
		.amdhsa_exception_fp_ieee_overflow 0
		.amdhsa_exception_fp_ieee_underflow 0
		.amdhsa_exception_fp_ieee_inexact 0
		.amdhsa_exception_int_div_zero 0
	.end_amdhsa_kernel
	.section	.text._ZN2at6native12_GLOBAL__N_112gatherMedianIljLi1EEEvNS_4cuda6detail10TensorInfoIT_T0_EENS5_IlS7_EENS5_IKS6_S7_EES7_S7_S7_b,"axG",@progbits,_ZN2at6native12_GLOBAL__N_112gatherMedianIljLi1EEEvNS_4cuda6detail10TensorInfoIT_T0_EENS5_IlS7_EENS5_IKS6_S7_EES7_S7_S7_b,comdat
.Lfunc_end96:
	.size	_ZN2at6native12_GLOBAL__N_112gatherMedianIljLi1EEEvNS_4cuda6detail10TensorInfoIT_T0_EENS5_IlS7_EENS5_IKS6_S7_EES7_S7_S7_b, .Lfunc_end96-_ZN2at6native12_GLOBAL__N_112gatherMedianIljLi1EEEvNS_4cuda6detail10TensorInfoIT_T0_EENS5_IlS7_EENS5_IKS6_S7_EES7_S7_S7_b
                                        ; -- End function
	.set _ZN2at6native12_GLOBAL__N_112gatherMedianIljLi1EEEvNS_4cuda6detail10TensorInfoIT_T0_EENS5_IlS7_EENS5_IKS6_S7_EES7_S7_S7_b.num_vgpr, 61
	.set _ZN2at6native12_GLOBAL__N_112gatherMedianIljLi1EEEvNS_4cuda6detail10TensorInfoIT_T0_EENS5_IlS7_EENS5_IKS6_S7_EES7_S7_S7_b.num_agpr, 0
	.set _ZN2at6native12_GLOBAL__N_112gatherMedianIljLi1EEEvNS_4cuda6detail10TensorInfoIT_T0_EENS5_IlS7_EENS5_IKS6_S7_EES7_S7_S7_b.numbered_sgpr, 100
	.set _ZN2at6native12_GLOBAL__N_112gatherMedianIljLi1EEEvNS_4cuda6detail10TensorInfoIT_T0_EENS5_IlS7_EENS5_IKS6_S7_EES7_S7_S7_b.num_named_barrier, 0
	.set _ZN2at6native12_GLOBAL__N_112gatherMedianIljLi1EEEvNS_4cuda6detail10TensorInfoIT_T0_EENS5_IlS7_EENS5_IKS6_S7_EES7_S7_S7_b.private_seg_size, 0
	.set _ZN2at6native12_GLOBAL__N_112gatherMedianIljLi1EEEvNS_4cuda6detail10TensorInfoIT_T0_EENS5_IlS7_EENS5_IKS6_S7_EES7_S7_S7_b.uses_vcc, 1
	.set _ZN2at6native12_GLOBAL__N_112gatherMedianIljLi1EEEvNS_4cuda6detail10TensorInfoIT_T0_EENS5_IlS7_EENS5_IKS6_S7_EES7_S7_S7_b.uses_flat_scratch, 0
	.set _ZN2at6native12_GLOBAL__N_112gatherMedianIljLi1EEEvNS_4cuda6detail10TensorInfoIT_T0_EENS5_IlS7_EENS5_IKS6_S7_EES7_S7_S7_b.has_dyn_sized_stack, 0
	.set _ZN2at6native12_GLOBAL__N_112gatherMedianIljLi1EEEvNS_4cuda6detail10TensorInfoIT_T0_EENS5_IlS7_EENS5_IKS6_S7_EES7_S7_S7_b.has_recursion, 0
	.set _ZN2at6native12_GLOBAL__N_112gatherMedianIljLi1EEEvNS_4cuda6detail10TensorInfoIT_T0_EENS5_IlS7_EENS5_IKS6_S7_EES7_S7_S7_b.has_indirect_call, 0
	.section	.AMDGPU.csdata,"",@progbits
; Kernel info:
; codeLenInByte = 8880
; TotalNumSgprs: 106
; NumVgprs: 61
; NumAgprs: 0
; TotalNumVgprs: 61
; ScratchSize: 0
; MemoryBound: 0
; FloatMode: 240
; IeeeMode: 1
; LDSByteSize: 4120 bytes/workgroup (compile time only)
; SGPRBlocks: 13
; VGPRBlocks: 7
; NumSGPRsForWavesPerEU: 106
; NumVGPRsForWavesPerEU: 61
; AccumOffset: 64
; Occupancy: 7
; WaveLimiterHint : 1
; COMPUTE_PGM_RSRC2:SCRATCH_EN: 0
; COMPUTE_PGM_RSRC2:USER_SGPR: 2
; COMPUTE_PGM_RSRC2:TRAP_HANDLER: 0
; COMPUTE_PGM_RSRC2:TGID_X_EN: 1
; COMPUTE_PGM_RSRC2:TGID_Y_EN: 1
; COMPUTE_PGM_RSRC2:TGID_Z_EN: 1
; COMPUTE_PGM_RSRC2:TIDIG_COMP_CNT: 0
; COMPUTE_PGM_RSRC3_GFX90A:ACCUM_OFFSET: 15
; COMPUTE_PGM_RSRC3_GFX90A:TG_SPLIT: 0
	.section	.text._ZN2at6native12_GLOBAL__N_112gatherMedianIljLi2EEEvNS_4cuda6detail10TensorInfoIT_T0_EENS5_IlS7_EENS5_IKS6_S7_EES7_S7_S7_b,"axG",@progbits,_ZN2at6native12_GLOBAL__N_112gatherMedianIljLi2EEEvNS_4cuda6detail10TensorInfoIT_T0_EENS5_IlS7_EENS5_IKS6_S7_EES7_S7_S7_b,comdat
	.globl	_ZN2at6native12_GLOBAL__N_112gatherMedianIljLi2EEEvNS_4cuda6detail10TensorInfoIT_T0_EENS5_IlS7_EENS5_IKS6_S7_EES7_S7_S7_b ; -- Begin function _ZN2at6native12_GLOBAL__N_112gatherMedianIljLi2EEEvNS_4cuda6detail10TensorInfoIT_T0_EENS5_IlS7_EENS5_IKS6_S7_EES7_S7_S7_b
	.p2align	8
	.type	_ZN2at6native12_GLOBAL__N_112gatherMedianIljLi2EEEvNS_4cuda6detail10TensorInfoIT_T0_EENS5_IlS7_EENS5_IKS6_S7_EES7_S7_S7_b,@function
_ZN2at6native12_GLOBAL__N_112gatherMedianIljLi2EEEvNS_4cuda6detail10TensorInfoIT_T0_EENS5_IlS7_EENS5_IKS6_S7_EES7_S7_S7_b: ; @_ZN2at6native12_GLOBAL__N_112gatherMedianIljLi2EEEvNS_4cuda6detail10TensorInfoIT_T0_EENS5_IlS7_EENS5_IKS6_S7_EES7_S7_S7_b
; %bb.0:
	s_load_dwordx2 s[10:11], s[0:1], 0x298
	s_load_dwordx4 s[56:59], s[0:1], 0x288
	s_add_u32 s8, s0, 0x298
	s_addc_u32 s9, s1, 0
	s_waitcnt lgkmcnt(0)
	s_mul_i32 s4, s11, s4
	s_add_i32 s3, s4, s3
	s_mul_i32 s3, s3, s10
	s_add_i32 s19, s3, s2
	s_cmp_ge_u32 s19, s57
	s_cbranch_scc1 .LBB97_239
; %bb.1:
	s_load_dword s3, s[0:1], 0xc
	s_load_dword s4, s[0:1], 0xe4
	;; [unrolled: 1-line block ×3, first 2 shown]
                                        ; implicit-def: $vgpr60 : SGPR spill to VGPR lane
	v_cmp_eq_u32_e64 s[14:15], 0, v0
	s_waitcnt lgkmcnt(0)
	v_cvt_f32_u32_e32 v1, s3
	v_cvt_f32_u32_e32 v2, s4
	;; [unrolled: 1-line block ×3, first 2 shown]
	v_writelane_b32 v60, s3, 0
	v_rcp_iflag_f32_e32 v1, v1
	v_rcp_iflag_f32_e32 v2, v2
	;; [unrolled: 1-line block ×3, first 2 shown]
	s_sub_i32 s3, 0, s3
	v_mul_f32_e32 v1, 0x4f7ffffe, v1
	v_mul_f32_e32 v2, 0x4f7ffffe, v2
	v_cvt_u32_f32_e32 v1, v1
	v_cvt_u32_f32_e32 v2, v2
	v_mul_f32_e32 v3, 0x4f7ffffe, v3
	v_cvt_u32_f32_e32 v3, v3
	v_writelane_b32 v60, s4, 1
	s_sub_i32 s4, 0, s4
	v_readfirstlane_b32 s17, v1
	v_readfirstlane_b32 s18, v2
	s_mul_i32 s3, s3, s17
	s_mul_i32 s4, s4, s18
	s_mul_hi_u32 s6, s17, s3
	s_mul_hi_u32 s7, s18, s4
	s_sub_i32 s3, 0, s11
	v_readfirstlane_b32 s4, v3
	s_mul_i32 s3, s3, s4
	s_mul_hi_u32 s3, s4, s3
	s_add_i32 s3, s4, s3
	s_and_saveexec_b64 s[4:5], s[14:15]
; %bb.2:
	v_mov_b32_e32 v2, 0
	v_mov_b32_e32 v3, v2
	ds_write_b64 v2, v[2:3] offset:4096
; %bb.3:
	s_or_b64 exec, exec, s[4:5]
	v_mov_b32_e32 v1, 0
	s_waitcnt lgkmcnt(0)
	s_barrier
	s_barrier
	ds_read_b64 v[2:3], v1 offset:4096
	s_add_i32 s17, s17, s6
	s_add_i32 s18, s18, s7
	s_load_dwordx2 s[6:7], s[0:1], 0x21c
	s_load_dwordx2 s[4:5], s[0:1], 0x1b0
	s_bitcmp1_b32 s59, 0
	s_waitcnt lgkmcnt(0)
	v_readfirstlane_b32 s12, v2
	v_readfirstlane_b32 s13, v3
	s_cselect_b64 s[20:21], -1, 0
	s_mul_hi_u32 s16, s19, s3
	v_cmp_lt_i64_e64 s[22:23], s[12:13], 1
	s_or_b64 s[20:21], s[20:21], s[22:23]
	s_andn2_b64 vcc, exec, s[20:21]
	s_mov_b32 s3, s56
	s_cbranch_vccnz .LBB97_5
; %bb.4:
	s_not_b64 s[12:13], s[12:13]
	s_add_u32 s3, s12, s56
	s_addc_u32 s13, s13, 0
	s_lshr_b32 s12, s13, 31
	s_add_u32 s12, s3, s12
	s_addc_u32 s13, s13, 0
	s_lshr_b64 s[12:13], s[12:13], 1
	s_add_i32 s3, s12, 1
.LBB97_5:
	s_load_dwordx2 s[12:13], s[0:1], 0x144
                                        ; kill: killed $sgpr0 killed $sgpr1
	s_waitcnt lgkmcnt(0)
	v_writelane_b32 v60, s12, 2
	s_nop 1
	v_writelane_b32 v60, s13, 3
	s_load_dwordx2 s[12:13], s[0:1], 0xd8
	s_waitcnt lgkmcnt(0)
	v_writelane_b32 v60, s12, 4
	s_nop 1
	v_writelane_b32 v60, s13, 5
	s_load_dwordx2 s[12:13], s[0:1], 0x6c
	;; [unrolled: 5-line block ×3, first 2 shown]
	s_mul_hi_u32 s0, s19, s17
	s_waitcnt lgkmcnt(0)
	v_writelane_b32 v60, s12, 8
	s_nop 1
	v_writelane_b32 v60, s13, 9
	v_writelane_b32 v60, s0, 10
	s_mul_hi_u32 s0, s19, s18
	v_writelane_b32 v60, s0, 11
	s_and_saveexec_b64 s[0:1], s[14:15]
	s_cbranch_execz .LBB97_7
; %bb.6:
	v_mov_b32_e32 v2, 0
	v_mov_b32_e32 v3, s56
	ds_write_b32 v2, v2 offset:4112
	ds_write_b64 v2, v[2:3] offset:4104
.LBB97_7:
	s_or_b64 exec, exec, s[0:1]
	s_mul_i32 s0, s16, s11
	s_sub_i32 s0, s19, s0
	s_add_i32 s1, s16, 1
	s_sub_i32 s12, s0, s11
	s_cmp_ge_u32 s0, s11
	s_cselect_b32 s1, s1, s16
	s_cselect_b32 s0, s12, s0
	s_add_i32 s12, s1, 1
	s_cmp_ge_u32 s0, s11
	s_cselect_b32 s0, s12, s1
	s_mul_i32 s1, s0, s11
	s_sub_i32 s1, s19, s1
	s_mov_b32 s20, 0
	s_mul_i32 s1, s1, s7
	s_mul_i32 s0, s0, s6
	s_waitcnt lgkmcnt(0)
	s_barrier
	s_load_dword s11, s[8:9], 0xc
	s_mov_b32 s21, 1
	s_add_i32 s0, s0, s1
	s_mov_b32 s1, s20
	s_lshl_b64 s[0:1], s[0:1], 3
	s_add_u32 s64, s4, s0
	v_writelane_b32 v60, s19, 12
	s_addc_u32 s65, s5, s1
	v_cmp_gt_u32_e64 s[0:1], s56, v0
	v_mbcnt_lo_u32_b32 v1, -1, 0
	s_waitcnt lgkmcnt(0)
	s_and_b32 s59, s11, 0xffff
	v_writelane_b32 v60, s0, 13
	v_mbcnt_hi_u32_b32 v34, -1, v1
	v_cmp_gt_u32_e32 vcc, 64, v0
	v_writelane_b32 v60, s1, 14
	v_cmp_gt_i32_e64 s[0:1], 4, v34
	s_add_i32 s83, s59, -1
	s_lshl_b32 s82, s59, 2
	s_and_b64 s[72:73], vcc, s[0:1]
	s_add_i32 s0, s83, s56
	s_cmpk_gt_u32 s56, 0x180
	s_cselect_b64 s[74:75], -1, 0
	s_cmp_gt_u32 s59, 63
	s_cselect_b64 s[76:77], -1, 0
	s_cmp_lt_u32 s2, s10
	s_cselect_b32 s1, 12, 18
	s_add_u32 s8, s8, s1
	s_addc_u32 s9, s9, 0
	v_writelane_b32 v60, s8, 15
	v_lshlrev_b64 v[2:3], v34, -1
	v_not_b32_e32 v22, v2
	v_writelane_b32 v60, s9, 16
	s_bfe_u32 s8, s11, 0xa0006
	v_lshrrev_b32_e32 v2, 2, v0
	s_add_i32 s1, s8, -2
	v_and_b32_e32 v2, 0xf0, v2
	s_lshr_b32 s2, s1, 1
	v_or_b32_e32 v37, 0xc00, v2
	s_add_i32 s2, s2, 1
	v_cvt_f32_u32_e32 v2, s82
	s_cmpk_gt_u32 s59, 0x7f
	s_cselect_b64 s[10:11], -1, 0
	v_writelane_b32 v60, s10, 17
	s_and_b32 s9, s8, 0x3fe
	v_rcp_iflag_f32_e32 v2, v2
	v_writelane_b32 v60, s11, 18
	s_and_b32 s10, s2, 7
	s_cmp_gt_u32 s1, 13
	s_cselect_b64 s[12:13], -1, 0
	v_writelane_b32 v60, s12, 19
	s_and_b32 s1, s2, -8
	v_mul_f32_e32 v2, 0x4f7ffffe, v2
	v_writelane_b32 v60, s13, 20
	v_writelane_b32 v60, s1, 21
	s_cmp_lg_u32 s10, 0
	v_cvt_u32_f32_e32 v2, v2
	v_writelane_b32 v60, s10, 22
	s_cselect_b64 s[10:11], -1, 0
	v_writelane_b32 v60, s10, 23
	s_cmp_lg_u32 s9, s8
	v_readfirstlane_b32 s2, v2
	v_writelane_b32 v60, s11, 24
	v_writelane_b32 v60, s8, 25
	v_cvt_f32_u32_e32 v2, s59
	v_writelane_b32 v60, s9, 26
	s_cselect_b64 s[8:9], -1, 0
	s_sub_i32 s1, 0, s82
	s_mul_i32 s1, s1, s2
	s_mul_hi_u32 s1, s2, s1
	s_add_i32 s87, s2, s1
	v_rcp_iflag_f32_e32 v2, v2
	s_mul_hi_u32 s1, s56, s87
	s_mul_i32 s1, s1, s82
	s_sub_i32 s1, s56, s1
	s_sub_i32 s2, s1, s82
	v_mul_f32_e32 v2, 0x4f7ffffe, v2
	s_cmp_ge_u32 s1, s82
	v_cvt_u32_f32_e32 v2, v2
	s_cselect_b32 s1, s2, s1
	s_sub_i32 s2, s1, s82
	s_cmp_ge_u32 s1, s82
	s_cselect_b32 s1, s2, s1
	s_sub_i32 s2, 0, s59
	v_readfirstlane_b32 s12, v2
	s_mul_i32 s2, s2, s12
	s_mul_hi_u32 s2, s12, s2
	s_add_i32 s86, s12, s2
	s_mul_hi_u32 s2, s0, s86
	s_mul_i32 s2, s2, s59
	s_sub_i32 s2, s0, s2
	s_sub_i32 s85, s56, s1
	;; [unrolled: 1-line block ×3, first 2 shown]
	s_cmp_ge_u32 s2, s59
	s_cselect_b32 s2, s12, s2
	v_lshlrev_b32_e32 v23, 2, v0
	s_sub_i32 s12, s2, s59
	s_cmp_ge_u32 s2, s59
	v_mul_lo_u32 v2, s58, v23
	s_cselect_b32 s2, s12, s2
	v_add_u32_e32 v39, s58, v2
	v_or_b32_e32 v2, 2, v23
	s_sub_i32 s78, s0, s2
	v_mul_lo_u32 v40, s58, v2
	v_or_b32_e32 v2, 3, v23
	s_add_i32 s0, s59, s56
	v_mov_b32_e32 v19, 0
	v_add_u32_e32 v38, s85, v0
	v_mul_lo_u32 v41, s58, v2
	v_add_u32_e32 v2, s0, v0
	v_lshlrev_b32_e32 v35, 3, v0
	v_mul_lo_u32 v16, s58, v0
	v_mov_b32_e32 v17, v19
	v_lshlrev_b32_e32 v4, 2, v34
	v_writelane_b32 v60, s8, 27
	v_mul_lo_u32 v18, v38, s58
	s_mul_i32 s57, s58, s59
	v_subrev_u32_e32 v2, s1, v2
	v_cmp_eq_u32_e64 s[4:5], 0, v34
	v_cmp_gt_u32_e64 s[6:7], 2, v0
	v_add_u32_e32 v36, 0xc00, v35
	v_lshl_add_u64 v[20:21], v[16:17], 3, s[64:65]
	v_and_b32_e32 v17, 0x100, v4
	v_not_b32_e32 v1, v3
	v_writelane_b32 v60, s9, 28
	v_cmp_gt_u32_e64 s[8:9], s85, v23
	v_cmp_gt_u32_e64 s[10:11], s56, v38
	v_lshl_add_u64 v[24:25], v[18:19], 3, s[64:65]
	v_cmp_gt_u32_e64 s[12:13], s78, v0
	s_lshl_b32 s79, s57, 2
	v_lshlrev_b32_e32 v42, 2, v16
	v_mul_lo_u32 v43, s58, v2
	v_lshlrev_b32_e32 v44, 5, v0
	s_lshl_b32 s84, s59, 5
	s_lshl_b32 s33, s59, 3
	v_or_b32_e32 v45, 0xc00, v4
	s_mov_b32 s80, 62
	s_mov_b64 s[88:89], 0
	v_mov_b64_e32 v[6:7], 0
	v_mov_b32_e32 v47, s3
	v_mov_b64_e32 v[26:27], 0
	v_mov_b64_e32 v[28:29], 0
	v_mov_b32_e32 v49, s56
	v_mov_b32_e32 v2, 1
	;; [unrolled: 1-line block ×5, first 2 shown]
	s_mov_b32 s81, s20
                                        ; implicit-def: $sgpr90_sgpr91
                                        ; implicit-def: $sgpr94_sgpr95
                                        ; implicit-def: $sgpr92_sgpr93
                                        ; implicit-def: $sgpr98_sgpr99
                                        ; implicit-def: $sgpr60_sgpr61
                                        ; implicit-def: $sgpr96_sgpr97
	s_branch .LBB97_11
.LBB97_8:                               ;   in Loop: Header=BB97_11 Depth=1
	s_or_b64 exec, exec, s[26:27]
	s_and_b64 s[20:21], s[20:21], exec
	s_andn2_b64 s[24:25], s[24:25], exec
	s_andn2_b64 s[22:23], s[22:23], exec
	s_orn2_b64 s[18:19], s[18:19], exec
.LBB97_9:                               ;   in Loop: Header=BB97_11 Depth=1
	s_or_b64 exec, exec, s[0:1]
	s_andn2_b64 s[0:1], s[96:97], exec
	s_and_b64 s[16:17], s[20:21], exec
	s_or_b64 s[96:97], s[0:1], s[16:17]
	s_andn2_b64 s[0:1], s[60:61], exec
	s_and_b64 s[16:17], s[24:25], exec
	s_or_b64 s[60:61], s[0:1], s[16:17]
	;; [unrolled: 3-line block ×3, first 2 shown]
	s_orn2_b64 s[18:19], s[18:19], exec
.LBB97_10:                              ;   in Loop: Header=BB97_11 Depth=1
	s_or_b64 exec, exec, s[2:3]
	s_and_b64 s[0:1], exec, s[18:19]
	s_or_b64 s[88:89], s[0:1], s[88:89]
	s_andn2_b64 s[0:1], s[92:93], exec
	s_and_b64 s[2:3], s[96:97], exec
	s_or_b64 s[92:93], s[0:1], s[2:3]
	s_andn2_b64 s[0:1], s[94:95], exec
	s_and_b64 s[2:3], s[60:61], exec
	;; [unrolled: 3-line block ×3, first 2 shown]
	s_or_b64 s[90:91], s[0:1], s[2:3]
	s_mov_b32 s81, s31
	s_mov_b32 s80, s30
	v_mov_b32_e32 v47, v9
	s_andn2_b64 exec, exec, s[88:89]
	s_cbranch_execz .LBB97_235
.LBB97_11:                              ; =>This Loop Header: Depth=1
                                        ;     Child Loop BB97_17 Depth 2
                                        ;     Child Loop BB97_30 Depth 2
	;; [unrolled: 1-line block ×17, first 2 shown]
	ds_read_b64 v[4:5], v19 offset:4104
	s_waitcnt lgkmcnt(0)
	v_readfirstlane_b32 s16, v4
	s_cmp_lg_u32 s16, 0
	s_cbranch_scc1 .LBB97_38
; %bb.12:                               ;   in Loop: Header=BB97_11 Depth=1
	s_and_b64 vcc, exec, s[74:75]
	s_cbranch_vccz .LBB97_25
; %bb.13:                               ;   in Loop: Header=BB97_11 Depth=1
	s_movk_i32 s0, 0x181
	v_cmp_gt_u32_e32 vcc, s0, v5
	s_mov_b64 s[18:19], 0
	s_mov_b64 s[0:1], 0
	s_cbranch_vccz .LBB97_26
; %bb.14:                               ;   in Loop: Header=BB97_11 Depth=1
	s_mov_b64 s[20:21], exec
	v_readlane_b32 s0, v60, 13
	v_readlane_b32 s1, v60, 14
	s_and_b64 s[0:1], s[20:21], s[0:1]
	s_mov_b64 exec, s[0:1]
	s_cbranch_execz .LBB97_69
; %bb.15:                               ;   in Loop: Header=BB97_11 Depth=1
	v_readlane_b32 s0, v60, 15
	v_readlane_b32 s1, v60, 16
	s_nop 4
	global_load_ushort v3, v19, s[0:1]
	global_load_dwordx2 v[4:5], v[20:21], off
	s_mov_b64 s[22:23], 0
	v_mov_b32_e32 v11, v0
	s_waitcnt vmcnt(1)
	v_add_u32_e32 v8, v0, v3
	v_mul_lo_u32 v10, s58, v3
	v_mul_lo_u32 v18, s58, v8
	s_branch .LBB97_17
.LBB97_16:                              ;   in Loop: Header=BB97_17 Depth=2
	s_or_b64 exec, exec, s[2:3]
	v_add_u32_e32 v18, v18, v10
	v_mov_b64_e32 v[4:5], v[8:9]
	s_andn2_b64 exec, exec, s[22:23]
	s_cbranch_execz .LBB97_69
.LBB97_17:                              ;   Parent Loop BB97_11 Depth=1
                                        ; =>  This Inner Loop Header: Depth=2
	v_add_u32_e32 v11, v11, v3
	v_cmp_gt_u32_e64 s[0:1], s56, v11
	v_cmp_le_u32_e32 vcc, s56, v11
	v_mov_b64_e32 v[8:9], 0
	s_and_saveexec_b64 s[2:3], s[0:1]
	s_cbranch_execz .LBB97_19
; %bb.18:                               ;   in Loop: Header=BB97_17 Depth=2
	v_lshl_add_u64 v[8:9], v[18:19], 3, s[64:65]
	global_load_dwordx2 v[8:9], v[8:9], off
.LBB97_19:                              ;   in Loop: Header=BB97_17 Depth=2
	s_or_b64 exec, exec, s[2:3]
	s_waitcnt vmcnt(0) lgkmcnt(0)
	v_xor_b32_e32 v12, 0x80000000, v5
	v_and_b32_e32 v13, v12, v29
	v_and_b32_e32 v12, v4, v28
	v_cmp_eq_u64_e64 s[0:1], v[12:13], v[26:27]
	s_cmp_lg_u64 s[0:1], 0
	s_cselect_b64 s[2:3], -1, 0
	s_and_b64 s[2:3], s[4:5], s[2:3]
	v_mov_b32_e32 v12, 0
	s_and_saveexec_b64 s[24:25], s[2:3]
	s_cbranch_execz .LBB97_23
; %bb.20:                               ;   in Loop: Header=BB97_17 Depth=2
	s_mov_b64 s[28:29], exec
	v_mbcnt_lo_u32_b32 v12, s28, 0
	v_mbcnt_hi_u32_b32 v12, s29, v12
	s_bcnt1_i32_b64 s16, s[0:1]
	v_cmp_eq_u32_e64 s[2:3], 0, v12
                                        ; implicit-def: $vgpr13
	s_and_saveexec_b64 s[26:27], s[2:3]
; %bb.21:                               ;   in Loop: Header=BB97_17 Depth=2
	s_bcnt1_i32_b64 s2, s[28:29]
	s_mul_i32 s2, s16, s2
	v_mov_b32_e32 v13, s2
	ds_add_rtn_u32 v13, v19, v13 offset:4112
; %bb.22:                               ;   in Loop: Header=BB97_17 Depth=2
	s_or_b64 exec, exec, s[26:27]
	s_waitcnt lgkmcnt(0)
	v_readfirstlane_b32 s2, v13
	s_nop 1
	v_mov_b32_e32 v13, s2
	v_mad_u32_u24 v12, s16, v12, v13
.LBB97_23:                              ;   in Loop: Header=BB97_17 Depth=2
	s_or_b64 exec, exec, s[24:25]
	ds_bpermute_b32 v12, v17, v12
	s_and_b64 s[2:3], exec, vcc
	s_or_b64 s[22:23], s[2:3], s[22:23]
	s_and_saveexec_b64 s[2:3], s[0:1]
	s_cbranch_execz .LBB97_16
; %bb.24:                               ;   in Loop: Header=BB97_17 Depth=2
	v_and_b32_e32 v14, s0, v22
	v_and_b32_e32 v13, s1, v1
	v_bcnt_u32_b32 v14, v14, 0
	v_bcnt_u32_b32 v13, v13, v14
	v_lshlrev_b32_e32 v13, 3, v13
	s_waitcnt lgkmcnt(0)
	v_lshl_add_u32 v12, v12, 3, v13
	ds_write_b64 v12, v[4:5]
	s_branch .LBB97_16
.LBB97_25:                              ;   in Loop: Header=BB97_11 Depth=1
	s_mov_b64 s[18:19], -1
	s_mov_b64 s[0:1], 0
.LBB97_26:                              ;   in Loop: Header=BB97_11 Depth=1
	s_and_b64 vcc, exec, s[18:19]
	s_cbranch_vccz .LBB97_36
.LBB97_27:                              ;   in Loop: Header=BB97_11 Depth=1
	s_mov_b64 s[0:1], exec
	v_readlane_b32 s2, v60, 13
	v_readlane_b32 s3, v60, 14
	s_and_b64 s[2:3], s[0:1], s[2:3]
	s_mov_b64 exec, s[2:3]
	s_cbranch_execz .LBB97_33
; %bb.28:                               ;   in Loop: Header=BB97_11 Depth=1
	v_readlane_b32 s2, v60, 15
	v_readlane_b32 s3, v60, 16
	s_nop 4
	global_load_ushort v3, v19, s[2:3]
	global_load_dwordx2 v[4:5], v[20:21], off
	v_mov_b32_e32 v10, v0
	s_waitcnt vmcnt(1)
	v_add_u32_e32 v8, v0, v3
	v_cmp_gt_u32_e32 vcc, s56, v8
	s_and_saveexec_b64 s[2:3], vcc
	s_cbranch_execz .LBB97_32
; %bb.29:                               ;   in Loop: Header=BB97_11 Depth=1
	v_lshlrev_b32_e32 v11, 3, v3
	v_mul_lo_u32 v18, s58, v8
	v_mul_lo_u32 v12, s58, v3
	s_mov_b64 s[18:19], 0
	v_mov_b32_e32 v13, v35
	v_mov_b32_e32 v10, v0
.LBB97_30:                              ;   Parent Loop BB97_11 Depth=1
                                        ; =>  This Inner Loop Header: Depth=2
	v_lshl_add_u64 v[8:9], v[18:19], 3, s[64:65]
	global_load_dwordx2 v[8:9], v[8:9], off
	v_add_u32_e32 v10, v10, v3
	s_waitcnt vmcnt(1)
	ds_write_b64 v13, v[4:5]
	v_add_u32_e32 v4, v3, v10
	v_cmp_le_u32_e32 vcc, s56, v4
	v_add_u32_e32 v13, v13, v11
	v_add_u32_e32 v18, v18, v12
	s_or_b64 s[18:19], vcc, s[18:19]
	s_waitcnt vmcnt(0)
	v_mov_b64_e32 v[4:5], v[8:9]
	s_andn2_b64 exec, exec, s[18:19]
	s_cbranch_execnz .LBB97_30
; %bb.31:                               ;   in Loop: Header=BB97_11 Depth=1
	s_or_b64 exec, exec, s[18:19]
	v_mov_b64_e32 v[4:5], v[8:9]
.LBB97_32:                              ;   in Loop: Header=BB97_11 Depth=1
	s_or_b64 exec, exec, s[2:3]
	v_lshlrev_b32_e32 v3, 3, v10
	s_waitcnt vmcnt(0)
	ds_write_b64 v3, v[4:5]
.LBB97_33:                              ;   in Loop: Header=BB97_11 Depth=1
	s_or_b64 exec, exec, s[0:1]
	s_waitcnt lgkmcnt(0)
	s_barrier
	s_and_saveexec_b64 s[0:1], s[14:15]
; %bb.34:                               ;   in Loop: Header=BB97_11 Depth=1
	ds_write_b32 v19, v49 offset:4104
; %bb.35:                               ;   in Loop: Header=BB97_11 Depth=1
	s_or_b64 exec, exec, s[0:1]
	s_mov_b64 s[0:1], -1
	s_waitcnt lgkmcnt(0)
	s_barrier
.LBB97_36:                              ;   in Loop: Header=BB97_11 Depth=1
	s_mov_b32 s16, 0
	s_and_b64 vcc, exec, s[0:1]
	s_cbranch_vccz .LBB97_38
; %bb.37:                               ;   in Loop: Header=BB97_11 Depth=1
	ds_read_b32 v3, v19 offset:4104
	s_waitcnt lgkmcnt(0)
	v_readfirstlane_b32 s16, v3
.LBB97_38:                              ;   in Loop: Header=BB97_11 Depth=1
	s_cmp_lt_i32 s16, 1
	s_mov_b64 s[0:1], -1
                                        ; implicit-def: $vgpr10_vgpr11
	s_cbranch_scc1 .LBB97_48
; %bb.39:                               ;   in Loop: Header=BB97_11 Depth=1
	s_and_b64 vcc, exec, s[0:1]
	s_cbranch_vccnz .LBB97_59
.LBB97_40:                              ;   in Loop: Header=BB97_11 Depth=1
	s_lshl_b32 s16, s81, 6
	s_and_saveexec_b64 s[0:1], s[4:5]
.LBB97_41:                              ;   in Loop: Header=BB97_11 Depth=1
	v_lshl_add_u32 v3, s16, 2, v37
	ds_write_b128 v3, v[8:11]
.LBB97_42:                              ;   in Loop: Header=BB97_11 Depth=1
	s_or_b64 exec, exec, s[0:1]
	s_waitcnt lgkmcnt(0)
	s_barrier
	s_and_saveexec_b64 s[0:1], s[72:73]
	s_cbranch_execz .LBB97_79
; %bb.43:                               ;   in Loop: Header=BB97_11 Depth=1
	v_add_u32_e32 v3, s16, v34
	s_andn2_b64 vcc, exec, s[76:77]
	v_mov_b32_e32 v4, 0
	s_cbranch_vccnz .LBB97_78
; %bb.44:                               ;   in Loop: Header=BB97_11 Depth=1
	v_readlane_b32 s2, v60, 17
	v_readlane_b32 s3, v60, 18
	s_andn2_b64 vcc, exec, s[2:3]
	s_cbranch_vccnz .LBB97_68
; %bb.45:                               ;   in Loop: Header=BB97_11 Depth=1
	v_readlane_b32 s2, v60, 19
	v_readlane_b32 s3, v60, 20
	s_andn2_b64 vcc, exec, s[2:3]
	v_lshl_add_u32 v8, v3, 2, v46
	s_cbranch_vccnz .LBB97_72
; %bb.46:                               ;   in Loop: Header=BB97_11 Depth=1
	s_mov_b32 s3, 1
	s_mov_b32 s2, 0
	v_mov_b32_e32 v4, 0
	v_mov_b32_e32 v5, 0
	v_readlane_b32 s17, v60, 21
.LBB97_47:                              ;   Parent Loop BB97_11 Depth=1
                                        ; =>  This Inner Loop Header: Depth=2
	v_lshl_add_u32 v9, s2, 4, v8
	v_lshl_add_u32 v18, s3, 4, v8
	ds_read2_b32 v[10:11], v9 offset1:8
	ds_read2_b32 v[12:13], v18 offset1:8
	ds_read2_b32 v[14:15], v9 offset0:16 offset1:24
	ds_read2_b32 v[30:31], v18 offset0:16 offset1:24
	;; [unrolled: 1-line block ×6, first 2 shown]
	s_waitcnt lgkmcnt(7)
	v_add3_u32 v4, v10, v4, v11
	s_waitcnt lgkmcnt(6)
	v_add3_u32 v5, v12, v5, v13
	;; [unrolled: 2-line block ×3, first 2 shown]
	v_add3_u32 v4, v14, v4, v15
	s_add_i32 s3, s3, 16
	s_add_i32 s2, s2, 16
	s_add_i32 s17, s17, -8
	s_waitcnt lgkmcnt(3)
	v_add3_u32 v4, v32, v4, v33
	s_waitcnt lgkmcnt(2)
	v_add3_u32 v5, v52, v5, v53
	s_cmp_lg_u32 s17, 0
	s_waitcnt lgkmcnt(0)
	v_add3_u32 v5, v56, v5, v57
	v_add3_u32 v4, v54, v4, v55
	s_cbranch_scc1 .LBB97_47
	s_branch .LBB97_73
.LBB97_48:                              ;   in Loop: Header=BB97_11 Depth=1
	v_mov_b32_e32 v18, v19
	v_mov_b64_e32 v[10:11], v[18:19]
	v_mov_b64_e32 v[8:9], v[18:19]
	s_and_saveexec_b64 s[44:45], s[8:9]
	s_cbranch_execz .LBB97_52
; %bb.49:                               ;   in Loop: Header=BB97_11 Depth=1
	s_mov_b32 s17, 0
	s_mov_b64 s[46:47], 0
	v_mov_b32_e32 v3, v23
	s_mov_b32 s50, 0
	s_mov_b32 s51, s17
	;; [unrolled: 1-line block ×4, first 2 shown]
.LBB97_50:                              ;   Parent Loop BB97_11 Depth=1
                                        ; =>  This Inner Loop Header: Depth=2
	v_add_u32_e32 v18, s17, v42
	v_lshl_add_u64 v[12:13], v[18:19], 3, s[64:65]
	v_add_u32_e32 v18, s17, v39
	global_load_dwordx2 v[12:13], v[12:13], off
	v_lshl_add_u64 v[14:15], v[18:19], 3, s[64:65]
	v_add_u32_e32 v18, s17, v40
	global_load_dwordx2 v[14:15], v[14:15], off
	;; [unrolled: 3-line block ×3, first 2 shown]
	v_lshl_add_u64 v[32:33], v[18:19], 3, s[64:65]
	global_load_dwordx2 v[32:33], v[32:33], off
	v_mov_b32_e32 v11, v19
	v_mov_b32_e32 v9, v19
	;; [unrolled: 1-line block ×3, first 2 shown]
	v_add_u32_e32 v3, s82, v3
	v_cmp_le_u32_e32 vcc, s85, v3
	s_add_i32 s17, s17, s79
	s_waitcnt vmcnt(3)
	v_xor_b32_e32 v13, 0x80000000, v13
	v_and_b32_e32 v52, v12, v28
	v_and_b32_e32 v53, v13, v29
	v_lshrrev_b64 v[12:13], s80, v[12:13]
	s_waitcnt vmcnt(2)
	v_xor_b32_e32 v15, 0x80000000, v15
	v_and_b32_e32 v18, 3, v12
	v_cmp_eq_u64_e64 s[0:1], v[52:53], v[26:27]
	v_lshrrev_b64 v[12:13], s80, v[14:15]
	v_cmp_eq_u64_e64 s[18:19], 0, v[18:19]
	s_waitcnt vmcnt(1)
	v_xor_b32_e32 v31, 0x80000000, v31
	v_and_b32_e32 v10, 3, v12
	v_cmp_eq_u64_e64 s[20:21], 1, v[18:19]
	s_and_b64 s[18:19], s[0:1], s[18:19]
	v_and_b32_e32 v54, v14, v28
	v_and_b32_e32 v55, v15, v29
	s_waitcnt vmcnt(0)
	v_xor_b32_e32 v33, 0x80000000, v33
	v_lshrrev_b64 v[12:13], s80, v[30:31]
	v_cmp_eq_u64_e64 s[22:23], 2, v[18:19]
	v_cmp_eq_u64_e64 s[28:29], 0, v[10:11]
	;; [unrolled: 1-line block ×5, first 2 shown]
	v_cndmask_b32_e64 v10, 0, 1, s[18:19]
	s_and_b64 s[18:19], s[0:1], s[20:21]
	v_and_b32_e32 v52, v30, v28
	v_cmp_eq_u64_e64 s[2:3], v[54:55], v[26:27]
	v_and_b32_e32 v53, v31, v29
	v_cmp_eq_u64_e64 s[24:25], 3, v[18:19]
	v_and_b32_e32 v8, 3, v12
	v_lshrrev_b64 v[12:13], s80, v[32:33]
	v_cndmask_b32_e64 v11, 0, 1, s[18:19]
	s_and_b64 s[18:19], s[0:1], s[22:23]
	v_cmp_eq_u64_e64 s[26:27], v[52:53], v[26:27]
	v_cndmask_b32_e64 v13, 0, 1, s[18:19]
	s_and_b64 s[0:1], s[0:1], s[24:25]
	v_cmp_eq_u64_e64 s[18:19], 0, v[8:9]
	v_cmp_eq_u64_e64 s[20:21], 1, v[8:9]
	s_and_b64 s[30:31], s[2:3], s[30:31]
	s_and_b64 s[34:35], s[2:3], s[34:35]
	v_and_b32_e32 v14, v32, v28
	v_and_b32_e32 v15, v33, v29
	v_cndmask_b32_e64 v18, 0, 1, s[0:1]
	v_and_b32_e32 v4, 3, v12
	v_cmp_eq_u64_e64 s[22:23], 2, v[8:9]
	v_cmp_eq_u64_e64 s[24:25], 3, v[8:9]
	v_cmp_ne_u32_e64 s[38:39], 0, v10
	s_and_b64 s[28:29], s[2:3], s[28:29]
	v_cndmask_b32_e64 v9, 0, 1, s[30:31]
	v_cndmask_b32_e64 v10, 0, 1, s[34:35]
	s_and_b64 s[2:3], s[2:3], s[36:37]
	s_and_b64 s[18:19], s[26:27], s[18:19]
	;; [unrolled: 1-line block ×3, first 2 shown]
	v_cmp_eq_u64_e64 s[0:1], v[14:15], v[26:27]
	v_cndmask_b32_e64 v8, 0, 1, s[28:29]
	v_cmp_ne_u32_e64 s[28:29], 0, v11
	v_cmp_ne_u32_e64 s[30:31], 0, v13
	;; [unrolled: 1-line block ×3, first 2 shown]
	v_cndmask_b32_e64 v11, 0, 1, s[2:3]
	v_cmp_eq_u64_e64 s[2:3], 0, v[4:5]
	v_cmp_eq_u64_e64 s[36:37], 1, v[4:5]
	;; [unrolled: 1-line block ×4, first 2 shown]
	v_cndmask_b32_e64 v4, 0, 1, s[18:19]
	v_cmp_ne_u32_e64 s[18:19], 0, v9
	v_cndmask_b32_e64 v5, 0, 1, s[20:21]
	v_cmp_ne_u32_e64 s[20:21], 0, v10
	s_and_b64 s[22:23], s[26:27], s[22:23]
	s_and_b64 s[24:25], s[26:27], s[24:25]
	s_bcnt1_i32_b64 s52, s[38:39]
	v_cmp_ne_u32_e64 s[38:39], 0, v8
	s_bcnt1_i32_b64 s28, s[28:29]
	s_bcnt1_i32_b64 s29, s[30:31]
	v_cndmask_b32_e64 v8, 0, 1, s[22:23]
	s_bcnt1_i32_b64 s30, s[34:35]
	v_cmp_ne_u32_e64 s[22:23], 0, v11
	v_cndmask_b32_e64 v9, 0, 1, s[24:25]
	s_and_b64 s[2:3], s[0:1], s[2:3]
	s_bcnt1_i32_b64 s27, s[18:19]
	s_and_b64 s[18:19], s[0:1], s[36:37]
	s_bcnt1_i32_b64 s34, s[20:21]
	s_and_b64 s[20:21], s[0:1], s[40:41]
	s_and_b64 s[0:1], s[0:1], s[42:43]
	s_bcnt1_i32_b64 s26, s[38:39]
	v_cmp_ne_u32_e64 s[24:25], 0, v4
	v_cndmask_b32_e64 v4, 0, 1, s[2:3]
	v_cmp_ne_u32_e64 s[2:3], 0, v5
	v_cndmask_b32_e64 v5, 0, 1, s[18:19]
	s_add_i32 s31, s50, s52
	s_add_i32 s28, s51, s28
	v_cmp_ne_u32_e64 s[18:19], 0, v8
	v_cndmask_b32_e64 v8, 0, 1, s[20:21]
	s_bcnt1_i32_b64 s22, s[22:23]
	v_cmp_ne_u32_e64 s[20:21], 0, v9
	v_cndmask_b32_e64 v9, 0, 1, s[0:1]
	s_add_i32 s23, s48, s29
	s_add_i32 s29, s49, s30
	s_bcnt1_i32_b64 s24, s[24:25]
	v_cmp_ne_u32_e64 s[0:1], 0, v4
	s_bcnt1_i32_b64 s25, s[2:3]
	v_cmp_ne_u32_e64 s[2:3], 0, v5
	s_add_i32 s27, s28, s27
	s_add_i32 s26, s31, s26
	s_bcnt1_i32_b64 s28, s[18:19]
	v_cmp_ne_u32_e64 s[18:19], 0, v8
	s_bcnt1_i32_b64 s30, s[20:21]
	v_cmp_ne_u32_e64 s[20:21], 0, v9
	s_add_i32 s22, s29, s22
	s_add_i32 s23, s23, s34
	s_bcnt1_i32_b64 s0, s[0:1]
	s_bcnt1_i32_b64 s1, s[2:3]
	s_add_i32 s2, s26, s24
	s_add_i32 s3, s27, s25
	s_bcnt1_i32_b64 s18, s[18:19]
	s_bcnt1_i32_b64 s19, s[20:21]
	s_add_i32 s20, s23, s28
	s_add_i32 s21, s22, s30
	;; [unrolled: 1-line block ×6, first 2 shown]
	s_or_b64 s[46:47], vcc, s[46:47]
	v_mov_b64_e32 v[8:9], s[50:51]
	v_mov_b64_e32 v[10:11], s[48:49]
	s_andn2_b64 exec, exec, s[46:47]
	s_cbranch_execnz .LBB97_50
; %bb.51:                               ;   in Loop: Header=BB97_11 Depth=1
	s_or_b64 exec, exec, s[46:47]
.LBB97_52:                              ;   in Loop: Header=BB97_11 Depth=1
	s_or_b64 exec, exec, s[44:45]
	s_and_saveexec_b64 s[2:3], s[10:11]
	s_cbranch_execz .LBB97_58
; %bb.53:                               ;   in Loop: Header=BB97_11 Depth=1
	global_load_dwordx2 v[14:15], v[24:25], off
	s_mov_b64 s[18:19], 0
	v_mov_b32_e32 v4, v43
	v_mov_b32_e32 v3, v38
	s_branch .LBB97_55
.LBB97_54:                              ;   in Loop: Header=BB97_55 Depth=2
	s_or_b64 exec, exec, s[20:21]
	s_waitcnt vmcnt(0)
	v_xor_b32_e32 v15, 0x80000000, v15
	v_and_b32_e32 v31, v15, v29
	v_and_b32_e32 v30, v14, v28
	v_lshrrev_b64 v[14:15], s80, v[14:15]
	s_and_b64 s[0:1], exec, vcc
	v_and_b32_e32 v18, 3, v14
	s_or_b64 s[18:19], s[0:1], s[18:19]
	v_cmp_eq_u64_e32 vcc, v[30:31], v[26:27]
	v_cmp_eq_u64_e64 s[0:1], 0, v[18:19]
	s_and_b64 s[0:1], vcc, s[0:1]
	v_add_u32_e32 v4, s57, v4
	v_cndmask_b32_e64 v5, 0, 1, s[0:1]
	v_cmp_ne_u32_e64 s[0:1], 0, v5
	s_bcnt1_i32_b64 s17, s[0:1]
	v_cmp_eq_u64_e64 s[0:1], 1, v[18:19]
	s_and_b64 s[0:1], vcc, s[0:1]
	v_add_u32_e32 v8, s17, v8
	v_cndmask_b32_e64 v5, 0, 1, s[0:1]
	v_cmp_ne_u32_e64 s[0:1], 0, v5
	s_bcnt1_i32_b64 s0, s[0:1]
	v_mov_b64_e32 v[14:15], v[12:13]
	v_add_u32_e32 v9, s0, v9
	v_cmp_eq_u64_e64 s[0:1], 2, v[18:19]
	s_and_b64 s[0:1], vcc, s[0:1]
	s_nop 0
	v_cndmask_b32_e64 v5, 0, 1, s[0:1]
	v_cmp_ne_u32_e64 s[0:1], 0, v5
	s_bcnt1_i32_b64 s17, s[0:1]
	v_cmp_eq_u64_e64 s[0:1], 3, v[18:19]
	s_and_b64 s[0:1], vcc, s[0:1]
	v_add_u32_e32 v10, s17, v10
	v_cndmask_b32_e64 v5, 0, 1, s[0:1]
	v_cmp_ne_u32_e32 vcc, 0, v5
	s_bcnt1_i32_b64 s0, vcc
	v_add_u32_e32 v11, s0, v11
	s_andn2_b64 exec, exec, s[18:19]
	s_cbranch_execz .LBB97_57
.LBB97_55:                              ;   Parent Loop BB97_11 Depth=1
                                        ; =>  This Inner Loop Header: Depth=2
	v_add_u32_e32 v3, s59, v3
	v_cmp_gt_u32_e64 s[0:1], s56, v3
	v_cmp_le_u32_e32 vcc, s56, v3
	v_mov_b64_e32 v[12:13], 0
	s_and_saveexec_b64 s[20:21], s[0:1]
	s_cbranch_execz .LBB97_54
; %bb.56:                               ;   in Loop: Header=BB97_55 Depth=2
	v_mov_b32_e32 v5, v19
	v_lshl_add_u64 v[12:13], v[4:5], 3, s[64:65]
	global_load_dwordx2 v[12:13], v[12:13], off
	s_branch .LBB97_54
.LBB97_57:                              ;   in Loop: Header=BB97_11 Depth=1
	s_or_b64 exec, exec, s[18:19]
.LBB97_58:                              ;   in Loop: Header=BB97_11 Depth=1
	s_or_b64 exec, exec, s[2:3]
	s_branch .LBB97_40
.LBB97_59:                              ;   in Loop: Header=BB97_11 Depth=1
	s_mul_hi_u32 s0, s16, s87
	s_mul_i32 s0, s0, s82
	s_sub_i32 s0, s16, s0
	s_sub_i32 s1, s0, s82
	s_cmp_ge_u32 s0, s82
	s_cselect_b32 s0, s1, s0
	s_sub_i32 s1, s0, s82
	s_cmp_ge_u32 s0, s82
	s_cselect_b32 s0, s1, s0
	s_sub_i32 s17, s16, s0
	v_mov_b32_e32 v18, v19
	v_cmp_gt_u32_e32 vcc, s17, v23
	v_mov_b64_e32 v[10:11], v[18:19]
	v_mov_b64_e32 v[8:9], v[18:19]
	s_and_saveexec_b64 s[62:63], vcc
	s_cbranch_execz .LBB97_63
; %bb.60:                               ;   in Loop: Header=BB97_11 Depth=1
	s_mov_b32 s70, 0
	s_mov_b64 s[66:67], 0
	v_mov_b32_e32 v3, v44
	v_mov_b32_e32 v48, v23
	s_mov_b32 s71, s70
	s_mov_b32 s68, s70
	;; [unrolled: 1-line block ×3, first 2 shown]
.LBB97_61:                              ;   Parent Loop BB97_11 Depth=1
                                        ; =>  This Inner Loop Header: Depth=2
	ds_read_b128 v[12:15], v3
	ds_read_b128 v[8:11], v3 offset:16
	v_mov_b32_e32 v5, v19
	v_mov_b32_e32 v31, v19
	;; [unrolled: 1-line block ×3, first 2 shown]
	s_waitcnt lgkmcnt(1)
	v_xor_b32_e32 v13, 0x80000000, v13
	v_xor_b32_e32 v15, 0x80000000, v15
	v_and_b32_e32 v52, v12, v28
	v_and_b32_e32 v53, v13, v29
	v_lshrrev_b64 v[12:13], s80, v[12:13]
	s_waitcnt lgkmcnt(0)
	v_xor_b32_e32 v9, 0x80000000, v9
	v_and_b32_e32 v54, v14, v28
	v_and_b32_e32 v55, v15, v29
	v_lshrrev_b64 v[14:15], s80, v[14:15]
	v_and_b32_e32 v18, 3, v12
	v_xor_b32_e32 v11, 0x80000000, v11
	v_and_b32_e32 v56, v8, v28
	v_and_b32_e32 v57, v9, v29
	v_lshrrev_b64 v[8:9], s80, v[8:9]
	v_cmp_eq_u64_e64 s[0:1], v[52:53], v[26:27]
	v_and_b32_e32 v4, 3, v14
	v_cmp_eq_u64_e64 s[22:23], 0, v[18:19]
	v_and_b32_e32 v58, v10, v28
	v_and_b32_e32 v59, v11, v29
	v_lshrrev_b64 v[10:11], s80, v[10:11]
	v_cmp_eq_u64_e64 s[2:3], v[54:55], v[26:27]
	v_and_b32_e32 v30, 3, v8
	v_cmp_eq_u64_e64 s[24:25], 0, v[4:5]
	s_and_b64 s[22:23], s[0:1], s[22:23]
	v_cmp_eq_u64_e64 s[18:19], v[56:57], v[26:27]
	v_and_b32_e32 v32, 3, v10
	v_cmp_eq_u64_e64 s[26:27], 0, v[30:31]
	v_cmp_eq_u64_e64 s[34:35], 1, v[4:5]
	;; [unrolled: 1-line block ×4, first 2 shown]
	v_cndmask_b32_e64 v4, 0, 1, s[22:23]
	s_and_b64 s[22:23], s[2:3], s[24:25]
	v_cmp_eq_u64_e64 s[20:21], v[58:59], v[26:27]
	v_cmp_eq_u64_e64 s[28:29], 0, v[32:33]
	v_cndmask_b32_e64 v5, 0, 1, s[22:23]
	s_and_b64 s[22:23], s[18:19], s[26:27]
	v_cmp_eq_u64_e64 s[30:31], 1, v[18:19]
	v_cndmask_b32_e64 v8, 0, 1, s[22:23]
	s_and_b64 s[22:23], s[20:21], s[28:29]
	v_cndmask_b32_e64 v9, 0, 1, s[22:23]
	s_and_b64 s[22:23], s[0:1], s[30:31]
	v_cmp_eq_u64_e64 s[36:37], 1, v[30:31]
	v_cndmask_b32_e64 v10, 0, 1, s[22:23]
	s_and_b64 s[22:23], s[2:3], s[34:35]
	v_cmp_eq_u64_e64 s[38:39], 1, v[32:33]
	v_cndmask_b32_e64 v11, 0, 1, s[22:23]
	s_and_b64 s[22:23], s[18:19], s[36:37]
	v_cmp_eq_u64_e64 s[40:41], 2, v[18:19]
	v_cmp_eq_u64_e64 s[48:49], 3, v[18:19]
	v_cndmask_b32_e64 v12, 0, 1, s[22:23]
	s_and_b64 s[22:23], s[20:21], s[38:39]
	v_cndmask_b32_e64 v13, 0, 1, s[22:23]
	s_and_b64 s[22:23], s[0:1], s[40:41]
	s_and_b64 s[0:1], s[0:1], s[48:49]
	v_cmp_eq_u64_e64 s[44:45], 2, v[30:31]
	v_cmp_eq_u64_e64 s[52:53], 3, v[30:31]
	v_cndmask_b32_e64 v14, 0, 1, s[22:23]
	s_and_b64 s[22:23], s[2:3], s[42:43]
	v_cndmask_b32_e64 v31, 0, 1, s[0:1]
	s_and_b64 s[0:1], s[2:3], s[50:51]
	v_cmp_eq_u64_e64 s[46:47], 2, v[32:33]
	v_cmp_eq_u64_e64 s[54:55], 3, v[32:33]
	v_cndmask_b32_e64 v15, 0, 1, s[22:23]
	s_and_b64 s[22:23], s[18:19], s[44:45]
	v_cndmask_b32_e64 v32, 0, 1, s[0:1]
	s_and_b64 s[0:1], s[18:19], s[52:53]
	;; [unrolled: 2-line block ×4, first 2 shown]
	v_cndmask_b32_e64 v30, 0, 1, s[22:23]
	v_cndmask_b32_e64 v52, 0, 1, s[0:1]
	v_cmp_ne_u32_e64 s[0:1], 0, v4
	v_cmp_ne_u32_e64 s[2:3], 0, v5
	;; [unrolled: 1-line block ×11, first 2 shown]
	s_bcnt1_i32_b64 s0, s[0:1]
	s_bcnt1_i32_b64 s1, s[2:3]
	;; [unrolled: 1-line block ×8, first 2 shown]
	v_cmp_ne_u32_e64 s[28:29], 0, v13
	v_cmp_ne_u32_e64 s[36:37], 0, v18
	;; [unrolled: 1-line block ×3, first 2 shown]
	s_bcnt1_i32_b64 s19, s[24:25]
	s_bcnt1_i32_b64 s23, s[34:35]
	;; [unrolled: 1-line block ×3, first 2 shown]
	s_add_i32 s0, s70, s0
	s_add_i32 s18, s71, s18
	;; [unrolled: 1-line block ×4, first 2 shown]
	v_cmp_ne_u32_e64 s[38:39], 0, v30
	v_cmp_ne_u32_e64 s[46:47], 0, v52
	s_bcnt1_i32_b64 s21, s[28:29]
	s_bcnt1_i32_b64 s24, s[36:37]
	;; [unrolled: 1-line block ×3, first 2 shown]
	s_add_i32 s18, s18, s19
	s_add_i32 s0, s0, s1
	;; [unrolled: 1-line block ×4, first 2 shown]
	v_add_u32_e32 v48, s82, v48
	s_bcnt1_i32_b64 s25, s[38:39]
	s_bcnt1_i32_b64 s29, s[46:47]
	s_add_i32 s0, s0, s2
	s_add_i32 s2, s18, s20
	;; [unrolled: 1-line block ×4, first 2 shown]
	v_cmp_le_u32_e32 vcc, s17, v48
	s_add_i32 s71, s2, s21
	s_add_i32 s70, s0, s3
	;; [unrolled: 1-line block ×4, first 2 shown]
	v_add_u32_e32 v3, s84, v3
	s_or_b64 s[66:67], vcc, s[66:67]
	v_mov_b64_e32 v[8:9], s[70:71]
	v_mov_b64_e32 v[10:11], s[68:69]
	s_andn2_b64 exec, exec, s[66:67]
	s_cbranch_execnz .LBB97_61
; %bb.62:                               ;   in Loop: Header=BB97_11 Depth=1
	s_or_b64 exec, exec, s[66:67]
.LBB97_63:                              ;   in Loop: Header=BB97_11 Depth=1
	s_or_b64 exec, exec, s[62:63]
	v_add_u32_e32 v3, s17, v0
	v_cmp_gt_u32_e32 vcc, s16, v3
	s_and_saveexec_b64 s[24:25], vcc
	s_cbranch_execz .LBB97_67
; %bb.64:                               ;   in Loop: Header=BB97_11 Depth=1
	v_lshlrev_b32_e32 v4, 3, v3
	s_mov_b64 s[26:27], 0
.LBB97_65:                              ;   Parent Loop BB97_11 Depth=1
                                        ; =>  This Inner Loop Header: Depth=2
	ds_read_b64 v[12:13], v4
	v_add_u32_e32 v3, s59, v3
	v_cmp_le_u32_e32 vcc, s16, v3
	v_add_u32_e32 v4, s33, v4
	s_waitcnt lgkmcnt(0)
	v_xor_b32_e32 v13, 0x80000000, v13
	v_and_b32_e32 v14, v12, v28
	v_and_b32_e32 v15, v13, v29
	v_lshrrev_b64 v[12:13], s80, v[12:13]
	v_and_b32_e32 v18, 3, v12
	v_cmp_eq_u64_e64 s[0:1], v[14:15], v[26:27]
	v_cmp_eq_u64_e64 s[2:3], 0, v[18:19]
	;; [unrolled: 1-line block ×3, first 2 shown]
	s_and_b64 s[2:3], s[0:1], s[2:3]
	v_cmp_eq_u64_e64 s[20:21], 2, v[18:19]
	v_cmp_eq_u64_e64 s[22:23], 3, v[18:19]
	v_cndmask_b32_e64 v5, 0, 1, s[2:3]
	s_and_b64 s[2:3], s[0:1], s[18:19]
	v_cndmask_b32_e64 v12, 0, 1, s[2:3]
	s_and_b64 s[2:3], s[0:1], s[20:21]
	s_and_b64 s[0:1], s[0:1], s[22:23]
	v_cndmask_b32_e64 v13, 0, 1, s[2:3]
	v_cndmask_b32_e64 v14, 0, 1, s[0:1]
	v_cmp_ne_u32_e64 s[0:1], 0, v5
	v_cmp_ne_u32_e64 s[2:3], 0, v12
	;; [unrolled: 1-line block ×4, first 2 shown]
	s_bcnt1_i32_b64 s0, s[0:1]
	s_bcnt1_i32_b64 s1, s[2:3]
	;; [unrolled: 1-line block ×4, first 2 shown]
	v_add_u32_e32 v9, s1, v9
	v_add_u32_e32 v8, s0, v8
	;; [unrolled: 1-line block ×3, first 2 shown]
	s_or_b64 s[26:27], vcc, s[26:27]
	v_add_u32_e32 v10, s2, v10
	s_andn2_b64 exec, exec, s[26:27]
	s_cbranch_execnz .LBB97_65
; %bb.66:                               ;   in Loop: Header=BB97_11 Depth=1
	s_or_b64 exec, exec, s[26:27]
.LBB97_67:                              ;   in Loop: Header=BB97_11 Depth=1
	s_or_b64 exec, exec, s[24:25]
	s_lshl_b32 s16, s81, 6
	s_and_saveexec_b64 s[0:1], s[4:5]
	s_cbranch_execnz .LBB97_41
	s_branch .LBB97_42
.LBB97_68:                              ;   in Loop: Header=BB97_11 Depth=1
	v_mov_b32_e32 v4, 0
	s_mov_b32 s17, 0
	s_cbranch_execnz .LBB97_76
	s_branch .LBB97_78
.LBB97_69:                              ;   in Loop: Header=BB97_11 Depth=1
	s_or_b64 exec, exec, s[20:21]
	s_waitcnt lgkmcnt(0)
	s_barrier
	s_and_saveexec_b64 s[0:1], s[14:15]
	s_cbranch_execz .LBB97_71
; %bb.70:                               ;   in Loop: Header=BB97_11 Depth=1
	ds_read_b32 v3, v19 offset:4112
	s_waitcnt lgkmcnt(0)
	ds_write_b32 v19, v3 offset:4104
.LBB97_71:                              ;   in Loop: Header=BB97_11 Depth=1
	s_or_b64 exec, exec, s[0:1]
	s_waitcnt lgkmcnt(0)
	s_barrier
	s_mov_b64 s[0:1], -1
	s_and_b64 vcc, exec, s[18:19]
	s_cbranch_vccnz .LBB97_27
	s_branch .LBB97_36
.LBB97_72:                              ;   in Loop: Header=BB97_11 Depth=1
	v_mov_b32_e32 v18, v19
	s_mov_b32 s2, 0
	v_mov_b64_e32 v[4:5], v[18:19]
	s_mov_b32 s3, 1
.LBB97_73:                              ;   in Loop: Header=BB97_11 Depth=1
	v_readlane_b32 s18, v60, 23
	v_readlane_b32 s19, v60, 24
	s_andn2_b64 vcc, exec, s[18:19]
	v_readlane_b32 s17, v60, 22
	s_cbranch_vccnz .LBB97_75
.LBB97_74:                              ;   Parent Loop BB97_11 Depth=1
                                        ; =>  This Inner Loop Header: Depth=2
	v_lshl_add_u32 v9, s2, 4, v8
	v_lshl_add_u32 v10, s3, 4, v8
	ds_read_b32 v10, v10
	ds_read_b32 v9, v9
	s_add_i32 s3, s3, 2
	s_add_i32 s2, s2, 2
	s_add_i32 s17, s17, -1
	s_cmp_lg_u32 s17, 0
	s_waitcnt lgkmcnt(1)
	v_add_u32_e32 v5, v10, v5
	s_waitcnt lgkmcnt(0)
	v_add_u32_e32 v4, v9, v4
	s_cbranch_scc1 .LBB97_74
.LBB97_75:                              ;   in Loop: Header=BB97_11 Depth=1
	v_readlane_b32 s2, v60, 27
	v_add_u32_e32 v4, v4, v5
	v_readlane_b32 s17, v60, 26
	v_readlane_b32 s3, v60, 28
	s_and_b64 vcc, exec, s[2:3]
	s_cbranch_vccz .LBB97_78
.LBB97_76:                              ;   in Loop: Header=BB97_11 Depth=1
	s_lshl_b32 s2, s81, 8
	s_lshl_b32 s3, s17, 4
	s_add_i32 s2, s2, s3
	v_add_u32_e32 v5, s2, v45
	v_readlane_b32 s2, v60, 25
	s_sub_i32 s2, s2, s17
.LBB97_77:                              ;   Parent Loop BB97_11 Depth=1
                                        ; =>  This Inner Loop Header: Depth=2
	ds_read_b32 v8, v5
	s_add_i32 s2, s2, -1
	v_add_u32_e32 v5, 16, v5
	s_cmp_eq_u32 s2, 0
	s_waitcnt lgkmcnt(0)
	v_add_u32_e32 v4, v8, v4
	s_cbranch_scc0 .LBB97_77
.LBB97_78:                              ;   in Loop: Header=BB97_11 Depth=1
	v_lshlrev_b32_e32 v3, 2, v3
	ds_write_b32 v3, v4 offset:3072
.LBB97_79:                              ;   in Loop: Header=BB97_11 Depth=1
	s_or_b64 exec, exec, s[0:1]
	s_lshl_b32 s0, s16, 2
	v_mov_b32_e32 v3, s0
	s_waitcnt lgkmcnt(0)
	s_barrier
	ds_read_b128 v[8:11], v3 offset:3072
	s_lshl_b64 s[0:1], 3, s80
	s_not_b64 s[26:27], s[0:1]
	v_cmp_eq_u32_e32 vcc, 1, v47
	s_mov_b64 s[18:19], -1
	s_waitcnt lgkmcnt(0)
	v_readfirstlane_b32 s17, v8
	s_cmp_eq_u32 s17, 1
	s_cselect_b64 s[2:3], -1, 0
	v_readfirstlane_b32 s16, v9
	v_readfirstlane_b32 s54, v10
	;; [unrolled: 1-line block ×3, first 2 shown]
	s_and_b64 s[20:21], s[2:3], vcc
	s_mov_b64 s[28:29], -1
                                        ; implicit-def: $sgpr24_sgpr25
                                        ; implicit-def: $sgpr22_sgpr23
	s_and_saveexec_b64 s[2:3], s[20:21]
	s_cbranch_execz .LBB97_105
; %bb.80:                               ;   in Loop: Header=BB97_11 Depth=1
	ds_read_b32 v3, v19 offset:4104
	s_waitcnt lgkmcnt(0)
	s_barrier
	v_readfirstlane_b32 s42, v3
	s_and_saveexec_b64 s[22:23], s[6:7]
; %bb.81:                               ;   in Loop: Header=BB97_11 Depth=1
	ds_write_b64 v36, v[50:51]
; %bb.82:                               ;   in Loop: Header=BB97_11 Depth=1
	s_or_b64 exec, exec, s[22:23]
	v_and_b32_e32 v27, s27, v27
	v_and_b32_e32 v26, s26, v26
	v_or_b32_e32 v29, s1, v29
	v_or_b32_e32 v28, s0, v28
	s_mov_b64 s[22:23], -1
	s_mov_b64 s[24:25], 0
	s_cmp_eq_u32 s42, 0
	s_mov_b64 s[28:29], 0
	s_mov_b64 s[30:31], -1
	s_waitcnt lgkmcnt(0)
	s_barrier
                                        ; implicit-def: $vgpr6_vgpr7
	s_cbranch_scc1 .LBB97_93
; %bb.83:                               ;   in Loop: Header=BB97_11 Depth=1
	s_add_i32 s28, s42, s83
	s_mul_hi_u32 s29, s28, s86
	s_mul_i32 s29, s29, s59
	s_sub_i32 s29, s28, s29
	s_sub_i32 s30, s29, s59
	s_cmp_ge_u32 s29, s59
	s_cselect_b32 s29, s30, s29
	s_sub_i32 s30, s29, s59
	s_cmp_ge_u32 s29, s59
	s_cselect_b32 s29, s30, s29
	s_sub_i32 s43, s28, s29
	v_cmp_gt_u32_e32 vcc, s43, v0
	s_mov_b64 s[30:31], 0
	s_mov_b64 s[28:29], 0
                                        ; implicit-def: $vgpr6_vgpr7
	s_and_saveexec_b64 s[34:35], vcc
	s_cbranch_execz .LBB97_92
; %bb.84:                               ;   in Loop: Header=BB97_11 Depth=1
	v_mov_b32_e32 v8, v35
	v_mov_b32_e32 v9, v0
                                        ; implicit-def: $sgpr36_sgpr37
	s_branch .LBB97_87
.LBB97_85:                              ;   in Loop: Header=BB97_87 Depth=2
	s_or_b64 exec, exec, s[38:39]
	s_waitcnt lgkmcnt(0)
	s_barrier
	ds_read_b128 v[4:7], v19 offset:3072
	s_mov_b64 s[38:39], -1
	s_mov_b64 s[40:41], -1
	s_waitcnt lgkmcnt(0)
	s_barrier
	v_cmp_ne_u64_e32 vcc, 0, v[4:5]
	s_cbranch_vccz .LBB97_90
.LBB97_86:                              ;   in Loop: Header=BB97_87 Depth=2
	s_and_b64 s[38:39], exec, s[38:39]
	s_or_b64 s[28:29], s[38:39], s[28:29]
	s_andn2_b64 s[36:37], s[36:37], exec
	s_and_b64 s[38:39], s[40:41], exec
	s_or_b64 s[36:37], s[36:37], s[38:39]
	s_andn2_b64 exec, exec, s[28:29]
	s_cbranch_execz .LBB97_91
.LBB97_87:                              ;   Parent Loop BB97_11 Depth=1
                                        ; =>  This Inner Loop Header: Depth=2
	v_cmp_gt_u32_e32 vcc, s42, v9
	s_and_saveexec_b64 s[38:39], vcc
	s_cbranch_execz .LBB97_85
; %bb.88:                               ;   in Loop: Header=BB97_87 Depth=2
	ds_read_b64 v[4:5], v8
	s_waitcnt lgkmcnt(0)
	v_xor_b32_e32 v3, 0x80000000, v5
	v_and_b32_e32 v7, v3, v29
	v_and_b32_e32 v6, v4, v28
	v_cmp_eq_u64_e32 vcc, v[6:7], v[26:27]
	s_and_b64 exec, exec, vcc
	s_cbranch_execz .LBB97_85
; %bb.89:                               ;   in Loop: Header=BB97_87 Depth=2
	v_mov_b32_e32 v3, v19
	ds_write_b128 v19, v[2:5] offset:3072
	s_branch .LBB97_85
.LBB97_90:                              ;   in Loop: Header=BB97_87 Depth=2
	v_add_u32_e32 v9, s59, v9
	v_cmp_le_u32_e32 vcc, s43, v9
	v_add_u32_e32 v8, s33, v8
	s_mov_b64 s[40:41], 0
	s_orn2_b64 s[38:39], vcc, exec
	s_branch .LBB97_86
.LBB97_91:                              ;   in Loop: Header=BB97_11 Depth=1
	s_or_b64 exec, exec, s[28:29]
	s_and_b64 s[28:29], s[36:37], exec
.LBB97_92:                              ;   in Loop: Header=BB97_11 Depth=1
	s_or_b64 exec, exec, s[34:35]
.LBB97_93:                              ;   in Loop: Header=BB97_11 Depth=1
	s_and_b64 vcc, exec, s[30:31]
	s_cbranch_vccz .LBB97_104
; %bb.94:                               ;   in Loop: Header=BB97_11 Depth=1
                                        ; implicit-def: $vgpr6_vgpr7
	s_and_saveexec_b64 s[22:23], s[12:13]
	s_cbranch_execz .LBB97_103
; %bb.95:                               ;   in Loop: Header=BB97_11 Depth=1
	s_mov_b64 s[30:31], 0
	v_mov_b32_e32 v18, v16
	v_mov_b32_e32 v8, v0
                                        ; implicit-def: $sgpr24_sgpr25
	s_branch .LBB97_98
.LBB97_96:                              ;   in Loop: Header=BB97_98 Depth=2
	s_or_b64 exec, exec, s[34:35]
	s_waitcnt lgkmcnt(0)
	s_barrier
	ds_read_b128 v[4:7], v19 offset:3072
	s_mov_b64 s[34:35], -1
	s_mov_b64 s[36:37], -1
	s_waitcnt lgkmcnt(0)
	s_barrier
	v_cmp_ne_u64_e32 vcc, 0, v[4:5]
	s_cbranch_vccz .LBB97_101
.LBB97_97:                              ;   in Loop: Header=BB97_98 Depth=2
	s_and_b64 s[34:35], exec, s[34:35]
	s_or_b64 s[30:31], s[34:35], s[30:31]
	s_andn2_b64 s[24:25], s[24:25], exec
	s_and_b64 s[34:35], s[36:37], exec
	s_or_b64 s[24:25], s[24:25], s[34:35]
	s_andn2_b64 exec, exec, s[30:31]
	s_cbranch_execz .LBB97_102
.LBB97_98:                              ;   Parent Loop BB97_11 Depth=1
                                        ; =>  This Inner Loop Header: Depth=2
	v_cmp_gt_u32_e32 vcc, s56, v8
	s_and_saveexec_b64 s[34:35], vcc
	s_cbranch_execz .LBB97_96
; %bb.99:                               ;   in Loop: Header=BB97_98 Depth=2
	v_lshl_add_u64 v[4:5], v[18:19], 3, s[64:65]
	global_load_dwordx2 v[4:5], v[4:5], off
	s_waitcnt vmcnt(0)
	v_xor_b32_e32 v3, 0x80000000, v5
	v_and_b32_e32 v7, v3, v29
	v_and_b32_e32 v6, v4, v28
	v_cmp_eq_u64_e32 vcc, v[6:7], v[26:27]
	s_and_b64 exec, exec, vcc
	s_cbranch_execz .LBB97_96
; %bb.100:                              ;   in Loop: Header=BB97_98 Depth=2
	v_mov_b32_e32 v3, v19
	ds_write_b128 v19, v[2:5] offset:3072
	s_branch .LBB97_96
.LBB97_101:                             ;   in Loop: Header=BB97_98 Depth=2
	v_add_u32_e32 v8, s59, v8
	v_cmp_le_u32_e32 vcc, s78, v8
	v_add_u32_e32 v18, s57, v18
	s_mov_b64 s[36:37], 0
	s_orn2_b64 s[34:35], vcc, exec
	s_branch .LBB97_97
.LBB97_102:                             ;   in Loop: Header=BB97_11 Depth=1
	s_or_b64 exec, exec, s[30:31]
	s_andn2_b64 s[28:29], s[28:29], exec
	s_and_b64 s[24:25], s[24:25], exec
	s_or_b64 s[28:29], s[28:29], s[24:25]
.LBB97_103:                             ;   in Loop: Header=BB97_11 Depth=1
	s_or_b64 exec, exec, s[22:23]
	s_mov_b64 s[22:23], 0
	s_mov_b64 s[24:25], -1
.LBB97_104:                             ;   in Loop: Header=BB97_11 Depth=1
	s_orn2_b64 s[28:29], s[28:29], exec
.LBB97_105:                             ;   in Loop: Header=BB97_11 Depth=1
	s_or_b64 exec, exec, s[2:3]
	s_andn2_b64 s[2:3], s[60:61], exec
	s_and_b64 s[24:25], s[24:25], exec
	s_or_b64 s[60:61], s[2:3], s[24:25]
	s_andn2_b64 s[2:3], s[98:99], exec
	s_and_b64 s[22:23], s[22:23], exec
	v_readfirstlane_b32 s30, v0
	v_readfirstlane_b32 s31, v0
	s_andn2_b64 s[96:97], s[96:97], exec
	s_or_b64 s[98:99], s[2:3], s[22:23]
                                        ; implicit-def: $vgpr9
	s_and_saveexec_b64 s[2:3], s[28:29]
	s_cbranch_execz .LBB97_10
; %bb.106:                              ;   in Loop: Header=BB97_11 Depth=1
	s_xor_b64 s[22:23], s[20:21], -1
	s_mov_b64 s[20:21], 0
	v_mov_b32_e32 v9, 1
	v_mov_b32_e32 v8, 1
	s_and_saveexec_b64 s[18:19], s[22:23]
	s_cbranch_execz .LBB97_115
; %bb.107:                              ;   in Loop: Header=BB97_11 Depth=1
	v_cmp_ge_u32_e32 vcc, s17, v47
	s_and_saveexec_b64 s[20:21], vcc
	s_xor_b64 s[20:21], exec, s[20:21]
	s_cbranch_execz .LBB97_112
; %bb.108:                              ;   in Loop: Header=BB97_11 Depth=1
	ds_read_b32 v3, v19 offset:4104
	v_and_b32_e32 v27, s27, v27
	v_and_b32_e32 v26, s26, v26
	v_or_b32_e32 v29, s1, v29
	v_or_b32_e32 v28, s0, v28
	s_waitcnt lgkmcnt(0)
	v_cmp_ne_u32_e32 vcc, 0, v3
	s_cbranch_vccnz .LBB97_112
; %bb.109:                              ;   in Loop: Header=BB97_11 Depth=1
	s_and_saveexec_b64 s[22:23], s[14:15]
; %bb.110:                              ;   in Loop: Header=BB97_11 Depth=1
	v_mov_b32_e32 v3, s17
	ds_write_b32 v19, v3 offset:4108
; %bb.111:                              ;   in Loop: Header=BB97_11 Depth=1
	s_or_b64 exec, exec, s[22:23]
	s_waitcnt lgkmcnt(0)
	s_barrier
.LBB97_112:                             ;   in Loop: Header=BB97_11 Depth=1
	s_or_saveexec_b64 s[20:21], s[20:21]
	s_mov_b64 s[22:23], 0
	v_mov_b32_e32 v8, 8
	s_xor_b64 exec, exec, s[20:21]
; %bb.113:                              ;   in Loop: Header=BB97_11 Depth=1
	s_mov_b64 s[22:23], exec
	v_subrev_u32_e32 v47, s17, v47
	v_mov_b32_e32 v8, 0
; %bb.114:                              ;   in Loop: Header=BB97_11 Depth=1
	s_or_b64 exec, exec, s[20:21]
	s_and_b64 s[20:21], s[22:23], exec
	v_mov_b32_e32 v9, v47
.LBB97_115:                             ;   in Loop: Header=BB97_11 Depth=1
	s_or_b64 exec, exec, s[18:19]
	s_mov_b64 s[18:19], -1
	s_mov_b64 s[28:29], -1
                                        ; implicit-def: $sgpr22_sgpr23
                                        ; implicit-def: $sgpr24_sgpr25
	s_and_saveexec_b64 s[30:31], s[20:21]
	s_xor_b64 s[20:21], exec, s[30:31]
	s_cbranch_execz .LBB97_232
; %bb.116:                              ;   in Loop: Header=BB97_11 Depth=1
	s_cmp_eq_u32 s16, 1
	s_cselect_b64 s[22:23], -1, 0
	v_cmp_eq_u32_e32 vcc, 1, v9
	s_and_b64 s[30:31], s[22:23], vcc
	s_mov_b64 s[34:35], -1
                                        ; implicit-def: $sgpr24_sgpr25
                                        ; implicit-def: $sgpr22_sgpr23
	s_and_saveexec_b64 s[28:29], s[30:31]
	s_cbranch_execz .LBB97_142
; %bb.117:                              ;   in Loop: Header=BB97_11 Depth=1
	ds_read_b32 v3, v19 offset:4104
	s_waitcnt lgkmcnt(0)
	s_barrier
	v_readfirstlane_b32 s17, v3
	s_and_saveexec_b64 s[22:23], s[6:7]
; %bb.118:                              ;   in Loop: Header=BB97_11 Depth=1
	ds_write_b64 v36, v[50:51]
; %bb.119:                              ;   in Loop: Header=BB97_11 Depth=1
	s_or_b64 exec, exec, s[22:23]
	s_lshl_b64 s[22:23], 1, s80
	v_and_b32_e32 v3, s27, v27
	v_and_b32_e32 v4, s26, v26
	v_or_b32_e32 v27, s23, v3
	v_or_b32_e32 v26, s22, v4
	;; [unrolled: 1-line block ×4, first 2 shown]
	s_mov_b64 s[22:23], -1
	s_mov_b64 s[24:25], 0
	s_cmp_eq_u32 s17, 0
	s_mov_b64 s[34:35], 0
	s_mov_b64 s[36:37], -1
	s_waitcnt lgkmcnt(0)
	s_barrier
                                        ; implicit-def: $vgpr6_vgpr7
	s_cbranch_scc1 .LBB97_130
; %bb.120:                              ;   in Loop: Header=BB97_11 Depth=1
	s_add_i32 s34, s17, s83
	s_mul_hi_u32 s35, s34, s86
	s_mul_i32 s35, s35, s59
	s_sub_i32 s35, s34, s35
	s_sub_i32 s36, s35, s59
	s_cmp_ge_u32 s35, s59
	s_cselect_b32 s35, s36, s35
	s_sub_i32 s36, s35, s59
	s_cmp_ge_u32 s35, s59
	s_cselect_b32 s35, s36, s35
	s_sub_i32 s46, s34, s35
	v_cmp_gt_u32_e32 vcc, s46, v0
	s_mov_b64 s[36:37], 0
	s_mov_b64 s[34:35], 0
                                        ; implicit-def: $vgpr6_vgpr7
	s_and_saveexec_b64 s[38:39], vcc
	s_cbranch_execz .LBB97_129
; %bb.121:                              ;   in Loop: Header=BB97_11 Depth=1
	v_mov_b32_e32 v10, v35
	v_mov_b32_e32 v11, v0
                                        ; implicit-def: $sgpr40_sgpr41
	s_branch .LBB97_124
.LBB97_122:                             ;   in Loop: Header=BB97_124 Depth=2
	s_or_b64 exec, exec, s[42:43]
	s_waitcnt lgkmcnt(0)
	s_barrier
	ds_read_b128 v[4:7], v19 offset:3072
	s_mov_b64 s[42:43], -1
	s_mov_b64 s[44:45], -1
	s_waitcnt lgkmcnt(0)
	s_barrier
	v_cmp_ne_u64_e32 vcc, 0, v[4:5]
	s_cbranch_vccz .LBB97_127
.LBB97_123:                             ;   in Loop: Header=BB97_124 Depth=2
	s_and_b64 s[42:43], exec, s[42:43]
	s_or_b64 s[34:35], s[42:43], s[34:35]
	s_andn2_b64 s[40:41], s[40:41], exec
	s_and_b64 s[42:43], s[44:45], exec
	s_or_b64 s[40:41], s[40:41], s[42:43]
	s_andn2_b64 exec, exec, s[34:35]
	s_cbranch_execz .LBB97_128
.LBB97_124:                             ;   Parent Loop BB97_11 Depth=1
                                        ; =>  This Inner Loop Header: Depth=2
	v_cmp_gt_u32_e32 vcc, s17, v11
	s_and_saveexec_b64 s[42:43], vcc
	s_cbranch_execz .LBB97_122
; %bb.125:                              ;   in Loop: Header=BB97_124 Depth=2
	ds_read_b64 v[4:5], v10
	s_waitcnt lgkmcnt(0)
	v_xor_b32_e32 v3, 0x80000000, v5
	v_and_b32_e32 v7, v3, v29
	v_and_b32_e32 v6, v4, v28
	v_cmp_eq_u64_e32 vcc, v[6:7], v[26:27]
	s_and_b64 exec, exec, vcc
	s_cbranch_execz .LBB97_122
; %bb.126:                              ;   in Loop: Header=BB97_124 Depth=2
	v_mov_b32_e32 v3, v19
	ds_write_b128 v19, v[2:5] offset:3072
	s_branch .LBB97_122
.LBB97_127:                             ;   in Loop: Header=BB97_124 Depth=2
	v_add_u32_e32 v11, s59, v11
	v_cmp_le_u32_e32 vcc, s46, v11
	v_add_u32_e32 v10, s33, v10
	s_mov_b64 s[44:45], 0
	s_orn2_b64 s[42:43], vcc, exec
	s_branch .LBB97_123
.LBB97_128:                             ;   in Loop: Header=BB97_11 Depth=1
	s_or_b64 exec, exec, s[34:35]
	s_and_b64 s[34:35], s[40:41], exec
.LBB97_129:                             ;   in Loop: Header=BB97_11 Depth=1
	s_or_b64 exec, exec, s[38:39]
.LBB97_130:                             ;   in Loop: Header=BB97_11 Depth=1
	s_and_b64 vcc, exec, s[36:37]
	s_cbranch_vccz .LBB97_141
; %bb.131:                              ;   in Loop: Header=BB97_11 Depth=1
                                        ; implicit-def: $vgpr6_vgpr7
	s_and_saveexec_b64 s[22:23], s[12:13]
	s_cbranch_execz .LBB97_140
; %bb.132:                              ;   in Loop: Header=BB97_11 Depth=1
	s_mov_b64 s[24:25], 0
	v_mov_b32_e32 v18, v16
	v_mov_b32_e32 v10, v0
                                        ; implicit-def: $sgpr36_sgpr37
	s_branch .LBB97_135
.LBB97_133:                             ;   in Loop: Header=BB97_135 Depth=2
	s_or_b64 exec, exec, s[38:39]
	s_waitcnt lgkmcnt(0)
	s_barrier
	ds_read_b128 v[4:7], v19 offset:3072
	s_mov_b64 s[38:39], -1
	s_mov_b64 s[40:41], -1
	s_waitcnt lgkmcnt(0)
	s_barrier
	v_cmp_eq_u64_e32 vcc, 0, v[4:5]
	s_cbranch_vccnz .LBB97_138
.LBB97_134:                             ;   in Loop: Header=BB97_135 Depth=2
	s_and_b64 s[38:39], exec, s[38:39]
	s_or_b64 s[24:25], s[38:39], s[24:25]
	s_andn2_b64 s[36:37], s[36:37], exec
	s_and_b64 s[38:39], s[40:41], exec
	s_or_b64 s[36:37], s[36:37], s[38:39]
	s_andn2_b64 exec, exec, s[24:25]
	s_cbranch_execz .LBB97_139
.LBB97_135:                             ;   Parent Loop BB97_11 Depth=1
                                        ; =>  This Inner Loop Header: Depth=2
	v_cmp_gt_u32_e32 vcc, s56, v10
	s_and_saveexec_b64 s[38:39], vcc
	s_cbranch_execz .LBB97_133
; %bb.136:                              ;   in Loop: Header=BB97_135 Depth=2
	v_lshl_add_u64 v[4:5], v[18:19], 3, s[64:65]
	global_load_dwordx2 v[4:5], v[4:5], off
	s_waitcnt vmcnt(0)
	v_xor_b32_e32 v3, 0x80000000, v5
	v_and_b32_e32 v7, v3, v29
	v_and_b32_e32 v6, v4, v28
	v_cmp_eq_u64_e32 vcc, v[6:7], v[26:27]
	s_and_b64 exec, exec, vcc
	s_cbranch_execz .LBB97_133
; %bb.137:                              ;   in Loop: Header=BB97_135 Depth=2
	v_mov_b32_e32 v3, v19
	ds_write_b128 v19, v[2:5] offset:3072
	s_branch .LBB97_133
.LBB97_138:                             ;   in Loop: Header=BB97_135 Depth=2
	v_add_u32_e32 v10, s59, v10
	v_cmp_le_u32_e32 vcc, s78, v10
	v_add_u32_e32 v18, s57, v18
	s_mov_b64 s[40:41], 0
	s_orn2_b64 s[38:39], vcc, exec
	s_branch .LBB97_134
.LBB97_139:                             ;   in Loop: Header=BB97_11 Depth=1
	s_or_b64 exec, exec, s[24:25]
	s_andn2_b64 s[24:25], s[34:35], exec
	s_and_b64 s[34:35], s[36:37], exec
	s_or_b64 s[34:35], s[24:25], s[34:35]
.LBB97_140:                             ;   in Loop: Header=BB97_11 Depth=1
	s_or_b64 exec, exec, s[22:23]
	s_mov_b64 s[22:23], 0
	s_mov_b64 s[24:25], -1
.LBB97_141:                             ;   in Loop: Header=BB97_11 Depth=1
	s_orn2_b64 s[34:35], s[34:35], exec
.LBB97_142:                             ;   in Loop: Header=BB97_11 Depth=1
	s_or_b64 exec, exec, s[28:29]
	s_mov_b64 s[36:37], 0
	s_and_saveexec_b64 s[28:29], s[34:35]
	s_cbranch_execz .LBB97_231
; %bb.143:                              ;   in Loop: Header=BB97_11 Depth=1
	s_xor_b64 s[34:35], s[30:31], -1
	s_mov_b64 s[40:41], 0
	v_mov_b32_e32 v10, 1
	v_mov_b32_e32 v8, 1
	s_and_saveexec_b64 s[30:31], s[34:35]
	s_cbranch_execz .LBB97_152
; %bb.144:                              ;   in Loop: Header=BB97_11 Depth=1
	v_cmp_ge_u32_e32 vcc, s16, v9
	s_and_saveexec_b64 s[34:35], vcc
	s_xor_b64 s[34:35], exec, s[34:35]
	s_cbranch_execz .LBB97_149
; %bb.145:                              ;   in Loop: Header=BB97_11 Depth=1
	ds_read_b32 v4, v19 offset:4104
	s_lshl_b64 s[36:37], 1, s80
	v_and_b32_e32 v3, s27, v27
	v_and_b32_e32 v5, s26, v26
	v_or_b32_e32 v27, s37, v3
	s_waitcnt lgkmcnt(0)
	v_cmp_ne_u32_e32 vcc, 0, v4
	v_or_b32_e32 v26, s36, v5
	v_or_b32_e32 v29, s1, v29
	v_or_b32_e32 v28, s0, v28
	s_cbranch_vccnz .LBB97_149
; %bb.146:                              ;   in Loop: Header=BB97_11 Depth=1
	s_and_saveexec_b64 s[36:37], s[14:15]
; %bb.147:                              ;   in Loop: Header=BB97_11 Depth=1
	v_mov_b32_e32 v3, s16
	ds_write_b32 v19, v3 offset:4108
; %bb.148:                              ;   in Loop: Header=BB97_11 Depth=1
	s_or_b64 exec, exec, s[36:37]
	s_waitcnt lgkmcnt(0)
	s_barrier
.LBB97_149:                             ;   in Loop: Header=BB97_11 Depth=1
	s_or_saveexec_b64 s[34:35], s[34:35]
	s_mov_b64 s[36:37], 0
	v_mov_b32_e32 v8, 8
	s_xor_b64 exec, exec, s[34:35]
; %bb.150:                              ;   in Loop: Header=BB97_11 Depth=1
	s_mov_b64 s[36:37], exec
	v_subrev_u32_e32 v9, s16, v9
	v_mov_b32_e32 v8, 0
; %bb.151:                              ;   in Loop: Header=BB97_11 Depth=1
	s_or_b64 exec, exec, s[34:35]
	s_and_b64 s[40:41], s[36:37], exec
	v_mov_b32_e32 v10, v9
.LBB97_152:                             ;   in Loop: Header=BB97_11 Depth=1
	s_or_b64 exec, exec, s[30:31]
	s_mov_b64 s[38:39], -1
                                        ; implicit-def: $sgpr34_sgpr35
                                        ; implicit-def: $sgpr36_sgpr37
	s_and_saveexec_b64 s[30:31], s[40:41]
	s_cbranch_execz .LBB97_230
; %bb.153:                              ;   in Loop: Header=BB97_11 Depth=1
	s_cmp_eq_u32 s54, 1
	s_cselect_b64 s[16:17], -1, 0
	v_cmp_eq_u32_e32 vcc, 1, v10
	s_and_b64 s[40:41], s[16:17], vcc
	s_mov_b64 s[42:43], -1
                                        ; implicit-def: $sgpr36_sgpr37
                                        ; implicit-def: $sgpr34_sgpr35
	s_and_saveexec_b64 s[38:39], s[40:41]
	s_cbranch_execz .LBB97_179
; %bb.154:                              ;   in Loop: Header=BB97_11 Depth=1
	ds_read_b32 v3, v19 offset:4104
	s_waitcnt lgkmcnt(0)
	s_barrier
	v_readfirstlane_b32 s16, v3
	s_and_saveexec_b64 s[34:35], s[6:7]
; %bb.155:                              ;   in Loop: Header=BB97_11 Depth=1
	ds_write_b64 v36, v[50:51]
; %bb.156:                              ;   in Loop: Header=BB97_11 Depth=1
	s_or_b64 exec, exec, s[34:35]
	s_lshl_b64 s[34:35], 2, s80
	v_and_b32_e32 v3, s27, v27
	v_and_b32_e32 v4, s26, v26
	v_or_b32_e32 v27, s35, v3
	v_or_b32_e32 v26, s34, v4
	;; [unrolled: 1-line block ×4, first 2 shown]
	s_mov_b64 s[34:35], -1
	s_mov_b64 s[36:37], 0
	s_cmp_eq_u32 s16, 0
	s_mov_b64 s[42:43], 0
	s_mov_b64 s[44:45], -1
	s_waitcnt lgkmcnt(0)
	s_barrier
                                        ; implicit-def: $vgpr6_vgpr7
	s_cbranch_scc1 .LBB97_167
; %bb.157:                              ;   in Loop: Header=BB97_11 Depth=1
	s_add_i32 s17, s16, s83
	s_mul_hi_u32 s42, s17, s86
	s_mul_i32 s42, s42, s59
	s_sub_i32 s42, s17, s42
	s_sub_i32 s43, s42, s59
	s_cmp_ge_u32 s42, s59
	s_cselect_b32 s42, s43, s42
	s_sub_i32 s43, s42, s59
	s_cmp_ge_u32 s42, s59
	s_cselect_b32 s42, s43, s42
	s_sub_i32 s17, s17, s42
	v_cmp_gt_u32_e32 vcc, s17, v0
	s_mov_b64 s[44:45], 0
	s_mov_b64 s[42:43], 0
                                        ; implicit-def: $vgpr6_vgpr7
	s_and_saveexec_b64 s[46:47], vcc
	s_cbranch_execz .LBB97_166
; %bb.158:                              ;   in Loop: Header=BB97_11 Depth=1
	v_mov_b32_e32 v9, v35
	v_mov_b32_e32 v11, v0
                                        ; implicit-def: $sgpr48_sgpr49
	s_branch .LBB97_161
.LBB97_159:                             ;   in Loop: Header=BB97_161 Depth=2
	s_or_b64 exec, exec, s[50:51]
	s_waitcnt lgkmcnt(0)
	s_barrier
	ds_read_b128 v[4:7], v19 offset:3072
	s_mov_b64 s[50:51], -1
	s_mov_b64 s[52:53], -1
	s_waitcnt lgkmcnt(0)
	s_barrier
	v_cmp_ne_u64_e32 vcc, 0, v[4:5]
	s_cbranch_vccz .LBB97_164
.LBB97_160:                             ;   in Loop: Header=BB97_161 Depth=2
	s_and_b64 s[50:51], exec, s[50:51]
	s_or_b64 s[42:43], s[50:51], s[42:43]
	s_andn2_b64 s[48:49], s[48:49], exec
	s_and_b64 s[50:51], s[52:53], exec
	s_or_b64 s[48:49], s[48:49], s[50:51]
	s_andn2_b64 exec, exec, s[42:43]
	s_cbranch_execz .LBB97_165
.LBB97_161:                             ;   Parent Loop BB97_11 Depth=1
                                        ; =>  This Inner Loop Header: Depth=2
	v_cmp_gt_u32_e32 vcc, s16, v11
	s_and_saveexec_b64 s[50:51], vcc
	s_cbranch_execz .LBB97_159
; %bb.162:                              ;   in Loop: Header=BB97_161 Depth=2
	ds_read_b64 v[4:5], v9
	s_waitcnt lgkmcnt(0)
	v_xor_b32_e32 v3, 0x80000000, v5
	v_and_b32_e32 v7, v3, v29
	v_and_b32_e32 v6, v4, v28
	v_cmp_eq_u64_e32 vcc, v[6:7], v[26:27]
	s_and_b64 exec, exec, vcc
	s_cbranch_execz .LBB97_159
; %bb.163:                              ;   in Loop: Header=BB97_161 Depth=2
	v_mov_b32_e32 v3, v19
	ds_write_b128 v19, v[2:5] offset:3072
	s_branch .LBB97_159
.LBB97_164:                             ;   in Loop: Header=BB97_161 Depth=2
	v_add_u32_e32 v11, s59, v11
	v_cmp_le_u32_e32 vcc, s17, v11
	v_add_u32_e32 v9, s33, v9
	s_mov_b64 s[52:53], 0
	s_orn2_b64 s[50:51], vcc, exec
	s_branch .LBB97_160
.LBB97_165:                             ;   in Loop: Header=BB97_11 Depth=1
	s_or_b64 exec, exec, s[42:43]
	s_and_b64 s[42:43], s[48:49], exec
.LBB97_166:                             ;   in Loop: Header=BB97_11 Depth=1
	s_or_b64 exec, exec, s[46:47]
.LBB97_167:                             ;   in Loop: Header=BB97_11 Depth=1
	s_and_b64 vcc, exec, s[44:45]
	s_cbranch_vccz .LBB97_178
; %bb.168:                              ;   in Loop: Header=BB97_11 Depth=1
                                        ; implicit-def: $vgpr6_vgpr7
	s_and_saveexec_b64 s[34:35], s[12:13]
	s_cbranch_execz .LBB97_177
; %bb.169:                              ;   in Loop: Header=BB97_11 Depth=1
	s_mov_b64 s[36:37], 0
	v_mov_b32_e32 v18, v16
	v_mov_b32_e32 v9, v0
                                        ; implicit-def: $sgpr44_sgpr45
	s_branch .LBB97_172
.LBB97_170:                             ;   in Loop: Header=BB97_172 Depth=2
	s_or_b64 exec, exec, s[46:47]
	s_waitcnt lgkmcnt(0)
	s_barrier
	ds_read_b128 v[4:7], v19 offset:3072
	s_mov_b64 s[46:47], -1
	s_mov_b64 s[48:49], -1
	s_waitcnt lgkmcnt(0)
	s_barrier
	v_cmp_eq_u64_e32 vcc, 0, v[4:5]
	s_cbranch_vccnz .LBB97_175
.LBB97_171:                             ;   in Loop: Header=BB97_172 Depth=2
	s_and_b64 s[16:17], exec, s[46:47]
	s_or_b64 s[36:37], s[16:17], s[36:37]
	s_andn2_b64 s[16:17], s[44:45], exec
	s_and_b64 s[44:45], s[48:49], exec
	s_or_b64 s[44:45], s[16:17], s[44:45]
	s_andn2_b64 exec, exec, s[36:37]
	s_cbranch_execz .LBB97_176
.LBB97_172:                             ;   Parent Loop BB97_11 Depth=1
                                        ; =>  This Inner Loop Header: Depth=2
	v_cmp_gt_u32_e32 vcc, s56, v9
	s_and_saveexec_b64 s[46:47], vcc
	s_cbranch_execz .LBB97_170
; %bb.173:                              ;   in Loop: Header=BB97_172 Depth=2
	v_lshl_add_u64 v[4:5], v[18:19], 3, s[64:65]
	global_load_dwordx2 v[4:5], v[4:5], off
	s_waitcnt vmcnt(0)
	v_xor_b32_e32 v3, 0x80000000, v5
	v_and_b32_e32 v7, v3, v29
	v_and_b32_e32 v6, v4, v28
	v_cmp_eq_u64_e32 vcc, v[6:7], v[26:27]
	s_and_b64 exec, exec, vcc
	s_cbranch_execz .LBB97_170
; %bb.174:                              ;   in Loop: Header=BB97_172 Depth=2
	v_mov_b32_e32 v3, v19
	ds_write_b128 v19, v[2:5] offset:3072
	s_branch .LBB97_170
.LBB97_175:                             ;   in Loop: Header=BB97_172 Depth=2
	v_add_u32_e32 v9, s59, v9
	v_cmp_le_u32_e32 vcc, s78, v9
	v_add_u32_e32 v18, s57, v18
	s_mov_b64 s[48:49], 0
	s_orn2_b64 s[46:47], vcc, exec
	s_branch .LBB97_171
.LBB97_176:                             ;   in Loop: Header=BB97_11 Depth=1
	s_or_b64 exec, exec, s[36:37]
	s_andn2_b64 s[16:17], s[42:43], exec
	s_and_b64 s[36:37], s[44:45], exec
	s_or_b64 s[42:43], s[16:17], s[36:37]
.LBB97_177:                             ;   in Loop: Header=BB97_11 Depth=1
	s_or_b64 exec, exec, s[34:35]
	s_mov_b64 s[34:35], 0
	s_mov_b64 s[36:37], -1
.LBB97_178:                             ;   in Loop: Header=BB97_11 Depth=1
	s_orn2_b64 s[42:43], s[42:43], exec
.LBB97_179:                             ;   in Loop: Header=BB97_11 Depth=1
	s_or_b64 exec, exec, s[38:39]
	s_mov_b64 s[44:45], 0
	s_and_saveexec_b64 s[38:39], s[42:43]
	s_cbranch_execz .LBB97_229
; %bb.180:                              ;   in Loop: Header=BB97_11 Depth=1
	s_xor_b64 s[16:17], s[40:41], -1
	s_mov_b64 s[46:47], 0
	v_mov_b32_e32 v9, 1
	v_mov_b32_e32 v8, 1
	s_and_saveexec_b64 s[40:41], s[16:17]
	s_cbranch_execz .LBB97_189
; %bb.181:                              ;   in Loop: Header=BB97_11 Depth=1
	v_cmp_ge_u32_e32 vcc, s54, v10
	s_and_saveexec_b64 s[16:17], vcc
	s_xor_b64 s[42:43], exec, s[16:17]
	s_cbranch_execz .LBB97_186
; %bb.182:                              ;   in Loop: Header=BB97_11 Depth=1
	ds_read_b32 v4, v19 offset:4104
	s_lshl_b64 s[16:17], 2, s80
	v_and_b32_e32 v3, s27, v27
	v_and_b32_e32 v5, s26, v26
	v_or_b32_e32 v27, s17, v3
	s_waitcnt lgkmcnt(0)
	v_cmp_ne_u32_e32 vcc, 0, v4
	v_or_b32_e32 v26, s16, v5
	v_or_b32_e32 v29, s1, v29
	;; [unrolled: 1-line block ×3, first 2 shown]
	s_cbranch_vccnz .LBB97_186
; %bb.183:                              ;   in Loop: Header=BB97_11 Depth=1
	s_and_saveexec_b64 s[26:27], s[14:15]
; %bb.184:                              ;   in Loop: Header=BB97_11 Depth=1
	v_mov_b32_e32 v3, s54
	ds_write_b32 v19, v3 offset:4108
; %bb.185:                              ;   in Loop: Header=BB97_11 Depth=1
	s_or_b64 exec, exec, s[26:27]
	s_waitcnt lgkmcnt(0)
	s_barrier
.LBB97_186:                             ;   in Loop: Header=BB97_11 Depth=1
	s_or_saveexec_b64 s[26:27], s[42:43]
	s_mov_b64 s[42:43], 0
	v_mov_b32_e32 v8, 8
	s_xor_b64 exec, exec, s[26:27]
; %bb.187:                              ;   in Loop: Header=BB97_11 Depth=1
	s_mov_b64 s[42:43], exec
	v_subrev_u32_e32 v10, s54, v10
	v_mov_b32_e32 v8, 0
; %bb.188:                              ;   in Loop: Header=BB97_11 Depth=1
	s_or_b64 exec, exec, s[26:27]
	s_and_b64 s[46:47], s[42:43], exec
	v_mov_b32_e32 v9, v10
.LBB97_189:                             ;   in Loop: Header=BB97_11 Depth=1
	s_or_b64 exec, exec, s[40:41]
	s_mov_b64 s[44:45], -1
                                        ; implicit-def: $sgpr42_sgpr43
                                        ; implicit-def: $sgpr40_sgpr41
	s_and_saveexec_b64 s[26:27], s[46:47]
	s_cbranch_execz .LBB97_228
; %bb.190:                              ;   in Loop: Header=BB97_11 Depth=1
	s_cmp_eq_u32 s68, 1
	s_cselect_b64 s[16:17], -1, 0
	v_cmp_eq_u32_e32 vcc, 1, v9
	s_and_b64 s[44:45], s[16:17], vcc
	s_mov_b64 s[48:49], -1
                                        ; implicit-def: $sgpr42_sgpr43
                                        ; implicit-def: $sgpr40_sgpr41
	s_and_saveexec_b64 s[46:47], s[44:45]
	s_cbranch_execz .LBB97_216
; %bb.191:                              ;   in Loop: Header=BB97_11 Depth=1
	ds_read_b32 v3, v19 offset:4104
	s_waitcnt lgkmcnt(0)
	s_barrier
	v_readfirstlane_b32 s16, v3
	s_and_saveexec_b64 s[40:41], s[6:7]
; %bb.192:                              ;   in Loop: Header=BB97_11 Depth=1
	ds_write_b64 v36, v[50:51]
; %bb.193:                              ;   in Loop: Header=BB97_11 Depth=1
	s_or_b64 exec, exec, s[40:41]
	v_or_b32_e32 v27, s1, v27
	v_or_b32_e32 v26, s0, v26
	;; [unrolled: 1-line block ×4, first 2 shown]
	s_mov_b64 s[40:41], -1
	s_mov_b64 s[42:43], 0
	s_cmp_eq_u32 s16, 0
	s_mov_b64 s[48:49], 0
	s_mov_b64 s[50:51], -1
	s_waitcnt lgkmcnt(0)
	s_barrier
                                        ; implicit-def: $vgpr6_vgpr7
	s_cbranch_scc1 .LBB97_204
; %bb.194:                              ;   in Loop: Header=BB97_11 Depth=1
	s_add_i32 s17, s16, s83
	s_mul_hi_u32 s48, s17, s86
	s_mul_i32 s48, s48, s59
	s_sub_i32 s48, s17, s48
	s_sub_i32 s49, s48, s59
	s_cmp_ge_u32 s48, s59
	s_cselect_b32 s48, s49, s48
	s_sub_i32 s49, s48, s59
	s_cmp_ge_u32 s48, s59
	s_cselect_b32 s48, s49, s48
	s_sub_i32 s17, s17, s48
	v_cmp_gt_u32_e32 vcc, s17, v0
	s_mov_b64 s[50:51], 0
	s_mov_b64 s[48:49], 0
                                        ; implicit-def: $vgpr6_vgpr7
	s_and_saveexec_b64 s[52:53], vcc
	s_cbranch_execz .LBB97_203
; %bb.195:                              ;   in Loop: Header=BB97_11 Depth=1
	v_mov_b32_e32 v10, v35
	v_mov_b32_e32 v11, v0
                                        ; implicit-def: $sgpr54_sgpr55
	s_branch .LBB97_198
.LBB97_196:                             ;   in Loop: Header=BB97_198 Depth=2
	s_or_b64 exec, exec, s[62:63]
	s_waitcnt lgkmcnt(0)
	s_barrier
	ds_read_b128 v[4:7], v19 offset:3072
	s_mov_b64 s[62:63], -1
	s_mov_b64 s[66:67], -1
	s_waitcnt lgkmcnt(0)
	s_barrier
	v_cmp_ne_u64_e32 vcc, 0, v[4:5]
	s_cbranch_vccz .LBB97_201
.LBB97_197:                             ;   in Loop: Header=BB97_198 Depth=2
	s_and_b64 s[62:63], exec, s[62:63]
	s_or_b64 s[48:49], s[62:63], s[48:49]
	s_andn2_b64 s[54:55], s[54:55], exec
	s_and_b64 s[62:63], s[66:67], exec
	s_or_b64 s[54:55], s[54:55], s[62:63]
	s_andn2_b64 exec, exec, s[48:49]
	s_cbranch_execz .LBB97_202
.LBB97_198:                             ;   Parent Loop BB97_11 Depth=1
                                        ; =>  This Inner Loop Header: Depth=2
	v_cmp_gt_u32_e32 vcc, s16, v11
	s_and_saveexec_b64 s[62:63], vcc
	s_cbranch_execz .LBB97_196
; %bb.199:                              ;   in Loop: Header=BB97_198 Depth=2
	ds_read_b64 v[4:5], v10
	s_waitcnt lgkmcnt(0)
	v_xor_b32_e32 v3, 0x80000000, v5
	v_and_b32_e32 v7, v3, v29
	v_and_b32_e32 v6, v4, v28
	v_cmp_eq_u64_e32 vcc, v[6:7], v[26:27]
	s_and_b64 exec, exec, vcc
	s_cbranch_execz .LBB97_196
; %bb.200:                              ;   in Loop: Header=BB97_198 Depth=2
	v_mov_b32_e32 v3, v19
	ds_write_b128 v19, v[2:5] offset:3072
	s_branch .LBB97_196
.LBB97_201:                             ;   in Loop: Header=BB97_198 Depth=2
	v_add_u32_e32 v11, s59, v11
	v_cmp_le_u32_e32 vcc, s17, v11
	v_add_u32_e32 v10, s33, v10
	s_mov_b64 s[66:67], 0
	s_orn2_b64 s[62:63], vcc, exec
	s_branch .LBB97_197
.LBB97_202:                             ;   in Loop: Header=BB97_11 Depth=1
	s_or_b64 exec, exec, s[48:49]
	s_and_b64 s[48:49], s[54:55], exec
.LBB97_203:                             ;   in Loop: Header=BB97_11 Depth=1
	s_or_b64 exec, exec, s[52:53]
.LBB97_204:                             ;   in Loop: Header=BB97_11 Depth=1
	s_and_b64 vcc, exec, s[50:51]
	s_cbranch_vccz .LBB97_215
; %bb.205:                              ;   in Loop: Header=BB97_11 Depth=1
                                        ; implicit-def: $vgpr6_vgpr7
	s_and_saveexec_b64 s[40:41], s[12:13]
	s_cbranch_execz .LBB97_214
; %bb.206:                              ;   in Loop: Header=BB97_11 Depth=1
	s_mov_b64 s[42:43], 0
	v_mov_b32_e32 v18, v16
	v_mov_b32_e32 v10, v0
                                        ; implicit-def: $sgpr50_sgpr51
	s_branch .LBB97_209
.LBB97_207:                             ;   in Loop: Header=BB97_209 Depth=2
	s_or_b64 exec, exec, s[52:53]
	s_waitcnt lgkmcnt(0)
	s_barrier
	ds_read_b128 v[4:7], v19 offset:3072
	s_mov_b64 s[52:53], -1
	s_mov_b64 s[54:55], -1
	s_waitcnt lgkmcnt(0)
	s_barrier
	v_cmp_eq_u64_e32 vcc, 0, v[4:5]
	s_cbranch_vccnz .LBB97_212
.LBB97_208:                             ;   in Loop: Header=BB97_209 Depth=2
	s_and_b64 s[16:17], exec, s[52:53]
	s_or_b64 s[42:43], s[16:17], s[42:43]
	s_andn2_b64 s[16:17], s[50:51], exec
	s_and_b64 s[50:51], s[54:55], exec
	s_or_b64 s[50:51], s[16:17], s[50:51]
	s_andn2_b64 exec, exec, s[42:43]
	s_cbranch_execz .LBB97_213
.LBB97_209:                             ;   Parent Loop BB97_11 Depth=1
                                        ; =>  This Inner Loop Header: Depth=2
	v_cmp_gt_u32_e32 vcc, s56, v10
	s_and_saveexec_b64 s[52:53], vcc
	s_cbranch_execz .LBB97_207
; %bb.210:                              ;   in Loop: Header=BB97_209 Depth=2
	v_lshl_add_u64 v[4:5], v[18:19], 3, s[64:65]
	global_load_dwordx2 v[4:5], v[4:5], off
	s_waitcnt vmcnt(0)
	v_xor_b32_e32 v3, 0x80000000, v5
	v_and_b32_e32 v7, v3, v29
	v_and_b32_e32 v6, v4, v28
	v_cmp_eq_u64_e32 vcc, v[6:7], v[26:27]
	s_and_b64 exec, exec, vcc
	s_cbranch_execz .LBB97_207
; %bb.211:                              ;   in Loop: Header=BB97_209 Depth=2
	v_mov_b32_e32 v3, v19
	ds_write_b128 v19, v[2:5] offset:3072
	s_branch .LBB97_207
.LBB97_212:                             ;   in Loop: Header=BB97_209 Depth=2
	v_add_u32_e32 v10, s59, v10
	v_cmp_le_u32_e32 vcc, s78, v10
	v_add_u32_e32 v18, s57, v18
	s_mov_b64 s[54:55], 0
	s_orn2_b64 s[52:53], vcc, exec
	s_branch .LBB97_208
.LBB97_213:                             ;   in Loop: Header=BB97_11 Depth=1
	s_or_b64 exec, exec, s[42:43]
	s_andn2_b64 s[16:17], s[48:49], exec
	s_and_b64 s[42:43], s[50:51], exec
	s_or_b64 s[48:49], s[16:17], s[42:43]
.LBB97_214:                             ;   in Loop: Header=BB97_11 Depth=1
	s_or_b64 exec, exec, s[40:41]
	s_mov_b64 s[40:41], 0
	s_mov_b64 s[42:43], -1
.LBB97_215:                             ;   in Loop: Header=BB97_11 Depth=1
	s_orn2_b64 s[48:49], s[48:49], exec
.LBB97_216:                             ;   in Loop: Header=BB97_11 Depth=1
	s_or_b64 exec, exec, s[46:47]
	s_mov_b64 s[50:51], 0
	s_and_saveexec_b64 s[46:47], s[48:49]
	s_cbranch_execz .LBB97_227
; %bb.217:                              ;   in Loop: Header=BB97_11 Depth=1
	s_xor_b64 s[16:17], s[44:45], -1
	v_mov_b32_e32 v8, 1
	v_mov_b32_e32 v3, 1
	s_and_saveexec_b64 s[44:45], s[16:17]
	s_cbranch_execz .LBB97_226
; %bb.218:                              ;   in Loop: Header=BB97_11 Depth=1
	v_cmp_ge_u32_e32 vcc, s68, v9
	s_and_saveexec_b64 s[16:17], vcc
	s_xor_b64 s[48:49], exec, s[16:17]
	s_cbranch_execz .LBB97_223
; %bb.219:                              ;   in Loop: Header=BB97_11 Depth=1
	ds_read_b32 v3, v19 offset:4104
	v_or_b32_e32 v27, s1, v27
	v_or_b32_e32 v26, s0, v26
	;; [unrolled: 1-line block ×4, first 2 shown]
	s_waitcnt lgkmcnt(0)
	v_cmp_ne_u32_e32 vcc, 0, v3
	s_cbranch_vccnz .LBB97_223
; %bb.220:                              ;   in Loop: Header=BB97_11 Depth=1
	s_and_saveexec_b64 s[0:1], s[14:15]
; %bb.221:                              ;   in Loop: Header=BB97_11 Depth=1
	v_mov_b32_e32 v3, s68
	ds_write_b32 v19, v3 offset:4108
; %bb.222:                              ;   in Loop: Header=BB97_11 Depth=1
	s_or_b64 exec, exec, s[0:1]
	s_waitcnt lgkmcnt(0)
	s_barrier
.LBB97_223:                             ;   in Loop: Header=BB97_11 Depth=1
	s_andn2_saveexec_b64 s[0:1], s[48:49]
; %bb.224:                              ;   in Loop: Header=BB97_11 Depth=1
	v_subrev_u32_e32 v9, s68, v9
; %bb.225:                              ;   in Loop: Header=BB97_11 Depth=1
	s_or_b64 exec, exec, s[0:1]
	v_mov_b32_e32 v8, 8
	v_mov_b32_e32 v3, v9
.LBB97_226:                             ;   in Loop: Header=BB97_11 Depth=1
	s_or_b64 exec, exec, s[44:45]
	s_mov_b64 s[50:51], exec
	v_mov_b32_e32 v9, v3
.LBB97_227:                             ;   in Loop: Header=BB97_11 Depth=1
	s_or_b64 exec, exec, s[46:47]
	s_orn2_b64 s[44:45], s[50:51], exec
.LBB97_228:                             ;   in Loop: Header=BB97_11 Depth=1
	s_or_b64 exec, exec, s[26:27]
	s_andn2_b64 s[0:1], s[36:37], exec
	s_and_b64 s[16:17], s[42:43], exec
	s_or_b64 s[36:37], s[0:1], s[16:17]
	s_andn2_b64 s[0:1], s[34:35], exec
	s_and_b64 s[16:17], s[40:41], exec
	s_or_b64 s[34:35], s[0:1], s[16:17]
	s_and_b64 s[44:45], s[44:45], exec
	v_mov_b32_e32 v10, v9
.LBB97_229:                             ;   in Loop: Header=BB97_11 Depth=1
	s_or_b64 exec, exec, s[38:39]
	s_orn2_b64 s[38:39], s[44:45], exec
.LBB97_230:                             ;   in Loop: Header=BB97_11 Depth=1
	s_or_b64 exec, exec, s[30:31]
	s_andn2_b64 s[0:1], s[24:25], exec
	s_and_b64 s[16:17], s[36:37], exec
	s_or_b64 s[24:25], s[0:1], s[16:17]
	s_andn2_b64 s[0:1], s[22:23], exec
	s_and_b64 s[16:17], s[34:35], exec
	s_or_b64 s[22:23], s[0:1], s[16:17]
	s_and_b64 s[36:37], s[38:39], exec
	v_mov_b32_e32 v9, v10
.LBB97_231:                             ;   in Loop: Header=BB97_11 Depth=1
	s_or_b64 exec, exec, s[28:29]
	s_orn2_b64 s[28:29], s[36:37], exec
.LBB97_232:                             ;   in Loop: Header=BB97_11 Depth=1
	s_or_b64 exec, exec, s[20:21]
	s_mov_b64 s[20:21], 0
                                        ; implicit-def: $sgpr30
                                        ; implicit-def: $sgpr31
	s_and_saveexec_b64 s[0:1], s[28:29]
	s_xor_b64 s[0:1], exec, s[0:1]
	s_cbranch_execz .LBB97_9
; %bb.233:                              ;   in Loop: Header=BB97_11 Depth=1
	v_and_b32_e32 v3, 7, v8
	v_cmp_eq_u32_e32 vcc, 0, v3
	s_mov_b64 s[18:19], -1
	s_mov_b64 s[20:21], -1
                                        ; implicit-def: $sgpr30
                                        ; implicit-def: $sgpr31
	s_and_saveexec_b64 s[26:27], vcc
	s_cbranch_execz .LBB97_8
; %bb.234:                              ;   in Loop: Header=BB97_11 Depth=1
	s_xor_b32 s31, s81, 1
	s_add_i32 s30, s80, -2
	s_cmp_eq_u32 s80, 0
	s_cselect_b64 s[16:17], -1, 0
	s_xor_b64 s[20:21], exec, -1
	s_orn2_b64 s[18:19], s[16:17], exec
	s_branch .LBB97_8
.LBB97_235:
	s_or_b64 exec, exec, s[88:89]
	s_xor_b64 s[6:7], s[94:95], -1
	s_xor_b64 s[0:1], s[90:91], -1
	;; [unrolled: 1-line block ×3, first 2 shown]
	s_mov_b64 s[2:3], 0
	s_and_saveexec_b64 s[8:9], s[0:1]
	s_xor_b64 s[0:1], exec, s[8:9]
	s_cbranch_execnz .LBB97_240
; %bb.236:
	s_andn2_saveexec_b64 s[0:1], s[0:1]
	s_cbranch_execnz .LBB97_253
.LBB97_237:
	s_or_b64 exec, exec, s[0:1]
	s_and_saveexec_b64 s[0:1], s[2:3]
.LBB97_238:
	; divergent unreachable
.LBB97_239:
	s_endpgm
.LBB97_240:
	s_and_saveexec_b64 s[2:3], s[6:7]
	s_xor_b64 s[2:3], exec, s[2:3]
	s_cbranch_execz .LBB97_251
; %bb.241:
	s_and_saveexec_b64 s[6:7], s[4:5]
	s_xor_b64 s[4:5], exec, s[6:7]
; %bb.242:
	v_xor_b32_e32 v27, 0x80000000, v27
	v_mov_b64_e32 v[6:7], v[26:27]
; %bb.243:
	s_or_b64 exec, exec, s[4:5]
	v_readlane_b32 s7, v60, 0
	v_readlane_b32 s8, v60, 10
	s_mul_i32 s4, s8, s7
	v_readlane_b32 s18, v60, 12
	s_sub_i32 s4, s18, s4
	s_add_i32 s5, s8, 1
	s_sub_i32 s6, s4, s7
	s_cmp_ge_u32 s4, s7
	s_cselect_b32 s5, s5, s8
	s_cselect_b32 s4, s6, s4
	s_add_i32 s6, s5, 1
	s_cmp_ge_u32 s4, s7
	s_cselect_b32 s4, s6, s5
	s_mul_i32 s5, s4, s7
	v_readlane_b32 s6, v60, 6
	s_sub_i32 s5, s18, s5
	v_readlane_b32 s7, v60, 7
	s_mul_i32 s5, s5, s7
	s_mul_i32 s4, s4, s6
	s_add_i32 s4, s4, s5
	s_mov_b32 s5, 0
	s_lshl_b64 s[4:5], s[4:5], 3
	v_readlane_b32 s6, v60, 8
	v_readlane_b32 s7, v60, 9
	s_add_u32 s4, s6, s4
	s_addc_u32 s5, s7, s5
	v_mov_b32_e32 v17, 0
	global_store_dwordx2 v17, v[6:7], s[4:5]
	s_mov_b64 s[4:5], exec
	v_readlane_b32 s6, v60, 13
	v_readlane_b32 s7, v60, 14
	s_and_b64 s[6:7], s[4:5], s[6:7]
	s_mov_b64 exec, s[6:7]
	s_cbranch_execz .LBB97_250
; %bb.244:
	s_mov_b64 s[6:7], 0
                                        ; implicit-def: $sgpr8_sgpr9
                                        ; implicit-def: $sgpr12_sgpr13
                                        ; implicit-def: $sgpr10_sgpr11
	s_branch .LBB97_246
.LBB97_245:                             ;   in Loop: Header=BB97_246 Depth=1
	s_or_b64 exec, exec, s[14:15]
	s_and_b64 s[14:15], exec, s[12:13]
	s_or_b64 s[6:7], s[14:15], s[6:7]
	s_andn2_b64 s[8:9], s[8:9], exec
	s_and_b64 s[14:15], s[10:11], exec
	s_or_b64 s[8:9], s[8:9], s[14:15]
	s_andn2_b64 exec, exec, s[6:7]
	s_cbranch_execz .LBB97_248
.LBB97_246:                             ; =>This Inner Loop Header: Depth=1
	v_lshl_add_u64 v[2:3], v[16:17], 3, s[64:65]
	global_load_dwordx2 v[4:5], v[2:3], off
	v_mov_b32_e32 v2, v0
	s_or_b64 s[10:11], s[10:11], exec
	s_or_b64 s[12:13], s[12:13], exec
                                        ; implicit-def: $vgpr0
	s_waitcnt vmcnt(0)
	v_cmp_ne_u64_e32 vcc, v[4:5], v[6:7]
	s_and_saveexec_b64 s[14:15], vcc
	s_cbranch_execz .LBB97_245
; %bb.247:                              ;   in Loop: Header=BB97_246 Depth=1
	v_add_u32_e32 v0, s59, v2
	v_cmp_le_u32_e32 vcc, s56, v0
	s_andn2_b64 s[12:13], s[12:13], exec
	s_and_b64 s[16:17], vcc, exec
	v_add_u32_e32 v16, s57, v16
	s_andn2_b64 s[10:11], s[10:11], exec
	s_or_b64 s[12:13], s[12:13], s[16:17]
	s_branch .LBB97_245
.LBB97_248:
	s_or_b64 exec, exec, s[6:7]
	s_and_saveexec_b64 s[6:7], s[8:9]
	s_xor_b64 s[6:7], exec, s[6:7]
	s_cbranch_execz .LBB97_250
; %bb.249:
	v_readlane_b32 s9, v60, 1
	v_readlane_b32 s10, v60, 11
	s_mul_i32 s6, s10, s9
	s_sub_i32 s6, s18, s6
	s_add_i32 s7, s10, 1
	s_sub_i32 s8, s6, s9
	s_cmp_ge_u32 s6, s9
	s_cselect_b32 s7, s7, s10
	s_cselect_b32 s6, s8, s6
	s_add_i32 s8, s7, 1
	s_cmp_ge_u32 s6, s9
	s_cselect_b32 s6, s8, s7
	s_mul_i32 s7, s6, s9
	v_readlane_b32 s8, v60, 2
	s_sub_i32 s7, s18, s7
	v_readlane_b32 s9, v60, 3
	s_mul_i32 s7, s7, s9
	s_mul_i32 s6, s6, s8
	s_add_i32 s6, s6, s7
	s_mov_b32 s7, 0
	s_lshl_b64 s[6:7], s[6:7], 3
	v_readlane_b32 s8, v60, 4
	v_readlane_b32 s9, v60, 5
	s_add_u32 s6, s8, s6
	s_addc_u32 s7, s9, s7
	v_mov_b32_e32 v3, 0
	global_store_dwordx2 v3, v[2:3], s[6:7]
.LBB97_250:
	s_or_b64 exec, exec, s[4:5]
.LBB97_251:
	s_or_saveexec_b64 s[2:3], s[2:3]
	s_mov_b64 s[4:5], 0
	s_xor_b64 exec, exec, s[2:3]
	s_cbranch_execnz .LBB97_254
.LBB97_252:
	s_or_b64 exec, exec, s[2:3]
	s_and_b64 s[2:3], s[4:5], exec
	s_andn2_saveexec_b64 s[0:1], s[0:1]
	s_cbranch_execz .LBB97_237
.LBB97_253:
	s_or_b64 s[2:3], s[2:3], exec
	s_trap 2
	s_or_b64 exec, exec, s[0:1]
	s_and_saveexec_b64 s[0:1], s[2:3]
	s_cbranch_execnz .LBB97_238
	s_branch .LBB97_239
.LBB97_254:
	s_mov_b64 s[4:5], exec
	s_trap 2
	s_branch .LBB97_252
	.section	.rodata,"a",@progbits
	.p2align	6, 0x0
	.amdhsa_kernel _ZN2at6native12_GLOBAL__N_112gatherMedianIljLi2EEEvNS_4cuda6detail10TensorInfoIT_T0_EENS5_IlS7_EENS5_IKS6_S7_EES7_S7_S7_b
		.amdhsa_group_segment_fixed_size 4120
		.amdhsa_private_segment_fixed_size 0
		.amdhsa_kernarg_size 920
		.amdhsa_user_sgpr_count 2
		.amdhsa_user_sgpr_dispatch_ptr 0
		.amdhsa_user_sgpr_queue_ptr 0
		.amdhsa_user_sgpr_kernarg_segment_ptr 1
		.amdhsa_user_sgpr_dispatch_id 0
		.amdhsa_user_sgpr_kernarg_preload_length 0
		.amdhsa_user_sgpr_kernarg_preload_offset 0
		.amdhsa_user_sgpr_private_segment_size 0
		.amdhsa_uses_dynamic_stack 0
		.amdhsa_enable_private_segment 0
		.amdhsa_system_sgpr_workgroup_id_x 1
		.amdhsa_system_sgpr_workgroup_id_y 1
		.amdhsa_system_sgpr_workgroup_id_z 1
		.amdhsa_system_sgpr_workgroup_info 0
		.amdhsa_system_vgpr_workitem_id 0
		.amdhsa_next_free_vgpr 61
		.amdhsa_next_free_sgpr 100
		.amdhsa_accum_offset 64
		.amdhsa_reserve_vcc 1
		.amdhsa_float_round_mode_32 0
		.amdhsa_float_round_mode_16_64 0
		.amdhsa_float_denorm_mode_32 3
		.amdhsa_float_denorm_mode_16_64 3
		.amdhsa_dx10_clamp 1
		.amdhsa_ieee_mode 1
		.amdhsa_fp16_overflow 0
		.amdhsa_tg_split 0
		.amdhsa_exception_fp_ieee_invalid_op 0
		.amdhsa_exception_fp_denorm_src 0
		.amdhsa_exception_fp_ieee_div_zero 0
		.amdhsa_exception_fp_ieee_overflow 0
		.amdhsa_exception_fp_ieee_underflow 0
		.amdhsa_exception_fp_ieee_inexact 0
		.amdhsa_exception_int_div_zero 0
	.end_amdhsa_kernel
	.section	.text._ZN2at6native12_GLOBAL__N_112gatherMedianIljLi2EEEvNS_4cuda6detail10TensorInfoIT_T0_EENS5_IlS7_EENS5_IKS6_S7_EES7_S7_S7_b,"axG",@progbits,_ZN2at6native12_GLOBAL__N_112gatherMedianIljLi2EEEvNS_4cuda6detail10TensorInfoIT_T0_EENS5_IlS7_EENS5_IKS6_S7_EES7_S7_S7_b,comdat
.Lfunc_end97:
	.size	_ZN2at6native12_GLOBAL__N_112gatherMedianIljLi2EEEvNS_4cuda6detail10TensorInfoIT_T0_EENS5_IlS7_EENS5_IKS6_S7_EES7_S7_S7_b, .Lfunc_end97-_ZN2at6native12_GLOBAL__N_112gatherMedianIljLi2EEEvNS_4cuda6detail10TensorInfoIT_T0_EENS5_IlS7_EENS5_IKS6_S7_EES7_S7_S7_b
                                        ; -- End function
	.set _ZN2at6native12_GLOBAL__N_112gatherMedianIljLi2EEEvNS_4cuda6detail10TensorInfoIT_T0_EENS5_IlS7_EENS5_IKS6_S7_EES7_S7_S7_b.num_vgpr, 61
	.set _ZN2at6native12_GLOBAL__N_112gatherMedianIljLi2EEEvNS_4cuda6detail10TensorInfoIT_T0_EENS5_IlS7_EENS5_IKS6_S7_EES7_S7_S7_b.num_agpr, 0
	.set _ZN2at6native12_GLOBAL__N_112gatherMedianIljLi2EEEvNS_4cuda6detail10TensorInfoIT_T0_EENS5_IlS7_EENS5_IKS6_S7_EES7_S7_S7_b.numbered_sgpr, 100
	.set _ZN2at6native12_GLOBAL__N_112gatherMedianIljLi2EEEvNS_4cuda6detail10TensorInfoIT_T0_EENS5_IlS7_EENS5_IKS6_S7_EES7_S7_S7_b.num_named_barrier, 0
	.set _ZN2at6native12_GLOBAL__N_112gatherMedianIljLi2EEEvNS_4cuda6detail10TensorInfoIT_T0_EENS5_IlS7_EENS5_IKS6_S7_EES7_S7_S7_b.private_seg_size, 0
	.set _ZN2at6native12_GLOBAL__N_112gatherMedianIljLi2EEEvNS_4cuda6detail10TensorInfoIT_T0_EENS5_IlS7_EENS5_IKS6_S7_EES7_S7_S7_b.uses_vcc, 1
	.set _ZN2at6native12_GLOBAL__N_112gatherMedianIljLi2EEEvNS_4cuda6detail10TensorInfoIT_T0_EENS5_IlS7_EENS5_IKS6_S7_EES7_S7_S7_b.uses_flat_scratch, 0
	.set _ZN2at6native12_GLOBAL__N_112gatherMedianIljLi2EEEvNS_4cuda6detail10TensorInfoIT_T0_EENS5_IlS7_EENS5_IKS6_S7_EES7_S7_S7_b.has_dyn_sized_stack, 0
	.set _ZN2at6native12_GLOBAL__N_112gatherMedianIljLi2EEEvNS_4cuda6detail10TensorInfoIT_T0_EENS5_IlS7_EENS5_IKS6_S7_EES7_S7_S7_b.has_recursion, 0
	.set _ZN2at6native12_GLOBAL__N_112gatherMedianIljLi2EEEvNS_4cuda6detail10TensorInfoIT_T0_EENS5_IlS7_EENS5_IKS6_S7_EES7_S7_S7_b.has_indirect_call, 0
	.section	.AMDGPU.csdata,"",@progbits
; Kernel info:
; codeLenInByte = 9316
; TotalNumSgprs: 106
; NumVgprs: 61
; NumAgprs: 0
; TotalNumVgprs: 61
; ScratchSize: 0
; MemoryBound: 0
; FloatMode: 240
; IeeeMode: 1
; LDSByteSize: 4120 bytes/workgroup (compile time only)
; SGPRBlocks: 13
; VGPRBlocks: 7
; NumSGPRsForWavesPerEU: 106
; NumVGPRsForWavesPerEU: 61
; AccumOffset: 64
; Occupancy: 7
; WaveLimiterHint : 1
; COMPUTE_PGM_RSRC2:SCRATCH_EN: 0
; COMPUTE_PGM_RSRC2:USER_SGPR: 2
; COMPUTE_PGM_RSRC2:TRAP_HANDLER: 0
; COMPUTE_PGM_RSRC2:TGID_X_EN: 1
; COMPUTE_PGM_RSRC2:TGID_Y_EN: 1
; COMPUTE_PGM_RSRC2:TGID_Z_EN: 1
; COMPUTE_PGM_RSRC2:TIDIG_COMP_CNT: 0
; COMPUTE_PGM_RSRC3_GFX90A:ACCUM_OFFSET: 15
; COMPUTE_PGM_RSRC3_GFX90A:TG_SPLIT: 0
	.section	.text._ZN2at6native12_GLOBAL__N_112gatherMedianIljLi3EEEvNS_4cuda6detail10TensorInfoIT_T0_EENS5_IlS7_EENS5_IKS6_S7_EES7_S7_S7_b,"axG",@progbits,_ZN2at6native12_GLOBAL__N_112gatherMedianIljLi3EEEvNS_4cuda6detail10TensorInfoIT_T0_EENS5_IlS7_EENS5_IKS6_S7_EES7_S7_S7_b,comdat
	.globl	_ZN2at6native12_GLOBAL__N_112gatherMedianIljLi3EEEvNS_4cuda6detail10TensorInfoIT_T0_EENS5_IlS7_EENS5_IKS6_S7_EES7_S7_S7_b ; -- Begin function _ZN2at6native12_GLOBAL__N_112gatherMedianIljLi3EEEvNS_4cuda6detail10TensorInfoIT_T0_EENS5_IlS7_EENS5_IKS6_S7_EES7_S7_S7_b
	.p2align	8
	.type	_ZN2at6native12_GLOBAL__N_112gatherMedianIljLi3EEEvNS_4cuda6detail10TensorInfoIT_T0_EENS5_IlS7_EENS5_IKS6_S7_EES7_S7_S7_b,@function
_ZN2at6native12_GLOBAL__N_112gatherMedianIljLi3EEEvNS_4cuda6detail10TensorInfoIT_T0_EENS5_IlS7_EENS5_IKS6_S7_EES7_S7_S7_b: ; @_ZN2at6native12_GLOBAL__N_112gatherMedianIljLi3EEEvNS_4cuda6detail10TensorInfoIT_T0_EENS5_IlS7_EENS5_IKS6_S7_EES7_S7_S7_b
; %bb.0:
	s_load_dwordx2 s[10:11], s[0:1], 0x298
	s_load_dwordx4 s[56:59], s[0:1], 0x288
	s_add_u32 s8, s0, 0x298
	s_addc_u32 s9, s1, 0
	s_waitcnt lgkmcnt(0)
	s_mul_i32 s4, s11, s4
	s_add_i32 s3, s4, s3
	s_mul_i32 s3, s3, s10
	s_add_i32 s26, s3, s2
	s_cmp_ge_u32 s26, s57
	s_cbranch_scc1 .LBB98_239
; %bb.1:
	s_load_dwordx2 s[16:17], s[0:1], 0xc
	s_load_dwordx2 s[12:13], s[0:1], 0x1bc
	;; [unrolled: 1-line block ×3, first 2 shown]
	s_load_dwordx4 s[4:7], s[0:1], 0x21c
                                        ; implicit-def: $vgpr60 : SGPR spill to VGPR lane
	s_waitcnt lgkmcnt(0)
	v_cvt_f32_u32_e32 v3, s19
	v_cvt_f32_u32_e32 v1, s17
	s_sub_i32 s3, 0, s17
	v_cvt_f32_u32_e32 v2, s16
	v_rcp_iflag_f32_e32 v3, v3
	v_rcp_iflag_f32_e32 v1, v1
	;; [unrolled: 1-line block ×3, first 2 shown]
	v_mul_f32_e32 v1, 0x4f7ffffe, v1
	v_cvt_u32_f32_e32 v1, v1
	v_mul_f32_e32 v2, 0x4f7ffffe, v2
	v_cvt_u32_f32_e32 v2, v2
	v_readfirstlane_b32 s7, v1
	s_mul_i32 s3, s3, s7
	s_mul_hi_u32 s3, s7, s3
	s_add_i32 s7, s7, s3
	s_mul_hi_u32 s3, s26, s7
	s_mul_i32 s7, s3, s17
	s_sub_i32 s7, s26, s7
	s_add_i32 s11, s3, 1
	s_sub_i32 s14, s7, s17
	s_cmp_ge_u32 s7, s17
	s_cselect_b32 s3, s11, s3
	s_cselect_b32 s7, s14, s7
	s_add_i32 s11, s3, 1
	s_cmp_ge_u32 s7, s17
	v_mul_f32_e32 v1, 0x4f7ffffe, v3
	s_cselect_b32 s3, s11, s3
	v_cvt_u32_f32_e32 v1, v1
	v_writelane_b32 v60, s3, 0
	v_writelane_b32 v60, s16, 1
	s_sub_i32 s7, 0, s16
	v_readfirstlane_b32 s3, v2
	s_mul_i32 s7, s7, s3
	s_mul_hi_u32 s11, s3, s7
	s_sub_i32 s7, 0, s19
	v_readfirstlane_b32 s14, v1
	s_mul_i32 s7, s7, s14
	s_mul_hi_u32 s7, s14, s7
	v_cvt_f32_u32_e32 v1, s18
	s_add_i32 s14, s14, s7
	s_mul_hi_u32 s7, s26, s14
	s_mul_i32 s14, s7, s19
	s_sub_i32 s14, s26, s14
	v_rcp_iflag_f32_e32 v1, v1
	v_writelane_b32 v60, s17, 2
	s_add_i32 s15, s7, 1
	s_sub_i32 s16, s14, s19
	v_cvt_f32_u32_e32 v2, s13
	s_cmp_ge_u32 s14, s19
	s_cselect_b32 s7, s15, s7
	s_cselect_b32 s14, s16, s14
	s_add_i32 s15, s7, 1
	v_mul_f32_e32 v1, 0x4f7ffffe, v1
	s_cmp_ge_u32 s14, s19
	v_cvt_u32_f32_e32 v1, v1
	v_rcp_iflag_f32_e32 v2, v2
	s_cselect_b32 s7, s15, s7
	v_writelane_b32 v60, s7, 3
	v_writelane_b32 v60, s18, 4
	s_sub_i32 s7, 0, s18
	s_nop 0
	v_writelane_b32 v60, s19, 5
	v_readfirstlane_b32 s18, v1
	v_mul_f32_e32 v1, 0x4f7ffffe, v2
	v_cvt_u32_f32_e32 v1, v1
	s_mul_i32 s7, s7, s18
	s_mul_hi_u32 s19, s18, s7
	s_sub_i32 s7, 0, s13
	v_readfirstlane_b32 s14, v1
	v_cvt_f32_u32_e32 v1, s12
	s_mul_i32 s7, s7, s14
	s_mul_hi_u32 s7, s14, s7
	s_add_i32 s14, s14, s7
	v_rcp_iflag_f32_e32 v1, v1
	s_mul_hi_u32 s7, s26, s14
	s_mul_i32 s14, s7, s13
	s_sub_i32 s14, s26, s14
	s_add_i32 s15, s7, 1
	s_sub_i32 s16, s14, s13
	v_mul_f32_e32 v1, 0x4f7ffffe, v1
	s_cmp_ge_u32 s14, s13
	v_cvt_u32_f32_e32 v1, v1
	s_cselect_b32 s7, s15, s7
	s_cselect_b32 s14, s16, s14
	s_add_i32 s15, s7, 1
	s_cmp_ge_u32 s14, s13
	s_cselect_b32 s7, s15, s7
	s_sub_i32 s14, 0, s12
	v_readfirstlane_b32 s22, v1
	s_mul_i32 s14, s14, s22
	s_mul_hi_u32 s14, s22, s14
	s_add_i32 s22, s22, s14
	v_cmp_eq_u32_e64 s[14:15], 0, v0
	s_and_saveexec_b64 s[16:17], s[14:15]
; %bb.2:
	v_mov_b32_e32 v2, 0
	v_mov_b32_e32 v3, v2
	ds_write_b64 v2, v[2:3] offset:4096
; %bb.3:
	s_or_b64 exec, exec, s[16:17]
	s_load_dwordx4 s[28:31], s[0:1], 0x144
	v_mov_b32_e32 v1, 0
	s_waitcnt lgkmcnt(0)
	s_barrier
	v_writelane_b32 v60, s28, 6
	s_barrier
	s_nop 0
	v_writelane_b32 v60, s29, 7
	v_writelane_b32 v60, s30, 8
	ds_read_b64 v[2:3], v1 offset:4096
	v_writelane_b32 v60, s31, 9
	s_load_dwordx4 s[28:31], s[0:1], 0x6c
	s_load_dwordx2 s[16:17], s[0:1], 0x1b0
	s_add_i32 s20, s3, s11
	s_add_i32 s21, s18, s19
	s_bitcmp1_b32 s59, 0
	s_waitcnt lgkmcnt(0)
	v_readfirstlane_b32 s18, v2
	v_readfirstlane_b32 s19, v3
	v_writelane_b32 v60, s28, 10
	s_mul_hi_u32 s11, s7, s22
	s_cselect_b64 s[22:23], -1, 0
	v_cmp_lt_i64_e64 s[24:25], s[18:19], 1
	v_writelane_b32 v60, s29, 11
	s_or_b64 s[22:23], s[22:23], s[24:25]
	v_writelane_b32 v60, s30, 12
	s_andn2_b64 vcc, exec, s[22:23]
	s_mov_b32 s3, s56
	v_writelane_b32 v60, s31, 13
	s_cbranch_vccnz .LBB98_5
; %bb.4:
	s_not_b64 s[18:19], s[18:19]
	s_add_u32 s3, s18, s56
	s_addc_u32 s19, s19, 0
	s_lshr_b32 s18, s19, 31
	s_add_u32 s18, s3, s18
	s_addc_u32 s19, s19, 0
	s_lshr_b64 s[18:19], s[18:19], 1
	s_add_i32 s3, s18, 1
.LBB98_5:
	s_load_dwordx2 s[18:19], s[0:1], 0xd8
                                        ; kill: killed $sgpr0 killed $sgpr1
	s_waitcnt lgkmcnt(0)
	v_writelane_b32 v60, s18, 14
	s_nop 1
	v_writelane_b32 v60, s19, 15
	s_load_dwordx2 s[18:19], s[0:1], 0x0
	s_waitcnt lgkmcnt(0)
	v_writelane_b32 v60, s18, 16
	s_nop 1
	v_writelane_b32 v60, s19, 17
	s_nop 0
	v_readlane_b32 s0, v60, 0
	s_mul_hi_u32 s0, s0, s20
	s_nop 0
	v_writelane_b32 v60, s0, 18
	s_nop 0
	v_readlane_b32 s0, v60, 3
	s_mul_hi_u32 s0, s0, s21
	s_nop 0
	v_writelane_b32 v60, s0, 19
	s_and_saveexec_b64 s[0:1], s[14:15]
	s_cbranch_execz .LBB98_7
; %bb.6:
	v_mov_b32_e32 v2, 0
	v_mov_b32_e32 v3, s56
	ds_write_b32 v2, v2 offset:4112
	ds_write_b64 v2, v[2:3] offset:4104
.LBB98_7:
	s_or_b64 exec, exec, s[0:1]
	s_mul_i32 s0, s7, s13
	s_mul_i32 s1, s11, s12
	s_sub_i32 s0, s26, s0
	s_sub_i32 s1, s7, s1
	s_mul_i32 s0, s0, s6
	s_add_i32 s6, s11, 1
	s_sub_i32 s13, s1, s12
	s_cmp_ge_u32 s1, s12
	s_cselect_b32 s6, s6, s11
	s_cselect_b32 s1, s13, s1
	s_add_i32 s11, s6, 1
	s_cmp_ge_u32 s1, s12
	s_cselect_b32 s1, s11, s6
	s_mul_i32 s6, s1, s12
	s_sub_i32 s6, s7, s6
	s_mul_i32 s5, s6, s5
	s_mov_b32 s18, 0
	s_add_i32 s0, s5, s0
	s_mul_i32 s1, s1, s4
	s_waitcnt lgkmcnt(0)
	s_barrier
	s_load_dword s11, s[8:9], 0xc
	s_mov_b32 s19, 1
	s_add_i32 s0, s0, s1
	s_mov_b32 s1, s18
	s_lshl_b64 s[0:1], s[0:1], 3
	s_add_u32 s74, s16, s0
	v_writelane_b32 v60, s26, 20
	s_addc_u32 s75, s17, s1
	v_cmp_gt_u32_e64 s[0:1], s56, v0
	v_mbcnt_lo_u32_b32 v1, -1, 0
	s_waitcnt lgkmcnt(0)
	s_and_b32 s59, s11, 0xffff
	v_writelane_b32 v60, s0, 21
	v_mbcnt_hi_u32_b32 v34, -1, v1
	v_cmp_gt_u32_e32 vcc, 64, v0
	v_writelane_b32 v60, s1, 22
	v_cmp_gt_i32_e64 s[0:1], 4, v34
	s_add_i32 s95, s59, -1
	s_lshl_b32 s94, s59, 2
	s_and_b64 s[80:81], vcc, s[0:1]
	s_add_i32 s0, s95, s56
	s_cmpk_gt_u32 s56, 0x180
	s_cselect_b64 s[82:83], -1, 0
	s_cmp_gt_u32 s59, 63
	s_cselect_b64 s[84:85], -1, 0
	s_cmp_lt_u32 s2, s10
	s_cselect_b32 s1, 12, 18
	s_add_u32 s8, s8, s1
	s_addc_u32 s9, s9, 0
	v_writelane_b32 v60, s8, 23
	v_lshlrev_b64 v[2:3], v34, -1
	v_not_b32_e32 v22, v2
	v_writelane_b32 v60, s9, 24
	s_bfe_u32 s8, s11, 0xa0006
	v_lshrrev_b32_e32 v2, 2, v0
	s_add_i32 s1, s8, -2
	v_and_b32_e32 v2, 0xf0, v2
	s_lshr_b32 s2, s1, 1
	v_or_b32_e32 v37, 0xc00, v2
	s_add_i32 s2, s2, 1
	v_cvt_f32_u32_e32 v2, s94
	s_cmpk_gt_u32 s59, 0x7f
	s_cselect_b64 s[10:11], -1, 0
	v_writelane_b32 v60, s10, 25
	s_and_b32 s9, s8, 0x3fe
	v_rcp_iflag_f32_e32 v2, v2
	v_writelane_b32 v60, s11, 26
	s_and_b32 s10, s2, 7
	s_cmp_gt_u32 s1, 13
	s_cselect_b64 s[12:13], -1, 0
	v_writelane_b32 v60, s12, 27
	s_and_b32 s1, s2, -8
	v_mul_f32_e32 v2, 0x4f7ffffe, v2
	v_writelane_b32 v60, s13, 28
	v_writelane_b32 v60, s1, 29
	s_cmp_lg_u32 s10, 0
	v_cvt_u32_f32_e32 v2, v2
	v_writelane_b32 v60, s10, 30
	s_cselect_b64 s[10:11], -1, 0
	v_writelane_b32 v60, s10, 31
	s_cmp_lg_u32 s9, s8
	v_readfirstlane_b32 s2, v2
	v_writelane_b32 v60, s11, 32
	v_writelane_b32 v60, s8, 33
	v_cvt_f32_u32_e32 v2, s59
	v_writelane_b32 v60, s9, 34
	s_cselect_b64 s[8:9], -1, 0
	s_sub_i32 s1, 0, s94
	s_mul_i32 s1, s1, s2
	s_mul_hi_u32 s1, s2, s1
	s_add_i32 s87, s2, s1
	v_rcp_iflag_f32_e32 v2, v2
	s_mul_hi_u32 s1, s56, s87
	s_mul_i32 s1, s1, s94
	s_sub_i32 s1, s56, s1
	s_sub_i32 s2, s1, s94
	v_mul_f32_e32 v2, 0x4f7ffffe, v2
	s_cmp_ge_u32 s1, s94
	v_cvt_u32_f32_e32 v2, v2
	s_cselect_b32 s1, s2, s1
	s_sub_i32 s2, s1, s94
	s_cmp_ge_u32 s1, s94
	s_cselect_b32 s1, s2, s1
	s_sub_i32 s2, 0, s59
	v_readfirstlane_b32 s12, v2
	s_mul_i32 s2, s2, s12
	s_mul_hi_u32 s2, s12, s2
	s_add_i32 s68, s12, s2
	s_mul_hi_u32 s2, s0, s68
	s_mul_i32 s2, s2, s59
	s_sub_i32 s2, s0, s2
	s_sub_i32 s86, s56, s1
	s_sub_i32 s12, s2, s59
	s_cmp_ge_u32 s2, s59
	s_cselect_b32 s2, s12, s2
	v_lshlrev_b32_e32 v23, 2, v0
	s_sub_i32 s12, s2, s59
	s_cmp_ge_u32 s2, s59
	v_mul_lo_u32 v2, s58, v23
	s_cselect_b32 s2, s12, s2
	v_add_u32_e32 v39, s58, v2
	v_or_b32_e32 v2, 2, v23
	s_sub_i32 s69, s0, s2
	v_mul_lo_u32 v40, s58, v2
	v_or_b32_e32 v2, 3, v23
	s_add_i32 s0, s59, s56
	v_mov_b32_e32 v19, 0
	v_add_u32_e32 v38, s86, v0
	v_mul_lo_u32 v41, s58, v2
	v_add_u32_e32 v2, s0, v0
	v_lshlrev_b32_e32 v35, 3, v0
	v_mul_lo_u32 v16, s58, v0
	v_mov_b32_e32 v17, v19
	v_lshlrev_b32_e32 v4, 2, v34
	v_writelane_b32 v60, s8, 35
	v_mul_lo_u32 v18, v38, s58
	s_mul_i32 s57, s58, s59
	v_subrev_u32_e32 v2, s1, v2
	v_cmp_eq_u32_e64 s[4:5], 0, v34
	v_cmp_gt_u32_e64 s[6:7], 2, v0
	v_add_u32_e32 v36, 0xc00, v35
	v_lshl_add_u64 v[20:21], v[16:17], 3, s[74:75]
	v_and_b32_e32 v17, 0x100, v4
	v_not_b32_e32 v1, v3
	v_writelane_b32 v60, s9, 36
	v_cmp_gt_u32_e64 s[8:9], s86, v23
	v_cmp_gt_u32_e64 s[10:11], s56, v38
	v_lshl_add_u64 v[24:25], v[18:19], 3, s[74:75]
	v_cmp_gt_u32_e64 s[12:13], s69, v0
	s_lshl_b32 s88, s57, 2
	v_lshlrev_b32_e32 v42, 2, v16
	v_mul_lo_u32 v43, s58, v2
	v_lshlrev_b32_e32 v44, 5, v0
	s_lshl_b32 s89, s59, 5
	s_lshl_b32 s70, s59, 3
	v_or_b32_e32 v45, 0xc00, v4
	s_mov_b32 s71, 62
	s_mov_b64 s[96:97], 0
	v_mov_b64_e32 v[6:7], 0
	v_mov_b32_e32 v47, s3
	v_mov_b64_e32 v[26:27], 0
	v_mov_b64_e32 v[28:29], 0
	v_mov_b32_e32 v49, s56
	v_mov_b32_e32 v2, 1
	;; [unrolled: 1-line block ×5, first 2 shown]
	s_mov_b32 s16, s18
                                        ; implicit-def: $sgpr98_sgpr99
                                        ; implicit-def: $sgpr60_sgpr61
                                        ; implicit-def: $sgpr72_sgpr73
                                        ; implicit-def: $sgpr76_sgpr77
                                        ; implicit-def: $sgpr64_sgpr65
                                        ; implicit-def: $sgpr62_sgpr63
	s_branch .LBB98_11
.LBB98_8:                               ;   in Loop: Header=BB98_11 Depth=1
	s_or_b64 exec, exec, s[26:27]
	s_and_b64 s[20:21], s[20:21], exec
	s_andn2_b64 s[24:25], s[24:25], exec
	s_andn2_b64 s[22:23], s[22:23], exec
	s_orn2_b64 s[18:19], s[18:19], exec
.LBB98_9:                               ;   in Loop: Header=BB98_11 Depth=1
	s_or_b64 exec, exec, s[0:1]
	s_andn2_b64 s[0:1], s[62:63], exec
	s_and_b64 s[16:17], s[20:21], exec
	s_or_b64 s[62:63], s[0:1], s[16:17]
	s_andn2_b64 s[0:1], s[64:65], exec
	s_and_b64 s[16:17], s[24:25], exec
	s_or_b64 s[64:65], s[0:1], s[16:17]
	;; [unrolled: 3-line block ×3, first 2 shown]
	s_orn2_b64 s[18:19], s[18:19], exec
.LBB98_10:                              ;   in Loop: Header=BB98_11 Depth=1
	s_or_b64 exec, exec, s[2:3]
	s_and_b64 s[0:1], exec, s[18:19]
	s_or_b64 s[96:97], s[0:1], s[96:97]
	s_andn2_b64 s[0:1], s[72:73], exec
	s_and_b64 s[2:3], s[62:63], exec
	s_or_b64 s[72:73], s[0:1], s[2:3]
	s_andn2_b64 s[0:1], s[60:61], exec
	s_and_b64 s[2:3], s[64:65], exec
	;; [unrolled: 3-line block ×3, first 2 shown]
	s_or_b64 s[98:99], s[0:1], s[2:3]
	s_mov_b32 s16, s31
	s_mov_b32 s71, s30
	v_mov_b32_e32 v47, v9
	s_andn2_b64 exec, exec, s[96:97]
	s_cbranch_execz .LBB98_235
.LBB98_11:                              ; =>This Loop Header: Depth=1
                                        ;     Child Loop BB98_17 Depth 2
                                        ;     Child Loop BB98_30 Depth 2
	;; [unrolled: 1-line block ×17, first 2 shown]
	ds_read_b64 v[4:5], v19 offset:4104
	s_waitcnt lgkmcnt(0)
	v_readfirstlane_b32 s17, v4
	s_cmp_lg_u32 s17, 0
	s_cbranch_scc1 .LBB98_38
; %bb.12:                               ;   in Loop: Header=BB98_11 Depth=1
	s_and_b64 vcc, exec, s[82:83]
	s_cbranch_vccz .LBB98_25
; %bb.13:                               ;   in Loop: Header=BB98_11 Depth=1
	s_movk_i32 s0, 0x181
	v_cmp_gt_u32_e32 vcc, s0, v5
	s_mov_b64 s[18:19], 0
	s_mov_b64 s[0:1], 0
	s_cbranch_vccz .LBB98_26
; %bb.14:                               ;   in Loop: Header=BB98_11 Depth=1
	s_mov_b64 s[20:21], exec
	v_readlane_b32 s0, v60, 21
	v_readlane_b32 s1, v60, 22
	s_and_b64 s[0:1], s[20:21], s[0:1]
	s_mov_b64 exec, s[0:1]
	s_cbranch_execz .LBB98_69
; %bb.15:                               ;   in Loop: Header=BB98_11 Depth=1
	v_readlane_b32 s0, v60, 23
	v_readlane_b32 s1, v60, 24
	s_nop 4
	global_load_ushort v3, v19, s[0:1]
	global_load_dwordx2 v[4:5], v[20:21], off
	s_mov_b64 s[22:23], 0
	v_mov_b32_e32 v11, v0
	s_waitcnt vmcnt(1)
	v_add_u32_e32 v8, v0, v3
	v_mul_lo_u32 v10, s58, v3
	v_mul_lo_u32 v18, s58, v8
	s_branch .LBB98_17
.LBB98_16:                              ;   in Loop: Header=BB98_17 Depth=2
	s_or_b64 exec, exec, s[2:3]
	v_add_u32_e32 v18, v18, v10
	v_mov_b64_e32 v[4:5], v[8:9]
	s_andn2_b64 exec, exec, s[22:23]
	s_cbranch_execz .LBB98_69
.LBB98_17:                              ;   Parent Loop BB98_11 Depth=1
                                        ; =>  This Inner Loop Header: Depth=2
	v_add_u32_e32 v11, v11, v3
	v_cmp_gt_u32_e64 s[0:1], s56, v11
	v_cmp_le_u32_e32 vcc, s56, v11
	v_mov_b64_e32 v[8:9], 0
	s_and_saveexec_b64 s[2:3], s[0:1]
	s_cbranch_execz .LBB98_19
; %bb.18:                               ;   in Loop: Header=BB98_17 Depth=2
	v_lshl_add_u64 v[8:9], v[18:19], 3, s[74:75]
	global_load_dwordx2 v[8:9], v[8:9], off
.LBB98_19:                              ;   in Loop: Header=BB98_17 Depth=2
	s_or_b64 exec, exec, s[2:3]
	s_waitcnt vmcnt(0) lgkmcnt(0)
	v_xor_b32_e32 v12, 0x80000000, v5
	v_and_b32_e32 v13, v12, v29
	v_and_b32_e32 v12, v4, v28
	v_cmp_eq_u64_e64 s[0:1], v[12:13], v[26:27]
	s_cmp_lg_u64 s[0:1], 0
	s_cselect_b64 s[2:3], -1, 0
	s_and_b64 s[2:3], s[4:5], s[2:3]
	v_mov_b32_e32 v12, 0
	s_and_saveexec_b64 s[24:25], s[2:3]
	s_cbranch_execz .LBB98_23
; %bb.20:                               ;   in Loop: Header=BB98_17 Depth=2
	s_mov_b64 s[28:29], exec
	v_mbcnt_lo_u32_b32 v12, s28, 0
	v_mbcnt_hi_u32_b32 v12, s29, v12
	s_bcnt1_i32_b64 s17, s[0:1]
	v_cmp_eq_u32_e64 s[2:3], 0, v12
                                        ; implicit-def: $vgpr13
	s_and_saveexec_b64 s[26:27], s[2:3]
; %bb.21:                               ;   in Loop: Header=BB98_17 Depth=2
	s_bcnt1_i32_b64 s2, s[28:29]
	s_mul_i32 s2, s17, s2
	v_mov_b32_e32 v13, s2
	ds_add_rtn_u32 v13, v19, v13 offset:4112
; %bb.22:                               ;   in Loop: Header=BB98_17 Depth=2
	s_or_b64 exec, exec, s[26:27]
	s_waitcnt lgkmcnt(0)
	v_readfirstlane_b32 s2, v13
	s_nop 1
	v_mov_b32_e32 v13, s2
	v_mad_u32_u24 v12, s17, v12, v13
.LBB98_23:                              ;   in Loop: Header=BB98_17 Depth=2
	s_or_b64 exec, exec, s[24:25]
	ds_bpermute_b32 v12, v17, v12
	s_and_b64 s[2:3], exec, vcc
	s_or_b64 s[22:23], s[2:3], s[22:23]
	s_and_saveexec_b64 s[2:3], s[0:1]
	s_cbranch_execz .LBB98_16
; %bb.24:                               ;   in Loop: Header=BB98_17 Depth=2
	v_and_b32_e32 v14, s0, v22
	v_and_b32_e32 v13, s1, v1
	v_bcnt_u32_b32 v14, v14, 0
	v_bcnt_u32_b32 v13, v13, v14
	v_lshlrev_b32_e32 v13, 3, v13
	s_waitcnt lgkmcnt(0)
	v_lshl_add_u32 v12, v12, 3, v13
	ds_write_b64 v12, v[4:5]
	s_branch .LBB98_16
.LBB98_25:                              ;   in Loop: Header=BB98_11 Depth=1
	s_mov_b64 s[18:19], -1
	s_mov_b64 s[0:1], 0
.LBB98_26:                              ;   in Loop: Header=BB98_11 Depth=1
	s_and_b64 vcc, exec, s[18:19]
	s_cbranch_vccz .LBB98_36
.LBB98_27:                              ;   in Loop: Header=BB98_11 Depth=1
	s_mov_b64 s[0:1], exec
	v_readlane_b32 s2, v60, 21
	v_readlane_b32 s3, v60, 22
	s_and_b64 s[2:3], s[0:1], s[2:3]
	s_mov_b64 exec, s[2:3]
	s_cbranch_execz .LBB98_33
; %bb.28:                               ;   in Loop: Header=BB98_11 Depth=1
	v_readlane_b32 s2, v60, 23
	v_readlane_b32 s3, v60, 24
	s_nop 4
	global_load_ushort v3, v19, s[2:3]
	global_load_dwordx2 v[4:5], v[20:21], off
	v_mov_b32_e32 v10, v0
	s_waitcnt vmcnt(1)
	v_add_u32_e32 v8, v0, v3
	v_cmp_gt_u32_e32 vcc, s56, v8
	s_and_saveexec_b64 s[2:3], vcc
	s_cbranch_execz .LBB98_32
; %bb.29:                               ;   in Loop: Header=BB98_11 Depth=1
	v_lshlrev_b32_e32 v11, 3, v3
	v_mul_lo_u32 v18, s58, v8
	v_mul_lo_u32 v12, s58, v3
	s_mov_b64 s[18:19], 0
	v_mov_b32_e32 v13, v35
	v_mov_b32_e32 v10, v0
.LBB98_30:                              ;   Parent Loop BB98_11 Depth=1
                                        ; =>  This Inner Loop Header: Depth=2
	v_lshl_add_u64 v[8:9], v[18:19], 3, s[74:75]
	global_load_dwordx2 v[8:9], v[8:9], off
	v_add_u32_e32 v10, v10, v3
	s_waitcnt vmcnt(1)
	ds_write_b64 v13, v[4:5]
	v_add_u32_e32 v4, v3, v10
	v_cmp_le_u32_e32 vcc, s56, v4
	v_add_u32_e32 v13, v13, v11
	v_add_u32_e32 v18, v18, v12
	s_or_b64 s[18:19], vcc, s[18:19]
	s_waitcnt vmcnt(0)
	v_mov_b64_e32 v[4:5], v[8:9]
	s_andn2_b64 exec, exec, s[18:19]
	s_cbranch_execnz .LBB98_30
; %bb.31:                               ;   in Loop: Header=BB98_11 Depth=1
	s_or_b64 exec, exec, s[18:19]
	v_mov_b64_e32 v[4:5], v[8:9]
.LBB98_32:                              ;   in Loop: Header=BB98_11 Depth=1
	s_or_b64 exec, exec, s[2:3]
	v_lshlrev_b32_e32 v3, 3, v10
	s_waitcnt vmcnt(0)
	ds_write_b64 v3, v[4:5]
.LBB98_33:                              ;   in Loop: Header=BB98_11 Depth=1
	s_or_b64 exec, exec, s[0:1]
	s_waitcnt lgkmcnt(0)
	s_barrier
	s_and_saveexec_b64 s[0:1], s[14:15]
; %bb.34:                               ;   in Loop: Header=BB98_11 Depth=1
	ds_write_b32 v19, v49 offset:4104
; %bb.35:                               ;   in Loop: Header=BB98_11 Depth=1
	s_or_b64 exec, exec, s[0:1]
	s_mov_b64 s[0:1], -1
	s_waitcnt lgkmcnt(0)
	s_barrier
.LBB98_36:                              ;   in Loop: Header=BB98_11 Depth=1
	s_mov_b32 s17, 0
	s_and_b64 vcc, exec, s[0:1]
	s_cbranch_vccz .LBB98_38
; %bb.37:                               ;   in Loop: Header=BB98_11 Depth=1
	ds_read_b32 v3, v19 offset:4104
	s_waitcnt lgkmcnt(0)
	v_readfirstlane_b32 s17, v3
.LBB98_38:                              ;   in Loop: Header=BB98_11 Depth=1
	s_cmp_lt_i32 s17, 1
	s_mov_b64 s[0:1], -1
                                        ; implicit-def: $vgpr10_vgpr11
	s_cbranch_scc1 .LBB98_48
; %bb.39:                               ;   in Loop: Header=BB98_11 Depth=1
	s_and_b64 vcc, exec, s[0:1]
	s_cbranch_vccnz .LBB98_59
.LBB98_40:                              ;   in Loop: Header=BB98_11 Depth=1
	s_lshl_b32 s17, s16, 6
	s_and_saveexec_b64 s[0:1], s[4:5]
.LBB98_41:                              ;   in Loop: Header=BB98_11 Depth=1
	v_lshl_add_u32 v3, s17, 2, v37
	ds_write_b128 v3, v[8:11]
.LBB98_42:                              ;   in Loop: Header=BB98_11 Depth=1
	s_or_b64 exec, exec, s[0:1]
	s_waitcnt lgkmcnt(0)
	s_barrier
	s_and_saveexec_b64 s[0:1], s[80:81]
	s_cbranch_execz .LBB98_79
; %bb.43:                               ;   in Loop: Header=BB98_11 Depth=1
	v_add_u32_e32 v3, s17, v34
	s_andn2_b64 vcc, exec, s[84:85]
	v_mov_b32_e32 v4, 0
	s_cbranch_vccnz .LBB98_78
; %bb.44:                               ;   in Loop: Header=BB98_11 Depth=1
	v_readlane_b32 s2, v60, 25
	v_readlane_b32 s3, v60, 26
	s_andn2_b64 vcc, exec, s[2:3]
	s_cbranch_vccnz .LBB98_68
; %bb.45:                               ;   in Loop: Header=BB98_11 Depth=1
	v_readlane_b32 s2, v60, 27
	v_readlane_b32 s3, v60, 28
	s_andn2_b64 vcc, exec, s[2:3]
	v_lshl_add_u32 v8, v3, 2, v46
	s_cbranch_vccnz .LBB98_72
; %bb.46:                               ;   in Loop: Header=BB98_11 Depth=1
	s_mov_b32 s3, 1
	s_mov_b32 s2, 0
	v_mov_b32_e32 v4, 0
	v_mov_b32_e32 v5, 0
	v_readlane_b32 s18, v60, 29
.LBB98_47:                              ;   Parent Loop BB98_11 Depth=1
                                        ; =>  This Inner Loop Header: Depth=2
	v_lshl_add_u32 v9, s2, 4, v8
	v_lshl_add_u32 v18, s3, 4, v8
	ds_read2_b32 v[10:11], v9 offset1:8
	ds_read2_b32 v[12:13], v18 offset1:8
	ds_read2_b32 v[14:15], v9 offset0:16 offset1:24
	ds_read2_b32 v[30:31], v18 offset0:16 offset1:24
	;; [unrolled: 1-line block ×6, first 2 shown]
	s_waitcnt lgkmcnt(7)
	v_add3_u32 v4, v10, v4, v11
	s_waitcnt lgkmcnt(6)
	v_add3_u32 v5, v12, v5, v13
	;; [unrolled: 2-line block ×3, first 2 shown]
	v_add3_u32 v4, v14, v4, v15
	s_add_i32 s3, s3, 16
	s_add_i32 s2, s2, 16
	s_add_i32 s18, s18, -8
	s_waitcnt lgkmcnt(3)
	v_add3_u32 v4, v32, v4, v33
	s_waitcnt lgkmcnt(2)
	v_add3_u32 v5, v52, v5, v53
	s_cmp_lg_u32 s18, 0
	s_waitcnt lgkmcnt(0)
	v_add3_u32 v5, v56, v5, v57
	v_add3_u32 v4, v54, v4, v55
	s_cbranch_scc1 .LBB98_47
	s_branch .LBB98_73
.LBB98_48:                              ;   in Loop: Header=BB98_11 Depth=1
	v_mov_b32_e32 v18, v19
	v_mov_b64_e32 v[10:11], v[18:19]
	v_mov_b64_e32 v[8:9], v[18:19]
	s_and_saveexec_b64 s[44:45], s[8:9]
	s_cbranch_execz .LBB98_52
; %bb.49:                               ;   in Loop: Header=BB98_11 Depth=1
	s_mov_b32 s52, 0
	s_mov_b64 s[46:47], 0
	v_mov_b32_e32 v3, v23
	s_mov_b32 s50, 0
	s_mov_b32 s51, s52
	s_mov_b32 s48, 0
	s_mov_b32 s49, s52
.LBB98_50:                              ;   Parent Loop BB98_11 Depth=1
                                        ; =>  This Inner Loop Header: Depth=2
	v_add_u32_e32 v18, s52, v42
	v_lshl_add_u64 v[12:13], v[18:19], 3, s[74:75]
	v_add_u32_e32 v18, s52, v39
	global_load_dwordx2 v[12:13], v[12:13], off
	v_lshl_add_u64 v[14:15], v[18:19], 3, s[74:75]
	v_add_u32_e32 v18, s52, v40
	global_load_dwordx2 v[14:15], v[14:15], off
	;; [unrolled: 3-line block ×3, first 2 shown]
	v_lshl_add_u64 v[32:33], v[18:19], 3, s[74:75]
	global_load_dwordx2 v[32:33], v[32:33], off
	v_mov_b32_e32 v11, v19
	v_mov_b32_e32 v9, v19
	;; [unrolled: 1-line block ×3, first 2 shown]
	v_add_u32_e32 v3, s94, v3
	v_cmp_le_u32_e32 vcc, s86, v3
	s_add_i32 s52, s52, s88
	s_waitcnt vmcnt(3)
	v_xor_b32_e32 v13, 0x80000000, v13
	v_and_b32_e32 v52, v12, v28
	v_and_b32_e32 v53, v13, v29
	v_lshrrev_b64 v[12:13], s71, v[12:13]
	s_waitcnt vmcnt(2)
	v_xor_b32_e32 v15, 0x80000000, v15
	v_and_b32_e32 v18, 3, v12
	v_cmp_eq_u64_e64 s[0:1], v[52:53], v[26:27]
	v_lshrrev_b64 v[12:13], s71, v[14:15]
	v_cmp_eq_u64_e64 s[18:19], 0, v[18:19]
	s_waitcnt vmcnt(1)
	v_xor_b32_e32 v31, 0x80000000, v31
	v_and_b32_e32 v10, 3, v12
	v_cmp_eq_u64_e64 s[20:21], 1, v[18:19]
	s_and_b64 s[18:19], s[0:1], s[18:19]
	v_and_b32_e32 v54, v14, v28
	v_and_b32_e32 v55, v15, v29
	s_waitcnt vmcnt(0)
	v_xor_b32_e32 v33, 0x80000000, v33
	v_lshrrev_b64 v[12:13], s71, v[30:31]
	v_cmp_eq_u64_e64 s[22:23], 2, v[18:19]
	v_cmp_eq_u64_e64 s[28:29], 0, v[10:11]
	;; [unrolled: 1-line block ×5, first 2 shown]
	v_cndmask_b32_e64 v10, 0, 1, s[18:19]
	s_and_b64 s[18:19], s[0:1], s[20:21]
	v_and_b32_e32 v52, v30, v28
	v_cmp_eq_u64_e64 s[2:3], v[54:55], v[26:27]
	v_and_b32_e32 v53, v31, v29
	v_cmp_eq_u64_e64 s[24:25], 3, v[18:19]
	v_and_b32_e32 v8, 3, v12
	v_lshrrev_b64 v[12:13], s71, v[32:33]
	v_cndmask_b32_e64 v11, 0, 1, s[18:19]
	s_and_b64 s[18:19], s[0:1], s[22:23]
	v_cmp_eq_u64_e64 s[26:27], v[52:53], v[26:27]
	v_cndmask_b32_e64 v13, 0, 1, s[18:19]
	s_and_b64 s[0:1], s[0:1], s[24:25]
	v_cmp_eq_u64_e64 s[18:19], 0, v[8:9]
	v_cmp_eq_u64_e64 s[20:21], 1, v[8:9]
	s_and_b64 s[30:31], s[2:3], s[30:31]
	s_and_b64 s[34:35], s[2:3], s[34:35]
	v_and_b32_e32 v14, v32, v28
	v_and_b32_e32 v15, v33, v29
	v_cndmask_b32_e64 v18, 0, 1, s[0:1]
	v_and_b32_e32 v4, 3, v12
	v_cmp_eq_u64_e64 s[22:23], 2, v[8:9]
	v_cmp_eq_u64_e64 s[24:25], 3, v[8:9]
	v_cmp_ne_u32_e64 s[38:39], 0, v10
	s_and_b64 s[28:29], s[2:3], s[28:29]
	v_cndmask_b32_e64 v9, 0, 1, s[30:31]
	v_cndmask_b32_e64 v10, 0, 1, s[34:35]
	s_and_b64 s[2:3], s[2:3], s[36:37]
	s_and_b64 s[18:19], s[26:27], s[18:19]
	;; [unrolled: 1-line block ×3, first 2 shown]
	v_cmp_eq_u64_e64 s[0:1], v[14:15], v[26:27]
	v_cndmask_b32_e64 v8, 0, 1, s[28:29]
	v_cmp_ne_u32_e64 s[28:29], 0, v11
	v_cmp_ne_u32_e64 s[30:31], 0, v13
	;; [unrolled: 1-line block ×3, first 2 shown]
	v_cndmask_b32_e64 v11, 0, 1, s[2:3]
	v_cmp_eq_u64_e64 s[2:3], 0, v[4:5]
	v_cmp_eq_u64_e64 s[36:37], 1, v[4:5]
	;; [unrolled: 1-line block ×4, first 2 shown]
	s_bcnt1_i32_b64 s33, s[38:39]
	v_cndmask_b32_e64 v4, 0, 1, s[18:19]
	v_cmp_ne_u32_e64 s[18:19], 0, v9
	v_cndmask_b32_e64 v5, 0, 1, s[20:21]
	v_cmp_ne_u32_e64 s[20:21], 0, v10
	s_and_b64 s[22:23], s[26:27], s[22:23]
	s_and_b64 s[24:25], s[26:27], s[24:25]
	v_cmp_ne_u32_e64 s[38:39], 0, v8
	s_bcnt1_i32_b64 s28, s[28:29]
	s_bcnt1_i32_b64 s29, s[30:31]
	v_cndmask_b32_e64 v8, 0, 1, s[22:23]
	s_bcnt1_i32_b64 s30, s[34:35]
	v_cmp_ne_u32_e64 s[22:23], 0, v11
	v_cndmask_b32_e64 v9, 0, 1, s[24:25]
	s_and_b64 s[2:3], s[0:1], s[2:3]
	s_bcnt1_i32_b64 s27, s[18:19]
	s_and_b64 s[18:19], s[0:1], s[36:37]
	s_add_i32 s31, s50, s33
	s_bcnt1_i32_b64 s33, s[20:21]
	s_and_b64 s[20:21], s[0:1], s[40:41]
	s_and_b64 s[0:1], s[0:1], s[42:43]
	s_bcnt1_i32_b64 s26, s[38:39]
	v_cmp_ne_u32_e64 s[24:25], 0, v4
	v_cndmask_b32_e64 v4, 0, 1, s[2:3]
	v_cmp_ne_u32_e64 s[2:3], 0, v5
	v_cndmask_b32_e64 v5, 0, 1, s[18:19]
	s_add_i32 s28, s51, s28
	v_cmp_ne_u32_e64 s[18:19], 0, v8
	v_cndmask_b32_e64 v8, 0, 1, s[20:21]
	s_bcnt1_i32_b64 s22, s[22:23]
	v_cmp_ne_u32_e64 s[20:21], 0, v9
	v_cndmask_b32_e64 v9, 0, 1, s[0:1]
	s_add_i32 s23, s48, s29
	s_add_i32 s29, s49, s30
	s_bcnt1_i32_b64 s24, s[24:25]
	v_cmp_ne_u32_e64 s[0:1], 0, v4
	s_bcnt1_i32_b64 s25, s[2:3]
	v_cmp_ne_u32_e64 s[2:3], 0, v5
	s_add_i32 s27, s28, s27
	s_add_i32 s26, s31, s26
	s_bcnt1_i32_b64 s28, s[18:19]
	v_cmp_ne_u32_e64 s[18:19], 0, v8
	s_bcnt1_i32_b64 s30, s[20:21]
	v_cmp_ne_u32_e64 s[20:21], 0, v9
	s_add_i32 s22, s29, s22
	s_add_i32 s23, s23, s33
	s_bcnt1_i32_b64 s0, s[0:1]
	s_bcnt1_i32_b64 s1, s[2:3]
	s_add_i32 s2, s26, s24
	s_add_i32 s3, s27, s25
	s_bcnt1_i32_b64 s18, s[18:19]
	s_bcnt1_i32_b64 s19, s[20:21]
	s_add_i32 s20, s23, s28
	s_add_i32 s21, s22, s30
	;; [unrolled: 1-line block ×6, first 2 shown]
	s_or_b64 s[46:47], vcc, s[46:47]
	v_mov_b64_e32 v[8:9], s[50:51]
	v_mov_b64_e32 v[10:11], s[48:49]
	s_andn2_b64 exec, exec, s[46:47]
	s_cbranch_execnz .LBB98_50
; %bb.51:                               ;   in Loop: Header=BB98_11 Depth=1
	s_or_b64 exec, exec, s[46:47]
.LBB98_52:                              ;   in Loop: Header=BB98_11 Depth=1
	s_or_b64 exec, exec, s[44:45]
	s_and_saveexec_b64 s[2:3], s[10:11]
	s_cbranch_execz .LBB98_58
; %bb.53:                               ;   in Loop: Header=BB98_11 Depth=1
	global_load_dwordx2 v[14:15], v[24:25], off
	s_mov_b64 s[18:19], 0
	v_mov_b32_e32 v4, v43
	v_mov_b32_e32 v3, v38
	s_branch .LBB98_55
.LBB98_54:                              ;   in Loop: Header=BB98_55 Depth=2
	s_or_b64 exec, exec, s[20:21]
	s_waitcnt vmcnt(0)
	v_xor_b32_e32 v15, 0x80000000, v15
	v_and_b32_e32 v31, v15, v29
	v_and_b32_e32 v30, v14, v28
	v_lshrrev_b64 v[14:15], s71, v[14:15]
	s_and_b64 s[0:1], exec, vcc
	v_and_b32_e32 v18, 3, v14
	s_or_b64 s[18:19], s[0:1], s[18:19]
	v_cmp_eq_u64_e32 vcc, v[30:31], v[26:27]
	v_cmp_eq_u64_e64 s[0:1], 0, v[18:19]
	s_and_b64 s[0:1], vcc, s[0:1]
	v_add_u32_e32 v4, s57, v4
	v_cndmask_b32_e64 v5, 0, 1, s[0:1]
	v_cmp_ne_u32_e64 s[0:1], 0, v5
	s_bcnt1_i32_b64 s20, s[0:1]
	v_cmp_eq_u64_e64 s[0:1], 1, v[18:19]
	s_and_b64 s[0:1], vcc, s[0:1]
	v_add_u32_e32 v8, s20, v8
	v_cndmask_b32_e64 v5, 0, 1, s[0:1]
	v_cmp_ne_u32_e64 s[0:1], 0, v5
	s_bcnt1_i32_b64 s0, s[0:1]
	v_mov_b64_e32 v[14:15], v[12:13]
	v_add_u32_e32 v9, s0, v9
	v_cmp_eq_u64_e64 s[0:1], 2, v[18:19]
	s_and_b64 s[0:1], vcc, s[0:1]
	s_nop 0
	v_cndmask_b32_e64 v5, 0, 1, s[0:1]
	v_cmp_ne_u32_e64 s[0:1], 0, v5
	s_bcnt1_i32_b64 s20, s[0:1]
	v_cmp_eq_u64_e64 s[0:1], 3, v[18:19]
	s_and_b64 s[0:1], vcc, s[0:1]
	v_add_u32_e32 v10, s20, v10
	v_cndmask_b32_e64 v5, 0, 1, s[0:1]
	v_cmp_ne_u32_e32 vcc, 0, v5
	s_bcnt1_i32_b64 s0, vcc
	v_add_u32_e32 v11, s0, v11
	s_andn2_b64 exec, exec, s[18:19]
	s_cbranch_execz .LBB98_57
.LBB98_55:                              ;   Parent Loop BB98_11 Depth=1
                                        ; =>  This Inner Loop Header: Depth=2
	v_add_u32_e32 v3, s59, v3
	v_cmp_gt_u32_e64 s[0:1], s56, v3
	v_cmp_le_u32_e32 vcc, s56, v3
	v_mov_b64_e32 v[12:13], 0
	s_and_saveexec_b64 s[20:21], s[0:1]
	s_cbranch_execz .LBB98_54
; %bb.56:                               ;   in Loop: Header=BB98_55 Depth=2
	v_mov_b32_e32 v5, v19
	v_lshl_add_u64 v[12:13], v[4:5], 3, s[74:75]
	global_load_dwordx2 v[12:13], v[12:13], off
	s_branch .LBB98_54
.LBB98_57:                              ;   in Loop: Header=BB98_11 Depth=1
	s_or_b64 exec, exec, s[18:19]
.LBB98_58:                              ;   in Loop: Header=BB98_11 Depth=1
	s_or_b64 exec, exec, s[2:3]
	s_branch .LBB98_40
.LBB98_59:                              ;   in Loop: Header=BB98_11 Depth=1
	s_mul_hi_u32 s0, s17, s87
	s_mul_i32 s0, s0, s94
	s_sub_i32 s0, s17, s0
	s_sub_i32 s1, s0, s94
	s_cmp_ge_u32 s0, s94
	s_cselect_b32 s0, s1, s0
	s_sub_i32 s1, s0, s94
	s_cmp_ge_u32 s0, s94
	s_cselect_b32 s0, s1, s0
	s_sub_i32 s33, s17, s0
	v_mov_b32_e32 v18, v19
	v_cmp_gt_u32_e32 vcc, s33, v23
	v_mov_b64_e32 v[10:11], v[18:19]
	v_mov_b64_e32 v[8:9], v[18:19]
	s_and_saveexec_b64 s[66:67], vcc
	s_cbranch_execz .LBB98_63
; %bb.60:                               ;   in Loop: Header=BB98_11 Depth=1
	s_mov_b32 s92, 0
	s_mov_b64 s[78:79], 0
	v_mov_b32_e32 v3, v44
	v_mov_b32_e32 v48, v23
	s_mov_b32 s93, s92
	s_mov_b32 s90, s92
	;; [unrolled: 1-line block ×3, first 2 shown]
.LBB98_61:                              ;   Parent Loop BB98_11 Depth=1
                                        ; =>  This Inner Loop Header: Depth=2
	ds_read_b128 v[12:15], v3
	ds_read_b128 v[8:11], v3 offset:16
	v_mov_b32_e32 v5, v19
	v_mov_b32_e32 v31, v19
	;; [unrolled: 1-line block ×3, first 2 shown]
	s_waitcnt lgkmcnt(1)
	v_xor_b32_e32 v13, 0x80000000, v13
	v_xor_b32_e32 v15, 0x80000000, v15
	v_and_b32_e32 v52, v12, v28
	v_and_b32_e32 v53, v13, v29
	v_lshrrev_b64 v[12:13], s71, v[12:13]
	s_waitcnt lgkmcnt(0)
	v_xor_b32_e32 v9, 0x80000000, v9
	v_and_b32_e32 v54, v14, v28
	v_and_b32_e32 v55, v15, v29
	v_lshrrev_b64 v[14:15], s71, v[14:15]
	v_and_b32_e32 v18, 3, v12
	v_xor_b32_e32 v11, 0x80000000, v11
	v_and_b32_e32 v56, v8, v28
	v_and_b32_e32 v57, v9, v29
	v_lshrrev_b64 v[8:9], s71, v[8:9]
	v_cmp_eq_u64_e64 s[0:1], v[52:53], v[26:27]
	v_and_b32_e32 v4, 3, v14
	v_cmp_eq_u64_e64 s[22:23], 0, v[18:19]
	v_and_b32_e32 v58, v10, v28
	v_and_b32_e32 v59, v11, v29
	v_lshrrev_b64 v[10:11], s71, v[10:11]
	v_cmp_eq_u64_e64 s[2:3], v[54:55], v[26:27]
	v_and_b32_e32 v30, 3, v8
	v_cmp_eq_u64_e64 s[24:25], 0, v[4:5]
	s_and_b64 s[22:23], s[0:1], s[22:23]
	v_cmp_eq_u64_e64 s[18:19], v[56:57], v[26:27]
	v_and_b32_e32 v32, 3, v10
	v_cmp_eq_u64_e64 s[26:27], 0, v[30:31]
	v_cmp_eq_u64_e64 s[34:35], 1, v[4:5]
	;; [unrolled: 1-line block ×4, first 2 shown]
	v_cndmask_b32_e64 v4, 0, 1, s[22:23]
	s_and_b64 s[22:23], s[2:3], s[24:25]
	v_cmp_eq_u64_e64 s[20:21], v[58:59], v[26:27]
	v_cmp_eq_u64_e64 s[28:29], 0, v[32:33]
	v_cndmask_b32_e64 v5, 0, 1, s[22:23]
	s_and_b64 s[22:23], s[18:19], s[26:27]
	v_cmp_eq_u64_e64 s[30:31], 1, v[18:19]
	v_cndmask_b32_e64 v8, 0, 1, s[22:23]
	s_and_b64 s[22:23], s[20:21], s[28:29]
	v_cndmask_b32_e64 v9, 0, 1, s[22:23]
	s_and_b64 s[22:23], s[0:1], s[30:31]
	v_cmp_eq_u64_e64 s[36:37], 1, v[30:31]
	v_cndmask_b32_e64 v10, 0, 1, s[22:23]
	s_and_b64 s[22:23], s[2:3], s[34:35]
	v_cmp_eq_u64_e64 s[38:39], 1, v[32:33]
	;; [unrolled: 3-line block ×3, first 2 shown]
	v_cmp_eq_u64_e64 s[48:49], 3, v[18:19]
	v_cndmask_b32_e64 v12, 0, 1, s[22:23]
	s_and_b64 s[22:23], s[20:21], s[38:39]
	v_cndmask_b32_e64 v13, 0, 1, s[22:23]
	s_and_b64 s[22:23], s[0:1], s[40:41]
	s_and_b64 s[0:1], s[0:1], s[48:49]
	v_cmp_eq_u64_e64 s[44:45], 2, v[30:31]
	v_cmp_eq_u64_e64 s[52:53], 3, v[30:31]
	v_cndmask_b32_e64 v14, 0, 1, s[22:23]
	s_and_b64 s[22:23], s[2:3], s[42:43]
	v_cndmask_b32_e64 v31, 0, 1, s[0:1]
	s_and_b64 s[0:1], s[2:3], s[50:51]
	v_cmp_eq_u64_e64 s[46:47], 2, v[32:33]
	v_cmp_eq_u64_e64 s[54:55], 3, v[32:33]
	v_cndmask_b32_e64 v15, 0, 1, s[22:23]
	s_and_b64 s[22:23], s[18:19], s[44:45]
	v_cndmask_b32_e64 v32, 0, 1, s[0:1]
	s_and_b64 s[0:1], s[18:19], s[52:53]
	;; [unrolled: 2-line block ×4, first 2 shown]
	v_cndmask_b32_e64 v30, 0, 1, s[22:23]
	v_cndmask_b32_e64 v52, 0, 1, s[0:1]
	v_cmp_ne_u32_e64 s[0:1], 0, v4
	v_cmp_ne_u32_e64 s[2:3], 0, v5
	;; [unrolled: 1-line block ×11, first 2 shown]
	s_bcnt1_i32_b64 s0, s[0:1]
	s_bcnt1_i32_b64 s1, s[2:3]
	;; [unrolled: 1-line block ×8, first 2 shown]
	v_cmp_ne_u32_e64 s[28:29], 0, v13
	v_cmp_ne_u32_e64 s[36:37], 0, v18
	;; [unrolled: 1-line block ×3, first 2 shown]
	s_bcnt1_i32_b64 s19, s[24:25]
	s_bcnt1_i32_b64 s23, s[34:35]
	;; [unrolled: 1-line block ×3, first 2 shown]
	s_add_i32 s0, s92, s0
	s_add_i32 s18, s93, s18
	;; [unrolled: 1-line block ×4, first 2 shown]
	v_cmp_ne_u32_e64 s[38:39], 0, v30
	v_cmp_ne_u32_e64 s[46:47], 0, v52
	s_bcnt1_i32_b64 s21, s[28:29]
	s_bcnt1_i32_b64 s24, s[36:37]
	;; [unrolled: 1-line block ×3, first 2 shown]
	s_add_i32 s18, s18, s19
	s_add_i32 s0, s0, s1
	;; [unrolled: 1-line block ×4, first 2 shown]
	v_add_u32_e32 v48, s94, v48
	s_bcnt1_i32_b64 s25, s[38:39]
	s_bcnt1_i32_b64 s29, s[46:47]
	s_add_i32 s0, s0, s2
	s_add_i32 s2, s18, s20
	;; [unrolled: 1-line block ×4, first 2 shown]
	v_cmp_le_u32_e32 vcc, s33, v48
	s_add_i32 s93, s2, s21
	s_add_i32 s92, s0, s3
	;; [unrolled: 1-line block ×4, first 2 shown]
	v_add_u32_e32 v3, s89, v3
	s_or_b64 s[78:79], vcc, s[78:79]
	v_mov_b64_e32 v[8:9], s[92:93]
	v_mov_b64_e32 v[10:11], s[90:91]
	s_andn2_b64 exec, exec, s[78:79]
	s_cbranch_execnz .LBB98_61
; %bb.62:                               ;   in Loop: Header=BB98_11 Depth=1
	s_or_b64 exec, exec, s[78:79]
.LBB98_63:                              ;   in Loop: Header=BB98_11 Depth=1
	s_or_b64 exec, exec, s[66:67]
	v_add_u32_e32 v3, s33, v0
	v_cmp_gt_u32_e32 vcc, s17, v3
	s_and_saveexec_b64 s[24:25], vcc
	s_cbranch_execz .LBB98_67
; %bb.64:                               ;   in Loop: Header=BB98_11 Depth=1
	v_lshlrev_b32_e32 v4, 3, v3
	s_mov_b64 s[26:27], 0
.LBB98_65:                              ;   Parent Loop BB98_11 Depth=1
                                        ; =>  This Inner Loop Header: Depth=2
	ds_read_b64 v[12:13], v4
	v_add_u32_e32 v3, s59, v3
	v_cmp_le_u32_e32 vcc, s17, v3
	v_add_u32_e32 v4, s70, v4
	s_waitcnt lgkmcnt(0)
	v_xor_b32_e32 v13, 0x80000000, v13
	v_and_b32_e32 v14, v12, v28
	v_and_b32_e32 v15, v13, v29
	v_lshrrev_b64 v[12:13], s71, v[12:13]
	v_and_b32_e32 v18, 3, v12
	v_cmp_eq_u64_e64 s[0:1], v[14:15], v[26:27]
	v_cmp_eq_u64_e64 s[2:3], 0, v[18:19]
	;; [unrolled: 1-line block ×3, first 2 shown]
	s_and_b64 s[2:3], s[0:1], s[2:3]
	v_cmp_eq_u64_e64 s[20:21], 2, v[18:19]
	v_cmp_eq_u64_e64 s[22:23], 3, v[18:19]
	v_cndmask_b32_e64 v5, 0, 1, s[2:3]
	s_and_b64 s[2:3], s[0:1], s[18:19]
	v_cndmask_b32_e64 v12, 0, 1, s[2:3]
	s_and_b64 s[2:3], s[0:1], s[20:21]
	s_and_b64 s[0:1], s[0:1], s[22:23]
	v_cndmask_b32_e64 v13, 0, 1, s[2:3]
	v_cndmask_b32_e64 v14, 0, 1, s[0:1]
	v_cmp_ne_u32_e64 s[0:1], 0, v5
	v_cmp_ne_u32_e64 s[2:3], 0, v12
	v_cmp_ne_u32_e64 s[18:19], 0, v13
	v_cmp_ne_u32_e64 s[20:21], 0, v14
	s_bcnt1_i32_b64 s0, s[0:1]
	s_bcnt1_i32_b64 s1, s[2:3]
	;; [unrolled: 1-line block ×4, first 2 shown]
	v_add_u32_e32 v9, s1, v9
	v_add_u32_e32 v8, s0, v8
	;; [unrolled: 1-line block ×3, first 2 shown]
	s_or_b64 s[26:27], vcc, s[26:27]
	v_add_u32_e32 v10, s2, v10
	s_andn2_b64 exec, exec, s[26:27]
	s_cbranch_execnz .LBB98_65
; %bb.66:                               ;   in Loop: Header=BB98_11 Depth=1
	s_or_b64 exec, exec, s[26:27]
.LBB98_67:                              ;   in Loop: Header=BB98_11 Depth=1
	s_or_b64 exec, exec, s[24:25]
	s_lshl_b32 s17, s16, 6
	s_and_saveexec_b64 s[0:1], s[4:5]
	s_cbranch_execnz .LBB98_41
	s_branch .LBB98_42
.LBB98_68:                              ;   in Loop: Header=BB98_11 Depth=1
	v_mov_b32_e32 v4, 0
	s_mov_b32 s18, 0
	s_cbranch_execnz .LBB98_76
	s_branch .LBB98_78
.LBB98_69:                              ;   in Loop: Header=BB98_11 Depth=1
	s_or_b64 exec, exec, s[20:21]
	s_waitcnt lgkmcnt(0)
	s_barrier
	s_and_saveexec_b64 s[0:1], s[14:15]
	s_cbranch_execz .LBB98_71
; %bb.70:                               ;   in Loop: Header=BB98_11 Depth=1
	ds_read_b32 v3, v19 offset:4112
	s_waitcnt lgkmcnt(0)
	ds_write_b32 v19, v3 offset:4104
.LBB98_71:                              ;   in Loop: Header=BB98_11 Depth=1
	s_or_b64 exec, exec, s[0:1]
	s_waitcnt lgkmcnt(0)
	s_barrier
	s_mov_b64 s[0:1], -1
	s_and_b64 vcc, exec, s[18:19]
	s_cbranch_vccnz .LBB98_27
	s_branch .LBB98_36
.LBB98_72:                              ;   in Loop: Header=BB98_11 Depth=1
	v_mov_b32_e32 v18, v19
	s_mov_b32 s2, 0
	v_mov_b64_e32 v[4:5], v[18:19]
	s_mov_b32 s3, 1
.LBB98_73:                              ;   in Loop: Header=BB98_11 Depth=1
	v_readlane_b32 s18, v60, 31
	v_readlane_b32 s19, v60, 32
	s_andn2_b64 vcc, exec, s[18:19]
	v_readlane_b32 s18, v60, 30
	s_cbranch_vccnz .LBB98_75
.LBB98_74:                              ;   Parent Loop BB98_11 Depth=1
                                        ; =>  This Inner Loop Header: Depth=2
	v_lshl_add_u32 v9, s2, 4, v8
	v_lshl_add_u32 v10, s3, 4, v8
	ds_read_b32 v10, v10
	ds_read_b32 v9, v9
	s_add_i32 s3, s3, 2
	s_add_i32 s2, s2, 2
	s_add_i32 s18, s18, -1
	s_cmp_lg_u32 s18, 0
	s_waitcnt lgkmcnt(1)
	v_add_u32_e32 v5, v10, v5
	s_waitcnt lgkmcnt(0)
	v_add_u32_e32 v4, v9, v4
	s_cbranch_scc1 .LBB98_74
.LBB98_75:                              ;   in Loop: Header=BB98_11 Depth=1
	v_readlane_b32 s2, v60, 35
	v_add_u32_e32 v4, v4, v5
	v_readlane_b32 s18, v60, 34
	v_readlane_b32 s3, v60, 36
	s_and_b64 vcc, exec, s[2:3]
	s_cbranch_vccz .LBB98_78
.LBB98_76:                              ;   in Loop: Header=BB98_11 Depth=1
	s_lshl_b32 s2, s16, 8
	s_lshl_b32 s3, s18, 4
	s_add_i32 s2, s2, s3
	v_add_u32_e32 v5, s2, v45
	v_readlane_b32 s2, v60, 33
	s_sub_i32 s2, s2, s18
.LBB98_77:                              ;   Parent Loop BB98_11 Depth=1
                                        ; =>  This Inner Loop Header: Depth=2
	ds_read_b32 v8, v5
	s_add_i32 s2, s2, -1
	v_add_u32_e32 v5, 16, v5
	s_cmp_eq_u32 s2, 0
	s_waitcnt lgkmcnt(0)
	v_add_u32_e32 v4, v8, v4
	s_cbranch_scc0 .LBB98_77
.LBB98_78:                              ;   in Loop: Header=BB98_11 Depth=1
	v_lshlrev_b32_e32 v3, 2, v3
	ds_write_b32 v3, v4 offset:3072
.LBB98_79:                              ;   in Loop: Header=BB98_11 Depth=1
	s_or_b64 exec, exec, s[0:1]
	s_lshl_b32 s0, s17, 2
	v_mov_b32_e32 v3, s0
	s_waitcnt lgkmcnt(0)
	s_barrier
	ds_read_b128 v[8:11], v3 offset:3072
	s_lshl_b64 s[0:1], 3, s71
	s_not_b64 s[26:27], s[0:1]
	v_cmp_eq_u32_e32 vcc, 1, v47
	s_mov_b64 s[18:19], -1
	s_waitcnt lgkmcnt(0)
	v_readfirstlane_b32 s42, v8
	s_cmp_eq_u32 s42, 1
	s_cselect_b64 s[2:3], -1, 0
	v_readfirstlane_b32 s46, v9
	v_readfirstlane_b32 s54, v10
	;; [unrolled: 1-line block ×3, first 2 shown]
	s_and_b64 s[20:21], s[2:3], vcc
	s_mov_b64 s[28:29], -1
                                        ; implicit-def: $sgpr24_sgpr25
                                        ; implicit-def: $sgpr22_sgpr23
	s_and_saveexec_b64 s[2:3], s[20:21]
	s_cbranch_execz .LBB98_105
; %bb.80:                               ;   in Loop: Header=BB98_11 Depth=1
	ds_read_b32 v3, v19 offset:4104
	s_waitcnt lgkmcnt(0)
	s_barrier
	v_readfirstlane_b32 s33, v3
	s_and_saveexec_b64 s[22:23], s[6:7]
; %bb.81:                               ;   in Loop: Header=BB98_11 Depth=1
	ds_write_b64 v36, v[50:51]
; %bb.82:                               ;   in Loop: Header=BB98_11 Depth=1
	s_or_b64 exec, exec, s[22:23]
	v_and_b32_e32 v27, s27, v27
	v_and_b32_e32 v26, s26, v26
	v_or_b32_e32 v29, s1, v29
	v_or_b32_e32 v28, s0, v28
	s_mov_b64 s[22:23], -1
	s_mov_b64 s[24:25], 0
	s_cmp_eq_u32 s33, 0
	s_mov_b64 s[28:29], 0
	s_mov_b64 s[30:31], -1
	s_waitcnt lgkmcnt(0)
	s_barrier
                                        ; implicit-def: $vgpr6_vgpr7
	s_cbranch_scc1 .LBB98_93
; %bb.83:                               ;   in Loop: Header=BB98_11 Depth=1
	s_add_i32 s28, s33, s95
	s_mul_hi_u32 s29, s28, s68
	s_mul_i32 s29, s29, s59
	s_sub_i32 s29, s28, s29
	s_sub_i32 s30, s29, s59
	s_cmp_ge_u32 s29, s59
	s_cselect_b32 s29, s30, s29
	s_sub_i32 s30, s29, s59
	s_cmp_ge_u32 s29, s59
	s_cselect_b32 s29, s30, s29
	s_sub_i32 s43, s28, s29
	v_cmp_gt_u32_e32 vcc, s43, v0
	s_mov_b64 s[30:31], 0
	s_mov_b64 s[28:29], 0
                                        ; implicit-def: $vgpr6_vgpr7
	s_and_saveexec_b64 s[34:35], vcc
	s_cbranch_execz .LBB98_92
; %bb.84:                               ;   in Loop: Header=BB98_11 Depth=1
	v_mov_b32_e32 v8, v35
	v_mov_b32_e32 v9, v0
                                        ; implicit-def: $sgpr36_sgpr37
	s_branch .LBB98_87
.LBB98_85:                              ;   in Loop: Header=BB98_87 Depth=2
	s_or_b64 exec, exec, s[38:39]
	s_waitcnt lgkmcnt(0)
	s_barrier
	ds_read_b128 v[4:7], v19 offset:3072
	s_mov_b64 s[38:39], -1
	s_mov_b64 s[40:41], -1
	s_waitcnt lgkmcnt(0)
	s_barrier
	v_cmp_ne_u64_e32 vcc, 0, v[4:5]
	s_cbranch_vccz .LBB98_90
.LBB98_86:                              ;   in Loop: Header=BB98_87 Depth=2
	s_and_b64 s[38:39], exec, s[38:39]
	s_or_b64 s[28:29], s[38:39], s[28:29]
	s_andn2_b64 s[36:37], s[36:37], exec
	s_and_b64 s[38:39], s[40:41], exec
	s_or_b64 s[36:37], s[36:37], s[38:39]
	s_andn2_b64 exec, exec, s[28:29]
	s_cbranch_execz .LBB98_91
.LBB98_87:                              ;   Parent Loop BB98_11 Depth=1
                                        ; =>  This Inner Loop Header: Depth=2
	v_cmp_gt_u32_e32 vcc, s33, v9
	s_and_saveexec_b64 s[38:39], vcc
	s_cbranch_execz .LBB98_85
; %bb.88:                               ;   in Loop: Header=BB98_87 Depth=2
	ds_read_b64 v[4:5], v8
	s_waitcnt lgkmcnt(0)
	v_xor_b32_e32 v3, 0x80000000, v5
	v_and_b32_e32 v7, v3, v29
	v_and_b32_e32 v6, v4, v28
	v_cmp_eq_u64_e32 vcc, v[6:7], v[26:27]
	s_and_b64 exec, exec, vcc
	s_cbranch_execz .LBB98_85
; %bb.89:                               ;   in Loop: Header=BB98_87 Depth=2
	v_mov_b32_e32 v3, v19
	ds_write_b128 v19, v[2:5] offset:3072
	s_branch .LBB98_85
.LBB98_90:                              ;   in Loop: Header=BB98_87 Depth=2
	v_add_u32_e32 v9, s59, v9
	v_cmp_le_u32_e32 vcc, s43, v9
	v_add_u32_e32 v8, s70, v8
	s_mov_b64 s[40:41], 0
	s_orn2_b64 s[38:39], vcc, exec
	s_branch .LBB98_86
.LBB98_91:                              ;   in Loop: Header=BB98_11 Depth=1
	s_or_b64 exec, exec, s[28:29]
	s_and_b64 s[28:29], s[36:37], exec
.LBB98_92:                              ;   in Loop: Header=BB98_11 Depth=1
	s_or_b64 exec, exec, s[34:35]
.LBB98_93:                              ;   in Loop: Header=BB98_11 Depth=1
	s_and_b64 vcc, exec, s[30:31]
	s_cbranch_vccz .LBB98_104
; %bb.94:                               ;   in Loop: Header=BB98_11 Depth=1
                                        ; implicit-def: $vgpr6_vgpr7
	s_and_saveexec_b64 s[22:23], s[12:13]
	s_cbranch_execz .LBB98_103
; %bb.95:                               ;   in Loop: Header=BB98_11 Depth=1
	s_mov_b64 s[30:31], 0
	v_mov_b32_e32 v18, v16
	v_mov_b32_e32 v8, v0
                                        ; implicit-def: $sgpr24_sgpr25
	s_branch .LBB98_98
.LBB98_96:                              ;   in Loop: Header=BB98_98 Depth=2
	s_or_b64 exec, exec, s[34:35]
	s_waitcnt lgkmcnt(0)
	s_barrier
	ds_read_b128 v[4:7], v19 offset:3072
	s_mov_b64 s[34:35], -1
	s_mov_b64 s[36:37], -1
	s_waitcnt lgkmcnt(0)
	s_barrier
	v_cmp_ne_u64_e32 vcc, 0, v[4:5]
	s_cbranch_vccz .LBB98_101
.LBB98_97:                              ;   in Loop: Header=BB98_98 Depth=2
	s_and_b64 s[34:35], exec, s[34:35]
	s_or_b64 s[30:31], s[34:35], s[30:31]
	s_andn2_b64 s[24:25], s[24:25], exec
	s_and_b64 s[34:35], s[36:37], exec
	s_or_b64 s[24:25], s[24:25], s[34:35]
	s_andn2_b64 exec, exec, s[30:31]
	s_cbranch_execz .LBB98_102
.LBB98_98:                              ;   Parent Loop BB98_11 Depth=1
                                        ; =>  This Inner Loop Header: Depth=2
	v_cmp_gt_u32_e32 vcc, s56, v8
	s_and_saveexec_b64 s[34:35], vcc
	s_cbranch_execz .LBB98_96
; %bb.99:                               ;   in Loop: Header=BB98_98 Depth=2
	v_lshl_add_u64 v[4:5], v[18:19], 3, s[74:75]
	global_load_dwordx2 v[4:5], v[4:5], off
	s_waitcnt vmcnt(0)
	v_xor_b32_e32 v3, 0x80000000, v5
	v_and_b32_e32 v7, v3, v29
	v_and_b32_e32 v6, v4, v28
	v_cmp_eq_u64_e32 vcc, v[6:7], v[26:27]
	s_and_b64 exec, exec, vcc
	s_cbranch_execz .LBB98_96
; %bb.100:                              ;   in Loop: Header=BB98_98 Depth=2
	v_mov_b32_e32 v3, v19
	ds_write_b128 v19, v[2:5] offset:3072
	s_branch .LBB98_96
.LBB98_101:                             ;   in Loop: Header=BB98_98 Depth=2
	v_add_u32_e32 v8, s59, v8
	v_cmp_le_u32_e32 vcc, s69, v8
	v_add_u32_e32 v18, s57, v18
	s_mov_b64 s[36:37], 0
	s_orn2_b64 s[34:35], vcc, exec
	s_branch .LBB98_97
.LBB98_102:                             ;   in Loop: Header=BB98_11 Depth=1
	s_or_b64 exec, exec, s[30:31]
	s_andn2_b64 s[28:29], s[28:29], exec
	s_and_b64 s[24:25], s[24:25], exec
	s_or_b64 s[28:29], s[28:29], s[24:25]
.LBB98_103:                             ;   in Loop: Header=BB98_11 Depth=1
	s_or_b64 exec, exec, s[22:23]
	s_mov_b64 s[22:23], 0
	s_mov_b64 s[24:25], -1
.LBB98_104:                             ;   in Loop: Header=BB98_11 Depth=1
	s_orn2_b64 s[28:29], s[28:29], exec
.LBB98_105:                             ;   in Loop: Header=BB98_11 Depth=1
	s_or_b64 exec, exec, s[2:3]
	s_andn2_b64 s[2:3], s[64:65], exec
	s_and_b64 s[24:25], s[24:25], exec
	s_or_b64 s[64:65], s[2:3], s[24:25]
	s_andn2_b64 s[2:3], s[76:77], exec
	s_and_b64 s[22:23], s[22:23], exec
	v_readfirstlane_b32 s30, v0
	v_readfirstlane_b32 s31, v0
	s_andn2_b64 s[62:63], s[62:63], exec
	s_or_b64 s[76:77], s[2:3], s[22:23]
                                        ; implicit-def: $vgpr9
	s_and_saveexec_b64 s[2:3], s[28:29]
	s_cbranch_execz .LBB98_10
; %bb.106:                              ;   in Loop: Header=BB98_11 Depth=1
	s_xor_b64 s[22:23], s[20:21], -1
	s_mov_b64 s[20:21], 0
	v_mov_b32_e32 v9, 1
	v_mov_b32_e32 v8, 1
	s_and_saveexec_b64 s[18:19], s[22:23]
	s_cbranch_execz .LBB98_115
; %bb.107:                              ;   in Loop: Header=BB98_11 Depth=1
	v_cmp_ge_u32_e32 vcc, s42, v47
	s_and_saveexec_b64 s[20:21], vcc
	s_xor_b64 s[20:21], exec, s[20:21]
	s_cbranch_execz .LBB98_112
; %bb.108:                              ;   in Loop: Header=BB98_11 Depth=1
	ds_read_b32 v3, v19 offset:4104
	v_and_b32_e32 v27, s27, v27
	v_and_b32_e32 v26, s26, v26
	v_or_b32_e32 v29, s1, v29
	v_or_b32_e32 v28, s0, v28
	s_waitcnt lgkmcnt(0)
	v_cmp_ne_u32_e32 vcc, 0, v3
	s_cbranch_vccnz .LBB98_112
; %bb.109:                              ;   in Loop: Header=BB98_11 Depth=1
	s_and_saveexec_b64 s[22:23], s[14:15]
; %bb.110:                              ;   in Loop: Header=BB98_11 Depth=1
	v_mov_b32_e32 v3, s42
	ds_write_b32 v19, v3 offset:4108
; %bb.111:                              ;   in Loop: Header=BB98_11 Depth=1
	s_or_b64 exec, exec, s[22:23]
	s_waitcnt lgkmcnt(0)
	s_barrier
.LBB98_112:                             ;   in Loop: Header=BB98_11 Depth=1
	s_or_saveexec_b64 s[20:21], s[20:21]
	s_mov_b64 s[22:23], 0
	v_mov_b32_e32 v8, 8
	s_xor_b64 exec, exec, s[20:21]
; %bb.113:                              ;   in Loop: Header=BB98_11 Depth=1
	s_mov_b64 s[22:23], exec
	v_subrev_u32_e32 v47, s42, v47
	v_mov_b32_e32 v8, 0
; %bb.114:                              ;   in Loop: Header=BB98_11 Depth=1
	s_or_b64 exec, exec, s[20:21]
	s_and_b64 s[20:21], s[22:23], exec
	v_mov_b32_e32 v9, v47
.LBB98_115:                             ;   in Loop: Header=BB98_11 Depth=1
	s_or_b64 exec, exec, s[18:19]
	s_mov_b64 s[18:19], -1
	s_mov_b64 s[28:29], -1
                                        ; implicit-def: $sgpr22_sgpr23
                                        ; implicit-def: $sgpr24_sgpr25
	s_and_saveexec_b64 s[30:31], s[20:21]
	s_xor_b64 s[20:21], exec, s[30:31]
	s_cbranch_execz .LBB98_232
; %bb.116:                              ;   in Loop: Header=BB98_11 Depth=1
	s_cmp_eq_u32 s46, 1
	s_cselect_b64 s[22:23], -1, 0
	v_cmp_eq_u32_e32 vcc, 1, v9
	s_and_b64 s[30:31], s[22:23], vcc
	s_mov_b64 s[34:35], -1
                                        ; implicit-def: $sgpr24_sgpr25
                                        ; implicit-def: $sgpr22_sgpr23
	s_and_saveexec_b64 s[28:29], s[30:31]
	s_cbranch_execz .LBB98_142
; %bb.117:                              ;   in Loop: Header=BB98_11 Depth=1
	ds_read_b32 v3, v19 offset:4104
	s_waitcnt lgkmcnt(0)
	s_barrier
	v_readfirstlane_b32 s33, v3
	s_and_saveexec_b64 s[22:23], s[6:7]
; %bb.118:                              ;   in Loop: Header=BB98_11 Depth=1
	ds_write_b64 v36, v[50:51]
; %bb.119:                              ;   in Loop: Header=BB98_11 Depth=1
	s_or_b64 exec, exec, s[22:23]
	s_lshl_b64 s[22:23], 1, s71
	v_and_b32_e32 v3, s27, v27
	v_and_b32_e32 v4, s26, v26
	v_or_b32_e32 v27, s23, v3
	v_or_b32_e32 v26, s22, v4
	;; [unrolled: 1-line block ×4, first 2 shown]
	s_mov_b64 s[22:23], -1
	s_mov_b64 s[24:25], 0
	s_cmp_eq_u32 s33, 0
	s_mov_b64 s[34:35], 0
	s_mov_b64 s[36:37], -1
	s_waitcnt lgkmcnt(0)
	s_barrier
                                        ; implicit-def: $vgpr6_vgpr7
	s_cbranch_scc1 .LBB98_130
; %bb.120:                              ;   in Loop: Header=BB98_11 Depth=1
	s_add_i32 s34, s33, s95
	s_mul_hi_u32 s35, s34, s68
	s_mul_i32 s35, s35, s59
	s_sub_i32 s35, s34, s35
	s_sub_i32 s36, s35, s59
	s_cmp_ge_u32 s35, s59
	s_cselect_b32 s35, s36, s35
	s_sub_i32 s36, s35, s59
	s_cmp_ge_u32 s35, s59
	s_cselect_b32 s35, s36, s35
	s_sub_i32 s47, s34, s35
	v_cmp_gt_u32_e32 vcc, s47, v0
	s_mov_b64 s[36:37], 0
	s_mov_b64 s[34:35], 0
                                        ; implicit-def: $vgpr6_vgpr7
	s_and_saveexec_b64 s[38:39], vcc
	s_cbranch_execz .LBB98_129
; %bb.121:                              ;   in Loop: Header=BB98_11 Depth=1
	v_mov_b32_e32 v10, v35
	v_mov_b32_e32 v11, v0
                                        ; implicit-def: $sgpr40_sgpr41
	s_branch .LBB98_124
.LBB98_122:                             ;   in Loop: Header=BB98_124 Depth=2
	s_or_b64 exec, exec, s[42:43]
	s_waitcnt lgkmcnt(0)
	s_barrier
	ds_read_b128 v[4:7], v19 offset:3072
	s_mov_b64 s[42:43], -1
	s_mov_b64 s[44:45], -1
	s_waitcnt lgkmcnt(0)
	s_barrier
	v_cmp_ne_u64_e32 vcc, 0, v[4:5]
	s_cbranch_vccz .LBB98_127
.LBB98_123:                             ;   in Loop: Header=BB98_124 Depth=2
	s_and_b64 s[42:43], exec, s[42:43]
	s_or_b64 s[34:35], s[42:43], s[34:35]
	s_andn2_b64 s[40:41], s[40:41], exec
	s_and_b64 s[42:43], s[44:45], exec
	s_or_b64 s[40:41], s[40:41], s[42:43]
	s_andn2_b64 exec, exec, s[34:35]
	s_cbranch_execz .LBB98_128
.LBB98_124:                             ;   Parent Loop BB98_11 Depth=1
                                        ; =>  This Inner Loop Header: Depth=2
	v_cmp_gt_u32_e32 vcc, s33, v11
	s_and_saveexec_b64 s[42:43], vcc
	s_cbranch_execz .LBB98_122
; %bb.125:                              ;   in Loop: Header=BB98_124 Depth=2
	ds_read_b64 v[4:5], v10
	s_waitcnt lgkmcnt(0)
	v_xor_b32_e32 v3, 0x80000000, v5
	v_and_b32_e32 v7, v3, v29
	v_and_b32_e32 v6, v4, v28
	v_cmp_eq_u64_e32 vcc, v[6:7], v[26:27]
	s_and_b64 exec, exec, vcc
	s_cbranch_execz .LBB98_122
; %bb.126:                              ;   in Loop: Header=BB98_124 Depth=2
	v_mov_b32_e32 v3, v19
	ds_write_b128 v19, v[2:5] offset:3072
	s_branch .LBB98_122
.LBB98_127:                             ;   in Loop: Header=BB98_124 Depth=2
	v_add_u32_e32 v11, s59, v11
	v_cmp_le_u32_e32 vcc, s47, v11
	v_add_u32_e32 v10, s70, v10
	s_mov_b64 s[44:45], 0
	s_orn2_b64 s[42:43], vcc, exec
	s_branch .LBB98_123
.LBB98_128:                             ;   in Loop: Header=BB98_11 Depth=1
	s_or_b64 exec, exec, s[34:35]
	s_and_b64 s[34:35], s[40:41], exec
.LBB98_129:                             ;   in Loop: Header=BB98_11 Depth=1
	s_or_b64 exec, exec, s[38:39]
.LBB98_130:                             ;   in Loop: Header=BB98_11 Depth=1
	s_and_b64 vcc, exec, s[36:37]
	s_cbranch_vccz .LBB98_141
; %bb.131:                              ;   in Loop: Header=BB98_11 Depth=1
                                        ; implicit-def: $vgpr6_vgpr7
	s_and_saveexec_b64 s[22:23], s[12:13]
	s_cbranch_execz .LBB98_140
; %bb.132:                              ;   in Loop: Header=BB98_11 Depth=1
	s_mov_b64 s[24:25], 0
	v_mov_b32_e32 v18, v16
	v_mov_b32_e32 v10, v0
                                        ; implicit-def: $sgpr36_sgpr37
	s_branch .LBB98_135
.LBB98_133:                             ;   in Loop: Header=BB98_135 Depth=2
	s_or_b64 exec, exec, s[38:39]
	s_waitcnt lgkmcnt(0)
	s_barrier
	ds_read_b128 v[4:7], v19 offset:3072
	s_mov_b64 s[38:39], -1
	s_mov_b64 s[40:41], -1
	s_waitcnt lgkmcnt(0)
	s_barrier
	v_cmp_eq_u64_e32 vcc, 0, v[4:5]
	s_cbranch_vccnz .LBB98_138
.LBB98_134:                             ;   in Loop: Header=BB98_135 Depth=2
	s_and_b64 s[38:39], exec, s[38:39]
	s_or_b64 s[24:25], s[38:39], s[24:25]
	s_andn2_b64 s[36:37], s[36:37], exec
	s_and_b64 s[38:39], s[40:41], exec
	s_or_b64 s[36:37], s[36:37], s[38:39]
	s_andn2_b64 exec, exec, s[24:25]
	s_cbranch_execz .LBB98_139
.LBB98_135:                             ;   Parent Loop BB98_11 Depth=1
                                        ; =>  This Inner Loop Header: Depth=2
	v_cmp_gt_u32_e32 vcc, s56, v10
	s_and_saveexec_b64 s[38:39], vcc
	s_cbranch_execz .LBB98_133
; %bb.136:                              ;   in Loop: Header=BB98_135 Depth=2
	v_lshl_add_u64 v[4:5], v[18:19], 3, s[74:75]
	global_load_dwordx2 v[4:5], v[4:5], off
	s_waitcnt vmcnt(0)
	v_xor_b32_e32 v3, 0x80000000, v5
	v_and_b32_e32 v7, v3, v29
	v_and_b32_e32 v6, v4, v28
	v_cmp_eq_u64_e32 vcc, v[6:7], v[26:27]
	s_and_b64 exec, exec, vcc
	s_cbranch_execz .LBB98_133
; %bb.137:                              ;   in Loop: Header=BB98_135 Depth=2
	v_mov_b32_e32 v3, v19
	ds_write_b128 v19, v[2:5] offset:3072
	s_branch .LBB98_133
.LBB98_138:                             ;   in Loop: Header=BB98_135 Depth=2
	v_add_u32_e32 v10, s59, v10
	v_cmp_le_u32_e32 vcc, s69, v10
	v_add_u32_e32 v18, s57, v18
	s_mov_b64 s[40:41], 0
	s_orn2_b64 s[38:39], vcc, exec
	s_branch .LBB98_134
.LBB98_139:                             ;   in Loop: Header=BB98_11 Depth=1
	s_or_b64 exec, exec, s[24:25]
	s_andn2_b64 s[24:25], s[34:35], exec
	s_and_b64 s[34:35], s[36:37], exec
	s_or_b64 s[34:35], s[24:25], s[34:35]
.LBB98_140:                             ;   in Loop: Header=BB98_11 Depth=1
	s_or_b64 exec, exec, s[22:23]
	s_mov_b64 s[22:23], 0
	s_mov_b64 s[24:25], -1
.LBB98_141:                             ;   in Loop: Header=BB98_11 Depth=1
	s_orn2_b64 s[34:35], s[34:35], exec
.LBB98_142:                             ;   in Loop: Header=BB98_11 Depth=1
	s_or_b64 exec, exec, s[28:29]
	s_mov_b64 s[36:37], 0
	s_and_saveexec_b64 s[28:29], s[34:35]
	s_cbranch_execz .LBB98_231
; %bb.143:                              ;   in Loop: Header=BB98_11 Depth=1
	s_xor_b64 s[34:35], s[30:31], -1
	s_mov_b64 s[40:41], 0
	v_mov_b32_e32 v10, 1
	v_mov_b32_e32 v8, 1
	s_and_saveexec_b64 s[30:31], s[34:35]
	s_cbranch_execz .LBB98_152
; %bb.144:                              ;   in Loop: Header=BB98_11 Depth=1
	v_cmp_ge_u32_e32 vcc, s46, v9
	s_and_saveexec_b64 s[34:35], vcc
	s_xor_b64 s[34:35], exec, s[34:35]
	s_cbranch_execz .LBB98_149
; %bb.145:                              ;   in Loop: Header=BB98_11 Depth=1
	ds_read_b32 v4, v19 offset:4104
	s_lshl_b64 s[36:37], 1, s71
	v_and_b32_e32 v3, s27, v27
	v_and_b32_e32 v5, s26, v26
	v_or_b32_e32 v27, s37, v3
	s_waitcnt lgkmcnt(0)
	v_cmp_ne_u32_e32 vcc, 0, v4
	v_or_b32_e32 v26, s36, v5
	v_or_b32_e32 v29, s1, v29
	v_or_b32_e32 v28, s0, v28
	s_cbranch_vccnz .LBB98_149
; %bb.146:                              ;   in Loop: Header=BB98_11 Depth=1
	s_and_saveexec_b64 s[36:37], s[14:15]
; %bb.147:                              ;   in Loop: Header=BB98_11 Depth=1
	v_mov_b32_e32 v3, s46
	ds_write_b32 v19, v3 offset:4108
; %bb.148:                              ;   in Loop: Header=BB98_11 Depth=1
	s_or_b64 exec, exec, s[36:37]
	s_waitcnt lgkmcnt(0)
	s_barrier
.LBB98_149:                             ;   in Loop: Header=BB98_11 Depth=1
	s_or_saveexec_b64 s[34:35], s[34:35]
	s_mov_b64 s[36:37], 0
	v_mov_b32_e32 v8, 8
	s_xor_b64 exec, exec, s[34:35]
; %bb.150:                              ;   in Loop: Header=BB98_11 Depth=1
	s_mov_b64 s[36:37], exec
	v_subrev_u32_e32 v9, s46, v9
	v_mov_b32_e32 v8, 0
; %bb.151:                              ;   in Loop: Header=BB98_11 Depth=1
	s_or_b64 exec, exec, s[34:35]
	s_and_b64 s[40:41], s[36:37], exec
	v_mov_b32_e32 v10, v9
.LBB98_152:                             ;   in Loop: Header=BB98_11 Depth=1
	s_or_b64 exec, exec, s[30:31]
	s_mov_b64 s[38:39], -1
                                        ; implicit-def: $sgpr34_sgpr35
                                        ; implicit-def: $sgpr36_sgpr37
	s_and_saveexec_b64 s[30:31], s[40:41]
	s_cbranch_execz .LBB98_230
; %bb.153:                              ;   in Loop: Header=BB98_11 Depth=1
	s_cmp_eq_u32 s54, 1
	s_cselect_b64 s[34:35], -1, 0
	v_cmp_eq_u32_e32 vcc, 1, v10
	s_and_b64 s[40:41], s[34:35], vcc
	s_mov_b64 s[42:43], -1
                                        ; implicit-def: $sgpr36_sgpr37
                                        ; implicit-def: $sgpr34_sgpr35
	s_and_saveexec_b64 s[38:39], s[40:41]
	s_cbranch_execz .LBB98_179
; %bb.154:                              ;   in Loop: Header=BB98_11 Depth=1
	ds_read_b32 v3, v19 offset:4104
	s_waitcnt lgkmcnt(0)
	s_barrier
	v_readfirstlane_b32 s33, v3
	s_and_saveexec_b64 s[34:35], s[6:7]
; %bb.155:                              ;   in Loop: Header=BB98_11 Depth=1
	ds_write_b64 v36, v[50:51]
; %bb.156:                              ;   in Loop: Header=BB98_11 Depth=1
	s_or_b64 exec, exec, s[34:35]
	s_lshl_b64 s[34:35], 2, s71
	v_and_b32_e32 v3, s27, v27
	v_and_b32_e32 v4, s26, v26
	v_or_b32_e32 v27, s35, v3
	v_or_b32_e32 v26, s34, v4
	;; [unrolled: 1-line block ×4, first 2 shown]
	s_mov_b64 s[34:35], -1
	s_mov_b64 s[36:37], 0
	s_cmp_eq_u32 s33, 0
	s_mov_b64 s[42:43], 0
	s_mov_b64 s[44:45], -1
	s_waitcnt lgkmcnt(0)
	s_barrier
                                        ; implicit-def: $vgpr6_vgpr7
	s_cbranch_scc1 .LBB98_167
; %bb.157:                              ;   in Loop: Header=BB98_11 Depth=1
	s_add_i32 s42, s33, s95
	s_mul_hi_u32 s43, s42, s68
	s_mul_i32 s43, s43, s59
	s_sub_i32 s43, s42, s43
	s_sub_i32 s44, s43, s59
	s_cmp_ge_u32 s43, s59
	s_cselect_b32 s43, s44, s43
	s_sub_i32 s44, s43, s59
	s_cmp_ge_u32 s43, s59
	s_cselect_b32 s43, s44, s43
	s_sub_i32 s55, s42, s43
	v_cmp_gt_u32_e32 vcc, s55, v0
	s_mov_b64 s[44:45], 0
	s_mov_b64 s[42:43], 0
                                        ; implicit-def: $vgpr6_vgpr7
	s_and_saveexec_b64 s[46:47], vcc
	s_cbranch_execz .LBB98_166
; %bb.158:                              ;   in Loop: Header=BB98_11 Depth=1
	v_mov_b32_e32 v9, v35
	v_mov_b32_e32 v11, v0
                                        ; implicit-def: $sgpr48_sgpr49
	s_branch .LBB98_161
.LBB98_159:                             ;   in Loop: Header=BB98_161 Depth=2
	s_or_b64 exec, exec, s[50:51]
	s_waitcnt lgkmcnt(0)
	s_barrier
	ds_read_b128 v[4:7], v19 offset:3072
	s_mov_b64 s[50:51], -1
	s_mov_b64 s[52:53], -1
	s_waitcnt lgkmcnt(0)
	s_barrier
	v_cmp_ne_u64_e32 vcc, 0, v[4:5]
	s_cbranch_vccz .LBB98_164
.LBB98_160:                             ;   in Loop: Header=BB98_161 Depth=2
	s_and_b64 s[50:51], exec, s[50:51]
	s_or_b64 s[42:43], s[50:51], s[42:43]
	s_andn2_b64 s[48:49], s[48:49], exec
	s_and_b64 s[50:51], s[52:53], exec
	s_or_b64 s[48:49], s[48:49], s[50:51]
	s_andn2_b64 exec, exec, s[42:43]
	s_cbranch_execz .LBB98_165
.LBB98_161:                             ;   Parent Loop BB98_11 Depth=1
                                        ; =>  This Inner Loop Header: Depth=2
	v_cmp_gt_u32_e32 vcc, s33, v11
	s_and_saveexec_b64 s[50:51], vcc
	s_cbranch_execz .LBB98_159
; %bb.162:                              ;   in Loop: Header=BB98_161 Depth=2
	ds_read_b64 v[4:5], v9
	s_waitcnt lgkmcnt(0)
	v_xor_b32_e32 v3, 0x80000000, v5
	v_and_b32_e32 v7, v3, v29
	v_and_b32_e32 v6, v4, v28
	v_cmp_eq_u64_e32 vcc, v[6:7], v[26:27]
	s_and_b64 exec, exec, vcc
	s_cbranch_execz .LBB98_159
; %bb.163:                              ;   in Loop: Header=BB98_161 Depth=2
	v_mov_b32_e32 v3, v19
	ds_write_b128 v19, v[2:5] offset:3072
	s_branch .LBB98_159
.LBB98_164:                             ;   in Loop: Header=BB98_161 Depth=2
	v_add_u32_e32 v11, s59, v11
	v_cmp_le_u32_e32 vcc, s55, v11
	v_add_u32_e32 v9, s70, v9
	s_mov_b64 s[52:53], 0
	s_orn2_b64 s[50:51], vcc, exec
	s_branch .LBB98_160
.LBB98_165:                             ;   in Loop: Header=BB98_11 Depth=1
	s_or_b64 exec, exec, s[42:43]
	s_and_b64 s[42:43], s[48:49], exec
.LBB98_166:                             ;   in Loop: Header=BB98_11 Depth=1
	s_or_b64 exec, exec, s[46:47]
.LBB98_167:                             ;   in Loop: Header=BB98_11 Depth=1
	s_and_b64 vcc, exec, s[44:45]
	s_cbranch_vccz .LBB98_178
; %bb.168:                              ;   in Loop: Header=BB98_11 Depth=1
                                        ; implicit-def: $vgpr6_vgpr7
	s_and_saveexec_b64 s[34:35], s[12:13]
	s_cbranch_execz .LBB98_177
; %bb.169:                              ;   in Loop: Header=BB98_11 Depth=1
	s_mov_b64 s[36:37], 0
	v_mov_b32_e32 v18, v16
	v_mov_b32_e32 v9, v0
                                        ; implicit-def: $sgpr44_sgpr45
	s_branch .LBB98_172
.LBB98_170:                             ;   in Loop: Header=BB98_172 Depth=2
	s_or_b64 exec, exec, s[46:47]
	s_waitcnt lgkmcnt(0)
	s_barrier
	ds_read_b128 v[4:7], v19 offset:3072
	s_mov_b64 s[46:47], -1
	s_mov_b64 s[48:49], -1
	s_waitcnt lgkmcnt(0)
	s_barrier
	v_cmp_eq_u64_e32 vcc, 0, v[4:5]
	s_cbranch_vccnz .LBB98_175
.LBB98_171:                             ;   in Loop: Header=BB98_172 Depth=2
	s_and_b64 s[46:47], exec, s[46:47]
	s_or_b64 s[36:37], s[46:47], s[36:37]
	s_andn2_b64 s[44:45], s[44:45], exec
	s_and_b64 s[46:47], s[48:49], exec
	s_or_b64 s[44:45], s[44:45], s[46:47]
	s_andn2_b64 exec, exec, s[36:37]
	s_cbranch_execz .LBB98_176
.LBB98_172:                             ;   Parent Loop BB98_11 Depth=1
                                        ; =>  This Inner Loop Header: Depth=2
	v_cmp_gt_u32_e32 vcc, s56, v9
	s_and_saveexec_b64 s[46:47], vcc
	s_cbranch_execz .LBB98_170
; %bb.173:                              ;   in Loop: Header=BB98_172 Depth=2
	v_lshl_add_u64 v[4:5], v[18:19], 3, s[74:75]
	global_load_dwordx2 v[4:5], v[4:5], off
	s_waitcnt vmcnt(0)
	v_xor_b32_e32 v3, 0x80000000, v5
	v_and_b32_e32 v7, v3, v29
	v_and_b32_e32 v6, v4, v28
	v_cmp_eq_u64_e32 vcc, v[6:7], v[26:27]
	s_and_b64 exec, exec, vcc
	s_cbranch_execz .LBB98_170
; %bb.174:                              ;   in Loop: Header=BB98_172 Depth=2
	v_mov_b32_e32 v3, v19
	ds_write_b128 v19, v[2:5] offset:3072
	s_branch .LBB98_170
.LBB98_175:                             ;   in Loop: Header=BB98_172 Depth=2
	v_add_u32_e32 v9, s59, v9
	v_cmp_le_u32_e32 vcc, s69, v9
	v_add_u32_e32 v18, s57, v18
	s_mov_b64 s[48:49], 0
	s_orn2_b64 s[46:47], vcc, exec
	s_branch .LBB98_171
.LBB98_176:                             ;   in Loop: Header=BB98_11 Depth=1
	s_or_b64 exec, exec, s[36:37]
	s_andn2_b64 s[36:37], s[42:43], exec
	s_and_b64 s[42:43], s[44:45], exec
	s_or_b64 s[42:43], s[36:37], s[42:43]
.LBB98_177:                             ;   in Loop: Header=BB98_11 Depth=1
	s_or_b64 exec, exec, s[34:35]
	s_mov_b64 s[34:35], 0
	s_mov_b64 s[36:37], -1
.LBB98_178:                             ;   in Loop: Header=BB98_11 Depth=1
	s_orn2_b64 s[42:43], s[42:43], exec
.LBB98_179:                             ;   in Loop: Header=BB98_11 Depth=1
	s_or_b64 exec, exec, s[38:39]
	s_mov_b64 s[44:45], 0
	s_and_saveexec_b64 s[38:39], s[42:43]
	s_cbranch_execz .LBB98_229
; %bb.180:                              ;   in Loop: Header=BB98_11 Depth=1
	s_xor_b64 s[42:43], s[40:41], -1
	s_mov_b64 s[46:47], 0
	v_mov_b32_e32 v9, 1
	v_mov_b32_e32 v8, 1
	s_and_saveexec_b64 s[40:41], s[42:43]
	s_cbranch_execz .LBB98_189
; %bb.181:                              ;   in Loop: Header=BB98_11 Depth=1
	v_cmp_ge_u32_e32 vcc, s54, v10
	s_and_saveexec_b64 s[42:43], vcc
	s_xor_b64 s[42:43], exec, s[42:43]
	s_cbranch_execz .LBB98_186
; %bb.182:                              ;   in Loop: Header=BB98_11 Depth=1
	ds_read_b32 v4, v19 offset:4104
	s_lshl_b64 s[44:45], 2, s71
	v_and_b32_e32 v3, s27, v27
	v_and_b32_e32 v5, s26, v26
	v_or_b32_e32 v27, s45, v3
	s_waitcnt lgkmcnt(0)
	v_cmp_ne_u32_e32 vcc, 0, v4
	v_or_b32_e32 v26, s44, v5
	v_or_b32_e32 v29, s1, v29
	v_or_b32_e32 v28, s0, v28
	s_cbranch_vccnz .LBB98_186
; %bb.183:                              ;   in Loop: Header=BB98_11 Depth=1
	s_and_saveexec_b64 s[26:27], s[14:15]
; %bb.184:                              ;   in Loop: Header=BB98_11 Depth=1
	v_mov_b32_e32 v3, s54
	ds_write_b32 v19, v3 offset:4108
; %bb.185:                              ;   in Loop: Header=BB98_11 Depth=1
	s_or_b64 exec, exec, s[26:27]
	s_waitcnt lgkmcnt(0)
	s_barrier
.LBB98_186:                             ;   in Loop: Header=BB98_11 Depth=1
	s_or_saveexec_b64 s[26:27], s[42:43]
	s_mov_b64 s[42:43], 0
	v_mov_b32_e32 v8, 8
	s_xor_b64 exec, exec, s[26:27]
; %bb.187:                              ;   in Loop: Header=BB98_11 Depth=1
	s_mov_b64 s[42:43], exec
	v_subrev_u32_e32 v10, s54, v10
	v_mov_b32_e32 v8, 0
; %bb.188:                              ;   in Loop: Header=BB98_11 Depth=1
	s_or_b64 exec, exec, s[26:27]
	s_and_b64 s[46:47], s[42:43], exec
	v_mov_b32_e32 v9, v10
.LBB98_189:                             ;   in Loop: Header=BB98_11 Depth=1
	s_or_b64 exec, exec, s[40:41]
	s_mov_b64 s[44:45], -1
                                        ; implicit-def: $sgpr42_sgpr43
                                        ; implicit-def: $sgpr40_sgpr41
	s_and_saveexec_b64 s[26:27], s[46:47]
	s_cbranch_execz .LBB98_228
; %bb.190:                              ;   in Loop: Header=BB98_11 Depth=1
	s_cmp_eq_u32 s17, 1
	s_cselect_b64 s[40:41], -1, 0
	v_cmp_eq_u32_e32 vcc, 1, v9
	s_and_b64 s[44:45], s[40:41], vcc
	s_mov_b64 s[48:49], -1
                                        ; implicit-def: $sgpr42_sgpr43
                                        ; implicit-def: $sgpr40_sgpr41
	s_and_saveexec_b64 s[46:47], s[44:45]
	s_cbranch_execz .LBB98_216
; %bb.191:                              ;   in Loop: Header=BB98_11 Depth=1
	ds_read_b32 v3, v19 offset:4104
	s_waitcnt lgkmcnt(0)
	s_barrier
	v_readfirstlane_b32 s33, v3
	s_and_saveexec_b64 s[40:41], s[6:7]
; %bb.192:                              ;   in Loop: Header=BB98_11 Depth=1
	ds_write_b64 v36, v[50:51]
; %bb.193:                              ;   in Loop: Header=BB98_11 Depth=1
	s_or_b64 exec, exec, s[40:41]
	v_or_b32_e32 v27, s1, v27
	v_or_b32_e32 v26, s0, v26
	;; [unrolled: 1-line block ×4, first 2 shown]
	s_mov_b64 s[40:41], -1
	s_mov_b64 s[42:43], 0
	s_cmp_eq_u32 s33, 0
	s_mov_b64 s[48:49], 0
	s_mov_b64 s[50:51], -1
	s_waitcnt lgkmcnt(0)
	s_barrier
                                        ; implicit-def: $vgpr6_vgpr7
	s_cbranch_scc1 .LBB98_204
; %bb.194:                              ;   in Loop: Header=BB98_11 Depth=1
	s_add_i32 s48, s33, s95
	s_mul_hi_u32 s49, s48, s68
	s_mul_i32 s49, s49, s59
	s_sub_i32 s49, s48, s49
	s_sub_i32 s50, s49, s59
	s_cmp_ge_u32 s49, s59
	s_cselect_b32 s49, s50, s49
	s_sub_i32 s50, s49, s59
	s_cmp_ge_u32 s49, s59
	s_cselect_b32 s49, s50, s49
	s_sub_i32 s90, s48, s49
	v_cmp_gt_u32_e32 vcc, s90, v0
	s_mov_b64 s[50:51], 0
	s_mov_b64 s[48:49], 0
                                        ; implicit-def: $vgpr6_vgpr7
	s_and_saveexec_b64 s[52:53], vcc
	s_cbranch_execz .LBB98_203
; %bb.195:                              ;   in Loop: Header=BB98_11 Depth=1
	v_mov_b32_e32 v10, v35
	v_mov_b32_e32 v11, v0
                                        ; implicit-def: $sgpr54_sgpr55
	s_branch .LBB98_198
.LBB98_196:                             ;   in Loop: Header=BB98_198 Depth=2
	s_or_b64 exec, exec, s[66:67]
	s_waitcnt lgkmcnt(0)
	s_barrier
	ds_read_b128 v[4:7], v19 offset:3072
	s_mov_b64 s[66:67], -1
	s_mov_b64 s[78:79], -1
	s_waitcnt lgkmcnt(0)
	s_barrier
	v_cmp_ne_u64_e32 vcc, 0, v[4:5]
	s_cbranch_vccz .LBB98_201
.LBB98_197:                             ;   in Loop: Header=BB98_198 Depth=2
	s_and_b64 s[66:67], exec, s[66:67]
	s_or_b64 s[48:49], s[66:67], s[48:49]
	s_andn2_b64 s[54:55], s[54:55], exec
	s_and_b64 s[66:67], s[78:79], exec
	s_or_b64 s[54:55], s[54:55], s[66:67]
	s_andn2_b64 exec, exec, s[48:49]
	s_cbranch_execz .LBB98_202
.LBB98_198:                             ;   Parent Loop BB98_11 Depth=1
                                        ; =>  This Inner Loop Header: Depth=2
	v_cmp_gt_u32_e32 vcc, s33, v11
	s_and_saveexec_b64 s[66:67], vcc
	s_cbranch_execz .LBB98_196
; %bb.199:                              ;   in Loop: Header=BB98_198 Depth=2
	ds_read_b64 v[4:5], v10
	s_waitcnt lgkmcnt(0)
	v_xor_b32_e32 v3, 0x80000000, v5
	v_and_b32_e32 v7, v3, v29
	v_and_b32_e32 v6, v4, v28
	v_cmp_eq_u64_e32 vcc, v[6:7], v[26:27]
	s_and_b64 exec, exec, vcc
	s_cbranch_execz .LBB98_196
; %bb.200:                              ;   in Loop: Header=BB98_198 Depth=2
	v_mov_b32_e32 v3, v19
	ds_write_b128 v19, v[2:5] offset:3072
	s_branch .LBB98_196
.LBB98_201:                             ;   in Loop: Header=BB98_198 Depth=2
	v_add_u32_e32 v11, s59, v11
	v_cmp_le_u32_e32 vcc, s90, v11
	v_add_u32_e32 v10, s70, v10
	s_mov_b64 s[78:79], 0
	s_orn2_b64 s[66:67], vcc, exec
	s_branch .LBB98_197
.LBB98_202:                             ;   in Loop: Header=BB98_11 Depth=1
	s_or_b64 exec, exec, s[48:49]
	s_and_b64 s[48:49], s[54:55], exec
.LBB98_203:                             ;   in Loop: Header=BB98_11 Depth=1
	s_or_b64 exec, exec, s[52:53]
.LBB98_204:                             ;   in Loop: Header=BB98_11 Depth=1
	s_and_b64 vcc, exec, s[50:51]
	s_cbranch_vccz .LBB98_215
; %bb.205:                              ;   in Loop: Header=BB98_11 Depth=1
                                        ; implicit-def: $vgpr6_vgpr7
	s_and_saveexec_b64 s[40:41], s[12:13]
	s_cbranch_execz .LBB98_214
; %bb.206:                              ;   in Loop: Header=BB98_11 Depth=1
	s_mov_b64 s[42:43], 0
	v_mov_b32_e32 v18, v16
	v_mov_b32_e32 v10, v0
                                        ; implicit-def: $sgpr50_sgpr51
	s_branch .LBB98_209
.LBB98_207:                             ;   in Loop: Header=BB98_209 Depth=2
	s_or_b64 exec, exec, s[52:53]
	s_waitcnt lgkmcnt(0)
	s_barrier
	ds_read_b128 v[4:7], v19 offset:3072
	s_mov_b64 s[52:53], -1
	s_mov_b64 s[54:55], -1
	s_waitcnt lgkmcnt(0)
	s_barrier
	v_cmp_eq_u64_e32 vcc, 0, v[4:5]
	s_cbranch_vccnz .LBB98_212
.LBB98_208:                             ;   in Loop: Header=BB98_209 Depth=2
	s_and_b64 s[52:53], exec, s[52:53]
	s_or_b64 s[42:43], s[52:53], s[42:43]
	s_andn2_b64 s[50:51], s[50:51], exec
	s_and_b64 s[52:53], s[54:55], exec
	s_or_b64 s[50:51], s[50:51], s[52:53]
	s_andn2_b64 exec, exec, s[42:43]
	s_cbranch_execz .LBB98_213
.LBB98_209:                             ;   Parent Loop BB98_11 Depth=1
                                        ; =>  This Inner Loop Header: Depth=2
	v_cmp_gt_u32_e32 vcc, s56, v10
	s_and_saveexec_b64 s[52:53], vcc
	s_cbranch_execz .LBB98_207
; %bb.210:                              ;   in Loop: Header=BB98_209 Depth=2
	v_lshl_add_u64 v[4:5], v[18:19], 3, s[74:75]
	global_load_dwordx2 v[4:5], v[4:5], off
	s_waitcnt vmcnt(0)
	v_xor_b32_e32 v3, 0x80000000, v5
	v_and_b32_e32 v7, v3, v29
	v_and_b32_e32 v6, v4, v28
	v_cmp_eq_u64_e32 vcc, v[6:7], v[26:27]
	s_and_b64 exec, exec, vcc
	s_cbranch_execz .LBB98_207
; %bb.211:                              ;   in Loop: Header=BB98_209 Depth=2
	v_mov_b32_e32 v3, v19
	ds_write_b128 v19, v[2:5] offset:3072
	s_branch .LBB98_207
.LBB98_212:                             ;   in Loop: Header=BB98_209 Depth=2
	v_add_u32_e32 v10, s59, v10
	v_cmp_le_u32_e32 vcc, s69, v10
	v_add_u32_e32 v18, s57, v18
	s_mov_b64 s[54:55], 0
	s_orn2_b64 s[52:53], vcc, exec
	s_branch .LBB98_208
.LBB98_213:                             ;   in Loop: Header=BB98_11 Depth=1
	s_or_b64 exec, exec, s[42:43]
	s_andn2_b64 s[42:43], s[48:49], exec
	s_and_b64 s[48:49], s[50:51], exec
	s_or_b64 s[48:49], s[42:43], s[48:49]
.LBB98_214:                             ;   in Loop: Header=BB98_11 Depth=1
	s_or_b64 exec, exec, s[40:41]
	s_mov_b64 s[40:41], 0
	s_mov_b64 s[42:43], -1
.LBB98_215:                             ;   in Loop: Header=BB98_11 Depth=1
	s_orn2_b64 s[48:49], s[48:49], exec
.LBB98_216:                             ;   in Loop: Header=BB98_11 Depth=1
	s_or_b64 exec, exec, s[46:47]
	s_mov_b64 s[50:51], 0
	s_and_saveexec_b64 s[46:47], s[48:49]
	s_cbranch_execz .LBB98_227
; %bb.217:                              ;   in Loop: Header=BB98_11 Depth=1
	s_xor_b64 s[48:49], s[44:45], -1
	v_mov_b32_e32 v8, 1
	v_mov_b32_e32 v3, 1
	s_and_saveexec_b64 s[44:45], s[48:49]
	s_cbranch_execz .LBB98_226
; %bb.218:                              ;   in Loop: Header=BB98_11 Depth=1
	v_cmp_ge_u32_e32 vcc, s17, v9
	s_and_saveexec_b64 s[48:49], vcc
	s_xor_b64 s[48:49], exec, s[48:49]
	s_cbranch_execz .LBB98_223
; %bb.219:                              ;   in Loop: Header=BB98_11 Depth=1
	ds_read_b32 v3, v19 offset:4104
	v_or_b32_e32 v27, s1, v27
	v_or_b32_e32 v26, s0, v26
	;; [unrolled: 1-line block ×4, first 2 shown]
	s_waitcnt lgkmcnt(0)
	v_cmp_ne_u32_e32 vcc, 0, v3
	s_cbranch_vccnz .LBB98_223
; %bb.220:                              ;   in Loop: Header=BB98_11 Depth=1
	s_and_saveexec_b64 s[0:1], s[14:15]
; %bb.221:                              ;   in Loop: Header=BB98_11 Depth=1
	v_mov_b32_e32 v3, s17
	ds_write_b32 v19, v3 offset:4108
; %bb.222:                              ;   in Loop: Header=BB98_11 Depth=1
	s_or_b64 exec, exec, s[0:1]
	s_waitcnt lgkmcnt(0)
	s_barrier
.LBB98_223:                             ;   in Loop: Header=BB98_11 Depth=1
	s_andn2_saveexec_b64 s[0:1], s[48:49]
; %bb.224:                              ;   in Loop: Header=BB98_11 Depth=1
	v_subrev_u32_e32 v9, s17, v9
; %bb.225:                              ;   in Loop: Header=BB98_11 Depth=1
	s_or_b64 exec, exec, s[0:1]
	v_mov_b32_e32 v8, 8
	v_mov_b32_e32 v3, v9
.LBB98_226:                             ;   in Loop: Header=BB98_11 Depth=1
	s_or_b64 exec, exec, s[44:45]
	s_mov_b64 s[50:51], exec
	v_mov_b32_e32 v9, v3
.LBB98_227:                             ;   in Loop: Header=BB98_11 Depth=1
	s_or_b64 exec, exec, s[46:47]
	s_orn2_b64 s[44:45], s[50:51], exec
.LBB98_228:                             ;   in Loop: Header=BB98_11 Depth=1
	s_or_b64 exec, exec, s[26:27]
	s_andn2_b64 s[0:1], s[36:37], exec
	s_and_b64 s[26:27], s[42:43], exec
	s_or_b64 s[36:37], s[0:1], s[26:27]
	s_andn2_b64 s[0:1], s[34:35], exec
	s_and_b64 s[26:27], s[40:41], exec
	s_or_b64 s[34:35], s[0:1], s[26:27]
	s_and_b64 s[44:45], s[44:45], exec
	v_mov_b32_e32 v10, v9
.LBB98_229:                             ;   in Loop: Header=BB98_11 Depth=1
	s_or_b64 exec, exec, s[38:39]
	s_orn2_b64 s[38:39], s[44:45], exec
.LBB98_230:                             ;   in Loop: Header=BB98_11 Depth=1
	s_or_b64 exec, exec, s[30:31]
	s_andn2_b64 s[0:1], s[24:25], exec
	s_and_b64 s[24:25], s[36:37], exec
	s_or_b64 s[24:25], s[0:1], s[24:25]
	s_andn2_b64 s[0:1], s[22:23], exec
	s_and_b64 s[22:23], s[34:35], exec
	s_or_b64 s[22:23], s[0:1], s[22:23]
	s_and_b64 s[36:37], s[38:39], exec
	v_mov_b32_e32 v9, v10
.LBB98_231:                             ;   in Loop: Header=BB98_11 Depth=1
	s_or_b64 exec, exec, s[28:29]
	s_orn2_b64 s[28:29], s[36:37], exec
.LBB98_232:                             ;   in Loop: Header=BB98_11 Depth=1
	s_or_b64 exec, exec, s[20:21]
	s_mov_b64 s[20:21], 0
                                        ; implicit-def: $sgpr30
                                        ; implicit-def: $sgpr31
	s_and_saveexec_b64 s[0:1], s[28:29]
	s_xor_b64 s[0:1], exec, s[0:1]
	s_cbranch_execz .LBB98_9
; %bb.233:                              ;   in Loop: Header=BB98_11 Depth=1
	v_and_b32_e32 v3, 7, v8
	v_cmp_eq_u32_e32 vcc, 0, v3
	s_mov_b64 s[18:19], -1
	s_mov_b64 s[20:21], -1
                                        ; implicit-def: $sgpr30
                                        ; implicit-def: $sgpr31
	s_and_saveexec_b64 s[26:27], vcc
	s_cbranch_execz .LBB98_8
; %bb.234:                              ;   in Loop: Header=BB98_11 Depth=1
	s_xor_b32 s31, s16, 1
	s_add_i32 s30, s71, -2
	s_cmp_eq_u32 s71, 0
	s_cselect_b64 s[16:17], -1, 0
	s_xor_b64 s[20:21], exec, -1
	s_orn2_b64 s[18:19], s[16:17], exec
	s_branch .LBB98_8
.LBB98_235:
	s_or_b64 exec, exec, s[96:97]
	s_xor_b64 s[6:7], s[60:61], -1
	s_xor_b64 s[0:1], s[98:99], -1
	;; [unrolled: 1-line block ×3, first 2 shown]
	s_mov_b64 s[2:3], 0
	s_and_saveexec_b64 s[8:9], s[0:1]
	s_xor_b64 s[0:1], exec, s[8:9]
	s_cbranch_execnz .LBB98_240
; %bb.236:
	s_andn2_saveexec_b64 s[0:1], s[0:1]
	s_cbranch_execnz .LBB98_253
.LBB98_237:
	s_or_b64 exec, exec, s[0:1]
	s_and_saveexec_b64 s[0:1], s[2:3]
.LBB98_238:
	; divergent unreachable
.LBB98_239:
	s_endpgm
.LBB98_240:
	s_and_saveexec_b64 s[2:3], s[6:7]
	s_xor_b64 s[2:3], exec, s[2:3]
	s_cbranch_execz .LBB98_251
; %bb.241:
	s_and_saveexec_b64 s[6:7], s[4:5]
	s_xor_b64 s[4:5], exec, s[6:7]
; %bb.242:
	v_xor_b32_e32 v27, 0x80000000, v27
	v_mov_b64_e32 v[6:7], v[26:27]
; %bb.243:
	s_or_b64 exec, exec, s[4:5]
	v_readlane_b32 s8, v60, 1
	v_readlane_b32 s9, v60, 2
	;; [unrolled: 1-line block ×3, first 2 shown]
	s_mul_i32 s4, s10, s9
	v_readlane_b32 s9, v60, 18
	s_mul_i32 s5, s9, s8
	v_readlane_b32 s18, v60, 20
	s_sub_i32 s5, s10, s5
	s_sub_i32 s4, s18, s4
	s_add_i32 s6, s9, 1
	s_sub_i32 s7, s5, s8
	s_cmp_ge_u32 s5, s8
	s_cselect_b32 s6, s6, s9
	s_cselect_b32 s5, s7, s5
	s_add_i32 s7, s6, 1
	s_cmp_ge_u32 s5, s8
	s_cselect_b32 s5, s7, s6
	v_readlane_b32 s12, v60, 10
	s_mul_i32 s6, s5, s8
	v_readlane_b32 s13, v60, 11
	v_readlane_b32 s14, v60, 12
	s_sub_i32 s6, s10, s6
	s_mul_i32 s4, s4, s14
	s_mul_i32 s6, s6, s13
	s_add_i32 s4, s6, s4
	s_mul_i32 s5, s5, s12
	s_add_i32 s4, s4, s5
	s_mov_b32 s5, 0
	s_lshl_b64 s[4:5], s[4:5], 3
	v_readlane_b32 s6, v60, 16
	v_readlane_b32 s7, v60, 17
	s_add_u32 s4, s6, s4
	s_addc_u32 s5, s7, s5
	v_mov_b32_e32 v17, 0
	v_readlane_b32 s15, v60, 13
	global_store_dwordx2 v17, v[6:7], s[4:5]
	s_mov_b64 s[4:5], exec
	v_readlane_b32 s6, v60, 21
	v_readlane_b32 s7, v60, 22
	s_and_b64 s[6:7], s[4:5], s[6:7]
	s_mov_b64 exec, s[6:7]
	s_cbranch_execz .LBB98_250
; %bb.244:
	s_mov_b64 s[6:7], 0
                                        ; implicit-def: $sgpr8_sgpr9
                                        ; implicit-def: $sgpr12_sgpr13
                                        ; implicit-def: $sgpr10_sgpr11
	s_branch .LBB98_246
.LBB98_245:                             ;   in Loop: Header=BB98_246 Depth=1
	s_or_b64 exec, exec, s[14:15]
	s_and_b64 s[14:15], exec, s[12:13]
	s_or_b64 s[6:7], s[14:15], s[6:7]
	s_andn2_b64 s[8:9], s[8:9], exec
	s_and_b64 s[14:15], s[10:11], exec
	s_or_b64 s[8:9], s[8:9], s[14:15]
	s_andn2_b64 exec, exec, s[6:7]
	s_cbranch_execz .LBB98_248
.LBB98_246:                             ; =>This Inner Loop Header: Depth=1
	v_lshl_add_u64 v[2:3], v[16:17], 3, s[74:75]
	global_load_dwordx2 v[4:5], v[2:3], off
	v_mov_b32_e32 v2, v0
	s_or_b64 s[10:11], s[10:11], exec
	s_or_b64 s[12:13], s[12:13], exec
                                        ; implicit-def: $vgpr0
	s_waitcnt vmcnt(0)
	v_cmp_ne_u64_e32 vcc, v[4:5], v[6:7]
	s_and_saveexec_b64 s[14:15], vcc
	s_cbranch_execz .LBB98_245
; %bb.247:                              ;   in Loop: Header=BB98_246 Depth=1
	v_add_u32_e32 v0, s59, v2
	v_cmp_le_u32_e32 vcc, s56, v0
	s_andn2_b64 s[12:13], s[12:13], exec
	s_and_b64 s[16:17], vcc, exec
	v_add_u32_e32 v16, s57, v16
	s_andn2_b64 s[10:11], s[10:11], exec
	s_or_b64 s[12:13], s[12:13], s[16:17]
	s_branch .LBB98_245
.LBB98_248:
	s_or_b64 exec, exec, s[6:7]
	s_and_saveexec_b64 s[6:7], s[8:9]
	s_xor_b64 s[6:7], exec, s[6:7]
	s_cbranch_execz .LBB98_250
; %bb.249:
	v_readlane_b32 s10, v60, 4
	v_readlane_b32 s11, v60, 5
	;; [unrolled: 1-line block ×3, first 2 shown]
	s_mul_i32 s6, s12, s11
	v_readlane_b32 s11, v60, 19
	s_mul_i32 s7, s11, s10
	s_sub_i32 s7, s12, s7
	s_sub_i32 s6, s18, s6
	s_add_i32 s8, s11, 1
	s_sub_i32 s9, s7, s10
	s_cmp_ge_u32 s7, s10
	s_cselect_b32 s8, s8, s11
	s_cselect_b32 s7, s9, s7
	s_add_i32 s9, s8, 1
	s_cmp_ge_u32 s7, s10
	s_cselect_b32 s7, s9, s8
	v_readlane_b32 s16, v60, 6
	s_mul_i32 s8, s7, s10
	v_readlane_b32 s17, v60, 7
	v_readlane_b32 s18, v60, 8
	s_sub_i32 s8, s12, s8
	s_mul_i32 s6, s6, s18
	s_mul_i32 s8, s8, s17
	s_add_i32 s6, s8, s6
	s_mul_i32 s7, s7, s16
	s_add_i32 s6, s6, s7
	s_mov_b32 s7, 0
	s_lshl_b64 s[6:7], s[6:7], 3
	v_readlane_b32 s8, v60, 14
	v_readlane_b32 s9, v60, 15
	s_add_u32 s6, s8, s6
	s_addc_u32 s7, s9, s7
	v_mov_b32_e32 v3, 0
	v_readlane_b32 s19, v60, 9
	global_store_dwordx2 v3, v[2:3], s[6:7]
.LBB98_250:
	s_or_b64 exec, exec, s[4:5]
.LBB98_251:
	s_or_saveexec_b64 s[2:3], s[2:3]
	s_mov_b64 s[4:5], 0
	s_xor_b64 exec, exec, s[2:3]
	s_cbranch_execnz .LBB98_254
.LBB98_252:
	s_or_b64 exec, exec, s[2:3]
	s_and_b64 s[2:3], s[4:5], exec
	s_andn2_saveexec_b64 s[0:1], s[0:1]
	s_cbranch_execz .LBB98_237
.LBB98_253:
	s_or_b64 s[2:3], s[2:3], exec
	s_trap 2
	s_or_b64 exec, exec, s[0:1]
	s_and_saveexec_b64 s[0:1], s[2:3]
	s_cbranch_execnz .LBB98_238
	s_branch .LBB98_239
.LBB98_254:
	s_mov_b64 s[4:5], exec
	s_trap 2
	s_branch .LBB98_252
	.section	.rodata,"a",@progbits
	.p2align	6, 0x0
	.amdhsa_kernel _ZN2at6native12_GLOBAL__N_112gatherMedianIljLi3EEEvNS_4cuda6detail10TensorInfoIT_T0_EENS5_IlS7_EENS5_IKS6_S7_EES7_S7_S7_b
		.amdhsa_group_segment_fixed_size 4120
		.amdhsa_private_segment_fixed_size 0
		.amdhsa_kernarg_size 920
		.amdhsa_user_sgpr_count 2
		.amdhsa_user_sgpr_dispatch_ptr 0
		.amdhsa_user_sgpr_queue_ptr 0
		.amdhsa_user_sgpr_kernarg_segment_ptr 1
		.amdhsa_user_sgpr_dispatch_id 0
		.amdhsa_user_sgpr_kernarg_preload_length 0
		.amdhsa_user_sgpr_kernarg_preload_offset 0
		.amdhsa_user_sgpr_private_segment_size 0
		.amdhsa_uses_dynamic_stack 0
		.amdhsa_enable_private_segment 0
		.amdhsa_system_sgpr_workgroup_id_x 1
		.amdhsa_system_sgpr_workgroup_id_y 1
		.amdhsa_system_sgpr_workgroup_id_z 1
		.amdhsa_system_sgpr_workgroup_info 0
		.amdhsa_system_vgpr_workitem_id 0
		.amdhsa_next_free_vgpr 61
		.amdhsa_next_free_sgpr 100
		.amdhsa_accum_offset 64
		.amdhsa_reserve_vcc 1
		.amdhsa_float_round_mode_32 0
		.amdhsa_float_round_mode_16_64 0
		.amdhsa_float_denorm_mode_32 3
		.amdhsa_float_denorm_mode_16_64 3
		.amdhsa_dx10_clamp 1
		.amdhsa_ieee_mode 1
		.amdhsa_fp16_overflow 0
		.amdhsa_tg_split 0
		.amdhsa_exception_fp_ieee_invalid_op 0
		.amdhsa_exception_fp_denorm_src 0
		.amdhsa_exception_fp_ieee_div_zero 0
		.amdhsa_exception_fp_ieee_overflow 0
		.amdhsa_exception_fp_ieee_underflow 0
		.amdhsa_exception_fp_ieee_inexact 0
		.amdhsa_exception_int_div_zero 0
	.end_amdhsa_kernel
	.section	.text._ZN2at6native12_GLOBAL__N_112gatherMedianIljLi3EEEvNS_4cuda6detail10TensorInfoIT_T0_EENS5_IlS7_EENS5_IKS6_S7_EES7_S7_S7_b,"axG",@progbits,_ZN2at6native12_GLOBAL__N_112gatherMedianIljLi3EEEvNS_4cuda6detail10TensorInfoIT_T0_EENS5_IlS7_EENS5_IKS6_S7_EES7_S7_S7_b,comdat
.Lfunc_end98:
	.size	_ZN2at6native12_GLOBAL__N_112gatherMedianIljLi3EEEvNS_4cuda6detail10TensorInfoIT_T0_EENS5_IlS7_EENS5_IKS6_S7_EES7_S7_S7_b, .Lfunc_end98-_ZN2at6native12_GLOBAL__N_112gatherMedianIljLi3EEEvNS_4cuda6detail10TensorInfoIT_T0_EENS5_IlS7_EENS5_IKS6_S7_EES7_S7_S7_b
                                        ; -- End function
	.set _ZN2at6native12_GLOBAL__N_112gatherMedianIljLi3EEEvNS_4cuda6detail10TensorInfoIT_T0_EENS5_IlS7_EENS5_IKS6_S7_EES7_S7_S7_b.num_vgpr, 61
	.set _ZN2at6native12_GLOBAL__N_112gatherMedianIljLi3EEEvNS_4cuda6detail10TensorInfoIT_T0_EENS5_IlS7_EENS5_IKS6_S7_EES7_S7_S7_b.num_agpr, 0
	.set _ZN2at6native12_GLOBAL__N_112gatherMedianIljLi3EEEvNS_4cuda6detail10TensorInfoIT_T0_EENS5_IlS7_EENS5_IKS6_S7_EES7_S7_S7_b.numbered_sgpr, 100
	.set _ZN2at6native12_GLOBAL__N_112gatherMedianIljLi3EEEvNS_4cuda6detail10TensorInfoIT_T0_EENS5_IlS7_EENS5_IKS6_S7_EES7_S7_S7_b.num_named_barrier, 0
	.set _ZN2at6native12_GLOBAL__N_112gatherMedianIljLi3EEEvNS_4cuda6detail10TensorInfoIT_T0_EENS5_IlS7_EENS5_IKS6_S7_EES7_S7_S7_b.private_seg_size, 0
	.set _ZN2at6native12_GLOBAL__N_112gatherMedianIljLi3EEEvNS_4cuda6detail10TensorInfoIT_T0_EENS5_IlS7_EENS5_IKS6_S7_EES7_S7_S7_b.uses_vcc, 1
	.set _ZN2at6native12_GLOBAL__N_112gatherMedianIljLi3EEEvNS_4cuda6detail10TensorInfoIT_T0_EENS5_IlS7_EENS5_IKS6_S7_EES7_S7_S7_b.uses_flat_scratch, 0
	.set _ZN2at6native12_GLOBAL__N_112gatherMedianIljLi3EEEvNS_4cuda6detail10TensorInfoIT_T0_EENS5_IlS7_EENS5_IKS6_S7_EES7_S7_S7_b.has_dyn_sized_stack, 0
	.set _ZN2at6native12_GLOBAL__N_112gatherMedianIljLi3EEEvNS_4cuda6detail10TensorInfoIT_T0_EENS5_IlS7_EENS5_IKS6_S7_EES7_S7_S7_b.has_recursion, 0
	.set _ZN2at6native12_GLOBAL__N_112gatherMedianIljLi3EEEvNS_4cuda6detail10TensorInfoIT_T0_EENS5_IlS7_EENS5_IKS6_S7_EES7_S7_S7_b.has_indirect_call, 0
	.section	.AMDGPU.csdata,"",@progbits
; Kernel info:
; codeLenInByte = 9768
; TotalNumSgprs: 106
; NumVgprs: 61
; NumAgprs: 0
; TotalNumVgprs: 61
; ScratchSize: 0
; MemoryBound: 0
; FloatMode: 240
; IeeeMode: 1
; LDSByteSize: 4120 bytes/workgroup (compile time only)
; SGPRBlocks: 13
; VGPRBlocks: 7
; NumSGPRsForWavesPerEU: 106
; NumVGPRsForWavesPerEU: 61
; AccumOffset: 64
; Occupancy: 7
; WaveLimiterHint : 1
; COMPUTE_PGM_RSRC2:SCRATCH_EN: 0
; COMPUTE_PGM_RSRC2:USER_SGPR: 2
; COMPUTE_PGM_RSRC2:TRAP_HANDLER: 0
; COMPUTE_PGM_RSRC2:TGID_X_EN: 1
; COMPUTE_PGM_RSRC2:TGID_Y_EN: 1
; COMPUTE_PGM_RSRC2:TGID_Z_EN: 1
; COMPUTE_PGM_RSRC2:TIDIG_COMP_CNT: 0
; COMPUTE_PGM_RSRC3_GFX90A:ACCUM_OFFSET: 15
; COMPUTE_PGM_RSRC3_GFX90A:TG_SPLIT: 0
	.section	.text._ZN2at6native12_GLOBAL__N_112gatherMedianIljLin1EEEvNS_4cuda6detail10TensorInfoIT_T0_EENS5_IlS7_EENS5_IKS6_S7_EES7_S7_S7_b,"axG",@progbits,_ZN2at6native12_GLOBAL__N_112gatherMedianIljLin1EEEvNS_4cuda6detail10TensorInfoIT_T0_EENS5_IlS7_EENS5_IKS6_S7_EES7_S7_S7_b,comdat
	.globl	_ZN2at6native12_GLOBAL__N_112gatherMedianIljLin1EEEvNS_4cuda6detail10TensorInfoIT_T0_EENS5_IlS7_EENS5_IKS6_S7_EES7_S7_S7_b ; -- Begin function _ZN2at6native12_GLOBAL__N_112gatherMedianIljLin1EEEvNS_4cuda6detail10TensorInfoIT_T0_EENS5_IlS7_EENS5_IKS6_S7_EES7_S7_S7_b
	.p2align	8
	.type	_ZN2at6native12_GLOBAL__N_112gatherMedianIljLin1EEEvNS_4cuda6detail10TensorInfoIT_T0_EENS5_IlS7_EENS5_IKS6_S7_EES7_S7_S7_b,@function
_ZN2at6native12_GLOBAL__N_112gatherMedianIljLin1EEEvNS_4cuda6detail10TensorInfoIT_T0_EENS5_IlS7_EENS5_IKS6_S7_EES7_S7_S7_b: ; @_ZN2at6native12_GLOBAL__N_112gatherMedianIljLin1EEEvNS_4cuda6detail10TensorInfoIT_T0_EENS5_IlS7_EENS5_IKS6_S7_EES7_S7_S7_b
; %bb.0:
	s_load_dwordx2 s[10:11], s[0:1], 0x298
	s_load_dwordx4 s[56:59], s[0:1], 0x288
	s_add_u32 s8, s0, 0x298
	s_addc_u32 s9, s1, 0
	s_waitcnt lgkmcnt(0)
	s_mul_i32 s4, s11, s4
	s_add_i32 s3, s4, s3
	s_mul_i32 s3, s3, s10
	s_add_i32 s3, s3, s2
	s_cmp_ge_u32 s3, s57
	s_cbranch_scc1 .LBB99_248
; %bb.1:
	s_load_dword s4, s[0:1], 0xd0
	s_mov_b32 s61, 0
	s_mov_b32 s33, s3
	s_waitcnt lgkmcnt(0)
	s_cmp_lt_i32 s4, 2
	s_cbranch_scc1 .LBB99_4
; %bb.2:
	s_add_i32 s60, s4, -1
	s_add_i32 s6, s4, 1
	s_lshl_b64 s[4:5], s[60:61], 2
	s_add_u32 s4, s0, s4
	s_addc_u32 s5, s1, s5
	s_add_u32 s4, s4, 8
	s_addc_u32 s5, s5, 0
	s_mov_b32 s33, s3
.LBB99_3:                               ; =>This Inner Loop Header: Depth=1
	s_load_dword s7, s[4:5], 0x0
	s_load_dword s12, s[4:5], 0x64
	s_mov_b32 s11, s33
	s_waitcnt lgkmcnt(0)
	v_cvt_f32_u32_e32 v1, s7
	s_sub_i32 s13, 0, s7
	v_rcp_iflag_f32_e32 v1, v1
	s_nop 0
	v_mul_f32_e32 v1, 0x4f7ffffe, v1
	v_cvt_u32_f32_e32 v1, v1
	s_nop 0
	v_readfirstlane_b32 s14, v1
	s_mul_i32 s13, s13, s14
	s_mul_hi_u32 s13, s14, s13
	s_add_i32 s14, s14, s13
	s_mul_hi_u32 s13, s33, s14
	s_mul_i32 s14, s13, s7
	s_sub_i32 s14, s33, s14
	s_add_i32 s15, s13, 1
	s_sub_i32 s16, s14, s7
	s_cmp_ge_u32 s14, s7
	s_cselect_b32 s13, s15, s13
	s_cselect_b32 s14, s16, s14
	s_add_i32 s15, s13, 1
	s_cmp_ge_u32 s14, s7
	s_cselect_b32 s33, s15, s13
	s_mul_i32 s7, s33, s7
	s_sub_i32 s7, s11, s7
	s_mul_i32 s7, s12, s7
	s_add_i32 s6, s6, -1
	s_add_i32 s61, s7, s61
	s_add_u32 s4, s4, -4
	s_addc_u32 s5, s5, -1
	s_cmp_gt_u32 s6, 2
	s_cbranch_scc1 .LBB99_3
.LBB99_4:
	s_load_dword s6, s[0:1], 0x1a8
	s_add_u32 s4, s0, 0xd8
	s_addc_u32 s5, s1, 0
	s_mov_b32 s63, 0
	s_mov_b32 s57, s3
	s_waitcnt lgkmcnt(0)
	s_cmp_lt_i32 s6, 2
	s_cbranch_scc1 .LBB99_7
; %bb.5:
	s_add_i32 s62, s6, -1
	s_add_i32 s11, s6, 1
	s_lshl_b64 s[6:7], s[62:63], 2
	s_add_u32 s6, s4, s6
	s_addc_u32 s7, s5, s7
	s_add_u32 s6, s6, 8
	s_addc_u32 s7, s7, 0
	s_mov_b32 s57, s3
.LBB99_6:                               ; =>This Inner Loop Header: Depth=1
	s_load_dword s12, s[6:7], 0x0
	s_load_dword s14, s[6:7], 0x64
	s_mov_b32 s13, s57
	s_waitcnt lgkmcnt(0)
	v_cvt_f32_u32_e32 v1, s12
	s_sub_i32 s15, 0, s12
	v_rcp_iflag_f32_e32 v1, v1
	s_nop 0
	v_mul_f32_e32 v1, 0x4f7ffffe, v1
	v_cvt_u32_f32_e32 v1, v1
	s_nop 0
	v_readfirstlane_b32 s16, v1
	s_mul_i32 s15, s15, s16
	s_mul_hi_u32 s15, s16, s15
	s_add_i32 s16, s16, s15
	s_mul_hi_u32 s15, s57, s16
	s_mul_i32 s16, s15, s12
	s_sub_i32 s16, s57, s16
	s_add_i32 s17, s15, 1
	s_sub_i32 s18, s16, s12
	s_cmp_ge_u32 s16, s12
	s_cselect_b32 s15, s17, s15
	s_cselect_b32 s16, s18, s16
	s_add_i32 s17, s15, 1
	s_cmp_ge_u32 s16, s12
	s_cselect_b32 s57, s17, s15
	s_mul_i32 s12, s57, s12
	s_sub_i32 s12, s13, s12
	s_mul_i32 s12, s14, s12
	s_add_i32 s11, s11, -1
	s_add_i32 s63, s12, s63
	s_add_u32 s6, s6, -4
	s_addc_u32 s7, s7, -1
	s_cmp_gt_u32 s11, 2
	s_cbranch_scc1 .LBB99_6
.LBB99_7:
	s_load_dword s6, s[0:1], 0x6c
                                        ; implicit-def: $vgpr60 : SGPR spill to VGPR lane
	s_add_u32 s12, s0, 0x1b0
	s_addc_u32 s13, s1, 0
	s_mov_b32 s7, 0
	s_waitcnt lgkmcnt(0)
	v_writelane_b32 v60, s6, 0
	s_load_dword s6, s[0:1], 0x280
	s_waitcnt lgkmcnt(0)
	s_cmp_lt_i32 s6, 2
	s_cbranch_scc1 .LBB99_10
; %bb.8:
	s_add_i32 s11, s6, 1
	s_add_i32 s6, s6, -1
	s_lshl_b64 s[14:15], s[6:7], 2
	s_add_u32 s6, s12, s14
	s_addc_u32 s13, s13, s15
	s_add_u32 s12, s6, 8
	s_addc_u32 s13, s13, 0
.LBB99_9:                               ; =>This Inner Loop Header: Depth=1
	s_load_dword s6, s[12:13], 0x0
	s_load_dword s15, s[12:13], 0x64
	s_mov_b32 s14, s3
	s_waitcnt lgkmcnt(0)
	v_cvt_f32_u32_e32 v1, s6
	s_sub_i32 s3, 0, s6
	v_rcp_iflag_f32_e32 v1, v1
	s_nop 0
	v_mul_f32_e32 v1, 0x4f7ffffe, v1
	v_cvt_u32_f32_e32 v1, v1
	s_nop 0
	v_readfirstlane_b32 s16, v1
	s_mul_i32 s3, s3, s16
	s_mul_hi_u32 s3, s16, s3
	s_add_i32 s16, s16, s3
	s_mul_hi_u32 s3, s14, s16
	s_mul_i32 s16, s3, s6
	s_sub_i32 s16, s14, s16
	s_add_i32 s17, s3, 1
	s_sub_i32 s18, s16, s6
	s_cmp_ge_u32 s16, s6
	s_cselect_b32 s3, s17, s3
	s_cselect_b32 s16, s18, s16
	s_add_i32 s17, s3, 1
	s_cmp_ge_u32 s16, s6
	s_cselect_b32 s3, s17, s3
	s_mul_i32 s6, s3, s6
	s_sub_i32 s6, s14, s6
	s_mul_i32 s6, s15, s6
	s_add_i32 s11, s11, -1
	s_add_i32 s7, s6, s7
	s_add_u32 s12, s12, -4
	s_addc_u32 s13, s13, -1
	s_cmp_gt_u32 s11, 2
	s_cbranch_scc1 .LBB99_9
.LBB99_10:
	s_load_dword s4, s[4:5], 0x6c
	v_cmp_eq_u32_e64 s[14:15], 0, v0
	s_waitcnt lgkmcnt(0)
	v_writelane_b32 v60, s4, 1
	s_and_saveexec_b64 s[4:5], s[14:15]
; %bb.11:
	v_mov_b32_e32 v2, 0
	v_mov_b32_e32 v3, v2
	ds_write_b64 v2, v[2:3] offset:4096
; %bb.12:
	s_or_b64 exec, exec, s[4:5]
	v_mov_b32_e32 v1, 0
	s_waitcnt lgkmcnt(0)
	s_barrier
	s_barrier
	ds_read_b64 v[2:3], v1 offset:4096
	s_load_dwordx2 s[4:5], s[0:1], 0x1b0
	s_bitcmp1_b32 s59, 0
	s_cselect_b64 s[16:17], -1, 0
	s_waitcnt lgkmcnt(0)
	v_readfirstlane_b32 s12, v2
	v_readfirstlane_b32 s13, v3
	s_nop 1
	v_cmp_lt_i64_e64 s[18:19], s[12:13], 1
	s_or_b64 s[16:17], s[16:17], s[18:19]
	s_andn2_b64 vcc, exec, s[16:17]
	s_mov_b32 s18, s56
	s_cbranch_vccnz .LBB99_14
; %bb.13:
	s_not_b64 s[12:13], s[12:13]
	s_add_u32 s6, s12, s56
	s_addc_u32 s11, s13, 0
	s_lshr_b32 s12, s11, 31
	s_add_u32 s12, s6, s12
	s_addc_u32 s13, s11, 0
	s_lshr_b64 s[12:13], s[12:13], 1
	s_add_i32 s18, s12, 1
.LBB99_14:
	s_load_dwordx2 s[12:13], s[0:1], 0x0
	s_load_dword s6, s[0:1], 0x21c
                                        ; kill: killed $sgpr0 killed $sgpr1
	s_waitcnt lgkmcnt(0)
	v_writelane_b32 v60, s12, 2
	s_nop 1
	v_writelane_b32 v60, s13, 3
	s_load_dwordx2 s[12:13], s[0:1], 0xd8
	s_waitcnt lgkmcnt(0)
	v_writelane_b32 v60, s12, 4
	s_nop 1
	v_writelane_b32 v60, s13, 5
	s_and_saveexec_b64 s[0:1], s[14:15]
	s_cbranch_execz .LBB99_16
; %bb.15:
	v_mov_b32_e32 v2, 0
	v_mov_b32_e32 v3, s56
	ds_write_b32 v2, v2 offset:4112
	ds_write_b64 v2, v[2:3] offset:4104
.LBB99_16:
	s_or_b64 exec, exec, s[0:1]
	s_mul_i32 s0, s6, s3
	s_mov_b32 s20, 0
	s_waitcnt lgkmcnt(0)
	s_barrier
	s_load_dword s3, s[8:9], 0xc
	s_add_i32 s0, s0, s7
	s_mov_b32 s21, 1
	s_mov_b32 s1, s20
	s_lshl_b64 s[0:1], s[0:1], 3
	s_add_u32 s66, s4, s0
	s_addc_u32 s67, s5, s1
	v_cmp_gt_u32_e64 s[0:1], s56, v0
	v_mbcnt_lo_u32_b32 v1, -1, 0
	s_waitcnt lgkmcnt(0)
	s_and_b32 s59, s3, 0xffff
	v_writelane_b32 v60, s0, 6
	v_mbcnt_hi_u32_b32 v34, -1, v1
	v_cmp_gt_u32_e32 vcc, 64, v0
	v_writelane_b32 v60, s1, 7
	v_cmp_gt_i32_e64 s[0:1], 4, v34
	s_add_i32 s86, s59, -1
	s_lshl_b32 s60, s59, 2
	s_and_b64 s[72:73], vcc, s[0:1]
	s_add_i32 s0, s86, s56
	s_cmpk_gt_u32 s56, 0x180
	s_cselect_b64 s[12:13], -1, 0
	s_cmp_gt_u32 s59, 63
	s_cselect_b64 s[76:77], -1, 0
	s_cmp_lt_u32 s2, s10
	s_cselect_b32 s1, 12, 18
	s_add_u32 s8, s8, s1
	s_addc_u32 s9, s9, 0
	s_bfe_u32 s3, s3, 0xa0006
	s_add_i32 s1, s3, -2
	v_writelane_b32 v60, s12, 8
	s_lshr_b32 s2, s1, 1
	v_lshlrev_b64 v[2:3], v34, -1
	v_writelane_b32 v60, s13, 9
	s_add_i32 s2, s2, 1
	v_not_b32_e32 v22, v2
	v_lshrrev_b32_e32 v2, 2, v0
	v_writelane_b32 v60, s8, 10
	s_cmpk_gt_u32 s59, 0x7f
	v_and_b32_e32 v2, 0xf0, v2
	v_writelane_b32 v60, s9, 11
	s_cselect_b64 s[8:9], -1, 0
	v_or_b32_e32 v37, 0xc00, v2
	v_writelane_b32 v60, s8, 12
	v_cvt_f32_u32_e32 v2, s60
	v_lshlrev_b32_e32 v23, 2, v0
	v_writelane_b32 v60, s9, 13
	s_and_b32 s8, s3, 0x3fe
	s_and_b32 s9, s2, 7
	s_cmp_gt_u32 s1, 13
	s_cselect_b64 s[10:11], -1, 0
	v_writelane_b32 v60, s10, 14
	v_rcp_iflag_f32_e32 v2, v2
	s_and_b32 s1, s2, -8
	v_writelane_b32 v60, s11, 15
	v_writelane_b32 v60, s1, 16
	s_cmp_lg_u32 s9, 0
	v_writelane_b32 v60, s9, 17
	s_cselect_b64 s[10:11], -1, 0
	v_writelane_b32 v60, s10, 18
	v_mul_f32_e32 v2, 0x4f7ffffe, v2
	v_cvt_u32_f32_e32 v2, v2
	v_writelane_b32 v60, s11, 19
	v_writelane_b32 v60, s3, 20
	s_cmp_lg_u32 s8, s3
	v_writelane_b32 v60, s8, 21
	s_cselect_b64 s[2:3], -1, 0
	v_writelane_b32 v60, s2, 22
	s_sub_i32 s1, 0, s60
	v_mov_b32_e32 v19, 0
	v_writelane_b32 v60, s3, 23
	v_readfirstlane_b32 s2, v2
	v_cvt_f32_u32_e32 v2, s59
	s_mul_i32 s1, s1, s2
	s_mul_hi_u32 s1, s2, s1
	s_add_i32 s78, s2, s1
	v_rcp_iflag_f32_e32 v2, v2
	s_mul_hi_u32 s1, s56, s78
	s_mul_i32 s1, s1, s60
	s_sub_i32 s1, s56, s1
	s_sub_i32 s2, s1, s60
	v_mul_f32_e32 v2, 0x4f7ffffe, v2
	s_cmp_ge_u32 s1, s60
	v_cvt_u32_f32_e32 v2, v2
	s_cselect_b32 s1, s2, s1
	s_sub_i32 s2, s1, s60
	s_cmp_ge_u32 s1, s60
	s_cselect_b32 s1, s2, s1
	s_sub_i32 s2, 0, s59
	v_readfirstlane_b32 s3, v2
	s_mul_i32 s2, s2, s3
	s_mul_hi_u32 s2, s3, s2
	s_add_i32 s87, s3, s2
	s_mul_hi_u32 s2, s0, s87
	s_mul_i32 s2, s2, s59
	s_sub_i32 s2, s0, s2
	s_sub_i32 s79, s56, s1
	s_sub_i32 s3, s2, s59
	s_cmp_ge_u32 s2, s59
	s_cselect_b32 s2, s3, s2
	s_sub_i32 s3, s2, s59
	s_cmp_ge_u32 s2, s59
	v_mul_lo_u32 v2, s58, v23
	s_cselect_b32 s2, s3, s2
	v_add_u32_e32 v39, s58, v2
	v_or_b32_e32 v2, 2, v23
	s_sub_i32 s80, s0, s2
	v_mul_lo_u32 v40, s58, v2
	v_or_b32_e32 v2, 3, v23
	s_add_i32 s0, s59, s56
	v_add_u32_e32 v38, s79, v0
	v_mul_lo_u32 v41, s58, v2
	v_add_u32_e32 v2, s0, v0
	v_lshlrev_b32_e32 v35, 3, v0
	v_mul_lo_u32 v16, s58, v0
	v_mov_b32_e32 v17, v19
	v_lshlrev_b32_e32 v4, 2, v34
	v_mul_lo_u32 v18, v38, s58
	v_cmp_gt_u32_e64 s[2:3], s80, v0
	s_mul_i32 s62, s58, s59
	v_subrev_u32_e32 v2, s1, v2
	v_cmp_eq_u32_e64 s[4:5], 0, v34
	v_cmp_gt_u32_e64 s[6:7], 2, v0
	v_add_u32_e32 v36, 0xc00, v35
	v_lshl_add_u64 v[20:21], v[16:17], 3, s[66:67]
	v_and_b32_e32 v17, 0x100, v4
	v_not_b32_e32 v1, v3
	v_cmp_gt_u32_e64 s[8:9], s79, v23
	v_cmp_gt_u32_e64 s[10:11], s56, v38
	v_lshl_add_u64 v[24:25], v[18:19], 3, s[66:67]
	v_writelane_b32 v60, s2, 24
	s_lshl_b32 s81, s62, 2
	v_lshlrev_b32_e32 v42, 2, v16
	v_mul_lo_u32 v43, s58, v2
	v_lshlrev_b32_e32 v44, 5, v0
	s_lshl_b32 s16, s59, 5
	s_lshl_b32 s17, s59, 3
	v_or_b32_e32 v45, 0xc00, v4
	s_mov_b32 s12, 62
	s_mov_b64 s[88:89], 0
	v_mov_b64_e32 v[6:7], 0
	v_mov_b32_e32 v47, s18
	v_mov_b64_e32 v[26:27], 0
	v_mov_b64_e32 v[28:29], 0
	v_mov_b32_e32 v49, s56
	v_mov_b32_e32 v2, 1
	;; [unrolled: 1-line block ×5, first 2 shown]
	s_mov_b32 s13, s20
	v_writelane_b32 v60, s3, 25
                                        ; implicit-def: $sgpr90_sgpr91
                                        ; implicit-def: $sgpr94_sgpr95
                                        ; implicit-def: $sgpr92_sgpr93
                                        ; implicit-def: $sgpr98_sgpr99
                                        ; implicit-def: $sgpr64_sgpr65
                                        ; implicit-def: $sgpr96_sgpr97
	s_branch .LBB99_20
.LBB99_17:                              ;   in Loop: Header=BB99_20 Depth=1
	s_or_b64 exec, exec, s[26:27]
	s_and_b64 s[20:21], s[20:21], exec
	s_andn2_b64 s[24:25], s[24:25], exec
	s_andn2_b64 s[22:23], s[22:23], exec
	s_orn2_b64 s[18:19], s[18:19], exec
.LBB99_18:                              ;   in Loop: Header=BB99_20 Depth=1
	s_or_b64 exec, exec, s[0:1]
	s_andn2_b64 s[0:1], s[96:97], exec
	s_and_b64 s[12:13], s[20:21], exec
	s_or_b64 s[96:97], s[0:1], s[12:13]
	s_andn2_b64 s[0:1], s[64:65], exec
	s_and_b64 s[12:13], s[24:25], exec
	s_or_b64 s[64:65], s[0:1], s[12:13]
	;; [unrolled: 3-line block ×3, first 2 shown]
	s_orn2_b64 s[18:19], s[18:19], exec
.LBB99_19:                              ;   in Loop: Header=BB99_20 Depth=1
	s_or_b64 exec, exec, s[2:3]
	s_and_b64 s[0:1], exec, s[18:19]
	s_or_b64 s[88:89], s[0:1], s[88:89]
	s_andn2_b64 s[0:1], s[92:93], exec
	s_and_b64 s[2:3], s[96:97], exec
	s_or_b64 s[92:93], s[0:1], s[2:3]
	s_andn2_b64 s[0:1], s[94:95], exec
	s_and_b64 s[2:3], s[64:65], exec
	;; [unrolled: 3-line block ×3, first 2 shown]
	s_or_b64 s[90:91], s[0:1], s[2:3]
	s_mov_b32 s13, s31
	s_mov_b32 s12, s30
	v_mov_b32_e32 v47, v9
	s_andn2_b64 exec, exec, s[88:89]
	s_cbranch_execz .LBB99_244
.LBB99_20:                              ; =>This Loop Header: Depth=1
                                        ;     Child Loop BB99_26 Depth 2
                                        ;     Child Loop BB99_39 Depth 2
	;; [unrolled: 1-line block ×17, first 2 shown]
	ds_read_b64 v[4:5], v19 offset:4104
	s_waitcnt lgkmcnt(0)
	v_readfirstlane_b32 s74, v4
	s_cmp_lg_u32 s74, 0
	s_cbranch_scc1 .LBB99_47
; %bb.21:                               ;   in Loop: Header=BB99_20 Depth=1
	v_readlane_b32 s0, v60, 8
	v_readlane_b32 s1, v60, 9
	s_and_b64 vcc, exec, s[0:1]
	s_cbranch_vccz .LBB99_34
; %bb.22:                               ;   in Loop: Header=BB99_20 Depth=1
	s_movk_i32 s0, 0x181
	v_cmp_gt_u32_e32 vcc, s0, v5
	s_mov_b64 s[18:19], 0
	s_mov_b64 s[0:1], 0
	s_cbranch_vccz .LBB99_35
; %bb.23:                               ;   in Loop: Header=BB99_20 Depth=1
	s_mov_b64 s[20:21], exec
	v_readlane_b32 s0, v60, 6
	v_readlane_b32 s1, v60, 7
	s_and_b64 s[0:1], s[20:21], s[0:1]
	s_mov_b64 exec, s[0:1]
	s_cbranch_execz .LBB99_78
; %bb.24:                               ;   in Loop: Header=BB99_20 Depth=1
	v_readlane_b32 s0, v60, 10
	v_readlane_b32 s1, v60, 11
	s_nop 4
	global_load_ushort v3, v19, s[0:1]
	global_load_dwordx2 v[4:5], v[20:21], off
	s_mov_b64 s[22:23], 0
	v_mov_b32_e32 v11, v0
	s_waitcnt vmcnt(1)
	v_add_u32_e32 v8, v0, v3
	v_mul_lo_u32 v10, s58, v3
	v_mul_lo_u32 v18, s58, v8
	s_branch .LBB99_26
.LBB99_25:                              ;   in Loop: Header=BB99_26 Depth=2
	s_or_b64 exec, exec, s[2:3]
	v_add_u32_e32 v18, v18, v10
	v_mov_b64_e32 v[4:5], v[8:9]
	s_andn2_b64 exec, exec, s[22:23]
	s_cbranch_execz .LBB99_78
.LBB99_26:                              ;   Parent Loop BB99_20 Depth=1
                                        ; =>  This Inner Loop Header: Depth=2
	v_add_u32_e32 v11, v11, v3
	v_cmp_gt_u32_e64 s[0:1], s56, v11
	v_cmp_le_u32_e32 vcc, s56, v11
	v_mov_b64_e32 v[8:9], 0
	s_and_saveexec_b64 s[2:3], s[0:1]
	s_cbranch_execz .LBB99_28
; %bb.27:                               ;   in Loop: Header=BB99_26 Depth=2
	v_lshl_add_u64 v[8:9], v[18:19], 3, s[66:67]
	global_load_dwordx2 v[8:9], v[8:9], off
.LBB99_28:                              ;   in Loop: Header=BB99_26 Depth=2
	s_or_b64 exec, exec, s[2:3]
	s_waitcnt vmcnt(0) lgkmcnt(0)
	v_xor_b32_e32 v12, 0x80000000, v5
	v_and_b32_e32 v13, v12, v29
	v_and_b32_e32 v12, v4, v28
	v_cmp_eq_u64_e64 s[0:1], v[12:13], v[26:27]
	s_cmp_lg_u64 s[0:1], 0
	s_cselect_b64 s[2:3], -1, 0
	s_and_b64 s[2:3], s[4:5], s[2:3]
	v_mov_b32_e32 v12, 0
	s_and_saveexec_b64 s[24:25], s[2:3]
	s_cbranch_execz .LBB99_32
; %bb.29:                               ;   in Loop: Header=BB99_26 Depth=2
	s_mov_b64 s[28:29], exec
	v_mbcnt_lo_u32_b32 v12, s28, 0
	v_mbcnt_hi_u32_b32 v12, s29, v12
	s_bcnt1_i32_b64 s30, s[0:1]
	v_cmp_eq_u32_e64 s[2:3], 0, v12
                                        ; implicit-def: $vgpr13
	s_and_saveexec_b64 s[26:27], s[2:3]
; %bb.30:                               ;   in Loop: Header=BB99_26 Depth=2
	s_bcnt1_i32_b64 s2, s[28:29]
	s_mul_i32 s2, s30, s2
	v_mov_b32_e32 v13, s2
	ds_add_rtn_u32 v13, v19, v13 offset:4112
; %bb.31:                               ;   in Loop: Header=BB99_26 Depth=2
	s_or_b64 exec, exec, s[26:27]
	s_waitcnt lgkmcnt(0)
	v_readfirstlane_b32 s2, v13
	s_nop 1
	v_mov_b32_e32 v13, s2
	v_mad_u32_u24 v12, s30, v12, v13
.LBB99_32:                              ;   in Loop: Header=BB99_26 Depth=2
	s_or_b64 exec, exec, s[24:25]
	ds_bpermute_b32 v12, v17, v12
	s_and_b64 s[2:3], exec, vcc
	s_or_b64 s[22:23], s[2:3], s[22:23]
	s_and_saveexec_b64 s[2:3], s[0:1]
	s_cbranch_execz .LBB99_25
; %bb.33:                               ;   in Loop: Header=BB99_26 Depth=2
	v_and_b32_e32 v14, s0, v22
	v_and_b32_e32 v13, s1, v1
	v_bcnt_u32_b32 v14, v14, 0
	v_bcnt_u32_b32 v13, v13, v14
	v_lshlrev_b32_e32 v13, 3, v13
	s_waitcnt lgkmcnt(0)
	v_lshl_add_u32 v12, v12, 3, v13
	ds_write_b64 v12, v[4:5]
	s_branch .LBB99_25
.LBB99_34:                              ;   in Loop: Header=BB99_20 Depth=1
	s_mov_b64 s[18:19], -1
	s_mov_b64 s[0:1], 0
.LBB99_35:                              ;   in Loop: Header=BB99_20 Depth=1
	s_and_b64 vcc, exec, s[18:19]
	s_cbranch_vccz .LBB99_45
.LBB99_36:                              ;   in Loop: Header=BB99_20 Depth=1
	s_mov_b64 s[0:1], exec
	v_readlane_b32 s2, v60, 6
	v_readlane_b32 s3, v60, 7
	s_and_b64 s[2:3], s[0:1], s[2:3]
	s_mov_b64 exec, s[2:3]
	s_cbranch_execz .LBB99_42
; %bb.37:                               ;   in Loop: Header=BB99_20 Depth=1
	v_readlane_b32 s2, v60, 10
	v_readlane_b32 s3, v60, 11
	s_nop 4
	global_load_ushort v3, v19, s[2:3]
	global_load_dwordx2 v[4:5], v[20:21], off
	v_mov_b32_e32 v10, v0
	s_waitcnt vmcnt(1)
	v_add_u32_e32 v8, v0, v3
	v_cmp_gt_u32_e32 vcc, s56, v8
	s_and_saveexec_b64 s[2:3], vcc
	s_cbranch_execz .LBB99_41
; %bb.38:                               ;   in Loop: Header=BB99_20 Depth=1
	v_lshlrev_b32_e32 v11, 3, v3
	v_mul_lo_u32 v18, s58, v8
	v_mul_lo_u32 v12, s58, v3
	s_mov_b64 s[18:19], 0
	v_mov_b32_e32 v13, v35
	v_mov_b32_e32 v10, v0
.LBB99_39:                              ;   Parent Loop BB99_20 Depth=1
                                        ; =>  This Inner Loop Header: Depth=2
	v_lshl_add_u64 v[8:9], v[18:19], 3, s[66:67]
	global_load_dwordx2 v[8:9], v[8:9], off
	v_add_u32_e32 v10, v10, v3
	s_waitcnt vmcnt(1)
	ds_write_b64 v13, v[4:5]
	v_add_u32_e32 v4, v3, v10
	v_cmp_le_u32_e32 vcc, s56, v4
	v_add_u32_e32 v13, v13, v11
	v_add_u32_e32 v18, v18, v12
	s_or_b64 s[18:19], vcc, s[18:19]
	s_waitcnt vmcnt(0)
	v_mov_b64_e32 v[4:5], v[8:9]
	s_andn2_b64 exec, exec, s[18:19]
	s_cbranch_execnz .LBB99_39
; %bb.40:                               ;   in Loop: Header=BB99_20 Depth=1
	s_or_b64 exec, exec, s[18:19]
	v_mov_b64_e32 v[4:5], v[8:9]
.LBB99_41:                              ;   in Loop: Header=BB99_20 Depth=1
	s_or_b64 exec, exec, s[2:3]
	v_lshlrev_b32_e32 v3, 3, v10
	s_waitcnt vmcnt(0)
	ds_write_b64 v3, v[4:5]
.LBB99_42:                              ;   in Loop: Header=BB99_20 Depth=1
	s_or_b64 exec, exec, s[0:1]
	s_waitcnt lgkmcnt(0)
	s_barrier
	s_and_saveexec_b64 s[0:1], s[14:15]
; %bb.43:                               ;   in Loop: Header=BB99_20 Depth=1
	ds_write_b32 v19, v49 offset:4104
; %bb.44:                               ;   in Loop: Header=BB99_20 Depth=1
	s_or_b64 exec, exec, s[0:1]
	s_mov_b64 s[0:1], -1
	s_waitcnt lgkmcnt(0)
	s_barrier
.LBB99_45:                              ;   in Loop: Header=BB99_20 Depth=1
	s_mov_b32 s74, 0
	s_and_b64 vcc, exec, s[0:1]
	s_cbranch_vccz .LBB99_47
; %bb.46:                               ;   in Loop: Header=BB99_20 Depth=1
	ds_read_b32 v3, v19 offset:4104
	s_waitcnt lgkmcnt(0)
	v_readfirstlane_b32 s74, v3
.LBB99_47:                              ;   in Loop: Header=BB99_20 Depth=1
	s_cmp_lt_i32 s74, 1
	s_mov_b64 s[0:1], -1
                                        ; implicit-def: $vgpr10_vgpr11
	s_cbranch_scc1 .LBB99_57
; %bb.48:                               ;   in Loop: Header=BB99_20 Depth=1
	s_and_b64 vcc, exec, s[0:1]
	s_cbranch_vccnz .LBB99_68
.LBB99_49:                              ;   in Loop: Header=BB99_20 Depth=1
	s_lshl_b32 s18, s13, 6
	s_and_saveexec_b64 s[0:1], s[4:5]
.LBB99_50:                              ;   in Loop: Header=BB99_20 Depth=1
	v_lshl_add_u32 v3, s18, 2, v37
	ds_write_b128 v3, v[8:11]
.LBB99_51:                              ;   in Loop: Header=BB99_20 Depth=1
	s_or_b64 exec, exec, s[0:1]
	s_waitcnt lgkmcnt(0)
	s_barrier
	s_and_saveexec_b64 s[0:1], s[72:73]
	s_cbranch_execz .LBB99_88
; %bb.52:                               ;   in Loop: Header=BB99_20 Depth=1
	v_add_u32_e32 v3, s18, v34
	s_andn2_b64 vcc, exec, s[76:77]
	v_mov_b32_e32 v4, 0
	s_cbranch_vccnz .LBB99_87
; %bb.53:                               ;   in Loop: Header=BB99_20 Depth=1
	v_readlane_b32 s2, v60, 12
	v_readlane_b32 s3, v60, 13
	s_andn2_b64 vcc, exec, s[2:3]
	s_cbranch_vccnz .LBB99_77
; %bb.54:                               ;   in Loop: Header=BB99_20 Depth=1
	v_readlane_b32 s2, v60, 14
	v_readlane_b32 s3, v60, 15
	s_andn2_b64 vcc, exec, s[2:3]
	v_lshl_add_u32 v8, v3, 2, v46
	s_cbranch_vccnz .LBB99_81
; %bb.55:                               ;   in Loop: Header=BB99_20 Depth=1
	s_mov_b32 s3, 1
	s_mov_b32 s2, 0
	v_mov_b32_e32 v4, 0
	v_mov_b32_e32 v5, 0
	v_readlane_b32 s19, v60, 16
.LBB99_56:                              ;   Parent Loop BB99_20 Depth=1
                                        ; =>  This Inner Loop Header: Depth=2
	v_lshl_add_u32 v9, s2, 4, v8
	v_lshl_add_u32 v18, s3, 4, v8
	ds_read2_b32 v[10:11], v9 offset1:8
	ds_read2_b32 v[12:13], v18 offset1:8
	ds_read2_b32 v[14:15], v9 offset0:16 offset1:24
	ds_read2_b32 v[30:31], v18 offset0:16 offset1:24
	;; [unrolled: 1-line block ×6, first 2 shown]
	s_waitcnt lgkmcnt(7)
	v_add3_u32 v4, v10, v4, v11
	s_waitcnt lgkmcnt(6)
	v_add3_u32 v5, v12, v5, v13
	;; [unrolled: 2-line block ×3, first 2 shown]
	v_add3_u32 v4, v14, v4, v15
	s_add_i32 s3, s3, 16
	s_add_i32 s2, s2, 16
	s_add_i32 s19, s19, -8
	s_waitcnt lgkmcnt(3)
	v_add3_u32 v4, v32, v4, v33
	s_waitcnt lgkmcnt(2)
	v_add3_u32 v5, v52, v5, v53
	s_cmp_lg_u32 s19, 0
	s_waitcnt lgkmcnt(0)
	v_add3_u32 v5, v56, v5, v57
	v_add3_u32 v4, v54, v4, v55
	s_cbranch_scc1 .LBB99_56
	s_branch .LBB99_82
.LBB99_57:                              ;   in Loop: Header=BB99_20 Depth=1
	v_mov_b32_e32 v18, v19
	v_mov_b64_e32 v[10:11], v[18:19]
	v_mov_b64_e32 v[8:9], v[18:19]
	s_and_saveexec_b64 s[44:45], s[8:9]
	s_cbranch_execz .LBB99_61
; %bb.58:                               ;   in Loop: Header=BB99_20 Depth=1
	s_mov_b32 s52, 0
	s_mov_b64 s[46:47], 0
	v_mov_b32_e32 v3, v23
	s_mov_b32 s50, 0
	s_mov_b32 s51, s52
	;; [unrolled: 1-line block ×4, first 2 shown]
.LBB99_59:                              ;   Parent Loop BB99_20 Depth=1
                                        ; =>  This Inner Loop Header: Depth=2
	v_add_u32_e32 v18, s52, v42
	v_lshl_add_u64 v[12:13], v[18:19], 3, s[66:67]
	v_add_u32_e32 v18, s52, v39
	global_load_dwordx2 v[12:13], v[12:13], off
	v_lshl_add_u64 v[14:15], v[18:19], 3, s[66:67]
	v_add_u32_e32 v18, s52, v40
	global_load_dwordx2 v[14:15], v[14:15], off
	;; [unrolled: 3-line block ×3, first 2 shown]
	v_lshl_add_u64 v[32:33], v[18:19], 3, s[66:67]
	global_load_dwordx2 v[32:33], v[32:33], off
	v_mov_b32_e32 v11, v19
	v_mov_b32_e32 v9, v19
	;; [unrolled: 1-line block ×3, first 2 shown]
	v_add_u32_e32 v3, s60, v3
	v_cmp_le_u32_e32 vcc, s79, v3
	s_add_i32 s52, s52, s81
	s_waitcnt vmcnt(3)
	v_xor_b32_e32 v13, 0x80000000, v13
	v_and_b32_e32 v52, v12, v28
	v_and_b32_e32 v53, v13, v29
	v_lshrrev_b64 v[12:13], s12, v[12:13]
	s_waitcnt vmcnt(2)
	v_xor_b32_e32 v15, 0x80000000, v15
	v_and_b32_e32 v18, 3, v12
	v_cmp_eq_u64_e64 s[0:1], v[52:53], v[26:27]
	v_lshrrev_b64 v[12:13], s12, v[14:15]
	v_cmp_eq_u64_e64 s[18:19], 0, v[18:19]
	s_waitcnt vmcnt(1)
	v_xor_b32_e32 v31, 0x80000000, v31
	v_and_b32_e32 v10, 3, v12
	v_cmp_eq_u64_e64 s[20:21], 1, v[18:19]
	s_and_b64 s[18:19], s[0:1], s[18:19]
	v_and_b32_e32 v54, v14, v28
	v_and_b32_e32 v55, v15, v29
	s_waitcnt vmcnt(0)
	v_xor_b32_e32 v33, 0x80000000, v33
	v_lshrrev_b64 v[12:13], s12, v[30:31]
	v_cmp_eq_u64_e64 s[22:23], 2, v[18:19]
	v_cmp_eq_u64_e64 s[28:29], 0, v[10:11]
	v_cmp_eq_u64_e64 s[30:31], 1, v[10:11]
	v_cmp_eq_u64_e64 s[34:35], 2, v[10:11]
	v_cmp_eq_u64_e64 s[36:37], 3, v[10:11]
	v_cndmask_b32_e64 v10, 0, 1, s[18:19]
	s_and_b64 s[18:19], s[0:1], s[20:21]
	v_and_b32_e32 v52, v30, v28
	v_cmp_eq_u64_e64 s[2:3], v[54:55], v[26:27]
	v_and_b32_e32 v53, v31, v29
	v_cmp_eq_u64_e64 s[24:25], 3, v[18:19]
	v_and_b32_e32 v8, 3, v12
	v_lshrrev_b64 v[12:13], s12, v[32:33]
	v_cndmask_b32_e64 v11, 0, 1, s[18:19]
	s_and_b64 s[18:19], s[0:1], s[22:23]
	v_cmp_eq_u64_e64 s[26:27], v[52:53], v[26:27]
	v_cndmask_b32_e64 v13, 0, 1, s[18:19]
	s_and_b64 s[0:1], s[0:1], s[24:25]
	v_cmp_eq_u64_e64 s[18:19], 0, v[8:9]
	v_cmp_eq_u64_e64 s[20:21], 1, v[8:9]
	s_and_b64 s[30:31], s[2:3], s[30:31]
	s_and_b64 s[34:35], s[2:3], s[34:35]
	v_and_b32_e32 v14, v32, v28
	v_and_b32_e32 v15, v33, v29
	v_cndmask_b32_e64 v18, 0, 1, s[0:1]
	v_and_b32_e32 v4, 3, v12
	v_cmp_eq_u64_e64 s[22:23], 2, v[8:9]
	v_cmp_eq_u64_e64 s[24:25], 3, v[8:9]
	v_cmp_ne_u32_e64 s[38:39], 0, v10
	s_and_b64 s[28:29], s[2:3], s[28:29]
	v_cndmask_b32_e64 v9, 0, 1, s[30:31]
	v_cndmask_b32_e64 v10, 0, 1, s[34:35]
	s_and_b64 s[2:3], s[2:3], s[36:37]
	s_and_b64 s[18:19], s[26:27], s[18:19]
	;; [unrolled: 1-line block ×3, first 2 shown]
	v_cmp_eq_u64_e64 s[0:1], v[14:15], v[26:27]
	v_cndmask_b32_e64 v8, 0, 1, s[28:29]
	v_cmp_ne_u32_e64 s[28:29], 0, v11
	v_cmp_ne_u32_e64 s[30:31], 0, v13
	;; [unrolled: 1-line block ×3, first 2 shown]
	v_cndmask_b32_e64 v11, 0, 1, s[2:3]
	v_cmp_eq_u64_e64 s[2:3], 0, v[4:5]
	v_cmp_eq_u64_e64 s[36:37], 1, v[4:5]
	;; [unrolled: 1-line block ×4, first 2 shown]
	v_cndmask_b32_e64 v4, 0, 1, s[18:19]
	v_cmp_ne_u32_e64 s[18:19], 0, v9
	v_cndmask_b32_e64 v5, 0, 1, s[20:21]
	v_cmp_ne_u32_e64 s[20:21], 0, v10
	s_and_b64 s[22:23], s[26:27], s[22:23]
	s_and_b64 s[24:25], s[26:27], s[24:25]
	s_bcnt1_i32_b64 s53, s[38:39]
	v_cmp_ne_u32_e64 s[38:39], 0, v8
	s_bcnt1_i32_b64 s28, s[28:29]
	s_bcnt1_i32_b64 s29, s[30:31]
	v_cndmask_b32_e64 v8, 0, 1, s[22:23]
	s_bcnt1_i32_b64 s30, s[34:35]
	v_cmp_ne_u32_e64 s[22:23], 0, v11
	v_cndmask_b32_e64 v9, 0, 1, s[24:25]
	s_and_b64 s[2:3], s[0:1], s[2:3]
	s_bcnt1_i32_b64 s27, s[18:19]
	s_and_b64 s[18:19], s[0:1], s[36:37]
	s_bcnt1_i32_b64 s34, s[20:21]
	s_and_b64 s[20:21], s[0:1], s[40:41]
	s_and_b64 s[0:1], s[0:1], s[42:43]
	s_bcnt1_i32_b64 s26, s[38:39]
	v_cmp_ne_u32_e64 s[24:25], 0, v4
	v_cndmask_b32_e64 v4, 0, 1, s[2:3]
	v_cmp_ne_u32_e64 s[2:3], 0, v5
	v_cndmask_b32_e64 v5, 0, 1, s[18:19]
	s_add_i32 s31, s50, s53
	s_add_i32 s28, s51, s28
	v_cmp_ne_u32_e64 s[18:19], 0, v8
	v_cndmask_b32_e64 v8, 0, 1, s[20:21]
	s_bcnt1_i32_b64 s22, s[22:23]
	v_cmp_ne_u32_e64 s[20:21], 0, v9
	v_cndmask_b32_e64 v9, 0, 1, s[0:1]
	s_add_i32 s23, s48, s29
	s_add_i32 s29, s49, s30
	s_bcnt1_i32_b64 s24, s[24:25]
	v_cmp_ne_u32_e64 s[0:1], 0, v4
	s_bcnt1_i32_b64 s25, s[2:3]
	v_cmp_ne_u32_e64 s[2:3], 0, v5
	s_add_i32 s27, s28, s27
	s_add_i32 s26, s31, s26
	s_bcnt1_i32_b64 s28, s[18:19]
	v_cmp_ne_u32_e64 s[18:19], 0, v8
	s_bcnt1_i32_b64 s30, s[20:21]
	v_cmp_ne_u32_e64 s[20:21], 0, v9
	s_add_i32 s22, s29, s22
	s_add_i32 s23, s23, s34
	s_bcnt1_i32_b64 s0, s[0:1]
	s_bcnt1_i32_b64 s1, s[2:3]
	s_add_i32 s2, s26, s24
	s_add_i32 s3, s27, s25
	s_bcnt1_i32_b64 s18, s[18:19]
	s_bcnt1_i32_b64 s19, s[20:21]
	s_add_i32 s20, s23, s28
	s_add_i32 s21, s22, s30
	;; [unrolled: 1-line block ×6, first 2 shown]
	s_or_b64 s[46:47], vcc, s[46:47]
	v_mov_b64_e32 v[8:9], s[50:51]
	v_mov_b64_e32 v[10:11], s[48:49]
	s_andn2_b64 exec, exec, s[46:47]
	s_cbranch_execnz .LBB99_59
; %bb.60:                               ;   in Loop: Header=BB99_20 Depth=1
	s_or_b64 exec, exec, s[46:47]
.LBB99_61:                              ;   in Loop: Header=BB99_20 Depth=1
	s_or_b64 exec, exec, s[44:45]
	s_and_saveexec_b64 s[2:3], s[10:11]
	s_cbranch_execz .LBB99_67
; %bb.62:                               ;   in Loop: Header=BB99_20 Depth=1
	global_load_dwordx2 v[14:15], v[24:25], off
	s_mov_b64 s[18:19], 0
	v_mov_b32_e32 v4, v43
	v_mov_b32_e32 v3, v38
	s_branch .LBB99_64
.LBB99_63:                              ;   in Loop: Header=BB99_64 Depth=2
	s_or_b64 exec, exec, s[20:21]
	s_waitcnt vmcnt(0)
	v_xor_b32_e32 v15, 0x80000000, v15
	v_and_b32_e32 v31, v15, v29
	v_and_b32_e32 v30, v14, v28
	v_lshrrev_b64 v[14:15], s12, v[14:15]
	s_and_b64 s[0:1], exec, vcc
	v_and_b32_e32 v18, 3, v14
	s_or_b64 s[18:19], s[0:1], s[18:19]
	v_cmp_eq_u64_e32 vcc, v[30:31], v[26:27]
	v_cmp_eq_u64_e64 s[0:1], 0, v[18:19]
	s_and_b64 s[0:1], vcc, s[0:1]
	v_add_u32_e32 v4, s62, v4
	v_cndmask_b32_e64 v5, 0, 1, s[0:1]
	v_cmp_ne_u32_e64 s[0:1], 0, v5
	s_bcnt1_i32_b64 s20, s[0:1]
	v_cmp_eq_u64_e64 s[0:1], 1, v[18:19]
	s_and_b64 s[0:1], vcc, s[0:1]
	v_add_u32_e32 v8, s20, v8
	v_cndmask_b32_e64 v5, 0, 1, s[0:1]
	v_cmp_ne_u32_e64 s[0:1], 0, v5
	s_bcnt1_i32_b64 s0, s[0:1]
	v_mov_b64_e32 v[14:15], v[12:13]
	v_add_u32_e32 v9, s0, v9
	v_cmp_eq_u64_e64 s[0:1], 2, v[18:19]
	s_and_b64 s[0:1], vcc, s[0:1]
	s_nop 0
	v_cndmask_b32_e64 v5, 0, 1, s[0:1]
	v_cmp_ne_u32_e64 s[0:1], 0, v5
	s_bcnt1_i32_b64 s20, s[0:1]
	v_cmp_eq_u64_e64 s[0:1], 3, v[18:19]
	s_and_b64 s[0:1], vcc, s[0:1]
	v_add_u32_e32 v10, s20, v10
	v_cndmask_b32_e64 v5, 0, 1, s[0:1]
	v_cmp_ne_u32_e32 vcc, 0, v5
	s_bcnt1_i32_b64 s0, vcc
	v_add_u32_e32 v11, s0, v11
	s_andn2_b64 exec, exec, s[18:19]
	s_cbranch_execz .LBB99_66
.LBB99_64:                              ;   Parent Loop BB99_20 Depth=1
                                        ; =>  This Inner Loop Header: Depth=2
	v_add_u32_e32 v3, s59, v3
	v_cmp_gt_u32_e64 s[0:1], s56, v3
	v_cmp_le_u32_e32 vcc, s56, v3
	v_mov_b64_e32 v[12:13], 0
	s_and_saveexec_b64 s[20:21], s[0:1]
	s_cbranch_execz .LBB99_63
; %bb.65:                               ;   in Loop: Header=BB99_64 Depth=2
	v_mov_b32_e32 v5, v19
	v_lshl_add_u64 v[12:13], v[4:5], 3, s[66:67]
	global_load_dwordx2 v[12:13], v[12:13], off
	s_branch .LBB99_63
.LBB99_66:                              ;   in Loop: Header=BB99_20 Depth=1
	s_or_b64 exec, exec, s[18:19]
.LBB99_67:                              ;   in Loop: Header=BB99_20 Depth=1
	s_or_b64 exec, exec, s[2:3]
	s_branch .LBB99_49
.LBB99_68:                              ;   in Loop: Header=BB99_20 Depth=1
	s_mul_hi_u32 s0, s74, s78
	s_mul_i32 s0, s0, s60
	s_sub_i32 s0, s74, s0
	s_sub_i32 s1, s0, s60
	s_cmp_ge_u32 s0, s60
	s_cselect_b32 s0, s1, s0
	s_sub_i32 s1, s0, s60
	s_cmp_ge_u32 s0, s60
	s_cselect_b32 s0, s1, s0
	s_sub_i32 s75, s74, s0
	v_mov_b32_e32 v18, v19
	v_cmp_gt_u32_e32 vcc, s75, v23
	v_mov_b64_e32 v[10:11], v[18:19]
	v_mov_b64_e32 v[8:9], v[18:19]
	s_and_saveexec_b64 s[68:69], vcc
	s_cbranch_execz .LBB99_72
; %bb.69:                               ;   in Loop: Header=BB99_20 Depth=1
	s_mov_b32 s84, 0
	s_mov_b64 s[70:71], 0
	v_mov_b32_e32 v3, v44
	v_mov_b32_e32 v48, v23
	s_mov_b32 s85, s84
	s_mov_b32 s82, s84
	;; [unrolled: 1-line block ×3, first 2 shown]
.LBB99_70:                              ;   Parent Loop BB99_20 Depth=1
                                        ; =>  This Inner Loop Header: Depth=2
	ds_read_b128 v[12:15], v3
	ds_read_b128 v[8:11], v3 offset:16
	v_mov_b32_e32 v5, v19
	v_mov_b32_e32 v31, v19
	;; [unrolled: 1-line block ×3, first 2 shown]
	s_waitcnt lgkmcnt(1)
	v_xor_b32_e32 v13, 0x80000000, v13
	v_xor_b32_e32 v15, 0x80000000, v15
	v_and_b32_e32 v52, v12, v28
	v_and_b32_e32 v53, v13, v29
	v_lshrrev_b64 v[12:13], s12, v[12:13]
	s_waitcnt lgkmcnt(0)
	v_xor_b32_e32 v9, 0x80000000, v9
	v_and_b32_e32 v54, v14, v28
	v_and_b32_e32 v55, v15, v29
	v_lshrrev_b64 v[14:15], s12, v[14:15]
	v_and_b32_e32 v18, 3, v12
	v_xor_b32_e32 v11, 0x80000000, v11
	v_and_b32_e32 v56, v8, v28
	v_and_b32_e32 v57, v9, v29
	v_lshrrev_b64 v[8:9], s12, v[8:9]
	v_cmp_eq_u64_e64 s[0:1], v[52:53], v[26:27]
	v_and_b32_e32 v4, 3, v14
	v_cmp_eq_u64_e64 s[22:23], 0, v[18:19]
	v_and_b32_e32 v58, v10, v28
	v_and_b32_e32 v59, v11, v29
	v_lshrrev_b64 v[10:11], s12, v[10:11]
	v_cmp_eq_u64_e64 s[2:3], v[54:55], v[26:27]
	v_and_b32_e32 v30, 3, v8
	v_cmp_eq_u64_e64 s[24:25], 0, v[4:5]
	s_and_b64 s[22:23], s[0:1], s[22:23]
	v_cmp_eq_u64_e64 s[18:19], v[56:57], v[26:27]
	v_and_b32_e32 v32, 3, v10
	v_cmp_eq_u64_e64 s[26:27], 0, v[30:31]
	v_cmp_eq_u64_e64 s[34:35], 1, v[4:5]
	;; [unrolled: 1-line block ×4, first 2 shown]
	v_cndmask_b32_e64 v4, 0, 1, s[22:23]
	s_and_b64 s[22:23], s[2:3], s[24:25]
	v_cmp_eq_u64_e64 s[20:21], v[58:59], v[26:27]
	v_cmp_eq_u64_e64 s[28:29], 0, v[32:33]
	v_cndmask_b32_e64 v5, 0, 1, s[22:23]
	s_and_b64 s[22:23], s[18:19], s[26:27]
	v_cmp_eq_u64_e64 s[30:31], 1, v[18:19]
	v_cndmask_b32_e64 v8, 0, 1, s[22:23]
	s_and_b64 s[22:23], s[20:21], s[28:29]
	v_cndmask_b32_e64 v9, 0, 1, s[22:23]
	s_and_b64 s[22:23], s[0:1], s[30:31]
	v_cmp_eq_u64_e64 s[36:37], 1, v[30:31]
	v_cndmask_b32_e64 v10, 0, 1, s[22:23]
	s_and_b64 s[22:23], s[2:3], s[34:35]
	v_cmp_eq_u64_e64 s[38:39], 1, v[32:33]
	;; [unrolled: 3-line block ×3, first 2 shown]
	v_cmp_eq_u64_e64 s[48:49], 3, v[18:19]
	v_cndmask_b32_e64 v12, 0, 1, s[22:23]
	s_and_b64 s[22:23], s[20:21], s[38:39]
	v_cndmask_b32_e64 v13, 0, 1, s[22:23]
	s_and_b64 s[22:23], s[0:1], s[40:41]
	s_and_b64 s[0:1], s[0:1], s[48:49]
	v_cmp_eq_u64_e64 s[44:45], 2, v[30:31]
	v_cmp_eq_u64_e64 s[52:53], 3, v[30:31]
	v_cndmask_b32_e64 v14, 0, 1, s[22:23]
	s_and_b64 s[22:23], s[2:3], s[42:43]
	v_cndmask_b32_e64 v31, 0, 1, s[0:1]
	s_and_b64 s[0:1], s[2:3], s[50:51]
	v_cmp_eq_u64_e64 s[46:47], 2, v[32:33]
	v_cmp_eq_u64_e64 s[54:55], 3, v[32:33]
	v_cndmask_b32_e64 v15, 0, 1, s[22:23]
	s_and_b64 s[22:23], s[18:19], s[44:45]
	v_cndmask_b32_e64 v32, 0, 1, s[0:1]
	s_and_b64 s[0:1], s[18:19], s[52:53]
	;; [unrolled: 2-line block ×4, first 2 shown]
	v_cndmask_b32_e64 v30, 0, 1, s[22:23]
	v_cndmask_b32_e64 v52, 0, 1, s[0:1]
	v_cmp_ne_u32_e64 s[0:1], 0, v4
	v_cmp_ne_u32_e64 s[2:3], 0, v5
	;; [unrolled: 1-line block ×11, first 2 shown]
	s_bcnt1_i32_b64 s0, s[0:1]
	s_bcnt1_i32_b64 s1, s[2:3]
	;; [unrolled: 1-line block ×8, first 2 shown]
	v_cmp_ne_u32_e64 s[28:29], 0, v13
	v_cmp_ne_u32_e64 s[36:37], 0, v18
	;; [unrolled: 1-line block ×3, first 2 shown]
	s_bcnt1_i32_b64 s19, s[24:25]
	s_bcnt1_i32_b64 s23, s[34:35]
	;; [unrolled: 1-line block ×3, first 2 shown]
	s_add_i32 s0, s84, s0
	s_add_i32 s18, s85, s18
	s_add_i32 s22, s82, s22
	s_add_i32 s26, s83, s26
	v_cmp_ne_u32_e64 s[38:39], 0, v30
	v_cmp_ne_u32_e64 s[46:47], 0, v52
	s_bcnt1_i32_b64 s21, s[28:29]
	s_bcnt1_i32_b64 s24, s[36:37]
	;; [unrolled: 1-line block ×3, first 2 shown]
	s_add_i32 s18, s18, s19
	s_add_i32 s0, s0, s1
	;; [unrolled: 1-line block ×4, first 2 shown]
	v_add_u32_e32 v48, s60, v48
	s_bcnt1_i32_b64 s25, s[38:39]
	s_bcnt1_i32_b64 s29, s[46:47]
	s_add_i32 s0, s0, s2
	s_add_i32 s2, s18, s20
	;; [unrolled: 1-line block ×4, first 2 shown]
	v_cmp_le_u32_e32 vcc, s75, v48
	s_add_i32 s85, s2, s21
	s_add_i32 s84, s0, s3
	;; [unrolled: 1-line block ×4, first 2 shown]
	v_add_u32_e32 v3, s16, v3
	s_or_b64 s[70:71], vcc, s[70:71]
	v_mov_b64_e32 v[8:9], s[84:85]
	v_mov_b64_e32 v[10:11], s[82:83]
	s_andn2_b64 exec, exec, s[70:71]
	s_cbranch_execnz .LBB99_70
; %bb.71:                               ;   in Loop: Header=BB99_20 Depth=1
	s_or_b64 exec, exec, s[70:71]
.LBB99_72:                              ;   in Loop: Header=BB99_20 Depth=1
	s_or_b64 exec, exec, s[68:69]
	v_add_u32_e32 v3, s75, v0
	v_cmp_gt_u32_e32 vcc, s74, v3
	s_and_saveexec_b64 s[24:25], vcc
	s_cbranch_execz .LBB99_76
; %bb.73:                               ;   in Loop: Header=BB99_20 Depth=1
	v_lshlrev_b32_e32 v4, 3, v3
	s_mov_b64 s[26:27], 0
.LBB99_74:                              ;   Parent Loop BB99_20 Depth=1
                                        ; =>  This Inner Loop Header: Depth=2
	ds_read_b64 v[12:13], v4
	v_add_u32_e32 v3, s59, v3
	v_cmp_le_u32_e32 vcc, s74, v3
	v_add_u32_e32 v4, s17, v4
	s_waitcnt lgkmcnt(0)
	v_xor_b32_e32 v13, 0x80000000, v13
	v_and_b32_e32 v14, v12, v28
	v_and_b32_e32 v15, v13, v29
	v_lshrrev_b64 v[12:13], s12, v[12:13]
	v_and_b32_e32 v18, 3, v12
	v_cmp_eq_u64_e64 s[0:1], v[14:15], v[26:27]
	v_cmp_eq_u64_e64 s[2:3], 0, v[18:19]
	;; [unrolled: 1-line block ×3, first 2 shown]
	s_and_b64 s[2:3], s[0:1], s[2:3]
	v_cmp_eq_u64_e64 s[20:21], 2, v[18:19]
	v_cmp_eq_u64_e64 s[22:23], 3, v[18:19]
	v_cndmask_b32_e64 v5, 0, 1, s[2:3]
	s_and_b64 s[2:3], s[0:1], s[18:19]
	v_cndmask_b32_e64 v12, 0, 1, s[2:3]
	s_and_b64 s[2:3], s[0:1], s[20:21]
	s_and_b64 s[0:1], s[0:1], s[22:23]
	v_cndmask_b32_e64 v13, 0, 1, s[2:3]
	v_cndmask_b32_e64 v14, 0, 1, s[0:1]
	v_cmp_ne_u32_e64 s[0:1], 0, v5
	v_cmp_ne_u32_e64 s[2:3], 0, v12
	v_cmp_ne_u32_e64 s[18:19], 0, v13
	v_cmp_ne_u32_e64 s[20:21], 0, v14
	s_bcnt1_i32_b64 s0, s[0:1]
	s_bcnt1_i32_b64 s1, s[2:3]
	;; [unrolled: 1-line block ×4, first 2 shown]
	v_add_u32_e32 v9, s1, v9
	v_add_u32_e32 v8, s0, v8
	;; [unrolled: 1-line block ×3, first 2 shown]
	s_or_b64 s[26:27], vcc, s[26:27]
	v_add_u32_e32 v10, s2, v10
	s_andn2_b64 exec, exec, s[26:27]
	s_cbranch_execnz .LBB99_74
; %bb.75:                               ;   in Loop: Header=BB99_20 Depth=1
	s_or_b64 exec, exec, s[26:27]
.LBB99_76:                              ;   in Loop: Header=BB99_20 Depth=1
	s_or_b64 exec, exec, s[24:25]
	s_lshl_b32 s18, s13, 6
	s_and_saveexec_b64 s[0:1], s[4:5]
	s_cbranch_execnz .LBB99_50
	s_branch .LBB99_51
.LBB99_77:                              ;   in Loop: Header=BB99_20 Depth=1
	v_mov_b32_e32 v4, 0
	s_mov_b32 s19, 0
	s_cbranch_execnz .LBB99_85
	s_branch .LBB99_87
.LBB99_78:                              ;   in Loop: Header=BB99_20 Depth=1
	s_or_b64 exec, exec, s[20:21]
	s_waitcnt lgkmcnt(0)
	s_barrier
	s_and_saveexec_b64 s[0:1], s[14:15]
	s_cbranch_execz .LBB99_80
; %bb.79:                               ;   in Loop: Header=BB99_20 Depth=1
	ds_read_b32 v3, v19 offset:4112
	s_waitcnt lgkmcnt(0)
	ds_write_b32 v19, v3 offset:4104
.LBB99_80:                              ;   in Loop: Header=BB99_20 Depth=1
	s_or_b64 exec, exec, s[0:1]
	s_waitcnt lgkmcnt(0)
	s_barrier
	s_mov_b64 s[0:1], -1
	s_and_b64 vcc, exec, s[18:19]
	s_cbranch_vccnz .LBB99_36
	s_branch .LBB99_45
.LBB99_81:                              ;   in Loop: Header=BB99_20 Depth=1
	v_mov_b32_e32 v18, v19
	s_mov_b32 s2, 0
	v_mov_b64_e32 v[4:5], v[18:19]
	s_mov_b32 s3, 1
.LBB99_82:                              ;   in Loop: Header=BB99_20 Depth=1
	v_readlane_b32 s20, v60, 18
	v_readlane_b32 s21, v60, 19
	s_andn2_b64 vcc, exec, s[20:21]
	v_readlane_b32 s19, v60, 17
	s_cbranch_vccnz .LBB99_84
.LBB99_83:                              ;   Parent Loop BB99_20 Depth=1
                                        ; =>  This Inner Loop Header: Depth=2
	v_lshl_add_u32 v9, s2, 4, v8
	v_lshl_add_u32 v10, s3, 4, v8
	ds_read_b32 v10, v10
	ds_read_b32 v9, v9
	s_add_i32 s3, s3, 2
	s_add_i32 s2, s2, 2
	s_add_i32 s19, s19, -1
	s_cmp_lg_u32 s19, 0
	s_waitcnt lgkmcnt(1)
	v_add_u32_e32 v5, v10, v5
	s_waitcnt lgkmcnt(0)
	v_add_u32_e32 v4, v9, v4
	s_cbranch_scc1 .LBB99_83
.LBB99_84:                              ;   in Loop: Header=BB99_20 Depth=1
	v_readlane_b32 s2, v60, 22
	v_add_u32_e32 v4, v4, v5
	v_readlane_b32 s19, v60, 21
	v_readlane_b32 s3, v60, 23
	s_and_b64 vcc, exec, s[2:3]
	s_cbranch_vccz .LBB99_87
.LBB99_85:                              ;   in Loop: Header=BB99_20 Depth=1
	s_lshl_b32 s2, s13, 8
	s_lshl_b32 s3, s19, 4
	s_add_i32 s2, s2, s3
	v_add_u32_e32 v5, s2, v45
	v_readlane_b32 s2, v60, 20
	s_sub_i32 s2, s2, s19
.LBB99_86:                              ;   Parent Loop BB99_20 Depth=1
                                        ; =>  This Inner Loop Header: Depth=2
	ds_read_b32 v8, v5
	s_add_i32 s2, s2, -1
	v_add_u32_e32 v5, 16, v5
	s_cmp_eq_u32 s2, 0
	s_waitcnt lgkmcnt(0)
	v_add_u32_e32 v4, v8, v4
	s_cbranch_scc0 .LBB99_86
.LBB99_87:                              ;   in Loop: Header=BB99_20 Depth=1
	v_lshlrev_b32_e32 v3, 2, v3
	ds_write_b32 v3, v4 offset:3072
.LBB99_88:                              ;   in Loop: Header=BB99_20 Depth=1
	s_or_b64 exec, exec, s[0:1]
	s_lshl_b32 s0, s18, 2
	v_mov_b32_e32 v3, s0
	s_waitcnt lgkmcnt(0)
	s_barrier
	ds_read_b128 v[8:11], v3 offset:3072
	s_lshl_b64 s[0:1], 3, s12
	s_not_b64 s[26:27], s[0:1]
	v_cmp_eq_u32_e32 vcc, 1, v47
	s_mov_b64 s[18:19], -1
	s_waitcnt lgkmcnt(0)
	v_readfirstlane_b32 s42, v8
	s_cmp_eq_u32 s42, 1
	s_cselect_b64 s[2:3], -1, 0
	v_readfirstlane_b32 s46, v9
	v_readfirstlane_b32 s54, v10
	;; [unrolled: 1-line block ×3, first 2 shown]
	s_and_b64 s[20:21], s[2:3], vcc
	s_mov_b64 s[28:29], -1
                                        ; implicit-def: $sgpr24_sgpr25
                                        ; implicit-def: $sgpr22_sgpr23
	s_and_saveexec_b64 s[2:3], s[20:21]
	s_cbranch_execz .LBB99_114
; %bb.89:                               ;   in Loop: Header=BB99_20 Depth=1
	ds_read_b32 v3, v19 offset:4104
	s_waitcnt lgkmcnt(0)
	s_barrier
	v_readfirstlane_b32 s43, v3
	s_and_saveexec_b64 s[22:23], s[6:7]
; %bb.90:                               ;   in Loop: Header=BB99_20 Depth=1
	ds_write_b64 v36, v[50:51]
; %bb.91:                               ;   in Loop: Header=BB99_20 Depth=1
	s_or_b64 exec, exec, s[22:23]
	v_and_b32_e32 v27, s27, v27
	v_and_b32_e32 v26, s26, v26
	v_or_b32_e32 v29, s1, v29
	v_or_b32_e32 v28, s0, v28
	s_mov_b64 s[22:23], -1
	s_mov_b64 s[24:25], 0
	s_cmp_eq_u32 s43, 0
	s_mov_b64 s[28:29], 0
	s_mov_b64 s[30:31], -1
	s_waitcnt lgkmcnt(0)
	s_barrier
                                        ; implicit-def: $vgpr6_vgpr7
	s_cbranch_scc1 .LBB99_102
; %bb.92:                               ;   in Loop: Header=BB99_20 Depth=1
	s_add_i32 s28, s43, s86
	s_mul_hi_u32 s29, s28, s87
	s_mul_i32 s29, s29, s59
	s_sub_i32 s29, s28, s29
	s_sub_i32 s30, s29, s59
	s_cmp_ge_u32 s29, s59
	s_cselect_b32 s29, s30, s29
	s_sub_i32 s30, s29, s59
	s_cmp_ge_u32 s29, s59
	s_cselect_b32 s29, s30, s29
	s_sub_i32 s44, s28, s29
	v_cmp_gt_u32_e32 vcc, s44, v0
	s_mov_b64 s[30:31], 0
	s_mov_b64 s[28:29], 0
                                        ; implicit-def: $vgpr6_vgpr7
	s_and_saveexec_b64 s[34:35], vcc
	s_cbranch_execz .LBB99_101
; %bb.93:                               ;   in Loop: Header=BB99_20 Depth=1
	v_mov_b32_e32 v8, v35
	v_mov_b32_e32 v9, v0
                                        ; implicit-def: $sgpr36_sgpr37
	s_branch .LBB99_96
.LBB99_94:                              ;   in Loop: Header=BB99_96 Depth=2
	s_or_b64 exec, exec, s[38:39]
	s_waitcnt lgkmcnt(0)
	s_barrier
	ds_read_b128 v[4:7], v19 offset:3072
	s_mov_b64 s[38:39], -1
	s_mov_b64 s[40:41], -1
	s_waitcnt lgkmcnt(0)
	s_barrier
	v_cmp_ne_u64_e32 vcc, 0, v[4:5]
	s_cbranch_vccz .LBB99_99
.LBB99_95:                              ;   in Loop: Header=BB99_96 Depth=2
	s_and_b64 s[38:39], exec, s[38:39]
	s_or_b64 s[28:29], s[38:39], s[28:29]
	s_andn2_b64 s[36:37], s[36:37], exec
	s_and_b64 s[38:39], s[40:41], exec
	s_or_b64 s[36:37], s[36:37], s[38:39]
	s_andn2_b64 exec, exec, s[28:29]
	s_cbranch_execz .LBB99_100
.LBB99_96:                              ;   Parent Loop BB99_20 Depth=1
                                        ; =>  This Inner Loop Header: Depth=2
	v_cmp_gt_u32_e32 vcc, s43, v9
	s_and_saveexec_b64 s[38:39], vcc
	s_cbranch_execz .LBB99_94
; %bb.97:                               ;   in Loop: Header=BB99_96 Depth=2
	ds_read_b64 v[4:5], v8
	s_waitcnt lgkmcnt(0)
	v_xor_b32_e32 v3, 0x80000000, v5
	v_and_b32_e32 v7, v3, v29
	v_and_b32_e32 v6, v4, v28
	v_cmp_eq_u64_e32 vcc, v[6:7], v[26:27]
	s_and_b64 exec, exec, vcc
	s_cbranch_execz .LBB99_94
; %bb.98:                               ;   in Loop: Header=BB99_96 Depth=2
	v_mov_b32_e32 v3, v19
	ds_write_b128 v19, v[2:5] offset:3072
	s_branch .LBB99_94
.LBB99_99:                              ;   in Loop: Header=BB99_96 Depth=2
	v_add_u32_e32 v9, s59, v9
	v_cmp_le_u32_e32 vcc, s44, v9
	v_add_u32_e32 v8, s17, v8
	s_mov_b64 s[40:41], 0
	s_orn2_b64 s[38:39], vcc, exec
	s_branch .LBB99_95
.LBB99_100:                             ;   in Loop: Header=BB99_20 Depth=1
	s_or_b64 exec, exec, s[28:29]
	s_and_b64 s[28:29], s[36:37], exec
.LBB99_101:                             ;   in Loop: Header=BB99_20 Depth=1
	s_or_b64 exec, exec, s[34:35]
.LBB99_102:                             ;   in Loop: Header=BB99_20 Depth=1
	s_and_b64 vcc, exec, s[30:31]
	s_cbranch_vccz .LBB99_113
; %bb.103:                              ;   in Loop: Header=BB99_20 Depth=1
                                        ; implicit-def: $vgpr6_vgpr7
	s_mov_b64 s[22:23], exec
	v_readlane_b32 s24, v60, 24
	v_readlane_b32 s25, v60, 25
	s_and_b64 s[24:25], s[22:23], s[24:25]
	s_mov_b64 exec, s[24:25]
	s_cbranch_execz .LBB99_112
; %bb.104:                              ;   in Loop: Header=BB99_20 Depth=1
	s_mov_b64 s[30:31], 0
	v_mov_b32_e32 v18, v16
	v_mov_b32_e32 v8, v0
                                        ; implicit-def: $sgpr24_sgpr25
	s_branch .LBB99_107
.LBB99_105:                             ;   in Loop: Header=BB99_107 Depth=2
	s_or_b64 exec, exec, s[34:35]
	s_waitcnt lgkmcnt(0)
	s_barrier
	ds_read_b128 v[4:7], v19 offset:3072
	s_mov_b64 s[34:35], -1
	s_mov_b64 s[36:37], -1
	s_waitcnt lgkmcnt(0)
	s_barrier
	v_cmp_ne_u64_e32 vcc, 0, v[4:5]
	s_cbranch_vccz .LBB99_110
.LBB99_106:                             ;   in Loop: Header=BB99_107 Depth=2
	s_and_b64 s[34:35], exec, s[34:35]
	s_or_b64 s[30:31], s[34:35], s[30:31]
	s_andn2_b64 s[24:25], s[24:25], exec
	s_and_b64 s[34:35], s[36:37], exec
	s_or_b64 s[24:25], s[24:25], s[34:35]
	s_andn2_b64 exec, exec, s[30:31]
	s_cbranch_execz .LBB99_111
.LBB99_107:                             ;   Parent Loop BB99_20 Depth=1
                                        ; =>  This Inner Loop Header: Depth=2
	v_cmp_gt_u32_e32 vcc, s56, v8
	s_and_saveexec_b64 s[34:35], vcc
	s_cbranch_execz .LBB99_105
; %bb.108:                              ;   in Loop: Header=BB99_107 Depth=2
	v_lshl_add_u64 v[4:5], v[18:19], 3, s[66:67]
	global_load_dwordx2 v[4:5], v[4:5], off
	s_waitcnt vmcnt(0)
	v_xor_b32_e32 v3, 0x80000000, v5
	v_and_b32_e32 v7, v3, v29
	v_and_b32_e32 v6, v4, v28
	v_cmp_eq_u64_e32 vcc, v[6:7], v[26:27]
	s_and_b64 exec, exec, vcc
	s_cbranch_execz .LBB99_105
; %bb.109:                              ;   in Loop: Header=BB99_107 Depth=2
	v_mov_b32_e32 v3, v19
	ds_write_b128 v19, v[2:5] offset:3072
	s_branch .LBB99_105
.LBB99_110:                             ;   in Loop: Header=BB99_107 Depth=2
	v_add_u32_e32 v8, s59, v8
	v_cmp_le_u32_e32 vcc, s80, v8
	v_add_u32_e32 v18, s62, v18
	s_mov_b64 s[36:37], 0
	s_orn2_b64 s[34:35], vcc, exec
	s_branch .LBB99_106
.LBB99_111:                             ;   in Loop: Header=BB99_20 Depth=1
	s_or_b64 exec, exec, s[30:31]
	s_andn2_b64 s[28:29], s[28:29], exec
	s_and_b64 s[24:25], s[24:25], exec
	s_or_b64 s[28:29], s[28:29], s[24:25]
.LBB99_112:                             ;   in Loop: Header=BB99_20 Depth=1
	s_or_b64 exec, exec, s[22:23]
	s_mov_b64 s[22:23], 0
	s_mov_b64 s[24:25], -1
.LBB99_113:                             ;   in Loop: Header=BB99_20 Depth=1
	s_orn2_b64 s[28:29], s[28:29], exec
.LBB99_114:                             ;   in Loop: Header=BB99_20 Depth=1
	s_or_b64 exec, exec, s[2:3]
	s_andn2_b64 s[2:3], s[64:65], exec
	s_and_b64 s[24:25], s[24:25], exec
	s_or_b64 s[64:65], s[2:3], s[24:25]
	s_andn2_b64 s[2:3], s[98:99], exec
	s_and_b64 s[22:23], s[22:23], exec
	v_readfirstlane_b32 s30, v0
	v_readfirstlane_b32 s31, v0
	s_andn2_b64 s[96:97], s[96:97], exec
	s_or_b64 s[98:99], s[2:3], s[22:23]
                                        ; implicit-def: $vgpr9
	s_and_saveexec_b64 s[2:3], s[28:29]
	s_cbranch_execz .LBB99_19
; %bb.115:                              ;   in Loop: Header=BB99_20 Depth=1
	s_xor_b64 s[22:23], s[20:21], -1
	s_mov_b64 s[20:21], 0
	v_mov_b32_e32 v9, 1
	v_mov_b32_e32 v8, 1
	s_and_saveexec_b64 s[18:19], s[22:23]
	s_cbranch_execz .LBB99_124
; %bb.116:                              ;   in Loop: Header=BB99_20 Depth=1
	v_cmp_ge_u32_e32 vcc, s42, v47
	s_and_saveexec_b64 s[20:21], vcc
	s_xor_b64 s[20:21], exec, s[20:21]
	s_cbranch_execz .LBB99_121
; %bb.117:                              ;   in Loop: Header=BB99_20 Depth=1
	ds_read_b32 v3, v19 offset:4104
	v_and_b32_e32 v27, s27, v27
	v_and_b32_e32 v26, s26, v26
	v_or_b32_e32 v29, s1, v29
	v_or_b32_e32 v28, s0, v28
	s_waitcnt lgkmcnt(0)
	v_cmp_ne_u32_e32 vcc, 0, v3
	s_cbranch_vccnz .LBB99_121
; %bb.118:                              ;   in Loop: Header=BB99_20 Depth=1
	s_and_saveexec_b64 s[22:23], s[14:15]
; %bb.119:                              ;   in Loop: Header=BB99_20 Depth=1
	v_mov_b32_e32 v3, s42
	ds_write_b32 v19, v3 offset:4108
; %bb.120:                              ;   in Loop: Header=BB99_20 Depth=1
	s_or_b64 exec, exec, s[22:23]
	s_waitcnt lgkmcnt(0)
	s_barrier
.LBB99_121:                             ;   in Loop: Header=BB99_20 Depth=1
	s_or_saveexec_b64 s[20:21], s[20:21]
	s_mov_b64 s[22:23], 0
	v_mov_b32_e32 v8, 8
	s_xor_b64 exec, exec, s[20:21]
; %bb.122:                              ;   in Loop: Header=BB99_20 Depth=1
	s_mov_b64 s[22:23], exec
	v_subrev_u32_e32 v47, s42, v47
	v_mov_b32_e32 v8, 0
; %bb.123:                              ;   in Loop: Header=BB99_20 Depth=1
	s_or_b64 exec, exec, s[20:21]
	s_and_b64 s[20:21], s[22:23], exec
	v_mov_b32_e32 v9, v47
.LBB99_124:                             ;   in Loop: Header=BB99_20 Depth=1
	s_or_b64 exec, exec, s[18:19]
	s_mov_b64 s[18:19], -1
	s_mov_b64 s[28:29], -1
                                        ; implicit-def: $sgpr22_sgpr23
                                        ; implicit-def: $sgpr24_sgpr25
	s_and_saveexec_b64 s[30:31], s[20:21]
	s_xor_b64 s[20:21], exec, s[30:31]
	s_cbranch_execz .LBB99_241
; %bb.125:                              ;   in Loop: Header=BB99_20 Depth=1
	s_cmp_eq_u32 s46, 1
	s_cselect_b64 s[22:23], -1, 0
	v_cmp_eq_u32_e32 vcc, 1, v9
	s_and_b64 s[30:31], s[22:23], vcc
	s_mov_b64 s[34:35], -1
                                        ; implicit-def: $sgpr24_sgpr25
                                        ; implicit-def: $sgpr22_sgpr23
	s_and_saveexec_b64 s[28:29], s[30:31]
	s_cbranch_execz .LBB99_151
; %bb.126:                              ;   in Loop: Header=BB99_20 Depth=1
	ds_read_b32 v3, v19 offset:4104
	s_waitcnt lgkmcnt(0)
	s_barrier
	v_readfirstlane_b32 s47, v3
	s_and_saveexec_b64 s[22:23], s[6:7]
; %bb.127:                              ;   in Loop: Header=BB99_20 Depth=1
	ds_write_b64 v36, v[50:51]
; %bb.128:                              ;   in Loop: Header=BB99_20 Depth=1
	s_or_b64 exec, exec, s[22:23]
	s_lshl_b64 s[22:23], 1, s12
	v_and_b32_e32 v3, s27, v27
	v_and_b32_e32 v4, s26, v26
	v_or_b32_e32 v27, s23, v3
	v_or_b32_e32 v26, s22, v4
	;; [unrolled: 1-line block ×4, first 2 shown]
	s_mov_b64 s[22:23], -1
	s_mov_b64 s[24:25], 0
	s_cmp_eq_u32 s47, 0
	s_mov_b64 s[34:35], 0
	s_mov_b64 s[36:37], -1
	s_waitcnt lgkmcnt(0)
	s_barrier
                                        ; implicit-def: $vgpr6_vgpr7
	s_cbranch_scc1 .LBB99_139
; %bb.129:                              ;   in Loop: Header=BB99_20 Depth=1
	s_add_i32 s34, s47, s86
	s_mul_hi_u32 s35, s34, s87
	s_mul_i32 s35, s35, s59
	s_sub_i32 s35, s34, s35
	s_sub_i32 s36, s35, s59
	s_cmp_ge_u32 s35, s59
	s_cselect_b32 s35, s36, s35
	s_sub_i32 s36, s35, s59
	s_cmp_ge_u32 s35, s59
	s_cselect_b32 s35, s36, s35
	s_sub_i32 s48, s34, s35
	v_cmp_gt_u32_e32 vcc, s48, v0
	s_mov_b64 s[36:37], 0
	s_mov_b64 s[34:35], 0
                                        ; implicit-def: $vgpr6_vgpr7
	s_and_saveexec_b64 s[38:39], vcc
	s_cbranch_execz .LBB99_138
; %bb.130:                              ;   in Loop: Header=BB99_20 Depth=1
	v_mov_b32_e32 v10, v35
	v_mov_b32_e32 v11, v0
                                        ; implicit-def: $sgpr40_sgpr41
	s_branch .LBB99_133
.LBB99_131:                             ;   in Loop: Header=BB99_133 Depth=2
	s_or_b64 exec, exec, s[42:43]
	s_waitcnt lgkmcnt(0)
	s_barrier
	ds_read_b128 v[4:7], v19 offset:3072
	s_mov_b64 s[42:43], -1
	s_mov_b64 s[44:45], -1
	s_waitcnt lgkmcnt(0)
	s_barrier
	v_cmp_ne_u64_e32 vcc, 0, v[4:5]
	s_cbranch_vccz .LBB99_136
.LBB99_132:                             ;   in Loop: Header=BB99_133 Depth=2
	s_and_b64 s[42:43], exec, s[42:43]
	s_or_b64 s[34:35], s[42:43], s[34:35]
	s_andn2_b64 s[40:41], s[40:41], exec
	s_and_b64 s[42:43], s[44:45], exec
	s_or_b64 s[40:41], s[40:41], s[42:43]
	s_andn2_b64 exec, exec, s[34:35]
	s_cbranch_execz .LBB99_137
.LBB99_133:                             ;   Parent Loop BB99_20 Depth=1
                                        ; =>  This Inner Loop Header: Depth=2
	v_cmp_gt_u32_e32 vcc, s47, v11
	s_and_saveexec_b64 s[42:43], vcc
	s_cbranch_execz .LBB99_131
; %bb.134:                              ;   in Loop: Header=BB99_133 Depth=2
	ds_read_b64 v[4:5], v10
	s_waitcnt lgkmcnt(0)
	v_xor_b32_e32 v3, 0x80000000, v5
	v_and_b32_e32 v7, v3, v29
	v_and_b32_e32 v6, v4, v28
	v_cmp_eq_u64_e32 vcc, v[6:7], v[26:27]
	s_and_b64 exec, exec, vcc
	s_cbranch_execz .LBB99_131
; %bb.135:                              ;   in Loop: Header=BB99_133 Depth=2
	v_mov_b32_e32 v3, v19
	ds_write_b128 v19, v[2:5] offset:3072
	s_branch .LBB99_131
.LBB99_136:                             ;   in Loop: Header=BB99_133 Depth=2
	v_add_u32_e32 v11, s59, v11
	v_cmp_le_u32_e32 vcc, s48, v11
	v_add_u32_e32 v10, s17, v10
	s_mov_b64 s[44:45], 0
	s_orn2_b64 s[42:43], vcc, exec
	s_branch .LBB99_132
.LBB99_137:                             ;   in Loop: Header=BB99_20 Depth=1
	s_or_b64 exec, exec, s[34:35]
	s_and_b64 s[34:35], s[40:41], exec
.LBB99_138:                             ;   in Loop: Header=BB99_20 Depth=1
	s_or_b64 exec, exec, s[38:39]
.LBB99_139:                             ;   in Loop: Header=BB99_20 Depth=1
	s_and_b64 vcc, exec, s[36:37]
	s_cbranch_vccz .LBB99_150
; %bb.140:                              ;   in Loop: Header=BB99_20 Depth=1
                                        ; implicit-def: $vgpr6_vgpr7
	s_mov_b64 s[22:23], exec
	v_readlane_b32 s24, v60, 24
	v_readlane_b32 s25, v60, 25
	s_and_b64 s[24:25], s[22:23], s[24:25]
	s_mov_b64 exec, s[24:25]
	s_cbranch_execz .LBB99_149
; %bb.141:                              ;   in Loop: Header=BB99_20 Depth=1
	s_mov_b64 s[24:25], 0
	v_mov_b32_e32 v18, v16
	v_mov_b32_e32 v10, v0
                                        ; implicit-def: $sgpr36_sgpr37
	s_branch .LBB99_144
.LBB99_142:                             ;   in Loop: Header=BB99_144 Depth=2
	s_or_b64 exec, exec, s[38:39]
	s_waitcnt lgkmcnt(0)
	s_barrier
	ds_read_b128 v[4:7], v19 offset:3072
	s_mov_b64 s[38:39], -1
	s_mov_b64 s[40:41], -1
	s_waitcnt lgkmcnt(0)
	s_barrier
	v_cmp_eq_u64_e32 vcc, 0, v[4:5]
	s_cbranch_vccnz .LBB99_147
.LBB99_143:                             ;   in Loop: Header=BB99_144 Depth=2
	s_and_b64 s[38:39], exec, s[38:39]
	s_or_b64 s[24:25], s[38:39], s[24:25]
	s_andn2_b64 s[36:37], s[36:37], exec
	s_and_b64 s[38:39], s[40:41], exec
	s_or_b64 s[36:37], s[36:37], s[38:39]
	s_andn2_b64 exec, exec, s[24:25]
	s_cbranch_execz .LBB99_148
.LBB99_144:                             ;   Parent Loop BB99_20 Depth=1
                                        ; =>  This Inner Loop Header: Depth=2
	v_cmp_gt_u32_e32 vcc, s56, v10
	s_and_saveexec_b64 s[38:39], vcc
	s_cbranch_execz .LBB99_142
; %bb.145:                              ;   in Loop: Header=BB99_144 Depth=2
	v_lshl_add_u64 v[4:5], v[18:19], 3, s[66:67]
	global_load_dwordx2 v[4:5], v[4:5], off
	s_waitcnt vmcnt(0)
	v_xor_b32_e32 v3, 0x80000000, v5
	v_and_b32_e32 v7, v3, v29
	v_and_b32_e32 v6, v4, v28
	v_cmp_eq_u64_e32 vcc, v[6:7], v[26:27]
	s_and_b64 exec, exec, vcc
	s_cbranch_execz .LBB99_142
; %bb.146:                              ;   in Loop: Header=BB99_144 Depth=2
	v_mov_b32_e32 v3, v19
	ds_write_b128 v19, v[2:5] offset:3072
	s_branch .LBB99_142
.LBB99_147:                             ;   in Loop: Header=BB99_144 Depth=2
	v_add_u32_e32 v10, s59, v10
	v_cmp_le_u32_e32 vcc, s80, v10
	v_add_u32_e32 v18, s62, v18
	s_mov_b64 s[40:41], 0
	s_orn2_b64 s[38:39], vcc, exec
	s_branch .LBB99_143
.LBB99_148:                             ;   in Loop: Header=BB99_20 Depth=1
	s_or_b64 exec, exec, s[24:25]
	s_andn2_b64 s[24:25], s[34:35], exec
	s_and_b64 s[34:35], s[36:37], exec
	s_or_b64 s[34:35], s[24:25], s[34:35]
.LBB99_149:                             ;   in Loop: Header=BB99_20 Depth=1
	s_or_b64 exec, exec, s[22:23]
	s_mov_b64 s[22:23], 0
	s_mov_b64 s[24:25], -1
.LBB99_150:                             ;   in Loop: Header=BB99_20 Depth=1
	s_orn2_b64 s[34:35], s[34:35], exec
.LBB99_151:                             ;   in Loop: Header=BB99_20 Depth=1
	s_or_b64 exec, exec, s[28:29]
	s_mov_b64 s[36:37], 0
	s_and_saveexec_b64 s[28:29], s[34:35]
	s_cbranch_execz .LBB99_240
; %bb.152:                              ;   in Loop: Header=BB99_20 Depth=1
	s_xor_b64 s[34:35], s[30:31], -1
	s_mov_b64 s[40:41], 0
	v_mov_b32_e32 v10, 1
	v_mov_b32_e32 v8, 1
	s_and_saveexec_b64 s[30:31], s[34:35]
	s_cbranch_execz .LBB99_161
; %bb.153:                              ;   in Loop: Header=BB99_20 Depth=1
	v_cmp_ge_u32_e32 vcc, s46, v9
	s_and_saveexec_b64 s[34:35], vcc
	s_xor_b64 s[34:35], exec, s[34:35]
	s_cbranch_execz .LBB99_158
; %bb.154:                              ;   in Loop: Header=BB99_20 Depth=1
	ds_read_b32 v4, v19 offset:4104
	s_lshl_b64 s[36:37], 1, s12
	v_and_b32_e32 v3, s27, v27
	v_and_b32_e32 v5, s26, v26
	v_or_b32_e32 v27, s37, v3
	s_waitcnt lgkmcnt(0)
	v_cmp_ne_u32_e32 vcc, 0, v4
	v_or_b32_e32 v26, s36, v5
	v_or_b32_e32 v29, s1, v29
	;; [unrolled: 1-line block ×3, first 2 shown]
	s_cbranch_vccnz .LBB99_158
; %bb.155:                              ;   in Loop: Header=BB99_20 Depth=1
	s_and_saveexec_b64 s[36:37], s[14:15]
; %bb.156:                              ;   in Loop: Header=BB99_20 Depth=1
	v_mov_b32_e32 v3, s46
	ds_write_b32 v19, v3 offset:4108
; %bb.157:                              ;   in Loop: Header=BB99_20 Depth=1
	s_or_b64 exec, exec, s[36:37]
	s_waitcnt lgkmcnt(0)
	s_barrier
.LBB99_158:                             ;   in Loop: Header=BB99_20 Depth=1
	s_or_saveexec_b64 s[34:35], s[34:35]
	s_mov_b64 s[36:37], 0
	v_mov_b32_e32 v8, 8
	s_xor_b64 exec, exec, s[34:35]
; %bb.159:                              ;   in Loop: Header=BB99_20 Depth=1
	s_mov_b64 s[36:37], exec
	v_subrev_u32_e32 v9, s46, v9
	v_mov_b32_e32 v8, 0
; %bb.160:                              ;   in Loop: Header=BB99_20 Depth=1
	s_or_b64 exec, exec, s[34:35]
	s_and_b64 s[40:41], s[36:37], exec
	v_mov_b32_e32 v10, v9
.LBB99_161:                             ;   in Loop: Header=BB99_20 Depth=1
	s_or_b64 exec, exec, s[30:31]
	s_mov_b64 s[38:39], -1
                                        ; implicit-def: $sgpr34_sgpr35
                                        ; implicit-def: $sgpr36_sgpr37
	s_and_saveexec_b64 s[30:31], s[40:41]
	s_cbranch_execz .LBB99_239
; %bb.162:                              ;   in Loop: Header=BB99_20 Depth=1
	s_cmp_eq_u32 s54, 1
	s_cselect_b64 s[34:35], -1, 0
	v_cmp_eq_u32_e32 vcc, 1, v10
	s_and_b64 s[40:41], s[34:35], vcc
	s_mov_b64 s[42:43], -1
                                        ; implicit-def: $sgpr36_sgpr37
                                        ; implicit-def: $sgpr34_sgpr35
	s_and_saveexec_b64 s[38:39], s[40:41]
	s_cbranch_execz .LBB99_188
; %bb.163:                              ;   in Loop: Header=BB99_20 Depth=1
	ds_read_b32 v3, v19 offset:4104
	s_waitcnt lgkmcnt(0)
	s_barrier
	v_readfirstlane_b32 s55, v3
	s_and_saveexec_b64 s[34:35], s[6:7]
; %bb.164:                              ;   in Loop: Header=BB99_20 Depth=1
	ds_write_b64 v36, v[50:51]
; %bb.165:                              ;   in Loop: Header=BB99_20 Depth=1
	s_or_b64 exec, exec, s[34:35]
	s_lshl_b64 s[34:35], 2, s12
	v_and_b32_e32 v3, s27, v27
	v_and_b32_e32 v4, s26, v26
	v_or_b32_e32 v27, s35, v3
	v_or_b32_e32 v26, s34, v4
	;; [unrolled: 1-line block ×4, first 2 shown]
	s_mov_b64 s[34:35], -1
	s_mov_b64 s[36:37], 0
	s_cmp_eq_u32 s55, 0
	s_mov_b64 s[42:43], 0
	s_mov_b64 s[44:45], -1
	s_waitcnt lgkmcnt(0)
	s_barrier
                                        ; implicit-def: $vgpr6_vgpr7
	s_cbranch_scc1 .LBB99_176
; %bb.166:                              ;   in Loop: Header=BB99_20 Depth=1
	s_add_i32 s42, s55, s86
	s_mul_hi_u32 s43, s42, s87
	s_mul_i32 s43, s43, s59
	s_sub_i32 s43, s42, s43
	s_sub_i32 s44, s43, s59
	s_cmp_ge_u32 s43, s59
	s_cselect_b32 s43, s44, s43
	s_sub_i32 s44, s43, s59
	s_cmp_ge_u32 s43, s59
	s_cselect_b32 s43, s44, s43
	s_sub_i32 s68, s42, s43
	v_cmp_gt_u32_e32 vcc, s68, v0
	s_mov_b64 s[44:45], 0
	s_mov_b64 s[42:43], 0
                                        ; implicit-def: $vgpr6_vgpr7
	s_and_saveexec_b64 s[46:47], vcc
	s_cbranch_execz .LBB99_175
; %bb.167:                              ;   in Loop: Header=BB99_20 Depth=1
	v_mov_b32_e32 v9, v35
	v_mov_b32_e32 v11, v0
                                        ; implicit-def: $sgpr48_sgpr49
	s_branch .LBB99_170
.LBB99_168:                             ;   in Loop: Header=BB99_170 Depth=2
	s_or_b64 exec, exec, s[50:51]
	s_waitcnt lgkmcnt(0)
	s_barrier
	ds_read_b128 v[4:7], v19 offset:3072
	s_mov_b64 s[50:51], -1
	s_mov_b64 s[52:53], -1
	s_waitcnt lgkmcnt(0)
	s_barrier
	v_cmp_ne_u64_e32 vcc, 0, v[4:5]
	s_cbranch_vccz .LBB99_173
.LBB99_169:                             ;   in Loop: Header=BB99_170 Depth=2
	s_and_b64 s[50:51], exec, s[50:51]
	s_or_b64 s[42:43], s[50:51], s[42:43]
	s_andn2_b64 s[48:49], s[48:49], exec
	s_and_b64 s[50:51], s[52:53], exec
	s_or_b64 s[48:49], s[48:49], s[50:51]
	s_andn2_b64 exec, exec, s[42:43]
	s_cbranch_execz .LBB99_174
.LBB99_170:                             ;   Parent Loop BB99_20 Depth=1
                                        ; =>  This Inner Loop Header: Depth=2
	v_cmp_gt_u32_e32 vcc, s55, v11
	s_and_saveexec_b64 s[50:51], vcc
	s_cbranch_execz .LBB99_168
; %bb.171:                              ;   in Loop: Header=BB99_170 Depth=2
	ds_read_b64 v[4:5], v9
	s_waitcnt lgkmcnt(0)
	v_xor_b32_e32 v3, 0x80000000, v5
	v_and_b32_e32 v7, v3, v29
	v_and_b32_e32 v6, v4, v28
	v_cmp_eq_u64_e32 vcc, v[6:7], v[26:27]
	s_and_b64 exec, exec, vcc
	s_cbranch_execz .LBB99_168
; %bb.172:                              ;   in Loop: Header=BB99_170 Depth=2
	v_mov_b32_e32 v3, v19
	ds_write_b128 v19, v[2:5] offset:3072
	s_branch .LBB99_168
.LBB99_173:                             ;   in Loop: Header=BB99_170 Depth=2
	v_add_u32_e32 v11, s59, v11
	v_cmp_le_u32_e32 vcc, s68, v11
	v_add_u32_e32 v9, s17, v9
	s_mov_b64 s[52:53], 0
	s_orn2_b64 s[50:51], vcc, exec
	s_branch .LBB99_169
.LBB99_174:                             ;   in Loop: Header=BB99_20 Depth=1
	s_or_b64 exec, exec, s[42:43]
	s_and_b64 s[42:43], s[48:49], exec
.LBB99_175:                             ;   in Loop: Header=BB99_20 Depth=1
	s_or_b64 exec, exec, s[46:47]
.LBB99_176:                             ;   in Loop: Header=BB99_20 Depth=1
	s_and_b64 vcc, exec, s[44:45]
	s_cbranch_vccz .LBB99_187
; %bb.177:                              ;   in Loop: Header=BB99_20 Depth=1
                                        ; implicit-def: $vgpr6_vgpr7
	s_mov_b64 s[34:35], exec
	v_readlane_b32 s36, v60, 24
	v_readlane_b32 s37, v60, 25
	s_and_b64 s[36:37], s[34:35], s[36:37]
	s_mov_b64 exec, s[36:37]
	s_cbranch_execz .LBB99_186
; %bb.178:                              ;   in Loop: Header=BB99_20 Depth=1
	s_mov_b64 s[36:37], 0
	v_mov_b32_e32 v18, v16
	v_mov_b32_e32 v9, v0
                                        ; implicit-def: $sgpr44_sgpr45
	s_branch .LBB99_181
.LBB99_179:                             ;   in Loop: Header=BB99_181 Depth=2
	s_or_b64 exec, exec, s[46:47]
	s_waitcnt lgkmcnt(0)
	s_barrier
	ds_read_b128 v[4:7], v19 offset:3072
	s_mov_b64 s[46:47], -1
	s_mov_b64 s[48:49], -1
	s_waitcnt lgkmcnt(0)
	s_barrier
	v_cmp_eq_u64_e32 vcc, 0, v[4:5]
	s_cbranch_vccnz .LBB99_184
.LBB99_180:                             ;   in Loop: Header=BB99_181 Depth=2
	s_and_b64 s[46:47], exec, s[46:47]
	s_or_b64 s[36:37], s[46:47], s[36:37]
	s_andn2_b64 s[44:45], s[44:45], exec
	s_and_b64 s[46:47], s[48:49], exec
	s_or_b64 s[44:45], s[44:45], s[46:47]
	s_andn2_b64 exec, exec, s[36:37]
	s_cbranch_execz .LBB99_185
.LBB99_181:                             ;   Parent Loop BB99_20 Depth=1
                                        ; =>  This Inner Loop Header: Depth=2
	v_cmp_gt_u32_e32 vcc, s56, v9
	s_and_saveexec_b64 s[46:47], vcc
	s_cbranch_execz .LBB99_179
; %bb.182:                              ;   in Loop: Header=BB99_181 Depth=2
	v_lshl_add_u64 v[4:5], v[18:19], 3, s[66:67]
	global_load_dwordx2 v[4:5], v[4:5], off
	s_waitcnt vmcnt(0)
	v_xor_b32_e32 v3, 0x80000000, v5
	v_and_b32_e32 v7, v3, v29
	v_and_b32_e32 v6, v4, v28
	v_cmp_eq_u64_e32 vcc, v[6:7], v[26:27]
	s_and_b64 exec, exec, vcc
	s_cbranch_execz .LBB99_179
; %bb.183:                              ;   in Loop: Header=BB99_181 Depth=2
	v_mov_b32_e32 v3, v19
	ds_write_b128 v19, v[2:5] offset:3072
	s_branch .LBB99_179
.LBB99_184:                             ;   in Loop: Header=BB99_181 Depth=2
	v_add_u32_e32 v9, s59, v9
	v_cmp_le_u32_e32 vcc, s80, v9
	v_add_u32_e32 v18, s62, v18
	s_mov_b64 s[48:49], 0
	s_orn2_b64 s[46:47], vcc, exec
	s_branch .LBB99_180
.LBB99_185:                             ;   in Loop: Header=BB99_20 Depth=1
	s_or_b64 exec, exec, s[36:37]
	s_andn2_b64 s[36:37], s[42:43], exec
	s_and_b64 s[42:43], s[44:45], exec
	s_or_b64 s[42:43], s[36:37], s[42:43]
.LBB99_186:                             ;   in Loop: Header=BB99_20 Depth=1
	s_or_b64 exec, exec, s[34:35]
	s_mov_b64 s[34:35], 0
	s_mov_b64 s[36:37], -1
.LBB99_187:                             ;   in Loop: Header=BB99_20 Depth=1
	s_orn2_b64 s[42:43], s[42:43], exec
.LBB99_188:                             ;   in Loop: Header=BB99_20 Depth=1
	s_or_b64 exec, exec, s[38:39]
	s_mov_b64 s[44:45], 0
	s_and_saveexec_b64 s[38:39], s[42:43]
	s_cbranch_execz .LBB99_238
; %bb.189:                              ;   in Loop: Header=BB99_20 Depth=1
	s_xor_b64 s[42:43], s[40:41], -1
	s_mov_b64 s[46:47], 0
	v_mov_b32_e32 v9, 1
	v_mov_b32_e32 v8, 1
	s_and_saveexec_b64 s[40:41], s[42:43]
	s_cbranch_execz .LBB99_198
; %bb.190:                              ;   in Loop: Header=BB99_20 Depth=1
	v_cmp_ge_u32_e32 vcc, s54, v10
	s_and_saveexec_b64 s[42:43], vcc
	s_xor_b64 s[42:43], exec, s[42:43]
	s_cbranch_execz .LBB99_195
; %bb.191:                              ;   in Loop: Header=BB99_20 Depth=1
	ds_read_b32 v4, v19 offset:4104
	s_lshl_b64 s[44:45], 2, s12
	v_and_b32_e32 v3, s27, v27
	v_and_b32_e32 v5, s26, v26
	v_or_b32_e32 v27, s45, v3
	s_waitcnt lgkmcnt(0)
	v_cmp_ne_u32_e32 vcc, 0, v4
	v_or_b32_e32 v26, s44, v5
	v_or_b32_e32 v29, s1, v29
	;; [unrolled: 1-line block ×3, first 2 shown]
	s_cbranch_vccnz .LBB99_195
; %bb.192:                              ;   in Loop: Header=BB99_20 Depth=1
	s_and_saveexec_b64 s[26:27], s[14:15]
; %bb.193:                              ;   in Loop: Header=BB99_20 Depth=1
	v_mov_b32_e32 v3, s54
	ds_write_b32 v19, v3 offset:4108
; %bb.194:                              ;   in Loop: Header=BB99_20 Depth=1
	s_or_b64 exec, exec, s[26:27]
	s_waitcnt lgkmcnt(0)
	s_barrier
.LBB99_195:                             ;   in Loop: Header=BB99_20 Depth=1
	s_or_saveexec_b64 s[26:27], s[42:43]
	s_mov_b64 s[42:43], 0
	v_mov_b32_e32 v8, 8
	s_xor_b64 exec, exec, s[26:27]
; %bb.196:                              ;   in Loop: Header=BB99_20 Depth=1
	s_mov_b64 s[42:43], exec
	v_subrev_u32_e32 v10, s54, v10
	v_mov_b32_e32 v8, 0
; %bb.197:                              ;   in Loop: Header=BB99_20 Depth=1
	s_or_b64 exec, exec, s[26:27]
	s_and_b64 s[46:47], s[42:43], exec
	v_mov_b32_e32 v9, v10
.LBB99_198:                             ;   in Loop: Header=BB99_20 Depth=1
	s_or_b64 exec, exec, s[40:41]
	s_mov_b64 s[44:45], -1
                                        ; implicit-def: $sgpr42_sgpr43
                                        ; implicit-def: $sgpr40_sgpr41
	s_and_saveexec_b64 s[26:27], s[46:47]
	s_cbranch_execz .LBB99_237
; %bb.199:                              ;   in Loop: Header=BB99_20 Depth=1
	s_cmp_eq_u32 s82, 1
	s_cselect_b64 s[40:41], -1, 0
	v_cmp_eq_u32_e32 vcc, 1, v9
	s_and_b64 s[44:45], s[40:41], vcc
	s_mov_b64 s[48:49], -1
                                        ; implicit-def: $sgpr42_sgpr43
                                        ; implicit-def: $sgpr40_sgpr41
	s_and_saveexec_b64 s[46:47], s[44:45]
	s_cbranch_execz .LBB99_225
; %bb.200:                              ;   in Loop: Header=BB99_20 Depth=1
	ds_read_b32 v3, v19 offset:4104
	s_waitcnt lgkmcnt(0)
	s_barrier
	v_readfirstlane_b32 s74, v3
	s_and_saveexec_b64 s[40:41], s[6:7]
; %bb.201:                              ;   in Loop: Header=BB99_20 Depth=1
	ds_write_b64 v36, v[50:51]
; %bb.202:                              ;   in Loop: Header=BB99_20 Depth=1
	s_or_b64 exec, exec, s[40:41]
	v_or_b32_e32 v27, s1, v27
	v_or_b32_e32 v26, s0, v26
	;; [unrolled: 1-line block ×4, first 2 shown]
	s_mov_b64 s[40:41], -1
	s_mov_b64 s[42:43], 0
	s_cmp_eq_u32 s74, 0
	s_mov_b64 s[48:49], 0
	s_mov_b64 s[50:51], -1
	s_waitcnt lgkmcnt(0)
	s_barrier
                                        ; implicit-def: $vgpr6_vgpr7
	s_cbranch_scc1 .LBB99_213
; %bb.203:                              ;   in Loop: Header=BB99_20 Depth=1
	s_add_i32 s48, s74, s86
	s_mul_hi_u32 s49, s48, s87
	s_mul_i32 s49, s49, s59
	s_sub_i32 s49, s48, s49
	s_sub_i32 s50, s49, s59
	s_cmp_ge_u32 s49, s59
	s_cselect_b32 s49, s50, s49
	s_sub_i32 s50, s49, s59
	s_cmp_ge_u32 s49, s59
	s_cselect_b32 s49, s50, s49
	s_sub_i32 s75, s48, s49
	v_cmp_gt_u32_e32 vcc, s75, v0
	s_mov_b64 s[50:51], 0
	s_mov_b64 s[48:49], 0
                                        ; implicit-def: $vgpr6_vgpr7
	s_and_saveexec_b64 s[52:53], vcc
	s_cbranch_execz .LBB99_212
; %bb.204:                              ;   in Loop: Header=BB99_20 Depth=1
	v_mov_b32_e32 v10, v35
	v_mov_b32_e32 v11, v0
                                        ; implicit-def: $sgpr54_sgpr55
	s_branch .LBB99_207
.LBB99_205:                             ;   in Loop: Header=BB99_207 Depth=2
	s_or_b64 exec, exec, s[68:69]
	s_waitcnt lgkmcnt(0)
	s_barrier
	ds_read_b128 v[4:7], v19 offset:3072
	s_mov_b64 s[68:69], -1
	s_mov_b64 s[70:71], -1
	s_waitcnt lgkmcnt(0)
	s_barrier
	v_cmp_ne_u64_e32 vcc, 0, v[4:5]
	s_cbranch_vccz .LBB99_210
.LBB99_206:                             ;   in Loop: Header=BB99_207 Depth=2
	s_and_b64 s[68:69], exec, s[68:69]
	s_or_b64 s[48:49], s[68:69], s[48:49]
	s_andn2_b64 s[54:55], s[54:55], exec
	s_and_b64 s[68:69], s[70:71], exec
	s_or_b64 s[54:55], s[54:55], s[68:69]
	s_andn2_b64 exec, exec, s[48:49]
	s_cbranch_execz .LBB99_211
.LBB99_207:                             ;   Parent Loop BB99_20 Depth=1
                                        ; =>  This Inner Loop Header: Depth=2
	v_cmp_gt_u32_e32 vcc, s74, v11
	s_and_saveexec_b64 s[68:69], vcc
	s_cbranch_execz .LBB99_205
; %bb.208:                              ;   in Loop: Header=BB99_207 Depth=2
	ds_read_b64 v[4:5], v10
	s_waitcnt lgkmcnt(0)
	v_xor_b32_e32 v3, 0x80000000, v5
	v_and_b32_e32 v7, v3, v29
	v_and_b32_e32 v6, v4, v28
	v_cmp_eq_u64_e32 vcc, v[6:7], v[26:27]
	s_and_b64 exec, exec, vcc
	s_cbranch_execz .LBB99_205
; %bb.209:                              ;   in Loop: Header=BB99_207 Depth=2
	v_mov_b32_e32 v3, v19
	ds_write_b128 v19, v[2:5] offset:3072
	s_branch .LBB99_205
.LBB99_210:                             ;   in Loop: Header=BB99_207 Depth=2
	v_add_u32_e32 v11, s59, v11
	v_cmp_le_u32_e32 vcc, s75, v11
	v_add_u32_e32 v10, s17, v10
	s_mov_b64 s[70:71], 0
	s_orn2_b64 s[68:69], vcc, exec
	s_branch .LBB99_206
.LBB99_211:                             ;   in Loop: Header=BB99_20 Depth=1
	s_or_b64 exec, exec, s[48:49]
	s_and_b64 s[48:49], s[54:55], exec
.LBB99_212:                             ;   in Loop: Header=BB99_20 Depth=1
	s_or_b64 exec, exec, s[52:53]
.LBB99_213:                             ;   in Loop: Header=BB99_20 Depth=1
	s_and_b64 vcc, exec, s[50:51]
	s_cbranch_vccz .LBB99_224
; %bb.214:                              ;   in Loop: Header=BB99_20 Depth=1
                                        ; implicit-def: $vgpr6_vgpr7
	s_mov_b64 s[40:41], exec
	v_readlane_b32 s42, v60, 24
	v_readlane_b32 s43, v60, 25
	s_and_b64 s[42:43], s[40:41], s[42:43]
	s_mov_b64 exec, s[42:43]
	s_cbranch_execz .LBB99_223
; %bb.215:                              ;   in Loop: Header=BB99_20 Depth=1
	s_mov_b64 s[42:43], 0
	v_mov_b32_e32 v18, v16
	v_mov_b32_e32 v10, v0
                                        ; implicit-def: $sgpr50_sgpr51
	s_branch .LBB99_218
.LBB99_216:                             ;   in Loop: Header=BB99_218 Depth=2
	s_or_b64 exec, exec, s[52:53]
	s_waitcnt lgkmcnt(0)
	s_barrier
	ds_read_b128 v[4:7], v19 offset:3072
	s_mov_b64 s[52:53], -1
	s_mov_b64 s[54:55], -1
	s_waitcnt lgkmcnt(0)
	s_barrier
	v_cmp_eq_u64_e32 vcc, 0, v[4:5]
	s_cbranch_vccnz .LBB99_221
.LBB99_217:                             ;   in Loop: Header=BB99_218 Depth=2
	s_and_b64 s[52:53], exec, s[52:53]
	s_or_b64 s[42:43], s[52:53], s[42:43]
	s_andn2_b64 s[50:51], s[50:51], exec
	s_and_b64 s[52:53], s[54:55], exec
	s_or_b64 s[50:51], s[50:51], s[52:53]
	s_andn2_b64 exec, exec, s[42:43]
	s_cbranch_execz .LBB99_222
.LBB99_218:                             ;   Parent Loop BB99_20 Depth=1
                                        ; =>  This Inner Loop Header: Depth=2
	v_cmp_gt_u32_e32 vcc, s56, v10
	s_and_saveexec_b64 s[52:53], vcc
	s_cbranch_execz .LBB99_216
; %bb.219:                              ;   in Loop: Header=BB99_218 Depth=2
	v_lshl_add_u64 v[4:5], v[18:19], 3, s[66:67]
	global_load_dwordx2 v[4:5], v[4:5], off
	s_waitcnt vmcnt(0)
	v_xor_b32_e32 v3, 0x80000000, v5
	v_and_b32_e32 v7, v3, v29
	v_and_b32_e32 v6, v4, v28
	v_cmp_eq_u64_e32 vcc, v[6:7], v[26:27]
	s_and_b64 exec, exec, vcc
	s_cbranch_execz .LBB99_216
; %bb.220:                              ;   in Loop: Header=BB99_218 Depth=2
	v_mov_b32_e32 v3, v19
	ds_write_b128 v19, v[2:5] offset:3072
	s_branch .LBB99_216
.LBB99_221:                             ;   in Loop: Header=BB99_218 Depth=2
	v_add_u32_e32 v10, s59, v10
	v_cmp_le_u32_e32 vcc, s80, v10
	v_add_u32_e32 v18, s62, v18
	s_mov_b64 s[54:55], 0
	s_orn2_b64 s[52:53], vcc, exec
	s_branch .LBB99_217
.LBB99_222:                             ;   in Loop: Header=BB99_20 Depth=1
	s_or_b64 exec, exec, s[42:43]
	s_andn2_b64 s[42:43], s[48:49], exec
	s_and_b64 s[48:49], s[50:51], exec
	s_or_b64 s[48:49], s[42:43], s[48:49]
.LBB99_223:                             ;   in Loop: Header=BB99_20 Depth=1
	s_or_b64 exec, exec, s[40:41]
	s_mov_b64 s[40:41], 0
	s_mov_b64 s[42:43], -1
.LBB99_224:                             ;   in Loop: Header=BB99_20 Depth=1
	s_orn2_b64 s[48:49], s[48:49], exec
.LBB99_225:                             ;   in Loop: Header=BB99_20 Depth=1
	s_or_b64 exec, exec, s[46:47]
	s_mov_b64 s[50:51], 0
	s_and_saveexec_b64 s[46:47], s[48:49]
	s_cbranch_execz .LBB99_236
; %bb.226:                              ;   in Loop: Header=BB99_20 Depth=1
	s_xor_b64 s[48:49], s[44:45], -1
	v_mov_b32_e32 v8, 1
	v_mov_b32_e32 v3, 1
	s_and_saveexec_b64 s[44:45], s[48:49]
	s_cbranch_execz .LBB99_235
; %bb.227:                              ;   in Loop: Header=BB99_20 Depth=1
	v_cmp_ge_u32_e32 vcc, s82, v9
	s_and_saveexec_b64 s[48:49], vcc
	s_xor_b64 s[48:49], exec, s[48:49]
	s_cbranch_execz .LBB99_232
; %bb.228:                              ;   in Loop: Header=BB99_20 Depth=1
	ds_read_b32 v3, v19 offset:4104
	v_or_b32_e32 v27, s1, v27
	v_or_b32_e32 v26, s0, v26
	;; [unrolled: 1-line block ×4, first 2 shown]
	s_waitcnt lgkmcnt(0)
	v_cmp_ne_u32_e32 vcc, 0, v3
	s_cbranch_vccnz .LBB99_232
; %bb.229:                              ;   in Loop: Header=BB99_20 Depth=1
	s_and_saveexec_b64 s[0:1], s[14:15]
; %bb.230:                              ;   in Loop: Header=BB99_20 Depth=1
	v_mov_b32_e32 v3, s82
	ds_write_b32 v19, v3 offset:4108
; %bb.231:                              ;   in Loop: Header=BB99_20 Depth=1
	s_or_b64 exec, exec, s[0:1]
	s_waitcnt lgkmcnt(0)
	s_barrier
.LBB99_232:                             ;   in Loop: Header=BB99_20 Depth=1
	s_andn2_saveexec_b64 s[0:1], s[48:49]
; %bb.233:                              ;   in Loop: Header=BB99_20 Depth=1
	v_subrev_u32_e32 v9, s82, v9
; %bb.234:                              ;   in Loop: Header=BB99_20 Depth=1
	s_or_b64 exec, exec, s[0:1]
	v_mov_b32_e32 v8, 8
	v_mov_b32_e32 v3, v9
.LBB99_235:                             ;   in Loop: Header=BB99_20 Depth=1
	s_or_b64 exec, exec, s[44:45]
	s_mov_b64 s[50:51], exec
	v_mov_b32_e32 v9, v3
.LBB99_236:                             ;   in Loop: Header=BB99_20 Depth=1
	s_or_b64 exec, exec, s[46:47]
	s_orn2_b64 s[44:45], s[50:51], exec
.LBB99_237:                             ;   in Loop: Header=BB99_20 Depth=1
	s_or_b64 exec, exec, s[26:27]
	s_andn2_b64 s[0:1], s[36:37], exec
	s_and_b64 s[26:27], s[42:43], exec
	s_or_b64 s[36:37], s[0:1], s[26:27]
	s_andn2_b64 s[0:1], s[34:35], exec
	s_and_b64 s[26:27], s[40:41], exec
	s_or_b64 s[34:35], s[0:1], s[26:27]
	s_and_b64 s[44:45], s[44:45], exec
	v_mov_b32_e32 v10, v9
.LBB99_238:                             ;   in Loop: Header=BB99_20 Depth=1
	s_or_b64 exec, exec, s[38:39]
	s_orn2_b64 s[38:39], s[44:45], exec
.LBB99_239:                             ;   in Loop: Header=BB99_20 Depth=1
	s_or_b64 exec, exec, s[30:31]
	s_andn2_b64 s[0:1], s[24:25], exec
	s_and_b64 s[24:25], s[36:37], exec
	s_or_b64 s[24:25], s[0:1], s[24:25]
	s_andn2_b64 s[0:1], s[22:23], exec
	s_and_b64 s[22:23], s[34:35], exec
	s_or_b64 s[22:23], s[0:1], s[22:23]
	s_and_b64 s[36:37], s[38:39], exec
	v_mov_b32_e32 v9, v10
.LBB99_240:                             ;   in Loop: Header=BB99_20 Depth=1
	s_or_b64 exec, exec, s[28:29]
	s_orn2_b64 s[28:29], s[36:37], exec
.LBB99_241:                             ;   in Loop: Header=BB99_20 Depth=1
	s_or_b64 exec, exec, s[20:21]
	s_mov_b64 s[20:21], 0
                                        ; implicit-def: $sgpr30
                                        ; implicit-def: $sgpr31
	s_and_saveexec_b64 s[0:1], s[28:29]
	s_xor_b64 s[0:1], exec, s[0:1]
	s_cbranch_execz .LBB99_18
; %bb.242:                              ;   in Loop: Header=BB99_20 Depth=1
	v_and_b32_e32 v3, 7, v8
	v_cmp_eq_u32_e32 vcc, 0, v3
	s_mov_b64 s[18:19], -1
	s_mov_b64 s[20:21], -1
                                        ; implicit-def: $sgpr30
                                        ; implicit-def: $sgpr31
	s_and_saveexec_b64 s[26:27], vcc
	s_cbranch_execz .LBB99_17
; %bb.243:                              ;   in Loop: Header=BB99_20 Depth=1
	s_xor_b32 s31, s13, 1
	s_add_i32 s30, s12, -2
	s_cmp_eq_u32 s12, 0
	s_cselect_b64 s[12:13], -1, 0
	s_xor_b64 s[20:21], exec, -1
	s_orn2_b64 s[18:19], s[12:13], exec
	s_branch .LBB99_17
.LBB99_244:
	s_or_b64 exec, exec, s[88:89]
	s_xor_b64 s[6:7], s[94:95], -1
	s_xor_b64 s[0:1], s[90:91], -1
	;; [unrolled: 1-line block ×3, first 2 shown]
	s_mov_b64 s[2:3], 0
	s_and_saveexec_b64 s[8:9], s[0:1]
	s_xor_b64 s[0:1], exec, s[8:9]
	s_cbranch_execnz .LBB99_249
; %bb.245:
	s_andn2_saveexec_b64 s[0:1], s[0:1]
	s_cbranch_execnz .LBB99_262
.LBB99_246:
	s_or_b64 exec, exec, s[0:1]
	s_and_saveexec_b64 s[0:1], s[2:3]
.LBB99_247:
	; divergent unreachable
.LBB99_248:
	s_endpgm
.LBB99_249:
	s_and_saveexec_b64 s[2:3], s[6:7]
	s_xor_b64 s[2:3], exec, s[2:3]
	s_cbranch_execz .LBB99_260
; %bb.250:
	s_and_saveexec_b64 s[6:7], s[4:5]
	s_xor_b64 s[4:5], exec, s[6:7]
; %bb.251:
	v_xor_b32_e32 v27, 0x80000000, v27
	v_mov_b64_e32 v[6:7], v[26:27]
; %bb.252:
	s_or_b64 exec, exec, s[4:5]
	v_readlane_b32 s4, v60, 0
	s_mul_i32 s4, s4, s33
	s_add_i32 s4, s4, s61
	s_mov_b32 s5, 0
	s_lshl_b64 s[4:5], s[4:5], 3
	v_readlane_b32 s6, v60, 2
	v_readlane_b32 s7, v60, 3
	s_add_u32 s4, s6, s4
	s_addc_u32 s5, s7, s5
	v_mov_b32_e32 v17, 0
	global_store_dwordx2 v17, v[6:7], s[4:5]
	s_mov_b64 s[4:5], exec
	v_readlane_b32 s6, v60, 6
	v_readlane_b32 s7, v60, 7
	s_and_b64 s[6:7], s[4:5], s[6:7]
	s_mov_b64 exec, s[6:7]
	s_cbranch_execz .LBB99_259
; %bb.253:
	s_mov_b64 s[6:7], 0
                                        ; implicit-def: $sgpr8_sgpr9
                                        ; implicit-def: $sgpr12_sgpr13
                                        ; implicit-def: $sgpr10_sgpr11
	s_branch .LBB99_255
.LBB99_254:                             ;   in Loop: Header=BB99_255 Depth=1
	s_or_b64 exec, exec, s[14:15]
	s_and_b64 s[14:15], exec, s[12:13]
	s_or_b64 s[6:7], s[14:15], s[6:7]
	s_andn2_b64 s[8:9], s[8:9], exec
	s_and_b64 s[14:15], s[10:11], exec
	s_or_b64 s[8:9], s[8:9], s[14:15]
	s_andn2_b64 exec, exec, s[6:7]
	s_cbranch_execz .LBB99_257
.LBB99_255:                             ; =>This Inner Loop Header: Depth=1
	v_lshl_add_u64 v[2:3], v[16:17], 3, s[66:67]
	global_load_dwordx2 v[4:5], v[2:3], off
	v_mov_b32_e32 v2, v0
	s_or_b64 s[10:11], s[10:11], exec
	s_or_b64 s[12:13], s[12:13], exec
                                        ; implicit-def: $vgpr0
	s_waitcnt vmcnt(0)
	v_cmp_ne_u64_e32 vcc, v[4:5], v[6:7]
	s_and_saveexec_b64 s[14:15], vcc
	s_cbranch_execz .LBB99_254
; %bb.256:                              ;   in Loop: Header=BB99_255 Depth=1
	v_add_u32_e32 v0, s59, v2
	v_cmp_le_u32_e32 vcc, s56, v0
	s_andn2_b64 s[12:13], s[12:13], exec
	s_and_b64 s[16:17], vcc, exec
	v_add_u32_e32 v16, s62, v16
	s_andn2_b64 s[10:11], s[10:11], exec
	s_or_b64 s[12:13], s[12:13], s[16:17]
	s_branch .LBB99_254
.LBB99_257:
	s_or_b64 exec, exec, s[6:7]
	s_and_saveexec_b64 s[6:7], s[8:9]
	s_xor_b64 s[6:7], exec, s[6:7]
	s_cbranch_execz .LBB99_259
; %bb.258:
	v_readlane_b32 s6, v60, 1
	s_mul_i32 s6, s6, s57
	s_add_i32 s6, s6, s63
	s_mov_b32 s7, 0
	s_lshl_b64 s[6:7], s[6:7], 3
	v_readlane_b32 s8, v60, 4
	v_readlane_b32 s9, v60, 5
	s_add_u32 s6, s8, s6
	s_addc_u32 s7, s9, s7
	v_mov_b32_e32 v3, 0
	global_store_dwordx2 v3, v[2:3], s[6:7]
.LBB99_259:
	s_or_b64 exec, exec, s[4:5]
.LBB99_260:
	s_or_saveexec_b64 s[2:3], s[2:3]
	s_mov_b64 s[4:5], 0
	s_xor_b64 exec, exec, s[2:3]
	s_cbranch_execnz .LBB99_263
.LBB99_261:
	s_or_b64 exec, exec, s[2:3]
	s_and_b64 s[2:3], s[4:5], exec
	s_andn2_saveexec_b64 s[0:1], s[0:1]
	s_cbranch_execz .LBB99_246
.LBB99_262:
	s_or_b64 s[2:3], s[2:3], exec
	s_trap 2
	s_or_b64 exec, exec, s[0:1]
	s_and_saveexec_b64 s[0:1], s[2:3]
	s_cbranch_execnz .LBB99_247
	s_branch .LBB99_248
.LBB99_263:
	s_mov_b64 s[4:5], exec
	s_trap 2
	s_branch .LBB99_261
	.section	.rodata,"a",@progbits
	.p2align	6, 0x0
	.amdhsa_kernel _ZN2at6native12_GLOBAL__N_112gatherMedianIljLin1EEEvNS_4cuda6detail10TensorInfoIT_T0_EENS5_IlS7_EENS5_IKS6_S7_EES7_S7_S7_b
		.amdhsa_group_segment_fixed_size 4120
		.amdhsa_private_segment_fixed_size 0
		.amdhsa_kernarg_size 920
		.amdhsa_user_sgpr_count 2
		.amdhsa_user_sgpr_dispatch_ptr 0
		.amdhsa_user_sgpr_queue_ptr 0
		.amdhsa_user_sgpr_kernarg_segment_ptr 1
		.amdhsa_user_sgpr_dispatch_id 0
		.amdhsa_user_sgpr_kernarg_preload_length 0
		.amdhsa_user_sgpr_kernarg_preload_offset 0
		.amdhsa_user_sgpr_private_segment_size 0
		.amdhsa_uses_dynamic_stack 0
		.amdhsa_enable_private_segment 0
		.amdhsa_system_sgpr_workgroup_id_x 1
		.amdhsa_system_sgpr_workgroup_id_y 1
		.amdhsa_system_sgpr_workgroup_id_z 1
		.amdhsa_system_sgpr_workgroup_info 0
		.amdhsa_system_vgpr_workitem_id 0
		.amdhsa_next_free_vgpr 61
		.amdhsa_next_free_sgpr 100
		.amdhsa_accum_offset 64
		.amdhsa_reserve_vcc 1
		.amdhsa_float_round_mode_32 0
		.amdhsa_float_round_mode_16_64 0
		.amdhsa_float_denorm_mode_32 3
		.amdhsa_float_denorm_mode_16_64 3
		.amdhsa_dx10_clamp 1
		.amdhsa_ieee_mode 1
		.amdhsa_fp16_overflow 0
		.amdhsa_tg_split 0
		.amdhsa_exception_fp_ieee_invalid_op 0
		.amdhsa_exception_fp_denorm_src 0
		.amdhsa_exception_fp_ieee_div_zero 0
		.amdhsa_exception_fp_ieee_overflow 0
		.amdhsa_exception_fp_ieee_underflow 0
		.amdhsa_exception_fp_ieee_inexact 0
		.amdhsa_exception_int_div_zero 0
	.end_amdhsa_kernel
	.section	.text._ZN2at6native12_GLOBAL__N_112gatherMedianIljLin1EEEvNS_4cuda6detail10TensorInfoIT_T0_EENS5_IlS7_EENS5_IKS6_S7_EES7_S7_S7_b,"axG",@progbits,_ZN2at6native12_GLOBAL__N_112gatherMedianIljLin1EEEvNS_4cuda6detail10TensorInfoIT_T0_EENS5_IlS7_EENS5_IKS6_S7_EES7_S7_S7_b,comdat
.Lfunc_end99:
	.size	_ZN2at6native12_GLOBAL__N_112gatherMedianIljLin1EEEvNS_4cuda6detail10TensorInfoIT_T0_EENS5_IlS7_EENS5_IKS6_S7_EES7_S7_S7_b, .Lfunc_end99-_ZN2at6native12_GLOBAL__N_112gatherMedianIljLin1EEEvNS_4cuda6detail10TensorInfoIT_T0_EENS5_IlS7_EENS5_IKS6_S7_EES7_S7_S7_b
                                        ; -- End function
	.set _ZN2at6native12_GLOBAL__N_112gatherMedianIljLin1EEEvNS_4cuda6detail10TensorInfoIT_T0_EENS5_IlS7_EENS5_IKS6_S7_EES7_S7_S7_b.num_vgpr, 61
	.set _ZN2at6native12_GLOBAL__N_112gatherMedianIljLin1EEEvNS_4cuda6detail10TensorInfoIT_T0_EENS5_IlS7_EENS5_IKS6_S7_EES7_S7_S7_b.num_agpr, 0
	.set _ZN2at6native12_GLOBAL__N_112gatherMedianIljLin1EEEvNS_4cuda6detail10TensorInfoIT_T0_EENS5_IlS7_EENS5_IKS6_S7_EES7_S7_S7_b.numbered_sgpr, 100
	.set _ZN2at6native12_GLOBAL__N_112gatherMedianIljLin1EEEvNS_4cuda6detail10TensorInfoIT_T0_EENS5_IlS7_EENS5_IKS6_S7_EES7_S7_S7_b.num_named_barrier, 0
	.set _ZN2at6native12_GLOBAL__N_112gatherMedianIljLin1EEEvNS_4cuda6detail10TensorInfoIT_T0_EENS5_IlS7_EENS5_IKS6_S7_EES7_S7_S7_b.private_seg_size, 0
	.set _ZN2at6native12_GLOBAL__N_112gatherMedianIljLin1EEEvNS_4cuda6detail10TensorInfoIT_T0_EENS5_IlS7_EENS5_IKS6_S7_EES7_S7_S7_b.uses_vcc, 1
	.set _ZN2at6native12_GLOBAL__N_112gatherMedianIljLin1EEEvNS_4cuda6detail10TensorInfoIT_T0_EENS5_IlS7_EENS5_IKS6_S7_EES7_S7_S7_b.uses_flat_scratch, 0
	.set _ZN2at6native12_GLOBAL__N_112gatherMedianIljLin1EEEvNS_4cuda6detail10TensorInfoIT_T0_EENS5_IlS7_EENS5_IKS6_S7_EES7_S7_S7_b.has_dyn_sized_stack, 0
	.set _ZN2at6native12_GLOBAL__N_112gatherMedianIljLin1EEEvNS_4cuda6detail10TensorInfoIT_T0_EENS5_IlS7_EENS5_IKS6_S7_EES7_S7_S7_b.has_recursion, 0
	.set _ZN2at6native12_GLOBAL__N_112gatherMedianIljLin1EEEvNS_4cuda6detail10TensorInfoIT_T0_EENS5_IlS7_EENS5_IKS6_S7_EES7_S7_S7_b.has_indirect_call, 0
	.section	.AMDGPU.csdata,"",@progbits
; Kernel info:
; codeLenInByte = 9680
; TotalNumSgprs: 106
; NumVgprs: 61
; NumAgprs: 0
; TotalNumVgprs: 61
; ScratchSize: 0
; MemoryBound: 0
; FloatMode: 240
; IeeeMode: 1
; LDSByteSize: 4120 bytes/workgroup (compile time only)
; SGPRBlocks: 13
; VGPRBlocks: 7
; NumSGPRsForWavesPerEU: 106
; NumVGPRsForWavesPerEU: 61
; AccumOffset: 64
; Occupancy: 7
; WaveLimiterHint : 1
; COMPUTE_PGM_RSRC2:SCRATCH_EN: 0
; COMPUTE_PGM_RSRC2:USER_SGPR: 2
; COMPUTE_PGM_RSRC2:TRAP_HANDLER: 0
; COMPUTE_PGM_RSRC2:TGID_X_EN: 1
; COMPUTE_PGM_RSRC2:TGID_Y_EN: 1
; COMPUTE_PGM_RSRC2:TGID_Z_EN: 1
; COMPUTE_PGM_RSRC2:TIDIG_COMP_CNT: 0
; COMPUTE_PGM_RSRC3_GFX90A:ACCUM_OFFSET: 15
; COMPUTE_PGM_RSRC3_GFX90A:TG_SPLIT: 0
	.section	.text._ZN2at6native12_GLOBAL__N_112gatherMedianIlmLi1EEEvNS_4cuda6detail10TensorInfoIT_T0_EENS5_IlS7_EENS5_IKS6_S7_EES7_S7_S7_b,"axG",@progbits,_ZN2at6native12_GLOBAL__N_112gatherMedianIlmLi1EEEvNS_4cuda6detail10TensorInfoIT_T0_EENS5_IlS7_EENS5_IKS6_S7_EES7_S7_S7_b,comdat
	.globl	_ZN2at6native12_GLOBAL__N_112gatherMedianIlmLi1EEEvNS_4cuda6detail10TensorInfoIT_T0_EENS5_IlS7_EENS5_IKS6_S7_EES7_S7_S7_b ; -- Begin function _ZN2at6native12_GLOBAL__N_112gatherMedianIlmLi1EEEvNS_4cuda6detail10TensorInfoIT_T0_EENS5_IlS7_EENS5_IKS6_S7_EES7_S7_S7_b
	.p2align	8
	.type	_ZN2at6native12_GLOBAL__N_112gatherMedianIlmLi1EEEvNS_4cuda6detail10TensorInfoIT_T0_EENS5_IlS7_EENS5_IKS6_S7_EES7_S7_S7_b,@function
_ZN2at6native12_GLOBAL__N_112gatherMedianIlmLi1EEEvNS_4cuda6detail10TensorInfoIT_T0_EENS5_IlS7_EENS5_IKS6_S7_EES7_S7_S7_b: ; @_ZN2at6native12_GLOBAL__N_112gatherMedianIlmLi1EEEvNS_4cuda6detail10TensorInfoIT_T0_EENS5_IlS7_EENS5_IKS6_S7_EES7_S7_S7_b
; %bb.0:
	s_load_dwordx2 s[8:9], s[0:1], 0x500
	s_load_dwordx4 s[52:55], s[0:1], 0x4e0
	s_add_u32 s10, s0, 0x500
	s_addc_u32 s11, s1, 0
	s_mov_b32 s19, 0
	s_waitcnt lgkmcnt(0)
	s_mul_i32 s4, s9, s4
	s_add_i32 s3, s4, s3
	s_mul_i32 s3, s3, s8
	s_add_i32 s18, s3, s2
	v_mov_b64_e32 v[2:3], s[18:19]
	v_cmp_le_u64_e32 vcc, s[54:55], v[2:3]
	s_cbranch_vccnz .LBB100_271
; %bb.1:
	s_load_dwordx2 s[64:65], s[0:1], 0x4f0
	s_load_dwordx2 s[6:7], s[0:1], 0x410
	;; [unrolled: 1-line block ×3, first 2 shown]
	v_cmp_eq_u32_e64 s[14:15], 0, v0
	s_mov_b64 s[12:13], exec
                                        ; implicit-def: $vgpr66 : SGPR spill to VGPR lane
	s_nop 0
	v_writelane_b32 v66, s14, 0
	s_nop 1
	v_writelane_b32 v66, s15, 1
	s_and_b64 s[14:15], s[12:13], s[14:15]
	s_mov_b64 exec, s[14:15]
; %bb.2:
	v_mov_b32_e32 v2, 0
	v_mov_b32_e32 v3, v2
	ds_write_b64 v2, v[2:3] offset:5136
; %bb.3:
	s_or_b64 exec, exec, s[12:13]
	s_load_dwordx2 s[12:13], s[0:1], 0x270
	v_mov_b32_e32 v3, 0
	s_waitcnt lgkmcnt(0)
	s_barrier
	v_writelane_b32 v66, s12, 2
	s_barrier
	s_nop 0
	v_writelane_b32 v66, s13, 3
	s_load_dwordx2 s[12:13], s[0:1], 0x1a0
	s_waitcnt lgkmcnt(0)
	ds_read_b64 v[4:5], v3 offset:5136
	v_writelane_b32 v66, s12, 4
	s_nop 1
	v_writelane_b32 v66, s13, 5
	s_load_dwordx2 s[12:13], s[0:1], 0xd0
	s_waitcnt lgkmcnt(0)
	v_writelane_b32 v66, s12, 6
	s_nop 1
	v_writelane_b32 v66, s13, 7
	s_load_dwordx2 s[12:13], s[0:1], 0x0
	s_waitcnt lgkmcnt(0)
	v_writelane_b32 v66, s12, 8
	s_nop 1
	v_writelane_b32 v66, s13, 9
	v_readfirstlane_b32 s12, v4
	v_readfirstlane_b32 s13, v5
	s_mov_b64 s[14:15], exec
	v_readlane_b32 s16, v66, 0
	v_readlane_b32 s17, v66, 1
	s_and_b64 s[16:17], s[14:15], s[16:17]
	s_mov_b64 exec, s[16:17]
	s_cbranch_execz .LBB100_5
; %bb.4:
	v_mov_b32_e32 v4, s52
	v_mov_b32_e32 v5, s53
	;; [unrolled: 1-line block ×3, first 2 shown]
	ds_write_b32 v3, v3 offset:5144
	ds_write_b128 v3, v[2:5] offset:5120
.LBB100_5:
	s_or_b64 exec, exec, s[14:15]
	s_load_dword s3, s[0:1], 0x4f8
	v_cmp_lt_i64_e64 s[0:1], s[12:13], 1
	s_mul_i32 s7, s7, s18
	v_mov_b32_e32 v1, v3
	v_mbcnt_lo_u32_b32 v2, -1, 0
	s_waitcnt lgkmcnt(0)
	s_bitcmp1_b32 s3, 0
	s_cselect_b64 s[14:15], -1, 0
	s_not_b64 s[12:13], s[12:13]
	s_or_b64 s[0:1], s[14:15], s[0:1]
	s_add_u32 s12, s52, s12
	s_addc_u32 s13, s53, s13
	s_lshr_b64 s[12:13], s[12:13], 1
	s_add_u32 s3, s12, 1
	s_addc_u32 s9, s13, 0
	s_and_b64 s[0:1], s[0:1], exec
	s_mul_hi_u32 s0, s6, s18
	s_cselect_b32 s13, s9, s53
	s_cselect_b32 s12, s3, s52
	s_add_i32 s1, s0, s7
	s_mov_b32 s0, s18
	v_writelane_b32 v66, s0, 10
	v_mbcnt_hi_u32_b32 v44, -1, v2
	v_cmp_gt_u32_e32 vcc, 64, v0
	v_writelane_b32 v66, s1, 11
	s_mul_i32 s0, s6, s18
	s_lshl_b64 s[0:1], s[0:1], 3
	s_add_u32 s56, s4, s0
	s_addc_u32 s57, s5, s1
	v_cmp_gt_u64_e64 s[0:1], s[52:53], v[0:1]
	v_mov_b64_e32 v[4:5], 0x180
	s_nop 0
	v_writelane_b32 v66, s0, 12
	s_barrier
	s_nop 0
	v_writelane_b32 v66, s1, 13
	v_cmp_gt_i32_e64 s[0:1], 4, v44
	s_and_b64 s[80:81], vcc, s[0:1]
	v_cmp_gt_u32_e64 s[0:1], 2, v0
	v_lshlrev_b32_e32 v49, 5, v0
	s_mov_b32 s73, 0
	v_writelane_b32 v66, s0, 14
	v_lshlrev_b32_e32 v45, 3, v0
	v_cmp_eq_u32_e64 s[4:5], 0, v44
	v_writelane_b32 v66, s1, 15
	v_cmp_gt_u64_e64 s[0:1], s[52:53], v[4:5]
	v_add_u32_e32 v46, 0xc00, v45
	v_lshlrev_b32_e32 v20, 2, v0
	v_writelane_b32 v66, s0, 16
	v_mov_b32_e32 v21, v3
	s_mov_b32 s67, s73
	v_writelane_b32 v66, s1, 17
	v_mad_u64_u32 v[4:5], s[0:1], s64, v0, 0
	v_mov_b32_e32 v2, v5
	v_mad_u64_u32 v[6:7], s[0:1], s65, v0, v[2:3]
	s_load_dword s0, s[10:11], 0xc
	v_mov_b32_e32 v5, v6
	v_lshlrev_b32_e32 v2, 2, v44
	v_lshlrev_b64 v[6:7], v44, -1
	v_and_b32_e32 v47, 0x100, v2
	s_waitcnt lgkmcnt(0)
	s_and_b32 s66, s0, 0xffff
	s_bfe_u32 s0, s0, 0xa0006
	s_cmp_gt_u32 s66, 63
	s_cselect_b64 s[6:7], -1, 0
	s_add_u32 s1, s66, -1
	s_addc_u32 s3, 0, -1
	s_add_u32 s33, s1, s52
	v_writelane_b32 v66, s6, 18
	s_addc_u32 s79, s3, s53
	s_cmp_lt_u32 s2, s8
	v_writelane_b32 v66, s7, 19
	v_writelane_b32 v66, s1, 20
	s_cselect_b32 s1, 12, 18
	s_add_u32 s70, s10, s1
	s_addc_u32 s71, s11, 0
	s_add_i32 s1, s0, -1
	s_bfe_u32 s2, s66, 0x30006
	s_and_b32 s1, s1, 0xffff
	s_cmp_gt_u32 s1, 6
	v_writelane_b32 v66, s3, 21
	s_cselect_b64 s[6:7], -1, 0
	v_writelane_b32 v66, s6, 22
	v_not_b32_e32 v22, v6
	v_lshrrev_b32_e32 v2, 1, v0
	v_writelane_b32 v66, s7, 23
	s_and_b32 s6, s0, 0x3f8
	s_cmp_lg_u32 s2, 0
	v_writelane_b32 v66, s2, 24
	s_cselect_b64 s[0:1], -1, 0
	v_writelane_b32 v66, s0, 25
	v_or_b32_e32 v6, 24, v49
	v_and_b32_e32 v2, 0x1e0, v2
	v_writelane_b32 v66, s1, 26
	s_lshl_b64 s[0:1], s[64:65], 3
	v_writelane_b32 v66, s0, 27
	v_or_b32_e32 v48, 0xc00, v2
	v_not_b32_e32 v23, v7
	v_writelane_b32 v66, s1, 28
	v_mad_u64_u32 v[24:25], s[0:1], s64, v6, 0
	v_mov_b32_e32 v2, v25
	v_mad_u64_u32 v[6:7], s[0:1], s65, v6, v[2:3]
	v_mov_b32_e32 v25, v6
	v_or_b32_e32 v6, 16, v49
	v_mad_u64_u32 v[26:27], s[0:1], s64, v6, 0
	v_mov_b32_e32 v2, v27
	v_mad_u64_u32 v[6:7], s[0:1], s65, v6, v[2:3]
	v_mov_b32_e32 v27, v6
	v_or_b32_e32 v6, 8, v49
	v_mad_u64_u32 v[30:31], s[0:1], s64, v6, 0
	v_mov_b32_e32 v2, v31
	v_mad_u64_u32 v[6:7], s[0:1], s65, v6, v[2:3]
	s_mul_i32 s0, s65, s66
	s_mul_hi_u32 s1, s64, s66
	v_mov_b32_e32 v2, 0xc00
	s_add_i32 s1, s1, s0
	s_mul_i32 s0, s64, s66
	v_lshl_add_u64 v[18:19], v[4:5], 3, s[56:57]
	s_lshl_b64 s[88:89], s[64:65], 5
	v_mov_b32_e32 v31, v6
	v_lshlrev_b64 v[32:33], 5, v[4:5]
	v_lshl_or_b32 v50, v44, 3, v2
	s_lshl_b32 s7, s66, 3
	s_lshl_b64 s[68:69], s[0:1], 3
	s_mov_b32 s74, 62
	s_mov_b64 s[90:91], 0
	v_mov_b64_e32 v[8:9], 0
	v_mov_b64_e32 v[36:37], s[12:13]
	;; [unrolled: 1-line block ×5, first 2 shown]
	v_mov_b32_e32 v4, 1
	v_mov_b32_e32 v51, 0x4f800000
	;; [unrolled: 1-line block ×4, first 2 shown]
	s_mov_b32 s75, 0
	v_writelane_b32 v66, s70, 29
                                        ; implicit-def: $sgpr92_sgpr93
                                        ; implicit-def: $sgpr96_sgpr97
                                        ; implicit-def: $sgpr94_sgpr95
                                        ; implicit-def: $sgpr54_sgpr55
                                        ; implicit-def: $sgpr58_sgpr59
                                        ; implicit-def: $sgpr98_sgpr99
	s_nop 1
	v_writelane_b32 v66, s71, 30
	s_branch .LBB100_9
.LBB100_6:                              ;   in Loop: Header=BB100_9 Depth=1
	s_or_b64 exec, exec, s[14:15]
	s_and_b64 s[10:11], s[10:11], exec
	s_andn2_b64 s[22:23], s[22:23], exec
	s_andn2_b64 s[0:1], s[0:1], exec
	s_orn2_b64 s[14:15], s[8:9], exec
.LBB100_7:                              ;   in Loop: Header=BB100_9 Depth=1
	s_or_b64 exec, exec, s[2:3]
	s_andn2_b64 s[2:3], s[98:99], exec
	s_and_b64 s[8:9], s[10:11], exec
	s_or_b64 s[98:99], s[2:3], s[8:9]
	s_andn2_b64 s[2:3], s[58:59], exec
	s_and_b64 s[8:9], s[22:23], exec
	s_or_b64 s[58:59], s[2:3], s[8:9]
	;; [unrolled: 3-line block ×3, first 2 shown]
	s_orn2_b64 s[0:1], s[14:15], exec
.LBB100_8:                              ;   in Loop: Header=BB100_9 Depth=1
	s_or_b64 exec, exec, s[12:13]
	s_and_b64 s[0:1], exec, s[0:1]
	s_or_b64 s[90:91], s[0:1], s[90:91]
	s_andn2_b64 s[0:1], s[94:95], exec
	s_and_b64 s[2:3], s[98:99], exec
	s_or_b64 s[94:95], s[0:1], s[2:3]
	s_andn2_b64 s[0:1], s[96:97], exec
	s_and_b64 s[2:3], s[58:59], exec
	;; [unrolled: 3-line block ×3, first 2 shown]
	s_or_b64 s[92:93], s[0:1], s[2:3]
	v_mov_b64_e32 v[36:37], v[14:15]
	s_andn2_b64 exec, exec, s[90:91]
	s_cbranch_execz .LBB100_267
.LBB100_9:                              ; =>This Loop Header: Depth=1
                                        ;     Child Loop BB100_15 Depth 2
                                        ;     Child Loop BB100_28 Depth 2
	;; [unrolled: 1-line block ×16, first 2 shown]
	ds_read_b128 v[10:13], v3 offset:5120
	s_waitcnt lgkmcnt(0)
	v_readfirstlane_b32 s61, v11
	v_readfirstlane_b32 s60, v10
	s_cmp_lg_u64 s[60:61], 0
	s_cbranch_scc1 .LBB100_36
; %bb.10:                               ;   in Loop: Header=BB100_9 Depth=1
	v_readlane_b32 s0, v66, 16
	v_readlane_b32 s1, v66, 17
	s_and_b64 vcc, exec, s[0:1]
	s_cbranch_vccz .LBB100_23
; %bb.11:                               ;   in Loop: Header=BB100_9 Depth=1
	s_mov_b64 s[0:1], 0x181
	v_cmp_gt_u64_e32 vcc, s[0:1], v[12:13]
	s_mov_b64 s[8:9], 0
	s_mov_b64 s[0:1], 0
	s_cbranch_vccz .LBB100_24
; %bb.12:                               ;   in Loop: Header=BB100_9 Depth=1
	s_mov_b64 s[10:11], exec
	v_readlane_b32 s0, v66, 12
	v_readlane_b32 s1, v66, 13
	s_and_b64 s[0:1], s[10:11], s[0:1]
	s_mov_b64 exec, s[0:1]
	s_cbranch_execz .LBB100_134
; %bb.13:                               ;   in Loop: Header=BB100_9 Depth=1
	global_load_ushort v5, v3, s[70:71]
	global_load_dwordx2 v[6:7], v[18:19], off
	v_readlane_b32 s16, v66, 27
	v_mov_b64_e32 v[10:11], s[56:57]
	v_readlane_b32 s17, v66, 28
	s_mov_b64 s[12:13], 0
	s_waitcnt vmcnt(1)
	v_readfirstlane_b32 s0, v5
	s_and_b32 s0, 0xffff, s0
	v_and_b32_e32 v2, 0xffff, v5
	v_add_u32_e32 v5, s0, v0
	s_mul_i32 s2, s17, s0
	s_mul_hi_u32 s3, s16, s0
	s_mul_i32 s14, s16, s0
	v_mad_u64_u32 v[10:11], s[0:1], s16, v5, v[10:11]
	v_mov_b32_e32 v12, v11
	v_mad_u64_u32 v[12:13], s[0:1], s17, v5, v[12:13]
	s_add_i32 s15, s3, s2
	v_mov_b32_e32 v11, v12
	v_mov_b64_e32 v[12:13], v[0:1]
	s_branch .LBB100_15
.LBB100_14:                             ;   in Loop: Header=BB100_15 Depth=2
	s_or_b64 exec, exec, s[2:3]
	v_lshl_add_u64 v[10:11], v[10:11], 0, s[14:15]
	v_mov_b64_e32 v[6:7], v[14:15]
	s_andn2_b64 exec, exec, s[12:13]
	s_cbranch_execz .LBB100_134
.LBB100_15:                             ;   Parent Loop BB100_9 Depth=1
                                        ; =>  This Inner Loop Header: Depth=2
	v_lshl_add_u64 v[12:13], v[12:13], 0, v[2:3]
	v_cmp_gt_u64_e64 s[0:1], s[52:53], v[12:13]
	v_cmp_le_u64_e32 vcc, s[52:53], v[12:13]
	v_mov_b64_e32 v[14:15], 0
	s_and_saveexec_b64 s[2:3], s[0:1]
	s_cbranch_execz .LBB100_17
; %bb.16:                               ;   in Loop: Header=BB100_15 Depth=2
	global_load_dwordx2 v[14:15], v[10:11], off
.LBB100_17:                             ;   in Loop: Header=BB100_15 Depth=2
	s_or_b64 exec, exec, s[2:3]
	s_waitcnt vmcnt(0) lgkmcnt(0)
	v_xor_b32_e32 v5, 0x80000000, v7
	v_and_b32_e32 v17, v5, v35
	v_and_b32_e32 v16, v6, v34
	v_cmp_eq_u64_e64 s[0:1], v[16:17], v[28:29]
	s_cmp_lg_u64 s[0:1], 0
	s_cselect_b64 s[2:3], -1, 0
	s_and_b64 s[2:3], s[4:5], s[2:3]
	v_mov_b32_e32 v5, 0
	s_and_saveexec_b64 s[16:17], s[2:3]
	s_cbranch_execz .LBB100_21
; %bb.18:                               ;   in Loop: Header=BB100_15 Depth=2
	s_mov_b64 s[20:21], exec
	v_mbcnt_lo_u32_b32 v5, s20, 0
	v_mbcnt_hi_u32_b32 v5, s21, v5
	s_bcnt1_i32_b64 s22, s[0:1]
	v_cmp_eq_u32_e64 s[2:3], 0, v5
                                        ; implicit-def: $vgpr16
	s_and_saveexec_b64 s[18:19], s[2:3]
; %bb.19:                               ;   in Loop: Header=BB100_15 Depth=2
	s_bcnt1_i32_b64 s2, s[20:21]
	s_mul_i32 s2, s22, s2
	v_mov_b32_e32 v16, s2
	ds_add_rtn_u32 v16, v3, v16 offset:5144
; %bb.20:                               ;   in Loop: Header=BB100_15 Depth=2
	s_or_b64 exec, exec, s[18:19]
	s_waitcnt lgkmcnt(0)
	v_readfirstlane_b32 s2, v16
	s_nop 1
	v_mov_b32_e32 v16, s2
	v_mad_u32_u24 v5, s22, v5, v16
.LBB100_21:                             ;   in Loop: Header=BB100_15 Depth=2
	s_or_b64 exec, exec, s[16:17]
	ds_bpermute_b32 v5, v47, v5
	s_and_b64 s[2:3], exec, vcc
	s_or_b64 s[12:13], s[2:3], s[12:13]
	s_and_saveexec_b64 s[2:3], s[0:1]
	s_cbranch_execz .LBB100_14
; %bb.22:                               ;   in Loop: Header=BB100_15 Depth=2
	v_and_b32_e32 v17, s0, v22
	v_and_b32_e32 v16, s1, v23
	v_bcnt_u32_b32 v17, v17, 0
	v_bcnt_u32_b32 v16, v16, v17
	v_lshlrev_b32_e32 v16, 3, v16
	s_waitcnt lgkmcnt(0)
	v_lshl_add_u32 v5, v5, 3, v16
	ds_write_b64 v5, v[6:7]
	s_branch .LBB100_14
.LBB100_23:                             ;   in Loop: Header=BB100_9 Depth=1
	s_mov_b64 s[8:9], -1
	s_mov_b64 s[0:1], 0
.LBB100_24:                             ;   in Loop: Header=BB100_9 Depth=1
	s_and_b64 vcc, exec, s[8:9]
	s_cbranch_vccz .LBB100_34
.LBB100_25:                             ;   in Loop: Header=BB100_9 Depth=1
	s_mov_b64 s[0:1], exec
	v_readlane_b32 s2, v66, 12
	v_readlane_b32 s3, v66, 13
	s_and_b64 s[2:3], s[0:1], s[2:3]
	s_mov_b64 exec, s[2:3]
	s_cbranch_execz .LBB100_31
; %bb.26:                               ;   in Loop: Header=BB100_9 Depth=1
	global_load_ushort v2, v3, s[70:71]
	global_load_dwordx2 v[6:7], v[18:19], off
	v_mov_b32_e32 v5, v0
	s_waitcnt vmcnt(1)
	v_readfirstlane_b32 s8, v2
	v_add_u32_sdwa v2, v2, v0 dst_sel:DWORD dst_unused:UNUSED_PAD src0_sel:WORD_0 src1_sel:DWORD
	v_cmp_gt_u64_e32 vcc, s[52:53], v[2:3]
	s_and_saveexec_b64 s[2:3], vcc
	s_cbranch_execz .LBB100_30
; %bb.27:                               ;   in Loop: Header=BB100_9 Depth=1
	v_mov_b64_e32 v[10:11], s[56:57]
	v_readlane_b32 s10, v66, 27
	s_and_b32 s72, s8, 0xffff
	v_readlane_b32 s11, v66, 28
	v_mad_u64_u32 v[10:11], s[8:9], s10, v2, v[10:11]
	v_mov_b32_e32 v12, v11
	v_mad_u64_u32 v[12:13], s[8:9], s11, v2, v[12:13]
	s_mul_i32 s8, s11, s72
	s_mul_hi_u32 s9, s10, s72
	v_mov_b32_e32 v11, v12
	s_add_i32 s9, s9, s8
	s_mul_i32 s8, s10, s72
	s_mov_b64 s[10:11], 0
	v_mov_b64_e32 v[14:15], v[2:3]
	v_mov_b64_e32 v[16:17], v[0:1]
.LBB100_28:                             ;   Parent Loop BB100_9 Depth=1
                                        ; =>  This Inner Loop Header: Depth=2
	global_load_dwordx2 v[12:13], v[10:11], off
	v_mov_b64_e32 v[38:39], v[14:15]
	v_lshl_add_u64 v[14:15], v[38:39], 0, s[72:73]
	v_lshlrev_b32_e32 v2, 3, v16
	v_cmp_le_u64_e32 vcc, s[52:53], v[14:15]
	v_lshl_add_u64 v[10:11], v[10:11], 0, s[8:9]
	s_waitcnt vmcnt(1)
	ds_write_b64 v2, v[6:7]
	v_mov_b64_e32 v[16:17], v[38:39]
	s_or_b64 s[10:11], vcc, s[10:11]
	s_waitcnt vmcnt(0)
	v_mov_b64_e32 v[6:7], v[12:13]
	s_andn2_b64 exec, exec, s[10:11]
	s_cbranch_execnz .LBB100_28
; %bb.29:                               ;   in Loop: Header=BB100_9 Depth=1
	s_or_b64 exec, exec, s[10:11]
	v_subrev_u32_e32 v5, s72, v14
	v_mov_b64_e32 v[6:7], v[12:13]
.LBB100_30:                             ;   in Loop: Header=BB100_9 Depth=1
	s_or_b64 exec, exec, s[2:3]
	v_lshlrev_b32_e32 v2, 3, v5
	s_waitcnt vmcnt(0)
	ds_write_b64 v2, v[6:7]
.LBB100_31:                             ;   in Loop: Header=BB100_9 Depth=1
	s_or_b64 exec, exec, s[0:1]
	s_waitcnt lgkmcnt(0)
	s_barrier
	s_mov_b64 s[0:1], exec
	v_readlane_b32 s2, v66, 0
	v_readlane_b32 s3, v66, 1
	s_and_b64 s[2:3], s[0:1], s[2:3]
	s_mov_b64 exec, s[2:3]
; %bb.32:                               ;   in Loop: Header=BB100_9 Depth=1
	ds_write_b64 v3, v[54:55] offset:5120
; %bb.33:                               ;   in Loop: Header=BB100_9 Depth=1
	s_or_b64 exec, exec, s[0:1]
	s_mov_b64 s[0:1], -1
	s_waitcnt lgkmcnt(0)
	s_barrier
.LBB100_34:                             ;   in Loop: Header=BB100_9 Depth=1
	s_mov_b64 s[60:61], 0
	s_and_b64 vcc, exec, s[0:1]
	s_cbranch_vccz .LBB100_36
; %bb.35:                               ;   in Loop: Header=BB100_9 Depth=1
	ds_read_b64 v[6:7], v3 offset:5120
	s_waitcnt lgkmcnt(0)
	v_readfirstlane_b32 s60, v6
.LBB100_36:                             ;   in Loop: Header=BB100_9 Depth=1
	s_cmp_lt_i32 s60, 1
	s_mov_b64 s[0:1], -1
                                        ; implicit-def: $vgpr16_vgpr17
                                        ; implicit-def: $vgpr12_vgpr13
	s_cbranch_scc1 .LBB100_46
; %bb.37:                               ;   in Loop: Header=BB100_9 Depth=1
	s_and_b64 vcc, exec, s[0:1]
	s_cbranch_vccnz .LBB100_60
.LBB100_38:                             ;   in Loop: Header=BB100_9 Depth=1
	s_lshl_b32 s2, s75, 6
	s_and_saveexec_b64 s[0:1], s[4:5]
	s_cbranch_execz .LBB100_40
.LBB100_39:                             ;   in Loop: Header=BB100_9 Depth=1
	v_lshl_add_u32 v2, s2, 3, v48
	ds_write_b128 v2, v[10:13]
	ds_write_b128 v2, v[14:17] offset:16
.LBB100_40:                             ;   in Loop: Header=BB100_9 Depth=1
	s_or_b64 exec, exec, s[0:1]
	s_waitcnt lgkmcnt(0)
	s_barrier
	s_and_saveexec_b64 s[0:1], s[80:81]
	s_cbranch_execz .LBB100_75
; %bb.41:                               ;   in Loop: Header=BB100_9 Depth=1
	v_readlane_b32 s8, v66, 18
	v_readlane_b32 s9, v66, 19
	s_andn2_b64 vcc, exec, s[8:9]
	v_mov_b64_e32 v[6:7], 0
	s_cbranch_vccnz .LBB100_74
; %bb.42:                               ;   in Loop: Header=BB100_9 Depth=1
	v_readlane_b32 s8, v66, 22
	v_readlane_b32 s9, v66, 23
	s_andn2_b64 vcc, exec, s[8:9]
	s_cbranch_vccnz .LBB100_70
; %bb.43:                               ;   in Loop: Header=BB100_9 Depth=1
	v_lshl_add_u32 v2, s75, 9, v50
	v_mov_b64_e32 v[6:7], 0
	s_mov_b32 s3, 0
.LBB100_44:                             ;   Parent Loop BB100_9 Depth=1
                                        ; =>  This Inner Loop Header: Depth=2
	ds_read2_b64 v[10:13], v2 offset1:4
	ds_read2_b64 v[14:17], v2 offset0:8 offset1:12
	ds_read2_b64 v[38:41], v2 offset0:16 offset1:20
	;; [unrolled: 1-line block ×3, first 2 shown]
	s_add_i32 s3, s3, 8
	s_waitcnt lgkmcnt(3)
	v_lshl_add_u64 v[6:7], v[10:11], 0, v[6:7]
	v_lshl_add_u64 v[6:7], v[12:13], 0, v[6:7]
	s_waitcnt lgkmcnt(2)
	v_lshl_add_u64 v[6:7], v[14:15], 0, v[6:7]
	v_lshl_add_u64 v[6:7], v[16:17], 0, v[6:7]
	s_waitcnt lgkmcnt(1)
	v_lshl_add_u64 v[6:7], v[38:39], 0, v[6:7]
	v_lshl_add_u64 v[6:7], v[40:41], 0, v[6:7]
	s_waitcnt lgkmcnt(0)
	v_lshl_add_u64 v[6:7], v[58:59], 0, v[6:7]
	v_add_u32_e32 v2, 0x100, v2
	s_cmp_eq_u32 s6, s3
	v_lshl_add_u64 v[6:7], v[60:61], 0, v[6:7]
	s_cbranch_scc0 .LBB100_44
; %bb.45:                               ;   in Loop: Header=BB100_9 Depth=1
	s_mov_b32 s3, s6
	s_branch .LBB100_71
.LBB100_46:                             ;   in Loop: Header=BB100_9 Depth=1
	global_load_ushort v2, v3, s[70:71]
	s_mov_b32 s0, s73
	s_waitcnt vmcnt(0)
	v_readfirstlane_b32 s1, v2
	s_and_b32 s62, s1, 0xffff
	s_lshl_b32 s72, s62, 2
	s_mov_b32 s1, s53
	s_cmp_lg_u64 s[0:1], 0
	s_cbranch_scc0 .LBB100_69
; %bb.47:                               ;   in Loop: Header=BB100_9 Depth=1
	v_cvt_f32_u32_e32 v2, s72
	s_sub_u32 s2, 0, s72
	s_subb_u32 s3, 0, 0
	v_fmac_f32_e32 v2, 0, v51
	v_rcp_f32_e32 v2, v2
	s_nop 0
	v_mul_f32_e32 v2, 0x5f7ffffc, v2
	v_mul_f32_e32 v5, 0x2f800000, v2
	v_trunc_f32_e32 v5, v5
	v_fmac_f32_e32 v2, 0xcf800000, v5
	v_cvt_u32_f32_e32 v5, v5
	v_cvt_u32_f32_e32 v2, v2
	v_readfirstlane_b32 s8, v5
	v_readfirstlane_b32 s0, v2
	s_mul_i32 s1, s2, s8
	s_mul_hi_u32 s10, s2, s0
	s_mul_i32 s9, s3, s0
	s_add_i32 s1, s10, s1
	s_mul_i32 s11, s2, s0
	s_add_i32 s1, s1, s9
	s_mul_hi_u32 s10, s0, s11
	s_mul_i32 s12, s0, s1
	s_mul_hi_u32 s9, s0, s1
	s_add_u32 s10, s10, s12
	s_addc_u32 s9, 0, s9
	s_mul_hi_u32 s13, s8, s11
	s_mul_i32 s11, s8, s11
	s_add_u32 s10, s10, s11
	s_mul_hi_u32 s12, s8, s1
	s_addc_u32 s9, s9, s13
	s_addc_u32 s10, s12, 0
	s_mul_i32 s1, s8, s1
	s_add_u32 s1, s9, s1
	s_addc_u32 s9, 0, s10
	s_add_u32 s10, s0, s1
	s_cselect_b64 s[0:1], -1, 0
	s_cmp_lg_u64 s[0:1], 0
	s_addc_u32 s8, s8, s9
	s_mul_i32 s0, s2, s8
	s_mul_hi_u32 s1, s2, s10
	s_add_i32 s0, s1, s0
	s_mul_i32 s3, s3, s10
	s_add_i32 s0, s0, s3
	s_mul_i32 s2, s2, s10
	s_mul_hi_u32 s3, s8, s2
	s_mul_i32 s9, s8, s2
	s_mul_i32 s12, s10, s0
	s_mul_hi_u32 s2, s10, s2
	s_mul_hi_u32 s11, s10, s0
	s_add_u32 s2, s2, s12
	s_addc_u32 s11, 0, s11
	s_add_u32 s2, s2, s9
	s_mul_hi_u32 s1, s8, s0
	s_addc_u32 s2, s11, s3
	s_addc_u32 s1, s1, 0
	s_mul_i32 s0, s8, s0
	s_add_u32 s0, s2, s0
	s_addc_u32 s2, 0, s1
	s_add_u32 s3, s10, s0
	s_cselect_b64 s[0:1], -1, 0
	s_cmp_lg_u64 s[0:1], 0
	s_addc_u32 s0, s8, s2
	s_mul_i32 s2, s52, s0
	s_mul_hi_u32 s8, s52, s3
	s_mul_hi_u32 s1, s52, s0
	s_add_u32 s2, s8, s2
	s_addc_u32 s1, 0, s1
	s_mul_hi_u32 s9, s53, s3
	s_mul_i32 s3, s53, s3
	s_add_u32 s2, s2, s3
	s_mul_hi_u32 s8, s53, s0
	s_addc_u32 s1, s1, s9
	s_addc_u32 s2, s8, 0
	s_mul_i32 s0, s53, s0
	s_add_u32 s0, s1, s0
	s_addc_u32 s1, 0, s2
	s_mul_i32 s1, s72, s1
	s_mul_hi_u32 s2, s72, s0
	s_add_i32 s2, s2, s1
	s_mul_i32 s0, s72, s0
	s_sub_u32 s3, s52, s0
	s_cselect_b64 s[0:1], -1, 0
	s_cmp_lg_u64 s[0:1], 0
	s_subb_u32 s2, s53, s2
	s_sub_u32 s8, s3, s72
	s_cselect_b64 s[0:1], -1, 0
	s_cmp_lg_u64 s[0:1], 0
	s_subb_u32 s9, s2, 0
	;; [unrolled: 4-line block ×3, first 2 shown]
	s_cmp_ge_u32 s8, s72
	s_cselect_b32 s1, -1, 0
	s_cmp_eq_u32 s9, 0
	s_cselect_b32 s1, s1, -1
	s_cmp_lg_u32 s1, 0
	s_cselect_b32 s0, s0, s9
	s_cselect_b32 s8, s10, s8
	s_cmp_ge_u32 s3, s72
	s_cselect_b32 s1, -1, 0
	s_cmp_eq_u32 s2, 0
	s_cselect_b32 s1, s1, -1
	s_cmp_lg_u32 s1, 0
	s_cselect_b32 s1, s0, s2
	s_cselect_b32 s0, s8, s3
	s_cbranch_execnz .LBB100_49
.LBB100_48:                             ;   in Loop: Header=BB100_9 Depth=1
	v_cvt_f32_u32_e32 v2, s72
	s_sub_i32 s0, 0, s72
	v_rcp_iflag_f32_e32 v2, v2
	s_nop 0
	v_mul_f32_e32 v2, 0x4f7ffffe, v2
	v_cvt_u32_f32_e32 v2, v2
	s_nop 0
	v_readfirstlane_b32 s1, v2
	s_mul_i32 s0, s0, s1
	s_mul_hi_u32 s0, s1, s0
	s_add_i32 s1, s1, s0
	s_mul_hi_u32 s0, s52, s1
	s_mul_i32 s0, s0, s72
	s_sub_i32 s0, s52, s0
	s_sub_i32 s1, s0, s72
	s_cmp_ge_u32 s0, s72
	s_cselect_b32 s0, s1, s0
	s_sub_i32 s1, s0, s72
	s_cmp_ge_u32 s0, s72
	s_cselect_b32 s0, s1, s0
	s_mov_b32 s1, s73
.LBB100_49:                             ;   in Loop: Header=BB100_9 Depth=1
	s_sub_u32 s82, s52, s0
	s_subb_u32 s83, s53, s1
	s_mov_b32 s63, s73
	v_cmp_gt_u64_e32 vcc, s[82:83], v[20:21]
	v_mov_b64_e32 v[10:11], 0
	v_mov_b64_e32 v[12:13], 0
	;; [unrolled: 1-line block ×4, first 2 shown]
	s_and_saveexec_b64 s[84:85], vcc
	s_cbranch_execz .LBB100_53
; %bb.50:                               ;   in Loop: Header=BB100_9 Depth=1
	s_mul_i32 s0, s89, s62
	s_mul_hi_u32 s1, s88, s62
	s_add_i32 s61, s1, s0
	s_mov_b64 s[28:29], 0
	s_mov_b64 s[70:71], s[56:57]
	s_mov_b64 s[8:9], 0
	s_mov_b64 s[26:27], 0
	s_mov_b64 s[86:87], 0
	s_mov_b64 s[76:77], 0
	v_mov_b64_e32 v[6:7], v[20:21]
.LBB100_51:                             ;   Parent Loop BB100_9 Depth=1
                                        ; =>  This Inner Loop Header: Depth=2
	v_lshl_add_u64 v[10:11], s[70:71], 0, v[32:33]
	v_lshl_add_u64 v[12:13], s[70:71], 0, v[30:31]
	;; [unrolled: 1-line block ×4, first 2 shown]
	global_load_dwordx2 v[10:11], v[10:11], off
	s_nop 0
	global_load_dwordx2 v[12:13], v[12:13], off
	s_nop 0
	;; [unrolled: 2-line block ×3, first 2 shown]
	global_load_dwordx2 v[16:17], v[16:17], off
	v_mov_b32_e32 v39, v3
	v_mov_b32_e32 v41, v3
	;; [unrolled: 1-line block ×3, first 2 shown]
	s_mul_i32 s78, s88, s62
	v_lshl_add_u64 v[6:7], v[6:7], 0, s[72:73]
	v_cmp_le_u64_e32 vcc, s[82:83], v[6:7]
	s_waitcnt vmcnt(3)
	v_xor_b32_e32 v11, 0x80000000, v11
	s_waitcnt vmcnt(2)
	v_xor_b32_e32 v13, 0x80000000, v13
	v_and_b32_e32 v52, v10, v34
	v_and_b32_e32 v53, v11, v35
	v_lshrrev_b64 v[10:11], s74, v[10:11]
	s_waitcnt vmcnt(1)
	v_xor_b32_e32 v15, 0x80000000, v15
	v_and_b32_e32 v58, v12, v34
	v_and_b32_e32 v59, v13, v35
	v_lshrrev_b64 v[12:13], s74, v[12:13]
	v_and_b32_e32 v2, 3, v10
	s_waitcnt vmcnt(0)
	v_xor_b32_e32 v17, 0x80000000, v17
	v_and_b32_e32 v60, v14, v34
	v_and_b32_e32 v61, v15, v35
	v_lshrrev_b64 v[14:15], s74, v[14:15]
	v_cmp_eq_u64_e64 s[0:1], v[52:53], v[28:29]
	v_and_b32_e32 v38, 3, v12
	v_cmp_eq_u64_e64 s[14:15], 0, v[2:3]
	v_and_b32_e32 v62, v16, v34
	v_and_b32_e32 v63, v17, v35
	v_lshrrev_b64 v[16:17], s74, v[16:17]
	v_cmp_eq_u64_e64 s[2:3], v[58:59], v[28:29]
	v_and_b32_e32 v40, 3, v14
	v_cmp_eq_u64_e64 s[16:17], 0, v[38:39]
	s_and_b64 s[14:15], s[0:1], s[14:15]
	v_cmp_eq_u64_e64 s[12:13], v[60:61], v[28:29]
	v_and_b32_e32 v42, 3, v16
	v_cmp_eq_u64_e64 s[18:19], 0, v[40:41]
	v_cmp_eq_u64_e64 s[22:23], 1, v[2:3]
	;; [unrolled: 1-line block ×4, first 2 shown]
	v_cndmask_b32_e64 v2, 0, 1, s[14:15]
	s_and_b64 s[14:15], s[2:3], s[16:17]
	v_cmp_eq_u64_e64 s[10:11], v[62:63], v[28:29]
	v_cmp_eq_u64_e64 s[20:21], 0, v[42:43]
	v_cndmask_b32_e64 v5, 0, 1, s[14:15]
	s_and_b64 s[14:15], s[12:13], s[18:19]
	v_cndmask_b32_e64 v10, 0, 1, s[14:15]
	s_and_b64 s[14:15], s[10:11], s[20:21]
	v_cndmask_b32_e64 v11, 0, 1, s[14:15]
	v_cmp_ne_u32_e64 s[14:15], 0, v2
	v_cmp_ne_u32_e64 s[16:17], 0, v5
	v_cmp_ne_u32_e64 s[18:19], 0, v10
	v_cmp_ne_u32_e64 s[20:21], 0, v11
	s_bcnt1_i32_b64 s14, s[14:15]
	s_bcnt1_i32_b64 s15, s[16:17]
	s_bcnt1_i32_b64 s16, s[18:19]
	s_bcnt1_i32_b64 s17, s[20:21]
	s_add_u32 s14, s14, s76
	s_addc_u32 s18, 0, s77
	s_add_u32 s14, s14, s15
	s_addc_u32 s15, s18, 0
	s_add_u32 s14, s14, s16
	s_addc_u32 s15, s15, 0
	s_add_u32 s76, s14, s17
	v_cmp_eq_u64_e64 s[24:25], 1, v[38:39]
	s_addc_u32 s77, s15, 0
	s_and_b64 s[14:15], s[0:1], s[22:23]
	v_cmp_eq_u64_e64 s[30:31], 1, v[40:41]
	v_cndmask_b32_e64 v2, 0, 1, s[14:15]
	s_and_b64 s[14:15], s[2:3], s[24:25]
	v_cmp_eq_u64_e64 s[34:35], 1, v[42:43]
	v_cndmask_b32_e64 v5, 0, 1, s[14:15]
	s_and_b64 s[14:15], s[12:13], s[30:31]
	v_cndmask_b32_e64 v12, 0, 1, s[14:15]
	s_and_b64 s[14:15], s[10:11], s[34:35]
	v_cndmask_b32_e64 v13, 0, 1, s[14:15]
	v_cmp_ne_u32_e64 s[14:15], 0, v2
	v_cmp_ne_u32_e64 s[16:17], 0, v5
	v_cmp_ne_u32_e64 s[18:19], 0, v12
	v_cmp_ne_u32_e64 s[20:21], 0, v13
	s_bcnt1_i32_b64 s14, s[14:15]
	s_bcnt1_i32_b64 s15, s[16:17]
	s_bcnt1_i32_b64 s16, s[18:19]
	s_bcnt1_i32_b64 s17, s[20:21]
	s_add_u32 s14, s14, s86
	s_addc_u32 s18, 0, s87
	s_add_u32 s14, s14, s15
	s_addc_u32 s15, s18, 0
	s_add_u32 s14, s14, s16
	s_addc_u32 s15, s15, 0
	s_add_u32 s86, s14, s17
	v_cmp_eq_u64_e64 s[38:39], 2, v[38:39]
	s_addc_u32 s87, s15, 0
	s_and_b64 s[14:15], s[0:1], s[36:37]
	v_cmp_eq_u64_e64 s[40:41], 2, v[40:41]
	v_cndmask_b32_e64 v2, 0, 1, s[14:15]
	s_and_b64 s[14:15], s[2:3], s[38:39]
	;; [unrolled: 27-line block ×3, first 2 shown]
	v_cmp_eq_u64_e64 s[50:51], 3, v[42:43]
	v_cndmask_b32_e64 v5, 0, 1, s[0:1]
	s_and_b64 s[0:1], s[12:13], s[48:49]
	v_cndmask_b32_e64 v16, 0, 1, s[0:1]
	s_and_b64 s[0:1], s[10:11], s[50:51]
	v_cndmask_b32_e64 v17, 0, 1, s[0:1]
	v_cmp_ne_u32_e64 s[0:1], 0, v2
	v_cmp_ne_u32_e64 s[2:3], 0, v5
	;; [unrolled: 1-line block ×4, first 2 shown]
	s_bcnt1_i32_b64 s0, s[0:1]
	s_bcnt1_i32_b64 s1, s[2:3]
	;; [unrolled: 1-line block ×4, first 2 shown]
	s_add_u32 s0, s0, s8
	s_addc_u32 s8, 0, s9
	s_add_u32 s0, s0, s1
	s_addc_u32 s1, s8, 0
	;; [unrolled: 2-line block ×5, first 2 shown]
	v_mov_b64_e32 v[10:11], s[76:77]
	v_mov_b64_e32 v[12:13], s[86:87]
	;; [unrolled: 1-line block ×3, first 2 shown]
	s_or_b64 s[28:29], vcc, s[28:29]
	v_mov_b64_e32 v[16:17], s[8:9]
	s_andn2_b64 exec, exec, s[28:29]
	s_cbranch_execnz .LBB100_51
; %bb.52:                               ;   in Loop: Header=BB100_9 Depth=1
	s_or_b64 exec, exec, s[28:29]
	v_readlane_b32 s70, v66, 29
	v_readlane_b32 s71, v66, 30
.LBB100_53:                             ;   in Loop: Header=BB100_9 Depth=1
	s_or_b64 exec, exec, s[84:85]
	v_lshl_add_u64 v[6:7], s[82:83], 0, v[0:1]
	v_cmp_gt_u64_e32 vcc, s[52:53], v[6:7]
	s_and_saveexec_b64 s[2:3], vcc
	s_cbranch_execz .LBB100_59
; %bb.54:                               ;   in Loop: Header=BB100_9 Depth=1
	v_mul_lo_u32 v2, v7, s64
	v_mul_lo_u32 v5, v6, s65
	v_mad_u64_u32 v[38:39], s[0:1], v6, s64, 0
	v_add3_u32 v39, v39, v5, v2
	v_lshl_add_u64 v[38:39], v[38:39], 3, s[56:57]
	global_load_dwordx2 v[40:41], v[38:39], off
	s_mov_b64 s[8:9], 0
	s_branch .LBB100_56
.LBB100_55:                             ;   in Loop: Header=BB100_56 Depth=2
	s_or_b64 exec, exec, s[10:11]
	s_waitcnt vmcnt(0)
	v_xor_b32_e32 v41, 0x80000000, v41
	v_and_b32_e32 v43, v41, v35
	v_and_b32_e32 v42, v40, v34
	v_lshrrev_b64 v[40:41], s74, v[40:41]
	s_and_b64 s[0:1], exec, vcc
	v_and_b32_e32 v2, 3, v40
	s_or_b64 s[8:9], s[0:1], s[8:9]
	v_cmp_eq_u64_e32 vcc, v[42:43], v[28:29]
	v_cmp_eq_u64_e64 s[0:1], 0, v[2:3]
	s_and_b64 s[0:1], vcc, s[0:1]
	v_mov_b64_e32 v[40:41], v[38:39]
	v_cndmask_b32_e64 v5, 0, 1, s[0:1]
	v_cmp_ne_u32_e64 s[0:1], 0, v5
	s_bcnt1_i32_b64 s72, s[0:1]
	v_cmp_eq_u64_e64 s[0:1], 1, v[2:3]
	s_and_b64 s[0:1], vcc, s[0:1]
	v_lshl_add_u64 v[10:11], s[72:73], 0, v[10:11]
	v_cndmask_b32_e64 v5, 0, 1, s[0:1]
	v_cmp_ne_u32_e64 s[0:1], 0, v5
	s_bcnt1_i32_b64 s72, s[0:1]
	v_cmp_eq_u64_e64 s[0:1], 2, v[2:3]
	s_and_b64 s[0:1], vcc, s[0:1]
	v_lshl_add_u64 v[12:13], s[72:73], 0, v[12:13]
	;; [unrolled: 6-line block ×3, first 2 shown]
	v_cndmask_b32_e64 v2, 0, 1, s[0:1]
	v_cmp_ne_u32_e32 vcc, 0, v2
	s_bcnt1_i32_b64 s72, vcc
	v_lshl_add_u64 v[16:17], s[72:73], 0, v[16:17]
	s_andn2_b64 exec, exec, s[8:9]
	s_cbranch_execz .LBB100_58
.LBB100_56:                             ;   Parent Loop BB100_9 Depth=1
                                        ; =>  This Inner Loop Header: Depth=2
	v_lshl_add_u64 v[6:7], v[6:7], 0, s[62:63]
	v_cmp_gt_u64_e64 s[0:1], s[52:53], v[6:7]
	v_cmp_le_u64_e32 vcc, s[52:53], v[6:7]
	v_mov_b64_e32 v[38:39], 0
	s_and_saveexec_b64 s[10:11], s[0:1]
	s_cbranch_execz .LBB100_55
; %bb.57:                               ;   in Loop: Header=BB100_56 Depth=2
	v_mul_lo_u32 v2, v7, s64
	v_mul_lo_u32 v5, v6, s65
	v_mad_u64_u32 v[38:39], s[0:1], v6, s64, 0
	v_add3_u32 v39, v39, v5, v2
	v_lshl_add_u64 v[38:39], v[38:39], 3, s[56:57]
	global_load_dwordx2 v[38:39], v[38:39], off
	s_branch .LBB100_55
.LBB100_58:                             ;   in Loop: Header=BB100_9 Depth=1
	s_or_b64 exec, exec, s[8:9]
.LBB100_59:                             ;   in Loop: Header=BB100_9 Depth=1
	s_or_b64 exec, exec, s[2:3]
	s_branch .LBB100_38
.LBB100_60:                             ;   in Loop: Header=BB100_9 Depth=1
	global_load_ushort v5, v3, s[70:71]
	v_mov_b64_e32 v[10:11], 0
	v_mov_b64_e32 v[12:13], 0
	;; [unrolled: 1-line block ×4, first 2 shown]
	s_waitcnt vmcnt(0)
	v_readfirstlane_b32 s0, v5
	s_and_b32 s61, 0xffff, s0
	s_lshl_b32 s72, s61, 2
	v_cvt_f32_u32_e32 v2, s72
	s_sub_i32 s0, 0, s72
	v_rcp_iflag_f32_e32 v2, v2
	s_nop 0
	v_mul_f32_e32 v2, 0x4f7ffffe, v2
	v_cvt_u32_f32_e32 v2, v2
	s_nop 0
	v_readfirstlane_b32 s1, v2
	s_mul_i32 s0, s0, s1
	s_mul_hi_u32 s0, s1, s0
	s_add_i32 s1, s1, s0
	s_mul_hi_u32 s0, s60, s1
	s_mul_i32 s1, s0, s72
	s_sub_i32 s1, s60, s1
	s_add_i32 s2, s0, 1
	s_sub_i32 s3, s1, s72
	s_cmp_ge_u32 s1, s72
	s_cselect_b32 s0, s2, s0
	s_cselect_b32 s1, s3, s1
	s_add_i32 s2, s0, 1
	s_cmp_ge_u32 s1, s72
	s_cselect_b32 s0, s2, s0
	s_mul_hi_u32 s9, s61, s0
	s_mul_i32 s8, s61, s0
	s_lshl_b64 s[26:27], s[8:9], 2
	v_cmp_gt_u64_e32 vcc, s[26:27], v[20:21]
	s_and_saveexec_b64 s[28:29], vcc
	s_cbranch_execz .LBB100_64
; %bb.61:                               ;   in Loop: Header=BB100_9 Depth=1
	s_lshl_b32 s9, s61, 5
	s_mov_b64 s[62:63], 0
	v_mov_b32_e32 v52, v49
	s_mov_b64 s[70:71], 0
	s_mov_b64 s[76:77], 0
	;; [unrolled: 1-line block ×4, first 2 shown]
	v_mov_b64_e32 v[6:7], v[20:21]
.LBB100_62:                             ;   Parent Loop BB100_9 Depth=1
                                        ; =>  This Inner Loop Header: Depth=2
	ds_read_b128 v[14:17], v52
	ds_read_b128 v[10:13], v52 offset:16
	v_mov_b32_e32 v39, v3
	v_mov_b32_e32 v41, v3
	;; [unrolled: 1-line block ×3, first 2 shown]
	s_waitcnt lgkmcnt(1)
	v_xor_b32_e32 v15, 0x80000000, v15
	v_xor_b32_e32 v17, 0x80000000, v17
	v_and_b32_e32 v58, v14, v34
	v_and_b32_e32 v59, v15, v35
	v_lshrrev_b64 v[14:15], s74, v[14:15]
	s_waitcnt lgkmcnt(0)
	v_xor_b32_e32 v11, 0x80000000, v11
	v_and_b32_e32 v60, v16, v34
	v_and_b32_e32 v61, v17, v35
	v_lshrrev_b64 v[16:17], s74, v[16:17]
	v_and_b32_e32 v2, 3, v14
	v_xor_b32_e32 v13, 0x80000000, v13
	v_and_b32_e32 v62, v10, v34
	v_and_b32_e32 v63, v11, v35
	v_lshrrev_b64 v[10:11], s74, v[10:11]
	v_cmp_eq_u64_e64 s[16:17], v[58:59], v[28:29]
	v_and_b32_e32 v38, 3, v16
	v_cmp_eq_u64_e64 s[0:1], 0, v[2:3]
	v_and_b32_e32 v64, v12, v34
	v_and_b32_e32 v65, v13, v35
	v_lshrrev_b64 v[12:13], s74, v[12:13]
	v_cmp_eq_u64_e64 s[14:15], v[60:61], v[28:29]
	v_and_b32_e32 v40, 3, v10
	v_cmp_eq_u64_e64 s[2:3], 0, v[38:39]
	s_and_b64 s[0:1], s[16:17], s[0:1]
	v_cmp_eq_u64_e64 s[12:13], v[62:63], v[28:29]
	v_and_b32_e32 v42, 3, v12
	v_cmp_eq_u64_e64 s[30:31], 0, v[40:41]
	v_cmp_eq_u64_e64 s[36:37], 1, v[2:3]
	;; [unrolled: 1-line block ×4, first 2 shown]
	v_cndmask_b32_e64 v2, 0, 1, s[0:1]
	s_and_b64 s[0:1], s[14:15], s[2:3]
	v_cmp_eq_u64_e64 s[10:11], v[64:65], v[28:29]
	v_cmp_eq_u64_e64 s[34:35], 0, v[42:43]
	v_cndmask_b32_e64 v10, 0, 1, s[0:1]
	s_and_b64 s[0:1], s[12:13], s[30:31]
	v_cndmask_b32_e64 v11, 0, 1, s[0:1]
	s_and_b64 s[0:1], s[10:11], s[34:35]
	v_cndmask_b32_e64 v12, 0, 1, s[0:1]
	v_cmp_ne_u32_e64 s[0:1], 0, v2
	v_cmp_ne_u32_e64 s[2:3], 0, v10
	v_cmp_ne_u32_e64 s[30:31], 0, v11
	v_cmp_ne_u32_e64 s[34:35], 0, v12
	s_bcnt1_i32_b64 s0, s[0:1]
	s_bcnt1_i32_b64 s1, s[2:3]
	s_bcnt1_i32_b64 s2, s[30:31]
	s_bcnt1_i32_b64 s3, s[34:35]
	s_add_u32 s0, s0, s84
	s_addc_u32 s30, 0, s85
	s_add_u32 s0, s0, s1
	s_addc_u32 s1, s30, 0
	s_add_u32 s0, s0, s2
	s_addc_u32 s1, s1, 0
	s_add_u32 s84, s0, s3
	v_cmp_eq_u64_e64 s[38:39], 1, v[38:39]
	s_addc_u32 s85, s1, 0
	s_and_b64 s[0:1], s[16:17], s[36:37]
	v_cmp_eq_u64_e64 s[40:41], 1, v[40:41]
	v_cndmask_b32_e64 v2, 0, 1, s[0:1]
	s_and_b64 s[0:1], s[14:15], s[38:39]
	v_cmp_eq_u64_e64 s[42:43], 1, v[42:43]
	v_cndmask_b32_e64 v12, 0, 1, s[0:1]
	s_and_b64 s[0:1], s[12:13], s[40:41]
	v_cndmask_b32_e64 v13, 0, 1, s[0:1]
	s_and_b64 s[0:1], s[10:11], s[42:43]
	v_cndmask_b32_e64 v14, 0, 1, s[0:1]
	v_cmp_ne_u32_e64 s[0:1], 0, v2
	v_cmp_ne_u32_e64 s[2:3], 0, v12
	v_cmp_ne_u32_e64 s[30:31], 0, v13
	v_cmp_ne_u32_e64 s[34:35], 0, v14
	s_bcnt1_i32_b64 s0, s[0:1]
	s_bcnt1_i32_b64 s1, s[2:3]
	s_bcnt1_i32_b64 s2, s[30:31]
	s_bcnt1_i32_b64 s3, s[34:35]
	s_add_u32 s0, s0, s82
	s_addc_u32 s30, 0, s83
	s_add_u32 s0, s0, s1
	s_addc_u32 s1, s30, 0
	s_add_u32 s0, s0, s2
	s_addc_u32 s1, s1, 0
	s_add_u32 s82, s0, s3
	v_cmp_eq_u64_e64 s[46:47], 2, v[38:39]
	s_addc_u32 s83, s1, 0
	s_and_b64 s[0:1], s[16:17], s[44:45]
	v_cmp_eq_u64_e64 s[48:49], 2, v[40:41]
	v_cndmask_b32_e64 v2, 0, 1, s[0:1]
	s_and_b64 s[0:1], s[14:15], s[46:47]
	;; [unrolled: 27-line block ×3, first 2 shown]
	v_cmp_eq_u64_e64 s[18:19], 3, v[42:43]
	v_cndmask_b32_e64 v16, 0, 1, s[0:1]
	s_and_b64 s[0:1], s[12:13], s[20:21]
	v_cndmask_b32_e64 v17, 0, 1, s[0:1]
	s_and_b64 s[0:1], s[10:11], s[18:19]
	v_cndmask_b32_e64 v38, 0, 1, s[0:1]
	v_cmp_ne_u32_e64 s[0:1], 0, v2
	v_cmp_ne_u32_e64 s[2:3], 0, v16
	;; [unrolled: 1-line block ×4, first 2 shown]
	s_bcnt1_i32_b64 s0, s[0:1]
	s_bcnt1_i32_b64 s1, s[2:3]
	;; [unrolled: 1-line block ×4, first 2 shown]
	s_add_u32 s0, s0, s70
	s_addc_u32 s10, 0, s71
	s_add_u32 s0, s0, s1
	s_addc_u32 s1, s10, 0
	;; [unrolled: 2-line block ×3, first 2 shown]
	v_lshl_add_u64 v[6:7], v[6:7], 0, s[72:73]
	s_add_u32 s70, s0, s3
	v_cmp_le_u64_e32 vcc, s[26:27], v[6:7]
	s_addc_u32 s71, s1, 0
	v_add_u32_e32 v52, s9, v52
	v_mov_b64_e32 v[10:11], s[84:85]
	v_mov_b64_e32 v[12:13], s[82:83]
	;; [unrolled: 1-line block ×3, first 2 shown]
	s_or_b64 s[62:63], vcc, s[62:63]
	v_mov_b64_e32 v[16:17], s[70:71]
	s_andn2_b64 exec, exec, s[62:63]
	s_cbranch_execnz .LBB100_62
; %bb.63:                               ;   in Loop: Header=BB100_9 Depth=1
	s_or_b64 exec, exec, s[62:63]
	v_readlane_b32 s70, v66, 29
	v_readlane_b32 s71, v66, 30
.LBB100_64:                             ;   in Loop: Header=BB100_9 Depth=1
	s_or_b64 exec, exec, s[28:29]
	s_and_b32 s16, s60, 0x7fffffff
	s_mov_b32 s17, s73
	v_lshl_add_u64 v[38:39], s[26:27], 0, v[0:1]
	v_and_b32_e32 v6, 0xffff, v5
	v_mov_b32_e32 v7, v3
	v_cmp_gt_u64_e32 vcc, s[16:17], v[38:39]
	s_and_saveexec_b64 s[18:19], vcc
	s_cbranch_execz .LBB100_68
; %bb.65:                               ;   in Loop: Header=BB100_9 Depth=1
	v_lshl_add_u32 v5, s8, 5, v45
	s_lshl_b32 s20, s61, 3
	s_mov_b64 s[8:9], 0
.LBB100_66:                             ;   Parent Loop BB100_9 Depth=1
                                        ; =>  This Inner Loop Header: Depth=2
	ds_read_b64 v[40:41], v5
	v_lshl_add_u64 v[38:39], v[38:39], 0, v[6:7]
	v_cmp_le_u64_e32 vcc, s[16:17], v[38:39]
	v_add_u32_e32 v5, s20, v5
	s_waitcnt lgkmcnt(0)
	v_xor_b32_e32 v41, 0x80000000, v41
	v_and_b32_e32 v42, v40, v34
	v_and_b32_e32 v43, v41, v35
	v_lshrrev_b64 v[40:41], s74, v[40:41]
	v_and_b32_e32 v2, 3, v40
	v_cmp_eq_u64_e64 s[0:1], v[42:43], v[28:29]
	v_cmp_eq_u64_e64 s[2:3], 0, v[2:3]
	;; [unrolled: 1-line block ×3, first 2 shown]
	s_and_b64 s[2:3], s[0:1], s[2:3]
	v_cmp_eq_u64_e64 s[12:13], 2, v[2:3]
	v_cmp_eq_u64_e64 s[14:15], 3, v[2:3]
	v_cndmask_b32_e64 v2, 0, 1, s[2:3]
	s_and_b64 s[2:3], s[0:1], s[10:11]
	v_cndmask_b32_e64 v40, 0, 1, s[2:3]
	s_and_b64 s[2:3], s[0:1], s[12:13]
	s_and_b64 s[0:1], s[0:1], s[14:15]
	v_cndmask_b32_e64 v42, 0, 1, s[0:1]
	v_cmp_ne_u32_e64 s[0:1], 0, v2
	v_cndmask_b32_e64 v41, 0, 1, s[2:3]
	v_cmp_ne_u32_e64 s[2:3], 0, v40
	s_bcnt1_i32_b64 s72, s[0:1]
	v_cmp_ne_u32_e64 s[10:11], 0, v41
	v_lshl_add_u64 v[10:11], s[72:73], 0, v[10:11]
	s_bcnt1_i32_b64 s72, s[2:3]
	v_cmp_ne_u32_e64 s[12:13], 0, v42
	v_lshl_add_u64 v[12:13], s[72:73], 0, v[12:13]
	s_bcnt1_i32_b64 s72, s[10:11]
	v_lshl_add_u64 v[14:15], s[72:73], 0, v[14:15]
	s_bcnt1_i32_b64 s72, s[12:13]
	s_or_b64 s[8:9], vcc, s[8:9]
	v_lshl_add_u64 v[16:17], s[72:73], 0, v[16:17]
	s_andn2_b64 exec, exec, s[8:9]
	s_cbranch_execnz .LBB100_66
; %bb.67:                               ;   in Loop: Header=BB100_9 Depth=1
	s_or_b64 exec, exec, s[8:9]
.LBB100_68:                             ;   in Loop: Header=BB100_9 Depth=1
	s_or_b64 exec, exec, s[18:19]
	s_lshl_b32 s2, s75, 6
	s_and_saveexec_b64 s[0:1], s[4:5]
	s_cbranch_execnz .LBB100_39
	s_branch .LBB100_40
.LBB100_69:                             ;   in Loop: Header=BB100_9 Depth=1
                                        ; implicit-def: $sgpr0_sgpr1
	s_branch .LBB100_48
.LBB100_70:                             ;   in Loop: Header=BB100_9 Depth=1
	s_mov_b32 s3, 0
	v_mov_b64_e32 v[6:7], 0
.LBB100_71:                             ;   in Loop: Header=BB100_9 Depth=1
	v_readlane_b32 s8, v66, 25
	v_readlane_b32 s9, v66, 26
	s_andn2_b64 vcc, exec, s[8:9]
	s_cbranch_vccnz .LBB100_74
; %bb.72:                               ;   in Loop: Header=BB100_9 Depth=1
	s_lshl_b32 s8, s75, 9
	s_lshl_b32 s3, s3, 5
	s_add_i32 s8, s8, s3
	v_add_u32_e32 v2, s8, v50
	v_readlane_b32 s3, v66, 24
.LBB100_73:                             ;   Parent Loop BB100_9 Depth=1
                                        ; =>  This Inner Loop Header: Depth=2
	ds_read_b64 v[10:11], v2
	s_add_i32 s3, s3, -1
	v_add_u32_e32 v2, 32, v2
	s_cmp_lg_u32 s3, 0
	s_waitcnt lgkmcnt(0)
	v_lshl_add_u64 v[6:7], v[10:11], 0, v[6:7]
	s_cbranch_scc1 .LBB100_73
.LBB100_74:                             ;   in Loop: Header=BB100_9 Depth=1
	v_add_lshl_u32 v2, s2, v44, 3
	ds_write_b64 v2, v[6:7] offset:3072
.LBB100_75:                             ;   in Loop: Header=BB100_9 Depth=1
	s_or_b64 exec, exec, s[0:1]
	s_lshl_b32 s0, s2, 3
	v_mov_b32_e32 v2, s0
	s_waitcnt lgkmcnt(0)
	s_barrier
	ds_read_b128 v[14:17], v2 offset:3088
	ds_read_b128 v[10:13], v2 offset:3072
	s_lshl_b64 s[10:11], 3, s74
	v_cmp_eq_u64_e64 s[0:1], 1, v[36:37]
	s_not_b64 s[20:21], s[10:11]
	s_waitcnt lgkmcnt(1)
	v_readfirstlane_b32 s18, v14
	s_waitcnt lgkmcnt(0)
	v_cmp_eq_u64_e32 vcc, 1, v[10:11]
	v_readfirstlane_b32 s19, v15
	v_readfirstlane_b32 s2, v16
	;; [unrolled: 1-line block ×3, first 2 shown]
	s_and_b64 s[14:15], vcc, s[0:1]
	s_mov_b64 s[0:1], -1
	s_mov_b64 s[22:23], -1
                                        ; implicit-def: $sgpr16_sgpr17
                                        ; implicit-def: $sgpr8_sgpr9
	s_and_saveexec_b64 s[12:13], s[14:15]
	s_cbranch_execz .LBB100_107
; %bb.76:                               ;   in Loop: Header=BB100_9 Depth=1
	ds_read_b64 v[6:7], v3 offset:5120
	s_waitcnt lgkmcnt(0)
	s_barrier
	v_readfirstlane_b32 s24, v6
	v_readfirstlane_b32 s25, v7
	s_mov_b64 s[8:9], exec
	v_readlane_b32 s16, v66, 14
	v_readlane_b32 s17, v66, 15
	s_and_b64 s[16:17], s[8:9], s[16:17]
	s_mov_b64 exec, s[16:17]
; %bb.77:                               ;   in Loop: Header=BB100_9 Depth=1
	ds_write_b64 v46, v[56:57]
; %bb.78:                               ;   in Loop: Header=BB100_9 Depth=1
	s_or_b64 exec, exec, s[8:9]
	v_and_b32_e32 v29, s21, v29
	v_and_b32_e32 v28, s20, v28
	v_or_b32_e32 v35, s11, v35
	v_or_b32_e32 v34, s10, v34
	s_mov_b64 s[8:9], -1
	s_mov_b64 s[16:17], 0
	s_cmp_eq_u64 s[24:25], 0
	s_mov_b64 s[22:23], 0
	s_mov_b64 s[26:27], -1
	s_waitcnt lgkmcnt(0)
	s_barrier
                                        ; implicit-def: $vgpr8_vgpr9
	s_cbranch_scc1 .LBB100_92
; %bb.79:                               ;   in Loop: Header=BB100_9 Depth=1
	v_readlane_b32 s22, v66, 20
	s_add_u32 s30, s24, s22
	v_readlane_b32 s22, v66, 21
	s_addc_u32 s23, s25, s22
	s_mov_b32 s22, s73
	s_cmp_lg_u64 s[22:23], 0
	s_cbranch_scc0 .LBB100_133
; %bb.80:                               ;   in Loop: Header=BB100_9 Depth=1
	v_cvt_f32_u32_e32 v2, s66
	s_sub_u32 s22, 0, s66
	s_subb_u32 s28, 0, 0
	v_fmac_f32_e32 v2, 0, v51
	v_rcp_f32_e32 v2, v2
	s_nop 0
	v_mul_f32_e32 v2, 0x5f7ffffc, v2
	v_mul_f32_e32 v5, 0x2f800000, v2
	v_trunc_f32_e32 v5, v5
	v_fmac_f32_e32 v2, 0xcf800000, v5
	v_cvt_u32_f32_e32 v5, v5
	v_cvt_u32_f32_e32 v2, v2
	v_readfirstlane_b32 s29, v5
	v_readfirstlane_b32 s26, v2
	s_mul_i32 s27, s22, s29
	s_mul_hi_u32 s34, s22, s26
	s_mul_i32 s31, s28, s26
	s_add_i32 s27, s34, s27
	s_mul_i32 s35, s22, s26
	s_add_i32 s27, s27, s31
	s_mul_hi_u32 s34, s26, s35
	s_mul_i32 s36, s26, s27
	s_mul_hi_u32 s31, s26, s27
	s_add_u32 s34, s34, s36
	s_addc_u32 s31, 0, s31
	s_mul_hi_u32 s37, s29, s35
	s_mul_i32 s35, s29, s35
	s_add_u32 s34, s34, s35
	s_mul_hi_u32 s36, s29, s27
	s_addc_u32 s31, s31, s37
	s_addc_u32 s34, s36, 0
	s_mul_i32 s27, s29, s27
	s_add_u32 s27, s31, s27
	s_addc_u32 s31, 0, s34
	s_add_u32 s34, s26, s27
	s_cselect_b64 s[26:27], -1, 0
	s_cmp_lg_u64 s[26:27], 0
	s_addc_u32 s29, s29, s31
	s_mul_i32 s26, s22, s29
	s_mul_hi_u32 s27, s22, s34
	s_add_i32 s26, s27, s26
	s_mul_i32 s28, s28, s34
	s_add_i32 s26, s26, s28
	s_mul_i32 s22, s22, s34
	s_mul_hi_u32 s28, s29, s22
	s_mul_i32 s31, s29, s22
	s_mul_i32 s36, s34, s26
	s_mul_hi_u32 s22, s34, s22
	s_mul_hi_u32 s35, s34, s26
	s_add_u32 s22, s22, s36
	s_addc_u32 s35, 0, s35
	s_add_u32 s22, s22, s31
	s_mul_hi_u32 s27, s29, s26
	s_addc_u32 s22, s35, s28
	s_addc_u32 s27, s27, 0
	s_mul_i32 s26, s29, s26
	s_add_u32 s22, s22, s26
	s_addc_u32 s28, 0, s27
	s_add_u32 s22, s34, s22
	s_cselect_b64 s[26:27], -1, 0
	s_cmp_lg_u64 s[26:27], 0
	s_addc_u32 s26, s29, s28
	s_mul_i32 s28, s30, s26
	s_mul_hi_u32 s29, s30, s22
	s_mul_hi_u32 s27, s30, s26
	s_add_u32 s28, s29, s28
	s_addc_u32 s27, 0, s27
	s_mul_hi_u32 s31, s23, s22
	s_mul_i32 s22, s23, s22
	s_add_u32 s22, s28, s22
	s_mul_hi_u32 s29, s23, s26
	s_addc_u32 s22, s27, s31
	s_addc_u32 s27, s29, 0
	s_mul_i32 s26, s23, s26
	s_add_u32 s22, s22, s26
	s_addc_u32 s26, 0, s27
	s_mul_i32 s26, s66, s26
	s_mul_hi_u32 s27, s66, s22
	s_add_i32 s28, s27, s26
	s_mul_i32 s22, s66, s22
	s_sub_u32 s22, s30, s22
	s_cselect_b64 s[26:27], -1, 0
	s_cmp_lg_u64 s[26:27], 0
	s_subb_u32 s28, s23, s28
	s_sub_u32 s29, s22, s66
	s_cselect_b64 s[26:27], -1, 0
	s_cmp_lg_u64 s[26:27], 0
	s_subb_u32 s31, s28, 0
	;; [unrolled: 4-line block ×3, first 2 shown]
	s_cmp_ge_u32 s29, s66
	s_cselect_b32 s27, -1, 0
	s_cmp_eq_u32 s31, 0
	s_cselect_b32 s27, s27, -1
	s_cmp_lg_u32 s27, 0
	s_cselect_b32 s26, s26, s31
	s_cselect_b32 s29, s34, s29
	s_cmp_ge_u32 s22, s66
	s_cselect_b32 s27, -1, 0
	s_cmp_eq_u32 s28, 0
	s_cselect_b32 s27, s27, -1
	s_cmp_lg_u32 s27, 0
	s_cselect_b32 s27, s26, s28
	s_cselect_b32 s26, s29, s22
	s_cbranch_execnz .LBB100_82
.LBB100_81:                             ;   in Loop: Header=BB100_9 Depth=1
	v_cvt_f32_u32_e32 v2, s66
	s_sub_i32 s22, 0, s66
	v_rcp_iflag_f32_e32 v2, v2
	s_nop 0
	v_mul_f32_e32 v2, 0x4f7ffffe, v2
	v_cvt_u32_f32_e32 v2, v2
	s_nop 0
	v_readfirstlane_b32 s26, v2
	s_mul_i32 s22, s22, s26
	s_mul_hi_u32 s22, s26, s22
	s_add_i32 s26, s26, s22
	s_mul_hi_u32 s22, s30, s26
	s_mul_i32 s22, s22, s66
	s_sub_i32 s22, s30, s22
	s_sub_i32 s26, s22, s66
	s_cmp_ge_u32 s22, s66
	s_cselect_b32 s22, s26, s22
	s_sub_i32 s26, s22, s66
	s_cmp_ge_u32 s22, s66
	s_cselect_b32 s72, s26, s22
	s_mov_b64 s[26:27], s[72:73]
.LBB100_82:                             ;   in Loop: Header=BB100_9 Depth=1
	s_sub_u32 s30, s30, s26
	s_subb_u32 s31, s23, s27
	v_cmp_gt_u64_e32 vcc, s[30:31], v[0:1]
	s_mov_b64 s[26:27], 0
	s_mov_b64 s[22:23], 0
                                        ; implicit-def: $vgpr8_vgpr9
	s_and_saveexec_b64 s[28:29], vcc
	s_cbranch_execz .LBB100_91
; %bb.83:                               ;   in Loop: Header=BB100_9 Depth=1
	v_mov_b32_e32 v2, v45
	v_mov_b64_e32 v[14:15], v[0:1]
                                        ; implicit-def: $sgpr34_sgpr35
	s_branch .LBB100_86
.LBB100_84:                             ;   in Loop: Header=BB100_86 Depth=2
	s_or_b64 exec, exec, s[36:37]
	s_waitcnt lgkmcnt(0)
	s_barrier
	ds_read_b128 v[6:9], v3 offset:3072
	s_mov_b64 s[36:37], -1
	s_mov_b64 s[38:39], -1
	s_waitcnt lgkmcnt(0)
	s_barrier
	v_cmp_ne_u64_e32 vcc, 0, v[6:7]
	s_cbranch_vccz .LBB100_89
.LBB100_85:                             ;   in Loop: Header=BB100_86 Depth=2
	s_and_b64 s[36:37], exec, s[36:37]
	s_or_b64 s[22:23], s[36:37], s[22:23]
	s_andn2_b64 s[34:35], s[34:35], exec
	s_and_b64 s[36:37], s[38:39], exec
	s_or_b64 s[34:35], s[34:35], s[36:37]
	s_andn2_b64 exec, exec, s[22:23]
	s_cbranch_execz .LBB100_90
.LBB100_86:                             ;   Parent Loop BB100_9 Depth=1
                                        ; =>  This Inner Loop Header: Depth=2
	v_cmp_gt_u64_e32 vcc, s[24:25], v[14:15]
	s_and_saveexec_b64 s[36:37], vcc
	s_cbranch_execz .LBB100_84
; %bb.87:                               ;   in Loop: Header=BB100_86 Depth=2
	ds_read_b64 v[6:7], v2
	s_waitcnt lgkmcnt(0)
	v_xor_b32_e32 v5, 0x80000000, v7
	v_and_b32_e32 v9, v5, v35
	v_and_b32_e32 v8, v6, v34
	v_cmp_eq_u64_e32 vcc, v[8:9], v[28:29]
	s_and_b64 exec, exec, vcc
	s_cbranch_execz .LBB100_84
; %bb.88:                               ;   in Loop: Header=BB100_86 Depth=2
	v_mov_b32_e32 v5, v3
	ds_write_b128 v3, v[4:7] offset:3072
	s_branch .LBB100_84
.LBB100_89:                             ;   in Loop: Header=BB100_86 Depth=2
	v_lshl_add_u64 v[14:15], v[14:15], 0, s[66:67]
	v_cmp_le_u64_e32 vcc, s[30:31], v[14:15]
	v_add_u32_e32 v2, s7, v2
	s_mov_b64 s[38:39], 0
	s_orn2_b64 s[36:37], vcc, exec
	s_branch .LBB100_85
.LBB100_90:                             ;   in Loop: Header=BB100_9 Depth=1
	s_or_b64 exec, exec, s[22:23]
	s_and_b64 s[22:23], s[34:35], exec
.LBB100_91:                             ;   in Loop: Header=BB100_9 Depth=1
	s_or_b64 exec, exec, s[28:29]
.LBB100_92:                             ;   in Loop: Header=BB100_9 Depth=1
	s_and_b64 vcc, exec, s[26:27]
	s_cbranch_vccz .LBB100_106
; %bb.93:                               ;   in Loop: Header=BB100_9 Depth=1
	s_mov_b32 s78, s73
	s_cmp_lg_u64 s[78:79], 0
	s_cbranch_scc0 .LBB100_137
; %bb.94:                               ;   in Loop: Header=BB100_9 Depth=1
	v_cvt_f32_u32_e32 v2, s66
	s_sub_u32 s16, 0, s66
	s_subb_u32 s17, 0, 0
	v_fmac_f32_e32 v2, 0, v51
	v_rcp_f32_e32 v2, v2
	s_nop 0
	v_mul_f32_e32 v2, 0x5f7ffffc, v2
	v_mul_f32_e32 v5, 0x2f800000, v2
	v_trunc_f32_e32 v5, v5
	v_fmac_f32_e32 v2, 0xcf800000, v5
	v_cvt_u32_f32_e32 v5, v5
	v_cvt_u32_f32_e32 v2, v2
	v_readfirstlane_b32 s24, v5
	v_readfirstlane_b32 s8, v2
	s_mul_i32 s9, s16, s24
	s_mul_hi_u32 s26, s16, s8
	s_mul_i32 s25, s17, s8
	s_add_i32 s9, s26, s9
	s_mul_i32 s27, s16, s8
	s_add_i32 s9, s9, s25
	s_mul_hi_u32 s26, s8, s27
	s_mul_i32 s28, s8, s9
	s_mul_hi_u32 s25, s8, s9
	s_add_u32 s26, s26, s28
	s_addc_u32 s25, 0, s25
	s_mul_hi_u32 s29, s24, s27
	s_mul_i32 s27, s24, s27
	s_add_u32 s26, s26, s27
	s_mul_hi_u32 s28, s24, s9
	s_addc_u32 s25, s25, s29
	s_addc_u32 s26, s28, 0
	s_mul_i32 s9, s24, s9
	s_add_u32 s9, s25, s9
	s_addc_u32 s25, 0, s26
	s_add_u32 s26, s8, s9
	s_cselect_b64 s[8:9], -1, 0
	s_cmp_lg_u64 s[8:9], 0
	s_addc_u32 s24, s24, s25
	s_mul_i32 s8, s16, s24
	s_mul_hi_u32 s9, s16, s26
	s_add_i32 s8, s9, s8
	s_mul_i32 s17, s17, s26
	s_add_i32 s8, s8, s17
	s_mul_i32 s16, s16, s26
	s_mul_hi_u32 s17, s24, s16
	s_mul_i32 s25, s24, s16
	s_mul_i32 s28, s26, s8
	s_mul_hi_u32 s16, s26, s16
	s_mul_hi_u32 s27, s26, s8
	s_add_u32 s16, s16, s28
	s_addc_u32 s27, 0, s27
	s_add_u32 s16, s16, s25
	s_mul_hi_u32 s9, s24, s8
	s_addc_u32 s16, s27, s17
	s_addc_u32 s9, s9, 0
	s_mul_i32 s8, s24, s8
	s_add_u32 s8, s16, s8
	s_addc_u32 s16, 0, s9
	s_add_u32 s17, s26, s8
	s_cselect_b64 s[8:9], -1, 0
	s_cmp_lg_u64 s[8:9], 0
	s_addc_u32 s8, s24, s16
	s_mul_i32 s16, s33, s8
	s_mul_hi_u32 s24, s33, s17
	s_mul_hi_u32 s9, s33, s8
	s_add_u32 s16, s24, s16
	s_addc_u32 s9, 0, s9
	s_mul_hi_u32 s25, s79, s17
	s_mul_i32 s17, s79, s17
	s_add_u32 s16, s16, s17
	s_mul_hi_u32 s24, s79, s8
	s_addc_u32 s9, s9, s25
	s_addc_u32 s16, s24, 0
	s_mul_i32 s8, s79, s8
	s_add_u32 s8, s9, s8
	s_addc_u32 s9, 0, s16
	s_mul_i32 s9, s66, s9
	s_mul_hi_u32 s16, s66, s8
	s_add_i32 s16, s16, s9
	s_mul_i32 s8, s66, s8
	s_sub_u32 s17, s33, s8
	s_cselect_b64 s[8:9], -1, 0
	s_cmp_lg_u64 s[8:9], 0
	s_subb_u32 s16, s79, s16
	s_sub_u32 s24, s17, s66
	s_cselect_b64 s[8:9], -1, 0
	s_cmp_lg_u64 s[8:9], 0
	s_subb_u32 s25, s16, 0
	;; [unrolled: 4-line block ×3, first 2 shown]
	s_cmp_ge_u32 s24, s66
	s_cselect_b32 s9, -1, 0
	s_cmp_eq_u32 s25, 0
	s_cselect_b32 s9, s9, -1
	s_cmp_lg_u32 s9, 0
	s_cselect_b32 s8, s8, s25
	s_cselect_b32 s24, s26, s24
	s_cmp_ge_u32 s17, s66
	s_cselect_b32 s9, -1, 0
	s_cmp_eq_u32 s16, 0
	s_cselect_b32 s9, s9, -1
	s_cmp_lg_u32 s9, 0
	s_cselect_b32 s9, s8, s16
	s_cselect_b32 s8, s24, s17
	s_cbranch_execnz .LBB100_96
.LBB100_95:                             ;   in Loop: Header=BB100_9 Depth=1
	v_cvt_f32_u32_e32 v2, s66
	s_sub_i32 s8, 0, s66
	v_rcp_iflag_f32_e32 v2, v2
	s_nop 0
	v_mul_f32_e32 v2, 0x4f7ffffe, v2
	v_cvt_u32_f32_e32 v2, v2
	s_nop 0
	v_readfirstlane_b32 s9, v2
	s_mul_i32 s8, s8, s9
	s_mul_hi_u32 s8, s9, s8
	s_add_i32 s9, s9, s8
	s_mul_hi_u32 s8, s33, s9
	s_mul_i32 s8, s8, s66
	s_sub_i32 s8, s33, s8
	s_sub_i32 s9, s8, s66
	s_cmp_ge_u32 s8, s66
	s_cselect_b32 s8, s9, s8
	s_sub_i32 s9, s8, s66
	s_cmp_ge_u32 s8, s66
	s_cselect_b32 s72, s9, s8
	s_mov_b64 s[8:9], s[72:73]
.LBB100_96:                             ;   in Loop: Header=BB100_9 Depth=1
	s_sub_u32 s16, s33, s8
	s_subb_u32 s17, s79, s9
	v_cmp_gt_u64_e32 vcc, s[16:17], v[0:1]
                                        ; implicit-def: $vgpr8_vgpr9
	s_and_saveexec_b64 s[8:9], vcc
	s_cbranch_execz .LBB100_105
; %bb.97:                               ;   in Loop: Header=BB100_9 Depth=1
	s_mov_b64 s[26:27], 0
	v_mov_b64_e32 v[14:15], v[18:19]
	v_mov_b64_e32 v[16:17], v[0:1]
                                        ; implicit-def: $sgpr24_sgpr25
	s_branch .LBB100_100
.LBB100_98:                             ;   in Loop: Header=BB100_100 Depth=2
	s_or_b64 exec, exec, s[28:29]
	s_waitcnt lgkmcnt(0)
	s_barrier
	ds_read_b128 v[6:9], v3 offset:3072
	s_mov_b64 s[28:29], -1
	s_mov_b64 s[30:31], -1
	s_waitcnt lgkmcnt(0)
	s_barrier
	v_cmp_ne_u64_e32 vcc, 0, v[6:7]
	s_cbranch_vccz .LBB100_103
.LBB100_99:                             ;   in Loop: Header=BB100_100 Depth=2
	s_and_b64 s[28:29], exec, s[28:29]
	s_or_b64 s[26:27], s[28:29], s[26:27]
	s_andn2_b64 s[24:25], s[24:25], exec
	s_and_b64 s[28:29], s[30:31], exec
	s_or_b64 s[24:25], s[24:25], s[28:29]
	s_andn2_b64 exec, exec, s[26:27]
	s_cbranch_execz .LBB100_104
.LBB100_100:                            ;   Parent Loop BB100_9 Depth=1
                                        ; =>  This Inner Loop Header: Depth=2
	v_cmp_gt_u64_e32 vcc, s[52:53], v[16:17]
	s_and_saveexec_b64 s[28:29], vcc
	s_cbranch_execz .LBB100_98
; %bb.101:                              ;   in Loop: Header=BB100_100 Depth=2
	global_load_dwordx2 v[6:7], v[14:15], off
	s_waitcnt vmcnt(0)
	v_xor_b32_e32 v2, 0x80000000, v7
	v_and_b32_e32 v9, v2, v35
	v_and_b32_e32 v8, v6, v34
	v_cmp_eq_u64_e32 vcc, v[8:9], v[28:29]
	s_and_b64 exec, exec, vcc
	s_cbranch_execz .LBB100_98
; %bb.102:                              ;   in Loop: Header=BB100_100 Depth=2
	v_mov_b32_e32 v5, v3
	ds_write_b128 v3, v[4:7] offset:3072
	s_branch .LBB100_98
.LBB100_103:                            ;   in Loop: Header=BB100_100 Depth=2
	v_lshl_add_u64 v[16:17], v[16:17], 0, s[66:67]
	v_cmp_le_u64_e32 vcc, s[16:17], v[16:17]
	v_lshl_add_u64 v[14:15], v[14:15], 0, s[68:69]
	s_mov_b64 s[30:31], 0
	s_orn2_b64 s[28:29], vcc, exec
	s_branch .LBB100_99
.LBB100_104:                            ;   in Loop: Header=BB100_9 Depth=1
	s_or_b64 exec, exec, s[26:27]
	s_andn2_b64 s[16:17], s[22:23], exec
	s_and_b64 s[22:23], s[24:25], exec
	s_or_b64 s[22:23], s[16:17], s[22:23]
.LBB100_105:                            ;   in Loop: Header=BB100_9 Depth=1
	s_or_b64 exec, exec, s[8:9]
	s_mov_b64 s[8:9], 0
	s_mov_b64 s[16:17], -1
.LBB100_106:                            ;   in Loop: Header=BB100_9 Depth=1
	s_orn2_b64 s[22:23], s[22:23], exec
.LBB100_107:                            ;   in Loop: Header=BB100_9 Depth=1
	s_or_b64 exec, exec, s[12:13]
	s_andn2_b64 s[12:13], s[58:59], exec
	s_and_b64 s[16:17], s[16:17], exec
	s_or_b64 s[58:59], s[12:13], s[16:17]
	s_andn2_b64 s[12:13], s[54:55], exec
	s_and_b64 s[8:9], s[8:9], exec
	s_andn2_b64 s[98:99], s[98:99], exec
	s_or_b64 s[54:55], s[12:13], s[8:9]
                                        ; implicit-def: $vgpr14_vgpr15
	s_and_saveexec_b64 s[12:13], s[22:23]
	s_cbranch_execz .LBB100_8
; %bb.108:                              ;   in Loop: Header=BB100_9 Depth=1
	s_xor_b64 s[8:9], s[14:15], -1
	v_mov_b32_e32 v2, 1
	s_mov_b64 s[16:17], 0
	v_mov_b64_e32 v[14:15], 1
	s_and_saveexec_b64 s[0:1], s[8:9]
	s_cbranch_execz .LBB100_117
; %bb.109:                              ;   in Loop: Header=BB100_9 Depth=1
	v_cmp_le_u64_e32 vcc, v[36:37], v[10:11]
	s_and_saveexec_b64 s[8:9], vcc
	s_xor_b64 s[8:9], exec, s[8:9]
	s_cbranch_execz .LBB100_114
; %bb.110:                              ;   in Loop: Header=BB100_9 Depth=1
	ds_read_b64 v[6:7], v3 offset:5120
	v_and_b32_e32 v29, s21, v29
	v_and_b32_e32 v28, s20, v28
	v_or_b32_e32 v35, s11, v35
	v_or_b32_e32 v34, s10, v34
	s_waitcnt lgkmcnt(0)
	v_cmp_ne_u64_e32 vcc, 0, v[6:7]
	s_cbranch_vccnz .LBB100_114
; %bb.111:                              ;   in Loop: Header=BB100_9 Depth=1
	s_mov_b64 s[14:15], exec
	v_readlane_b32 s16, v66, 0
	v_readlane_b32 s17, v66, 1
	s_and_b64 s[16:17], s[14:15], s[16:17]
	s_mov_b64 exec, s[16:17]
; %bb.112:                              ;   in Loop: Header=BB100_9 Depth=1
	ds_write_b64 v3, v[10:11] offset:5128
; %bb.113:                              ;   in Loop: Header=BB100_9 Depth=1
	s_or_b64 exec, exec, s[14:15]
	s_waitcnt lgkmcnt(0)
	s_barrier
.LBB100_114:                            ;   in Loop: Header=BB100_9 Depth=1
	s_or_saveexec_b64 s[8:9], s[8:9]
	s_mov_b64 s[14:15], 0
	v_mov_b32_e32 v2, 8
	s_xor_b64 exec, exec, s[8:9]
; %bb.115:                              ;   in Loop: Header=BB100_9 Depth=1
	v_sub_co_u32_e32 v36, vcc, v36, v10
	s_mov_b64 s[14:15], exec
	s_nop 0
	v_subb_co_u32_e32 v37, vcc, v37, v11, vcc
	v_mov_b32_e32 v2, 0
; %bb.116:                              ;   in Loop: Header=BB100_9 Depth=1
	s_or_b64 exec, exec, s[8:9]
	s_and_b64 s[16:17], s[14:15], exec
	v_mov_b64_e32 v[14:15], v[36:37]
.LBB100_117:                            ;   in Loop: Header=BB100_9 Depth=1
	s_or_b64 exec, exec, s[0:1]
	s_mov_b64 s[14:15], -1
	s_mov_b64 s[8:9], -1
                                        ; implicit-def: $sgpr0_sgpr1
                                        ; implicit-def: $sgpr22_sgpr23
	s_and_saveexec_b64 s[24:25], s[16:17]
	s_xor_b64 s[16:17], exec, s[24:25]
	s_cbranch_execz .LBB100_262
; %bb.118:                              ;   in Loop: Header=BB100_9 Depth=1
	v_cmp_eq_u64_e32 vcc, 1, v[12:13]
	v_cmp_eq_u64_e64 s[0:1], 1, v[14:15]
	s_and_b64 s[30:31], vcc, s[0:1]
                                        ; implicit-def: $sgpr22_sgpr23
                                        ; implicit-def: $sgpr0_sgpr1
	s_and_saveexec_b64 s[24:25], s[30:31]
	s_cbranch_execz .LBB100_155
; %bb.119:                              ;   in Loop: Header=BB100_9 Depth=1
	ds_read_b64 v[6:7], v3 offset:5120
	s_waitcnt lgkmcnt(0)
	s_barrier
	v_readfirstlane_b32 s26, v6
	v_readfirstlane_b32 s27, v7
	s_mov_b64 s[0:1], exec
	v_readlane_b32 s8, v66, 14
	v_readlane_b32 s9, v66, 15
	s_and_b64 s[8:9], s[0:1], s[8:9]
	s_mov_b64 exec, s[8:9]
; %bb.120:                              ;   in Loop: Header=BB100_9 Depth=1
	ds_write_b64 v46, v[56:57]
; %bb.121:                              ;   in Loop: Header=BB100_9 Depth=1
	s_or_b64 exec, exec, s[0:1]
	s_lshl_b64 s[0:1], 1, s74
	v_and_b32_e32 v5, s21, v29
	v_and_b32_e32 v6, s20, v28
	v_or_b32_e32 v29, s1, v5
	v_or_b32_e32 v28, s0, v6
	;; [unrolled: 1-line block ×4, first 2 shown]
	s_mov_b64 s[0:1], -1
	s_mov_b64 s[22:23], 0
	s_cmp_eq_u64 s[26:27], 0
	s_mov_b64 s[8:9], 0
	s_mov_b64 s[28:29], -1
	s_waitcnt lgkmcnt(0)
	s_barrier
                                        ; implicit-def: $vgpr8_vgpr9
	s_cbranch_scc1 .LBB100_140
; %bb.122:                              ;   in Loop: Header=BB100_9 Depth=1
	v_readlane_b32 s8, v66, 20
	s_add_u32 s36, s26, s8
	v_readlane_b32 s8, v66, 21
	s_addc_u32 s9, s27, s8
	s_mov_b32 s8, s73
	s_cmp_lg_u64 s[8:9], 0
	s_cbranch_scc0 .LBB100_182
; %bb.123:                              ;   in Loop: Header=BB100_9 Depth=1
	v_cvt_f32_u32_e32 v5, s66
	s_sub_u32 s8, 0, s66
	s_subb_u32 s34, 0, 0
	v_fmac_f32_e32 v5, 0, v51
	v_rcp_f32_e32 v5, v5
	s_nop 0
	v_mul_f32_e32 v5, 0x5f7ffffc, v5
	v_mul_f32_e32 v6, 0x2f800000, v5
	v_trunc_f32_e32 v6, v6
	v_fmac_f32_e32 v5, 0xcf800000, v6
	v_cvt_u32_f32_e32 v6, v6
	v_cvt_u32_f32_e32 v5, v5
	v_readfirstlane_b32 s35, v6
	v_readfirstlane_b32 s28, v5
	s_mul_i32 s29, s8, s35
	s_mul_hi_u32 s38, s8, s28
	s_mul_i32 s37, s34, s28
	s_add_i32 s29, s38, s29
	s_mul_i32 s39, s8, s28
	s_add_i32 s29, s29, s37
	s_mul_hi_u32 s38, s28, s39
	s_mul_i32 s40, s28, s29
	s_mul_hi_u32 s37, s28, s29
	s_add_u32 s38, s38, s40
	s_addc_u32 s37, 0, s37
	s_mul_hi_u32 s41, s35, s39
	s_mul_i32 s39, s35, s39
	s_add_u32 s38, s38, s39
	s_mul_hi_u32 s40, s35, s29
	s_addc_u32 s37, s37, s41
	s_addc_u32 s38, s40, 0
	s_mul_i32 s29, s35, s29
	s_add_u32 s29, s37, s29
	s_addc_u32 s37, 0, s38
	s_add_u32 s38, s28, s29
	s_cselect_b64 s[28:29], -1, 0
	s_cmp_lg_u64 s[28:29], 0
	s_addc_u32 s35, s35, s37
	s_mul_i32 s28, s8, s35
	s_mul_hi_u32 s29, s8, s38
	s_add_i32 s28, s29, s28
	s_mul_i32 s34, s34, s38
	s_add_i32 s28, s28, s34
	s_mul_i32 s8, s8, s38
	s_mul_hi_u32 s34, s35, s8
	s_mul_i32 s37, s35, s8
	s_mul_i32 s40, s38, s28
	s_mul_hi_u32 s8, s38, s8
	s_mul_hi_u32 s39, s38, s28
	s_add_u32 s8, s8, s40
	s_addc_u32 s39, 0, s39
	s_add_u32 s8, s8, s37
	s_mul_hi_u32 s29, s35, s28
	s_addc_u32 s8, s39, s34
	s_addc_u32 s29, s29, 0
	s_mul_i32 s28, s35, s28
	s_add_u32 s8, s8, s28
	s_addc_u32 s34, 0, s29
	s_add_u32 s8, s38, s8
	s_cselect_b64 s[28:29], -1, 0
	s_cmp_lg_u64 s[28:29], 0
	s_addc_u32 s28, s35, s34
	s_mul_i32 s34, s36, s28
	s_mul_hi_u32 s35, s36, s8
	s_mul_hi_u32 s29, s36, s28
	s_add_u32 s34, s35, s34
	s_addc_u32 s29, 0, s29
	s_mul_hi_u32 s37, s9, s8
	s_mul_i32 s8, s9, s8
	s_add_u32 s8, s34, s8
	s_mul_hi_u32 s35, s9, s28
	s_addc_u32 s8, s29, s37
	s_addc_u32 s29, s35, 0
	s_mul_i32 s28, s9, s28
	s_add_u32 s8, s8, s28
	s_addc_u32 s28, 0, s29
	s_mul_i32 s28, s66, s28
	s_mul_hi_u32 s29, s66, s8
	s_add_i32 s34, s29, s28
	s_mul_i32 s8, s66, s8
	s_sub_u32 s8, s36, s8
	s_cselect_b64 s[28:29], -1, 0
	s_cmp_lg_u64 s[28:29], 0
	s_subb_u32 s34, s9, s34
	s_sub_u32 s35, s8, s66
	s_cselect_b64 s[28:29], -1, 0
	s_cmp_lg_u64 s[28:29], 0
	s_subb_u32 s37, s34, 0
	;; [unrolled: 4-line block ×3, first 2 shown]
	s_cmp_ge_u32 s35, s66
	s_cselect_b32 s29, -1, 0
	s_cmp_eq_u32 s37, 0
	s_cselect_b32 s29, s29, -1
	s_cmp_lg_u32 s29, 0
	s_cselect_b32 s28, s28, s37
	s_cselect_b32 s35, s38, s35
	s_cmp_ge_u32 s8, s66
	s_cselect_b32 s29, -1, 0
	s_cmp_eq_u32 s34, 0
	s_cselect_b32 s29, s29, -1
	s_cmp_lg_u32 s29, 0
	s_cselect_b32 s29, s28, s34
	s_cselect_b32 s28, s35, s8
	s_cbranch_execnz .LBB100_125
.LBB100_124:                            ;   in Loop: Header=BB100_9 Depth=1
	v_cvt_f32_u32_e32 v5, s66
	s_sub_i32 s8, 0, s66
	v_rcp_iflag_f32_e32 v5, v5
	s_nop 0
	v_mul_f32_e32 v5, 0x4f7ffffe, v5
	v_cvt_u32_f32_e32 v5, v5
	s_nop 0
	v_readfirstlane_b32 s28, v5
	s_mul_i32 s8, s8, s28
	s_mul_hi_u32 s8, s28, s8
	s_add_i32 s28, s28, s8
	s_mul_hi_u32 s8, s36, s28
	s_mul_i32 s8, s8, s66
	s_sub_i32 s8, s36, s8
	s_sub_i32 s28, s8, s66
	s_cmp_ge_u32 s8, s66
	s_cselect_b32 s8, s28, s8
	s_sub_i32 s28, s8, s66
	s_cmp_ge_u32 s8, s66
	s_cselect_b32 s72, s28, s8
	s_mov_b64 s[28:29], s[72:73]
.LBB100_125:                            ;   in Loop: Header=BB100_9 Depth=1
	s_sub_u32 s36, s36, s28
	s_subb_u32 s37, s9, s29
	v_cmp_gt_u64_e32 vcc, s[36:37], v[0:1]
	s_mov_b64 s[28:29], 0
	s_mov_b64 s[8:9], 0
                                        ; implicit-def: $vgpr8_vgpr9
	s_and_saveexec_b64 s[34:35], vcc
	s_cbranch_execz .LBB100_139
; %bb.126:                              ;   in Loop: Header=BB100_9 Depth=1
	v_mov_b32_e32 v16, v45
	v_mov_b64_e32 v[10:11], v[0:1]
                                        ; implicit-def: $sgpr38_sgpr39
	s_branch .LBB100_129
.LBB100_127:                            ;   in Loop: Header=BB100_129 Depth=2
	s_or_b64 exec, exec, s[40:41]
	s_waitcnt lgkmcnt(0)
	s_barrier
	ds_read_b128 v[6:9], v3 offset:3072
	s_mov_b64 s[40:41], -1
	s_mov_b64 s[42:43], -1
	s_waitcnt lgkmcnt(0)
	s_barrier
	v_cmp_ne_u64_e32 vcc, 0, v[6:7]
	s_cbranch_vccz .LBB100_132
.LBB100_128:                            ;   in Loop: Header=BB100_129 Depth=2
	s_and_b64 s[40:41], exec, s[40:41]
	s_or_b64 s[8:9], s[40:41], s[8:9]
	s_andn2_b64 s[38:39], s[38:39], exec
	s_and_b64 s[40:41], s[42:43], exec
	s_or_b64 s[38:39], s[38:39], s[40:41]
	s_andn2_b64 exec, exec, s[8:9]
	s_cbranch_execz .LBB100_138
.LBB100_129:                            ;   Parent Loop BB100_9 Depth=1
                                        ; =>  This Inner Loop Header: Depth=2
	v_cmp_gt_u64_e32 vcc, s[26:27], v[10:11]
	s_and_saveexec_b64 s[40:41], vcc
	s_cbranch_execz .LBB100_127
; %bb.130:                              ;   in Loop: Header=BB100_129 Depth=2
	ds_read_b64 v[6:7], v16
	s_waitcnt lgkmcnt(0)
	v_xor_b32_e32 v5, 0x80000000, v7
	v_and_b32_e32 v9, v5, v35
	v_and_b32_e32 v8, v6, v34
	v_cmp_eq_u64_e32 vcc, v[8:9], v[28:29]
	s_and_b64 exec, exec, vcc
	s_cbranch_execz .LBB100_127
; %bb.131:                              ;   in Loop: Header=BB100_129 Depth=2
	v_mov_b32_e32 v5, v3
	ds_write_b128 v3, v[4:7] offset:3072
	s_branch .LBB100_127
.LBB100_132:                            ;   in Loop: Header=BB100_129 Depth=2
	v_lshl_add_u64 v[10:11], v[10:11], 0, s[66:67]
	v_cmp_le_u64_e32 vcc, s[36:37], v[10:11]
	v_add_u32_e32 v16, s7, v16
	s_mov_b64 s[42:43], 0
	s_orn2_b64 s[40:41], vcc, exec
	s_branch .LBB100_128
.LBB100_133:                            ;   in Loop: Header=BB100_9 Depth=1
                                        ; implicit-def: $sgpr26_sgpr27
	s_branch .LBB100_81
.LBB100_134:                            ;   in Loop: Header=BB100_9 Depth=1
	s_or_b64 exec, exec, s[10:11]
	s_waitcnt lgkmcnt(0)
	s_barrier
	s_mov_b64 s[0:1], exec
	v_readlane_b32 s2, v66, 0
	v_readlane_b32 s3, v66, 1
	s_and_b64 s[2:3], s[0:1], s[2:3]
	s_mov_b64 exec, s[2:3]
	s_cbranch_execz .LBB100_136
; %bb.135:                              ;   in Loop: Header=BB100_9 Depth=1
	ds_read_b32 v6, v3 offset:5144
	s_waitcnt lgkmcnt(0)
	v_ashrrev_i32_e32 v7, 31, v6
	ds_write_b64 v3, v[6:7] offset:5120
.LBB100_136:                            ;   in Loop: Header=BB100_9 Depth=1
	s_or_b64 exec, exec, s[0:1]
	s_waitcnt lgkmcnt(0)
	s_barrier
	s_mov_b64 s[0:1], -1
	s_and_b64 vcc, exec, s[8:9]
	s_cbranch_vccnz .LBB100_25
	s_branch .LBB100_34
.LBB100_137:                            ;   in Loop: Header=BB100_9 Depth=1
                                        ; implicit-def: $sgpr8_sgpr9
	s_branch .LBB100_95
.LBB100_138:                            ;   in Loop: Header=BB100_9 Depth=1
	s_or_b64 exec, exec, s[8:9]
	s_and_b64 s[8:9], s[38:39], exec
.LBB100_139:                            ;   in Loop: Header=BB100_9 Depth=1
	s_or_b64 exec, exec, s[34:35]
.LBB100_140:                            ;   in Loop: Header=BB100_9 Depth=1
	s_and_b64 vcc, exec, s[28:29]
	s_cbranch_vccz .LBB100_154
; %bb.141:                              ;   in Loop: Header=BB100_9 Depth=1
	s_mov_b32 s78, s73
	s_cmp_lg_u64 s[78:79], 0
	s_cbranch_scc0 .LBB100_183
; %bb.142:                              ;   in Loop: Header=BB100_9 Depth=1
	v_cvt_f32_u32_e32 v5, s66
	s_sub_u32 s22, 0, s66
	s_subb_u32 s23, 0, 0
	v_fmac_f32_e32 v5, 0, v51
	v_rcp_f32_e32 v5, v5
	s_nop 0
	v_mul_f32_e32 v5, 0x5f7ffffc, v5
	v_mul_f32_e32 v6, 0x2f800000, v5
	v_trunc_f32_e32 v6, v6
	v_fmac_f32_e32 v5, 0xcf800000, v6
	v_cvt_u32_f32_e32 v6, v6
	v_cvt_u32_f32_e32 v5, v5
	v_readfirstlane_b32 s26, v6
	v_readfirstlane_b32 s0, v5
	s_mul_i32 s1, s22, s26
	s_mul_hi_u32 s28, s22, s0
	s_mul_i32 s27, s23, s0
	s_add_i32 s1, s28, s1
	s_mul_i32 s29, s22, s0
	s_add_i32 s1, s1, s27
	s_mul_hi_u32 s28, s0, s29
	s_mul_i32 s34, s0, s1
	s_mul_hi_u32 s27, s0, s1
	s_add_u32 s28, s28, s34
	s_addc_u32 s27, 0, s27
	s_mul_hi_u32 s35, s26, s29
	s_mul_i32 s29, s26, s29
	s_add_u32 s28, s28, s29
	s_mul_hi_u32 s34, s26, s1
	s_addc_u32 s27, s27, s35
	s_addc_u32 s28, s34, 0
	s_mul_i32 s1, s26, s1
	s_add_u32 s1, s27, s1
	s_addc_u32 s27, 0, s28
	s_add_u32 s28, s0, s1
	s_cselect_b64 s[0:1], -1, 0
	s_cmp_lg_u64 s[0:1], 0
	s_addc_u32 s26, s26, s27
	s_mul_i32 s0, s22, s26
	s_mul_hi_u32 s1, s22, s28
	s_add_i32 s0, s1, s0
	s_mul_i32 s23, s23, s28
	s_add_i32 s0, s0, s23
	s_mul_i32 s22, s22, s28
	s_mul_hi_u32 s23, s26, s22
	s_mul_i32 s27, s26, s22
	s_mul_i32 s34, s28, s0
	s_mul_hi_u32 s22, s28, s22
	s_mul_hi_u32 s29, s28, s0
	s_add_u32 s22, s22, s34
	s_addc_u32 s29, 0, s29
	s_add_u32 s22, s22, s27
	s_mul_hi_u32 s1, s26, s0
	s_addc_u32 s22, s29, s23
	s_addc_u32 s1, s1, 0
	s_mul_i32 s0, s26, s0
	s_add_u32 s0, s22, s0
	s_addc_u32 s22, 0, s1
	s_add_u32 s23, s28, s0
	s_cselect_b64 s[0:1], -1, 0
	s_cmp_lg_u64 s[0:1], 0
	s_addc_u32 s0, s26, s22
	s_mul_i32 s22, s33, s0
	s_mul_hi_u32 s26, s33, s23
	s_mul_hi_u32 s1, s33, s0
	s_add_u32 s22, s26, s22
	s_addc_u32 s1, 0, s1
	s_mul_hi_u32 s27, s79, s23
	s_mul_i32 s23, s79, s23
	s_add_u32 s22, s22, s23
	s_mul_hi_u32 s26, s79, s0
	s_addc_u32 s1, s1, s27
	s_addc_u32 s22, s26, 0
	s_mul_i32 s0, s79, s0
	s_add_u32 s0, s1, s0
	s_addc_u32 s1, 0, s22
	s_mul_i32 s1, s66, s1
	s_mul_hi_u32 s22, s66, s0
	s_add_i32 s22, s22, s1
	s_mul_i32 s0, s66, s0
	s_sub_u32 s23, s33, s0
	s_cselect_b64 s[0:1], -1, 0
	s_cmp_lg_u64 s[0:1], 0
	s_subb_u32 s22, s79, s22
	s_sub_u32 s26, s23, s66
	s_cselect_b64 s[0:1], -1, 0
	s_cmp_lg_u64 s[0:1], 0
	s_subb_u32 s27, s22, 0
	;; [unrolled: 4-line block ×3, first 2 shown]
	s_cmp_ge_u32 s26, s66
	s_cselect_b32 s1, -1, 0
	s_cmp_eq_u32 s27, 0
	s_cselect_b32 s1, s1, -1
	s_cmp_lg_u32 s1, 0
	s_cselect_b32 s0, s0, s27
	s_cselect_b32 s26, s28, s26
	s_cmp_ge_u32 s23, s66
	s_cselect_b32 s1, -1, 0
	s_cmp_eq_u32 s22, 0
	s_cselect_b32 s1, s1, -1
	s_cmp_lg_u32 s1, 0
	s_cselect_b32 s1, s0, s22
	s_cselect_b32 s0, s26, s23
	s_cbranch_execnz .LBB100_144
.LBB100_143:                            ;   in Loop: Header=BB100_9 Depth=1
	v_cvt_f32_u32_e32 v5, s66
	s_sub_i32 s0, 0, s66
	v_rcp_iflag_f32_e32 v5, v5
	s_nop 0
	v_mul_f32_e32 v5, 0x4f7ffffe, v5
	v_cvt_u32_f32_e32 v5, v5
	s_nop 0
	v_readfirstlane_b32 s1, v5
	s_mul_i32 s0, s0, s1
	s_mul_hi_u32 s0, s1, s0
	s_add_i32 s1, s1, s0
	s_mul_hi_u32 s0, s33, s1
	s_mul_i32 s0, s0, s66
	s_sub_i32 s0, s33, s0
	s_sub_i32 s1, s0, s66
	s_cmp_ge_u32 s0, s66
	s_cselect_b32 s0, s1, s0
	s_sub_i32 s1, s0, s66
	s_cmp_ge_u32 s0, s66
	s_cselect_b32 s72, s1, s0
	s_mov_b64 s[0:1], s[72:73]
.LBB100_144:                            ;   in Loop: Header=BB100_9 Depth=1
	s_sub_u32 s22, s33, s0
	s_subb_u32 s23, s79, s1
	v_cmp_gt_u64_e32 vcc, s[22:23], v[0:1]
                                        ; implicit-def: $vgpr8_vgpr9
	s_and_saveexec_b64 s[0:1], vcc
	s_cbranch_execz .LBB100_153
; %bb.145:                              ;   in Loop: Header=BB100_9 Depth=1
	s_mov_b64 s[26:27], 0
	v_mov_b64_e32 v[10:11], v[18:19]
	v_mov_b64_e32 v[16:17], v[0:1]
                                        ; implicit-def: $sgpr28_sgpr29
	s_branch .LBB100_148
.LBB100_146:                            ;   in Loop: Header=BB100_148 Depth=2
	s_or_b64 exec, exec, s[34:35]
	s_waitcnt lgkmcnt(0)
	s_barrier
	ds_read_b128 v[6:9], v3 offset:3072
	s_mov_b64 s[34:35], -1
	s_mov_b64 s[36:37], -1
	s_waitcnt lgkmcnt(0)
	s_barrier
	v_cmp_eq_u64_e32 vcc, 0, v[6:7]
	s_cbranch_vccnz .LBB100_151
.LBB100_147:                            ;   in Loop: Header=BB100_148 Depth=2
	s_and_b64 s[34:35], exec, s[34:35]
	s_or_b64 s[26:27], s[34:35], s[26:27]
	s_andn2_b64 s[28:29], s[28:29], exec
	s_and_b64 s[34:35], s[36:37], exec
	s_or_b64 s[28:29], s[28:29], s[34:35]
	s_andn2_b64 exec, exec, s[26:27]
	s_cbranch_execz .LBB100_152
.LBB100_148:                            ;   Parent Loop BB100_9 Depth=1
                                        ; =>  This Inner Loop Header: Depth=2
	v_cmp_gt_u64_e32 vcc, s[52:53], v[16:17]
	s_and_saveexec_b64 s[34:35], vcc
	s_cbranch_execz .LBB100_146
; %bb.149:                              ;   in Loop: Header=BB100_148 Depth=2
	global_load_dwordx2 v[6:7], v[10:11], off
	s_waitcnt vmcnt(0)
	v_xor_b32_e32 v5, 0x80000000, v7
	v_and_b32_e32 v9, v5, v35
	v_and_b32_e32 v8, v6, v34
	v_cmp_eq_u64_e32 vcc, v[8:9], v[28:29]
	s_and_b64 exec, exec, vcc
	s_cbranch_execz .LBB100_146
; %bb.150:                              ;   in Loop: Header=BB100_148 Depth=2
	v_mov_b32_e32 v5, v3
	ds_write_b128 v3, v[4:7] offset:3072
	s_branch .LBB100_146
.LBB100_151:                            ;   in Loop: Header=BB100_148 Depth=2
	v_lshl_add_u64 v[16:17], v[16:17], 0, s[66:67]
	v_cmp_le_u64_e32 vcc, s[22:23], v[16:17]
	v_lshl_add_u64 v[10:11], v[10:11], 0, s[68:69]
	s_mov_b64 s[36:37], 0
	s_orn2_b64 s[34:35], vcc, exec
	s_branch .LBB100_147
.LBB100_152:                            ;   in Loop: Header=BB100_9 Depth=1
	s_or_b64 exec, exec, s[26:27]
	s_andn2_b64 s[8:9], s[8:9], exec
	s_and_b64 s[22:23], s[28:29], exec
	s_or_b64 s[8:9], s[8:9], s[22:23]
.LBB100_153:                            ;   in Loop: Header=BB100_9 Depth=1
	s_or_b64 exec, exec, s[0:1]
	s_mov_b64 s[0:1], 0
	s_mov_b64 s[22:23], -1
.LBB100_154:                            ;   in Loop: Header=BB100_9 Depth=1
	s_orn2_b64 s[8:9], s[8:9], exec
.LBB100_155:                            ;   in Loop: Header=BB100_9 Depth=1
	s_or_b64 exec, exec, s[24:25]
	s_mov_b64 s[26:27], 0
	s_and_saveexec_b64 s[24:25], s[8:9]
	s_cbranch_execz .LBB100_261
; %bb.156:                              ;   in Loop: Header=BB100_9 Depth=1
	s_xor_b64 s[28:29], s[30:31], -1
	v_mov_b32_e32 v2, 1
	v_mov_b64_e32 v[10:11], 1
	s_and_saveexec_b64 s[8:9], s[28:29]
	s_cbranch_execz .LBB100_166
; %bb.157:                              ;   in Loop: Header=BB100_9 Depth=1
	v_cmp_le_u64_e32 vcc, v[14:15], v[12:13]
	s_and_saveexec_b64 s[26:27], vcc
	s_xor_b64 s[26:27], exec, s[26:27]
	s_cbranch_execz .LBB100_163
; %bb.158:                              ;   in Loop: Header=BB100_9 Depth=1
	ds_read_b64 v[6:7], v3 offset:5120
	s_lshl_b64 s[28:29], 1, s74
	v_and_b32_e32 v2, s21, v29
	v_and_b32_e32 v5, s20, v28
	v_or_b32_e32 v29, s29, v2
	s_waitcnt lgkmcnt(0)
	v_cmp_ne_u64_e32 vcc, 0, v[6:7]
	v_or_b32_e32 v28, s28, v5
	v_or_b32_e32 v35, s11, v35
	;; [unrolled: 1-line block ×3, first 2 shown]
	s_cbranch_vccnz .LBB100_162
; %bb.159:                              ;   in Loop: Header=BB100_9 Depth=1
	s_mov_b64 s[28:29], exec
	v_readlane_b32 s30, v66, 0
	v_readlane_b32 s31, v66, 1
	s_and_b64 s[30:31], s[28:29], s[30:31]
	s_mov_b64 exec, s[30:31]
; %bb.160:                              ;   in Loop: Header=BB100_9 Depth=1
	ds_write_b64 v3, v[12:13] offset:5128
; %bb.161:                              ;   in Loop: Header=BB100_9 Depth=1
	s_or_b64 exec, exec, s[28:29]
	s_waitcnt lgkmcnt(0)
	s_barrier
.LBB100_162:                            ;   in Loop: Header=BB100_9 Depth=1
                                        ; implicit-def: $vgpr10_vgpr11_vgpr12_vgpr13
.LBB100_163:                            ;   in Loop: Header=BB100_9 Depth=1
	s_or_saveexec_b64 s[26:27], s[26:27]
	s_mov_b64 s[28:29], 0
	v_mov_b32_e32 v2, 8
	s_xor_b64 exec, exec, s[26:27]
; %bb.164:                              ;   in Loop: Header=BB100_9 Depth=1
	v_sub_co_u32_e32 v14, vcc, v14, v12
	s_mov_b64 s[28:29], exec
	s_nop 0
	v_subb_co_u32_e32 v15, vcc, v15, v13, vcc
	v_mov_b32_e32 v2, 0
; %bb.165:                              ;   in Loop: Header=BB100_9 Depth=1
	s_or_b64 exec, exec, s[26:27]
	s_and_b64 s[26:27], s[28:29], exec
	v_mov_b64_e32 v[10:11], v[14:15]
.LBB100_166:                            ;   in Loop: Header=BB100_9 Depth=1
	s_or_b64 exec, exec, s[8:9]
	s_mov_b64 s[8:9], -1
                                        ; implicit-def: $sgpr34_sgpr35
                                        ; implicit-def: $sgpr36_sgpr37
	s_and_saveexec_b64 s[30:31], s[26:27]
	s_cbranch_execz .LBB100_260
; %bb.167:                              ;   in Loop: Header=BB100_9 Depth=1
	s_cmp_eq_u64 s[18:19], 1
	s_cselect_b64 s[8:9], -1, 0
	v_cmp_eq_u64_e32 vcc, 1, v[10:11]
	s_and_b64 s[40:41], s[8:9], vcc
	s_mov_b64 s[8:9], -1
                                        ; implicit-def: $sgpr36_sgpr37
                                        ; implicit-def: $sgpr34_sgpr35
	s_and_saveexec_b64 s[38:39], s[40:41]
	s_cbranch_execz .LBB100_201
; %bb.168:                              ;   in Loop: Header=BB100_9 Depth=1
	ds_read_b64 v[6:7], v3 offset:5120
	s_waitcnt lgkmcnt(0)
	s_barrier
	v_readfirstlane_b32 s26, v6
	v_readfirstlane_b32 s27, v7
	s_mov_b64 s[8:9], exec
	v_readlane_b32 s28, v66, 14
	v_readlane_b32 s29, v66, 15
	s_and_b64 s[28:29], s[8:9], s[28:29]
	s_mov_b64 exec, s[28:29]
; %bb.169:                              ;   in Loop: Header=BB100_9 Depth=1
	ds_write_b64 v46, v[56:57]
; %bb.170:                              ;   in Loop: Header=BB100_9 Depth=1
	s_or_b64 exec, exec, s[8:9]
	s_lshl_b64 s[8:9], 2, s74
	v_and_b32_e32 v5, s21, v29
	v_and_b32_e32 v6, s20, v28
	v_or_b32_e32 v29, s9, v5
	v_or_b32_e32 v28, s8, v6
	;; [unrolled: 1-line block ×4, first 2 shown]
	s_mov_b64 s[34:35], -1
	s_mov_b64 s[36:37], 0
	s_cmp_eq_u64 s[26:27], 0
	s_mov_b64 s[8:9], 0
	s_mov_b64 s[28:29], -1
	s_waitcnt lgkmcnt(0)
	s_barrier
                                        ; implicit-def: $vgpr8_vgpr9
	s_cbranch_scc1 .LBB100_186
; %bb.171:                              ;   in Loop: Header=BB100_9 Depth=1
	v_readlane_b32 s8, v66, 20
	s_add_u32 s44, s26, s8
	v_readlane_b32 s8, v66, 21
	s_addc_u32 s9, s27, s8
	s_mov_b32 s8, s73
	s_cmp_lg_u64 s[8:9], 0
	s_cbranch_scc0 .LBB100_227
; %bb.172:                              ;   in Loop: Header=BB100_9 Depth=1
	v_cvt_f32_u32_e32 v5, s66
	s_sub_u32 s8, 0, s66
	s_subb_u32 s42, 0, 0
	v_fmac_f32_e32 v5, 0, v51
	v_rcp_f32_e32 v5, v5
	s_nop 0
	v_mul_f32_e32 v5, 0x5f7ffffc, v5
	v_mul_f32_e32 v6, 0x2f800000, v5
	v_trunc_f32_e32 v6, v6
	v_fmac_f32_e32 v5, 0xcf800000, v6
	v_cvt_u32_f32_e32 v6, v6
	v_cvt_u32_f32_e32 v5, v5
	v_readfirstlane_b32 s43, v6
	v_readfirstlane_b32 s28, v5
	s_mul_i32 s29, s8, s43
	s_mul_hi_u32 s46, s8, s28
	s_mul_i32 s45, s42, s28
	s_add_i32 s29, s46, s29
	s_mul_i32 s47, s8, s28
	s_add_i32 s29, s29, s45
	s_mul_hi_u32 s46, s28, s47
	s_mul_i32 s48, s28, s29
	s_mul_hi_u32 s45, s28, s29
	s_add_u32 s46, s46, s48
	s_addc_u32 s45, 0, s45
	s_mul_hi_u32 s49, s43, s47
	s_mul_i32 s47, s43, s47
	s_add_u32 s46, s46, s47
	s_mul_hi_u32 s48, s43, s29
	s_addc_u32 s45, s45, s49
	s_addc_u32 s46, s48, 0
	s_mul_i32 s29, s43, s29
	s_add_u32 s29, s45, s29
	s_addc_u32 s45, 0, s46
	s_add_u32 s46, s28, s29
	s_cselect_b64 s[28:29], -1, 0
	s_cmp_lg_u64 s[28:29], 0
	s_addc_u32 s43, s43, s45
	s_mul_i32 s28, s8, s43
	s_mul_hi_u32 s29, s8, s46
	s_add_i32 s28, s29, s28
	s_mul_i32 s42, s42, s46
	s_add_i32 s28, s28, s42
	s_mul_i32 s8, s8, s46
	s_mul_hi_u32 s42, s43, s8
	s_mul_i32 s45, s43, s8
	s_mul_i32 s48, s46, s28
	s_mul_hi_u32 s8, s46, s8
	s_mul_hi_u32 s47, s46, s28
	s_add_u32 s8, s8, s48
	s_addc_u32 s47, 0, s47
	s_add_u32 s8, s8, s45
	s_mul_hi_u32 s29, s43, s28
	s_addc_u32 s8, s47, s42
	s_addc_u32 s29, s29, 0
	s_mul_i32 s28, s43, s28
	s_add_u32 s8, s8, s28
	s_addc_u32 s42, 0, s29
	s_add_u32 s8, s46, s8
	s_cselect_b64 s[28:29], -1, 0
	s_cmp_lg_u64 s[28:29], 0
	s_addc_u32 s28, s43, s42
	s_mul_i32 s42, s44, s28
	s_mul_hi_u32 s43, s44, s8
	s_mul_hi_u32 s29, s44, s28
	s_add_u32 s42, s43, s42
	s_addc_u32 s29, 0, s29
	s_mul_hi_u32 s45, s9, s8
	s_mul_i32 s8, s9, s8
	s_add_u32 s8, s42, s8
	s_mul_hi_u32 s43, s9, s28
	s_addc_u32 s8, s29, s45
	s_addc_u32 s29, s43, 0
	s_mul_i32 s28, s9, s28
	s_add_u32 s8, s8, s28
	s_addc_u32 s28, 0, s29
	s_mul_i32 s28, s66, s28
	s_mul_hi_u32 s29, s66, s8
	s_add_i32 s42, s29, s28
	s_mul_i32 s8, s66, s8
	s_sub_u32 s8, s44, s8
	s_cselect_b64 s[28:29], -1, 0
	s_cmp_lg_u64 s[28:29], 0
	s_subb_u32 s42, s9, s42
	s_sub_u32 s43, s8, s66
	s_cselect_b64 s[28:29], -1, 0
	s_cmp_lg_u64 s[28:29], 0
	s_subb_u32 s45, s42, 0
	;; [unrolled: 4-line block ×3, first 2 shown]
	s_cmp_ge_u32 s43, s66
	s_cselect_b32 s29, -1, 0
	s_cmp_eq_u32 s45, 0
	s_cselect_b32 s29, s29, -1
	s_cmp_lg_u32 s29, 0
	s_cselect_b32 s28, s28, s45
	s_cselect_b32 s43, s46, s43
	s_cmp_ge_u32 s8, s66
	s_cselect_b32 s29, -1, 0
	s_cmp_eq_u32 s42, 0
	s_cselect_b32 s29, s29, -1
	s_cmp_lg_u32 s29, 0
	s_cselect_b32 s29, s28, s42
	s_cselect_b32 s28, s43, s8
	s_cbranch_execnz .LBB100_174
.LBB100_173:                            ;   in Loop: Header=BB100_9 Depth=1
	v_cvt_f32_u32_e32 v5, s66
	s_sub_i32 s8, 0, s66
	v_rcp_iflag_f32_e32 v5, v5
	s_nop 0
	v_mul_f32_e32 v5, 0x4f7ffffe, v5
	v_cvt_u32_f32_e32 v5, v5
	s_nop 0
	v_readfirstlane_b32 s28, v5
	s_mul_i32 s8, s8, s28
	s_mul_hi_u32 s8, s28, s8
	s_add_i32 s28, s28, s8
	s_mul_hi_u32 s8, s44, s28
	s_mul_i32 s8, s8, s66
	s_sub_i32 s8, s44, s8
	s_sub_i32 s28, s8, s66
	s_cmp_ge_u32 s8, s66
	s_cselect_b32 s8, s28, s8
	s_sub_i32 s28, s8, s66
	s_cmp_ge_u32 s8, s66
	s_cselect_b32 s72, s28, s8
	s_mov_b64 s[28:29], s[72:73]
.LBB100_174:                            ;   in Loop: Header=BB100_9 Depth=1
	s_sub_u32 s44, s44, s28
	s_subb_u32 s45, s9, s29
	v_cmp_gt_u64_e32 vcc, s[44:45], v[0:1]
	s_mov_b64 s[28:29], 0
	s_mov_b64 s[8:9], 0
                                        ; implicit-def: $vgpr8_vgpr9
	s_and_saveexec_b64 s[42:43], vcc
	s_cbranch_execz .LBB100_185
; %bb.175:                              ;   in Loop: Header=BB100_9 Depth=1
	v_mov_b32_e32 v14, v45
	v_mov_b64_e32 v[12:13], v[0:1]
                                        ; implicit-def: $sgpr46_sgpr47
	s_branch .LBB100_178
.LBB100_176:                            ;   in Loop: Header=BB100_178 Depth=2
	s_or_b64 exec, exec, s[48:49]
	s_waitcnt lgkmcnt(0)
	s_barrier
	ds_read_b128 v[6:9], v3 offset:3072
	s_mov_b64 s[48:49], -1
	s_mov_b64 s[50:51], -1
	s_waitcnt lgkmcnt(0)
	s_barrier
	v_cmp_ne_u64_e32 vcc, 0, v[6:7]
	s_cbranch_vccz .LBB100_181
.LBB100_177:                            ;   in Loop: Header=BB100_178 Depth=2
	s_and_b64 s[48:49], exec, s[48:49]
	s_or_b64 s[8:9], s[48:49], s[8:9]
	s_andn2_b64 s[46:47], s[46:47], exec
	s_and_b64 s[48:49], s[50:51], exec
	s_or_b64 s[46:47], s[46:47], s[48:49]
	s_andn2_b64 exec, exec, s[8:9]
	s_cbranch_execz .LBB100_184
.LBB100_178:                            ;   Parent Loop BB100_9 Depth=1
                                        ; =>  This Inner Loop Header: Depth=2
	v_cmp_gt_u64_e32 vcc, s[26:27], v[12:13]
	s_and_saveexec_b64 s[48:49], vcc
	s_cbranch_execz .LBB100_176
; %bb.179:                              ;   in Loop: Header=BB100_178 Depth=2
	ds_read_b64 v[6:7], v14
	s_waitcnt lgkmcnt(0)
	v_xor_b32_e32 v5, 0x80000000, v7
	v_and_b32_e32 v9, v5, v35
	v_and_b32_e32 v8, v6, v34
	v_cmp_eq_u64_e32 vcc, v[8:9], v[28:29]
	s_and_b64 exec, exec, vcc
	s_cbranch_execz .LBB100_176
; %bb.180:                              ;   in Loop: Header=BB100_178 Depth=2
	v_mov_b32_e32 v5, v3
	ds_write_b128 v3, v[4:7] offset:3072
	s_branch .LBB100_176
.LBB100_181:                            ;   in Loop: Header=BB100_178 Depth=2
	v_lshl_add_u64 v[12:13], v[12:13], 0, s[66:67]
	v_cmp_le_u64_e32 vcc, s[44:45], v[12:13]
	v_add_u32_e32 v14, s7, v14
	s_mov_b64 s[50:51], 0
	s_orn2_b64 s[48:49], vcc, exec
	s_branch .LBB100_177
.LBB100_182:                            ;   in Loop: Header=BB100_9 Depth=1
                                        ; implicit-def: $sgpr28_sgpr29
	s_branch .LBB100_124
.LBB100_183:                            ;   in Loop: Header=BB100_9 Depth=1
                                        ; implicit-def: $sgpr0_sgpr1
	s_branch .LBB100_143
.LBB100_184:                            ;   in Loop: Header=BB100_9 Depth=1
	s_or_b64 exec, exec, s[8:9]
	s_and_b64 s[8:9], s[46:47], exec
.LBB100_185:                            ;   in Loop: Header=BB100_9 Depth=1
	s_or_b64 exec, exec, s[42:43]
.LBB100_186:                            ;   in Loop: Header=BB100_9 Depth=1
	s_and_b64 vcc, exec, s[28:29]
	s_cbranch_vccz .LBB100_200
; %bb.187:                              ;   in Loop: Header=BB100_9 Depth=1
	s_mov_b32 s78, s73
	s_cmp_lg_u64 s[78:79], 0
	s_cbranch_scc0 .LBB100_228
; %bb.188:                              ;   in Loop: Header=BB100_9 Depth=1
	v_cvt_f32_u32_e32 v5, s66
	s_sub_u32 s28, 0, s66
	s_subb_u32 s29, 0, 0
	v_fmac_f32_e32 v5, 0, v51
	v_rcp_f32_e32 v5, v5
	s_nop 0
	v_mul_f32_e32 v5, 0x5f7ffffc, v5
	v_mul_f32_e32 v6, 0x2f800000, v5
	v_trunc_f32_e32 v6, v6
	v_fmac_f32_e32 v5, 0xcf800000, v6
	v_cvt_u32_f32_e32 v6, v6
	v_cvt_u32_f32_e32 v5, v5
	v_readfirstlane_b32 s34, v6
	v_readfirstlane_b32 s26, v5
	s_mul_i32 s27, s28, s34
	s_mul_hi_u32 s36, s28, s26
	s_mul_i32 s35, s29, s26
	s_add_i32 s27, s36, s27
	s_mul_i32 s37, s28, s26
	s_add_i32 s27, s27, s35
	s_mul_hi_u32 s36, s26, s37
	s_mul_i32 s42, s26, s27
	s_mul_hi_u32 s35, s26, s27
	s_add_u32 s36, s36, s42
	s_addc_u32 s35, 0, s35
	s_mul_hi_u32 s43, s34, s37
	s_mul_i32 s37, s34, s37
	s_add_u32 s36, s36, s37
	s_mul_hi_u32 s42, s34, s27
	s_addc_u32 s35, s35, s43
	s_addc_u32 s36, s42, 0
	s_mul_i32 s27, s34, s27
	s_add_u32 s27, s35, s27
	s_addc_u32 s35, 0, s36
	s_add_u32 s36, s26, s27
	s_cselect_b64 s[26:27], -1, 0
	s_cmp_lg_u64 s[26:27], 0
	s_addc_u32 s34, s34, s35
	s_mul_i32 s26, s28, s34
	s_mul_hi_u32 s27, s28, s36
	s_add_i32 s26, s27, s26
	s_mul_i32 s29, s29, s36
	s_add_i32 s26, s26, s29
	s_mul_i32 s28, s28, s36
	s_mul_hi_u32 s29, s34, s28
	s_mul_i32 s35, s34, s28
	s_mul_i32 s42, s36, s26
	s_mul_hi_u32 s28, s36, s28
	s_mul_hi_u32 s37, s36, s26
	s_add_u32 s28, s28, s42
	s_addc_u32 s37, 0, s37
	s_add_u32 s28, s28, s35
	s_mul_hi_u32 s27, s34, s26
	s_addc_u32 s28, s37, s29
	s_addc_u32 s27, s27, 0
	s_mul_i32 s26, s34, s26
	s_add_u32 s26, s28, s26
	s_addc_u32 s28, 0, s27
	s_add_u32 s29, s36, s26
	s_cselect_b64 s[26:27], -1, 0
	s_cmp_lg_u64 s[26:27], 0
	s_addc_u32 s26, s34, s28
	s_mul_i32 s28, s33, s26
	s_mul_hi_u32 s34, s33, s29
	s_mul_hi_u32 s27, s33, s26
	s_add_u32 s28, s34, s28
	s_addc_u32 s27, 0, s27
	s_mul_hi_u32 s35, s79, s29
	s_mul_i32 s29, s79, s29
	s_add_u32 s28, s28, s29
	s_mul_hi_u32 s34, s79, s26
	s_addc_u32 s27, s27, s35
	s_addc_u32 s28, s34, 0
	s_mul_i32 s26, s79, s26
	s_add_u32 s26, s27, s26
	s_addc_u32 s27, 0, s28
	s_mul_i32 s27, s66, s27
	s_mul_hi_u32 s28, s66, s26
	s_add_i32 s28, s28, s27
	s_mul_i32 s26, s66, s26
	s_sub_u32 s29, s33, s26
	s_cselect_b64 s[26:27], -1, 0
	s_cmp_lg_u64 s[26:27], 0
	s_subb_u32 s28, s79, s28
	s_sub_u32 s34, s29, s66
	s_cselect_b64 s[26:27], -1, 0
	s_cmp_lg_u64 s[26:27], 0
	s_subb_u32 s35, s28, 0
	;; [unrolled: 4-line block ×3, first 2 shown]
	s_cmp_ge_u32 s34, s66
	s_cselect_b32 s27, -1, 0
	s_cmp_eq_u32 s35, 0
	s_cselect_b32 s27, s27, -1
	s_cmp_lg_u32 s27, 0
	s_cselect_b32 s26, s26, s35
	s_cselect_b32 s34, s36, s34
	s_cmp_ge_u32 s29, s66
	s_cselect_b32 s27, -1, 0
	s_cmp_eq_u32 s28, 0
	s_cselect_b32 s27, s27, -1
	s_cmp_lg_u32 s27, 0
	s_cselect_b32 s27, s26, s28
	s_cselect_b32 s26, s34, s29
	s_cbranch_execnz .LBB100_190
.LBB100_189:                            ;   in Loop: Header=BB100_9 Depth=1
	v_cvt_f32_u32_e32 v5, s66
	s_sub_i32 s26, 0, s66
	v_rcp_iflag_f32_e32 v5, v5
	s_nop 0
	v_mul_f32_e32 v5, 0x4f7ffffe, v5
	v_cvt_u32_f32_e32 v5, v5
	s_nop 0
	v_readfirstlane_b32 s27, v5
	s_mul_i32 s26, s26, s27
	s_mul_hi_u32 s26, s27, s26
	s_add_i32 s27, s27, s26
	s_mul_hi_u32 s26, s33, s27
	s_mul_i32 s26, s26, s66
	s_sub_i32 s26, s33, s26
	s_sub_i32 s27, s26, s66
	s_cmp_ge_u32 s26, s66
	s_cselect_b32 s26, s27, s26
	s_sub_i32 s27, s26, s66
	s_cmp_ge_u32 s26, s66
	s_cselect_b32 s72, s27, s26
	s_mov_b64 s[26:27], s[72:73]
.LBB100_190:                            ;   in Loop: Header=BB100_9 Depth=1
	s_sub_u32 s28, s33, s26
	s_subb_u32 s29, s79, s27
	v_cmp_gt_u64_e32 vcc, s[28:29], v[0:1]
                                        ; implicit-def: $vgpr8_vgpr9
	s_and_saveexec_b64 s[26:27], vcc
	s_cbranch_execz .LBB100_199
; %bb.191:                              ;   in Loop: Header=BB100_9 Depth=1
	s_mov_b64 s[34:35], 0
	v_mov_b64_e32 v[12:13], v[18:19]
	v_mov_b64_e32 v[14:15], v[0:1]
                                        ; implicit-def: $sgpr36_sgpr37
	s_branch .LBB100_194
.LBB100_192:                            ;   in Loop: Header=BB100_194 Depth=2
	s_or_b64 exec, exec, s[42:43]
	s_waitcnt lgkmcnt(0)
	s_barrier
	ds_read_b128 v[6:9], v3 offset:3072
	s_mov_b64 s[42:43], -1
	s_mov_b64 s[44:45], -1
	s_waitcnt lgkmcnt(0)
	s_barrier
	v_cmp_eq_u64_e32 vcc, 0, v[6:7]
	s_cbranch_vccnz .LBB100_197
.LBB100_193:                            ;   in Loop: Header=BB100_194 Depth=2
	s_and_b64 s[42:43], exec, s[42:43]
	s_or_b64 s[34:35], s[42:43], s[34:35]
	s_andn2_b64 s[36:37], s[36:37], exec
	s_and_b64 s[42:43], s[44:45], exec
	s_or_b64 s[36:37], s[36:37], s[42:43]
	s_andn2_b64 exec, exec, s[34:35]
	s_cbranch_execz .LBB100_198
.LBB100_194:                            ;   Parent Loop BB100_9 Depth=1
                                        ; =>  This Inner Loop Header: Depth=2
	v_cmp_gt_u64_e32 vcc, s[52:53], v[14:15]
	s_and_saveexec_b64 s[42:43], vcc
	s_cbranch_execz .LBB100_192
; %bb.195:                              ;   in Loop: Header=BB100_194 Depth=2
	global_load_dwordx2 v[6:7], v[12:13], off
	s_waitcnt vmcnt(0)
	v_xor_b32_e32 v5, 0x80000000, v7
	v_and_b32_e32 v9, v5, v35
	v_and_b32_e32 v8, v6, v34
	v_cmp_eq_u64_e32 vcc, v[8:9], v[28:29]
	s_and_b64 exec, exec, vcc
	s_cbranch_execz .LBB100_192
; %bb.196:                              ;   in Loop: Header=BB100_194 Depth=2
	v_mov_b32_e32 v5, v3
	ds_write_b128 v3, v[4:7] offset:3072
	s_branch .LBB100_192
.LBB100_197:                            ;   in Loop: Header=BB100_194 Depth=2
	v_lshl_add_u64 v[14:15], v[14:15], 0, s[66:67]
	v_cmp_le_u64_e32 vcc, s[28:29], v[14:15]
	v_lshl_add_u64 v[12:13], v[12:13], 0, s[68:69]
	s_mov_b64 s[44:45], 0
	s_orn2_b64 s[42:43], vcc, exec
	s_branch .LBB100_193
.LBB100_198:                            ;   in Loop: Header=BB100_9 Depth=1
	s_or_b64 exec, exec, s[34:35]
	s_andn2_b64 s[8:9], s[8:9], exec
	s_and_b64 s[28:29], s[36:37], exec
	s_or_b64 s[8:9], s[8:9], s[28:29]
.LBB100_199:                            ;   in Loop: Header=BB100_9 Depth=1
	s_or_b64 exec, exec, s[26:27]
	s_mov_b64 s[34:35], 0
	s_mov_b64 s[36:37], -1
.LBB100_200:                            ;   in Loop: Header=BB100_9 Depth=1
	s_orn2_b64 s[8:9], s[8:9], exec
.LBB100_201:                            ;   in Loop: Header=BB100_9 Depth=1
	s_or_b64 exec, exec, s[38:39]
	s_mov_b64 s[26:27], 0
	s_and_saveexec_b64 s[38:39], s[8:9]
	s_cbranch_execz .LBB100_259
; %bb.202:                              ;   in Loop: Header=BB100_9 Depth=1
	s_xor_b64 s[26:27], s[40:41], -1
	v_mov_b32_e32 v2, 1
	s_mov_b64 s[28:29], 0
	v_mov_b64_e32 v[12:13], 1
	s_and_saveexec_b64 s[8:9], s[26:27]
	s_cbranch_execz .LBB100_211
; %bb.203:                              ;   in Loop: Header=BB100_9 Depth=1
	v_cmp_ge_u64_e32 vcc, s[18:19], v[10:11]
	s_and_saveexec_b64 s[26:27], vcc
	s_xor_b64 s[26:27], exec, s[26:27]
	s_cbranch_execz .LBB100_208
; %bb.204:                              ;   in Loop: Header=BB100_9 Depth=1
	ds_read_b64 v[6:7], v3 offset:5120
	s_lshl_b64 s[28:29], 2, s74
	v_and_b32_e32 v2, s21, v29
	v_and_b32_e32 v5, s20, v28
	v_or_b32_e32 v29, s29, v2
	s_waitcnt lgkmcnt(0)
	v_cmp_ne_u64_e32 vcc, 0, v[6:7]
	v_or_b32_e32 v28, s28, v5
	v_or_b32_e32 v35, s11, v35
	;; [unrolled: 1-line block ×3, first 2 shown]
	s_cbranch_vccnz .LBB100_208
; %bb.205:                              ;   in Loop: Header=BB100_9 Depth=1
	s_mov_b64 s[20:21], exec
	v_readlane_b32 s28, v66, 0
	v_readlane_b32 s29, v66, 1
	s_and_b64 s[28:29], s[20:21], s[28:29]
	s_mov_b64 exec, s[28:29]
; %bb.206:                              ;   in Loop: Header=BB100_9 Depth=1
	v_mov_b64_e32 v[6:7], s[18:19]
	ds_write_b64 v3, v[6:7] offset:5128
; %bb.207:                              ;   in Loop: Header=BB100_9 Depth=1
	s_or_b64 exec, exec, s[20:21]
	s_waitcnt lgkmcnt(0)
	s_barrier
.LBB100_208:                            ;   in Loop: Header=BB100_9 Depth=1
	s_or_saveexec_b64 s[20:21], s[26:27]
	s_mov_b64 s[26:27], 0
	v_mov_b32_e32 v2, 8
	s_xor_b64 exec, exec, s[20:21]
; %bb.209:                              ;   in Loop: Header=BB100_9 Depth=1
	v_mov_b32_e32 v2, s19
	v_subrev_co_u32_e32 v10, vcc, s18, v10
	s_mov_b64 s[26:27], exec
	s_nop 0
	v_subb_co_u32_e32 v11, vcc, v11, v2, vcc
	v_mov_b32_e32 v2, 0
; %bb.210:                              ;   in Loop: Header=BB100_9 Depth=1
	s_or_b64 exec, exec, s[20:21]
	s_and_b64 s[28:29], s[26:27], exec
	v_mov_b64_e32 v[12:13], v[10:11]
.LBB100_211:                            ;   in Loop: Header=BB100_9 Depth=1
	s_or_b64 exec, exec, s[8:9]
	s_mov_b64 s[20:21], -1
                                        ; implicit-def: $sgpr26_sgpr27
                                        ; implicit-def: $sgpr8_sgpr9
	s_and_saveexec_b64 s[18:19], s[28:29]
	s_cbranch_execz .LBB100_258
; %bb.212:                              ;   in Loop: Header=BB100_9 Depth=1
	s_cmp_eq_u64 s[2:3], 1
	s_cselect_b64 s[8:9], -1, 0
	v_cmp_eq_u64_e32 vcc, 1, v[12:13]
	s_and_b64 s[20:21], s[8:9], vcc
	s_mov_b64 s[42:43], -1
                                        ; implicit-def: $sgpr26_sgpr27
                                        ; implicit-def: $sgpr8_sgpr9
	s_and_saveexec_b64 s[40:41], s[20:21]
	s_cbranch_execz .LBB100_246
; %bb.213:                              ;   in Loop: Header=BB100_9 Depth=1
	ds_read_b64 v[6:7], v3 offset:5120
	s_waitcnt lgkmcnt(0)
	s_barrier
	v_readfirstlane_b32 s42, v6
	v_readfirstlane_b32 s43, v7
	s_mov_b64 s[8:9], exec
	v_readlane_b32 s26, v66, 14
	v_readlane_b32 s27, v66, 15
	s_and_b64 s[26:27], s[8:9], s[26:27]
	s_mov_b64 exec, s[26:27]
; %bb.214:                              ;   in Loop: Header=BB100_9 Depth=1
	ds_write_b64 v46, v[56:57]
; %bb.215:                              ;   in Loop: Header=BB100_9 Depth=1
	s_or_b64 exec, exec, s[8:9]
	v_or_b32_e32 v29, s11, v29
	v_or_b32_e32 v28, s10, v28
	;; [unrolled: 1-line block ×4, first 2 shown]
	s_mov_b64 s[8:9], -1
	s_mov_b64 s[26:27], 0
	s_cmp_eq_u64 s[42:43], 0
	s_mov_b64 s[28:29], 0
	s_mov_b64 s[44:45], -1
	s_waitcnt lgkmcnt(0)
	s_barrier
                                        ; implicit-def: $vgpr8_vgpr9
	s_cbranch_scc1 .LBB100_231
; %bb.216:                              ;   in Loop: Header=BB100_9 Depth=1
	v_readlane_b32 s28, v66, 20
	s_add_u32 s48, s42, s28
	v_readlane_b32 s28, v66, 21
	s_addc_u32 s29, s43, s28
	s_mov_b32 s28, s73
	s_cmp_lg_u64 s[28:29], 0
	s_cbranch_scc0 .LBB100_265
; %bb.217:                              ;   in Loop: Header=BB100_9 Depth=1
	v_cvt_f32_u32_e32 v5, s66
	s_sub_u32 s28, 0, s66
	s_subb_u32 s46, 0, 0
	v_fmac_f32_e32 v5, 0, v51
	v_rcp_f32_e32 v5, v5
	s_nop 0
	v_mul_f32_e32 v5, 0x5f7ffffc, v5
	v_mul_f32_e32 v6, 0x2f800000, v5
	v_trunc_f32_e32 v6, v6
	v_fmac_f32_e32 v5, 0xcf800000, v6
	v_cvt_u32_f32_e32 v6, v6
	v_cvt_u32_f32_e32 v5, v5
	v_readfirstlane_b32 s47, v6
	v_readfirstlane_b32 s44, v5
	s_mul_i32 s45, s28, s47
	s_mul_hi_u32 s50, s28, s44
	s_mul_i32 s49, s46, s44
	s_add_i32 s45, s50, s45
	s_mul_i32 s51, s28, s44
	s_add_i32 s45, s45, s49
	s_mul_hi_u32 s50, s44, s51
	s_mul_i32 s60, s44, s45
	s_mul_hi_u32 s49, s44, s45
	s_add_u32 s50, s50, s60
	s_addc_u32 s49, 0, s49
	s_mul_hi_u32 s61, s47, s51
	s_mul_i32 s51, s47, s51
	s_add_u32 s50, s50, s51
	s_mul_hi_u32 s60, s47, s45
	s_addc_u32 s49, s49, s61
	s_addc_u32 s50, s60, 0
	s_mul_i32 s45, s47, s45
	s_add_u32 s45, s49, s45
	s_addc_u32 s49, 0, s50
	s_add_u32 s50, s44, s45
	s_cselect_b64 s[44:45], -1, 0
	s_cmp_lg_u64 s[44:45], 0
	s_addc_u32 s47, s47, s49
	s_mul_i32 s44, s28, s47
	s_mul_hi_u32 s45, s28, s50
	s_add_i32 s44, s45, s44
	s_mul_i32 s46, s46, s50
	s_add_i32 s44, s44, s46
	s_mul_i32 s28, s28, s50
	s_mul_hi_u32 s46, s47, s28
	s_mul_i32 s49, s47, s28
	s_mul_i32 s60, s50, s44
	s_mul_hi_u32 s28, s50, s28
	s_mul_hi_u32 s51, s50, s44
	s_add_u32 s28, s28, s60
	s_addc_u32 s51, 0, s51
	s_add_u32 s28, s28, s49
	s_mul_hi_u32 s45, s47, s44
	s_addc_u32 s28, s51, s46
	s_addc_u32 s45, s45, 0
	s_mul_i32 s44, s47, s44
	s_add_u32 s28, s28, s44
	s_addc_u32 s46, 0, s45
	s_add_u32 s28, s50, s28
	s_cselect_b64 s[44:45], -1, 0
	s_cmp_lg_u64 s[44:45], 0
	s_addc_u32 s44, s47, s46
	s_mul_i32 s46, s48, s44
	s_mul_hi_u32 s47, s48, s28
	s_mul_hi_u32 s45, s48, s44
	s_add_u32 s46, s47, s46
	s_addc_u32 s45, 0, s45
	s_mul_hi_u32 s49, s29, s28
	s_mul_i32 s28, s29, s28
	s_add_u32 s28, s46, s28
	s_mul_hi_u32 s47, s29, s44
	s_addc_u32 s28, s45, s49
	s_addc_u32 s45, s47, 0
	s_mul_i32 s44, s29, s44
	s_add_u32 s28, s28, s44
	s_addc_u32 s44, 0, s45
	s_mul_i32 s44, s66, s44
	s_mul_hi_u32 s45, s66, s28
	s_add_i32 s46, s45, s44
	s_mul_i32 s28, s66, s28
	s_sub_u32 s28, s48, s28
	s_cselect_b64 s[44:45], -1, 0
	s_cmp_lg_u64 s[44:45], 0
	s_subb_u32 s46, s29, s46
	s_sub_u32 s47, s28, s66
	s_cselect_b64 s[44:45], -1, 0
	s_cmp_lg_u64 s[44:45], 0
	s_subb_u32 s49, s46, 0
	;; [unrolled: 4-line block ×3, first 2 shown]
	s_cmp_ge_u32 s47, s66
	s_cselect_b32 s45, -1, 0
	s_cmp_eq_u32 s49, 0
	s_cselect_b32 s45, s45, -1
	s_cmp_lg_u32 s45, 0
	s_cselect_b32 s44, s44, s49
	s_cselect_b32 s47, s50, s47
	s_cmp_ge_u32 s28, s66
	s_cselect_b32 s45, -1, 0
	s_cmp_eq_u32 s46, 0
	s_cselect_b32 s45, s45, -1
	s_cmp_lg_u32 s45, 0
	s_cselect_b32 s45, s44, s46
	s_cselect_b32 s44, s47, s28
	s_cbranch_execnz .LBB100_219
.LBB100_218:                            ;   in Loop: Header=BB100_9 Depth=1
	v_cvt_f32_u32_e32 v5, s66
	s_sub_i32 s28, 0, s66
	v_rcp_iflag_f32_e32 v5, v5
	s_nop 0
	v_mul_f32_e32 v5, 0x4f7ffffe, v5
	v_cvt_u32_f32_e32 v5, v5
	s_nop 0
	v_readfirstlane_b32 s44, v5
	s_mul_i32 s28, s28, s44
	s_mul_hi_u32 s28, s44, s28
	s_add_i32 s44, s44, s28
	s_mul_hi_u32 s28, s48, s44
	s_mul_i32 s28, s28, s66
	s_sub_i32 s28, s48, s28
	s_sub_i32 s44, s28, s66
	s_cmp_ge_u32 s28, s66
	s_cselect_b32 s28, s44, s28
	s_sub_i32 s44, s28, s66
	s_cmp_ge_u32 s28, s66
	s_cselect_b32 s72, s44, s28
	s_mov_b64 s[44:45], s[72:73]
.LBB100_219:                            ;   in Loop: Header=BB100_9 Depth=1
	s_sub_u32 s48, s48, s44
	s_subb_u32 s49, s29, s45
	v_cmp_gt_u64_e32 vcc, s[48:49], v[0:1]
	s_mov_b64 s[44:45], 0
	s_mov_b64 s[28:29], 0
                                        ; implicit-def: $vgpr8_vgpr9
	s_and_saveexec_b64 s[46:47], vcc
	s_cbranch_execz .LBB100_230
; %bb.220:                              ;   in Loop: Header=BB100_9 Depth=1
	v_mov_b32_e32 v14, v45
	v_mov_b64_e32 v[10:11], v[0:1]
                                        ; implicit-def: $sgpr50_sgpr51
	s_branch .LBB100_223
.LBB100_221:                            ;   in Loop: Header=BB100_223 Depth=2
	s_or_b64 exec, exec, s[60:61]
	s_waitcnt lgkmcnt(0)
	s_barrier
	ds_read_b128 v[6:9], v3 offset:3072
	s_mov_b64 s[60:61], -1
	s_mov_b64 s[62:63], -1
	s_waitcnt lgkmcnt(0)
	s_barrier
	v_cmp_ne_u64_e32 vcc, 0, v[6:7]
	s_cbranch_vccz .LBB100_226
.LBB100_222:                            ;   in Loop: Header=BB100_223 Depth=2
	s_and_b64 s[60:61], exec, s[60:61]
	s_or_b64 s[28:29], s[60:61], s[28:29]
	s_andn2_b64 s[50:51], s[50:51], exec
	s_and_b64 s[60:61], s[62:63], exec
	s_or_b64 s[50:51], s[50:51], s[60:61]
	s_andn2_b64 exec, exec, s[28:29]
	s_cbranch_execz .LBB100_229
.LBB100_223:                            ;   Parent Loop BB100_9 Depth=1
                                        ; =>  This Inner Loop Header: Depth=2
	v_cmp_gt_u64_e32 vcc, s[42:43], v[10:11]
	s_and_saveexec_b64 s[60:61], vcc
	s_cbranch_execz .LBB100_221
; %bb.224:                              ;   in Loop: Header=BB100_223 Depth=2
	ds_read_b64 v[6:7], v14
	s_waitcnt lgkmcnt(0)
	v_xor_b32_e32 v5, 0x80000000, v7
	v_and_b32_e32 v9, v5, v35
	v_and_b32_e32 v8, v6, v34
	v_cmp_eq_u64_e32 vcc, v[8:9], v[28:29]
	s_and_b64 exec, exec, vcc
	s_cbranch_execz .LBB100_221
; %bb.225:                              ;   in Loop: Header=BB100_223 Depth=2
	v_mov_b32_e32 v5, v3
	ds_write_b128 v3, v[4:7] offset:3072
	s_branch .LBB100_221
.LBB100_226:                            ;   in Loop: Header=BB100_223 Depth=2
	v_lshl_add_u64 v[10:11], v[10:11], 0, s[66:67]
	v_cmp_le_u64_e32 vcc, s[48:49], v[10:11]
	v_add_u32_e32 v14, s7, v14
	s_mov_b64 s[62:63], 0
	s_orn2_b64 s[60:61], vcc, exec
	s_branch .LBB100_222
.LBB100_227:                            ;   in Loop: Header=BB100_9 Depth=1
                                        ; implicit-def: $sgpr28_sgpr29
	s_branch .LBB100_173
.LBB100_228:                            ;   in Loop: Header=BB100_9 Depth=1
                                        ; implicit-def: $sgpr26_sgpr27
	s_branch .LBB100_189
.LBB100_229:                            ;   in Loop: Header=BB100_9 Depth=1
	s_or_b64 exec, exec, s[28:29]
	s_and_b64 s[28:29], s[50:51], exec
.LBB100_230:                            ;   in Loop: Header=BB100_9 Depth=1
	s_or_b64 exec, exec, s[46:47]
.LBB100_231:                            ;   in Loop: Header=BB100_9 Depth=1
	s_and_b64 vcc, exec, s[44:45]
	s_cbranch_vccz .LBB100_245
; %bb.232:                              ;   in Loop: Header=BB100_9 Depth=1
	s_mov_b32 s78, s73
	s_cmp_lg_u64 s[78:79], 0
	s_cbranch_scc0 .LBB100_266
; %bb.233:                              ;   in Loop: Header=BB100_9 Depth=1
	v_cvt_f32_u32_e32 v5, s66
	s_sub_u32 s26, 0, s66
	s_subb_u32 s27, 0, 0
	v_fmac_f32_e32 v5, 0, v51
	v_rcp_f32_e32 v5, v5
	s_nop 0
	v_mul_f32_e32 v5, 0x5f7ffffc, v5
	v_mul_f32_e32 v6, 0x2f800000, v5
	v_trunc_f32_e32 v6, v6
	v_fmac_f32_e32 v5, 0xcf800000, v6
	v_cvt_u32_f32_e32 v6, v6
	v_cvt_u32_f32_e32 v5, v5
	v_readfirstlane_b32 s42, v6
	v_readfirstlane_b32 s8, v5
	s_mul_i32 s9, s26, s42
	s_mul_hi_u32 s44, s26, s8
	s_mul_i32 s43, s27, s8
	s_add_i32 s9, s44, s9
	s_mul_i32 s45, s26, s8
	s_add_i32 s9, s9, s43
	s_mul_hi_u32 s44, s8, s45
	s_mul_i32 s46, s8, s9
	s_mul_hi_u32 s43, s8, s9
	s_add_u32 s44, s44, s46
	s_addc_u32 s43, 0, s43
	s_mul_hi_u32 s47, s42, s45
	s_mul_i32 s45, s42, s45
	s_add_u32 s44, s44, s45
	s_mul_hi_u32 s46, s42, s9
	s_addc_u32 s43, s43, s47
	s_addc_u32 s44, s46, 0
	s_mul_i32 s9, s42, s9
	s_add_u32 s9, s43, s9
	s_addc_u32 s43, 0, s44
	s_add_u32 s44, s8, s9
	s_cselect_b64 s[8:9], -1, 0
	s_cmp_lg_u64 s[8:9], 0
	s_addc_u32 s42, s42, s43
	s_mul_i32 s8, s26, s42
	s_mul_hi_u32 s9, s26, s44
	s_add_i32 s8, s9, s8
	s_mul_i32 s27, s27, s44
	s_add_i32 s8, s8, s27
	s_mul_i32 s26, s26, s44
	s_mul_hi_u32 s27, s42, s26
	s_mul_i32 s43, s42, s26
	s_mul_i32 s46, s44, s8
	s_mul_hi_u32 s26, s44, s26
	s_mul_hi_u32 s45, s44, s8
	s_add_u32 s26, s26, s46
	s_addc_u32 s45, 0, s45
	s_add_u32 s26, s26, s43
	s_mul_hi_u32 s9, s42, s8
	s_addc_u32 s26, s45, s27
	s_addc_u32 s9, s9, 0
	s_mul_i32 s8, s42, s8
	s_add_u32 s8, s26, s8
	s_addc_u32 s26, 0, s9
	s_add_u32 s27, s44, s8
	s_cselect_b64 s[8:9], -1, 0
	s_cmp_lg_u64 s[8:9], 0
	s_addc_u32 s8, s42, s26
	s_mul_i32 s26, s33, s8
	s_mul_hi_u32 s42, s33, s27
	s_mul_hi_u32 s9, s33, s8
	s_add_u32 s26, s42, s26
	s_addc_u32 s9, 0, s9
	s_mul_hi_u32 s43, s79, s27
	s_mul_i32 s27, s79, s27
	s_add_u32 s26, s26, s27
	s_mul_hi_u32 s42, s79, s8
	s_addc_u32 s9, s9, s43
	s_addc_u32 s26, s42, 0
	s_mul_i32 s8, s79, s8
	s_add_u32 s8, s9, s8
	s_addc_u32 s9, 0, s26
	s_mul_i32 s9, s66, s9
	s_mul_hi_u32 s26, s66, s8
	s_add_i32 s26, s26, s9
	s_mul_i32 s8, s66, s8
	s_sub_u32 s27, s33, s8
	s_cselect_b64 s[8:9], -1, 0
	s_cmp_lg_u64 s[8:9], 0
	s_subb_u32 s26, s79, s26
	s_sub_u32 s42, s27, s66
	s_cselect_b64 s[8:9], -1, 0
	s_cmp_lg_u64 s[8:9], 0
	s_subb_u32 s43, s26, 0
	;; [unrolled: 4-line block ×3, first 2 shown]
	s_cmp_ge_u32 s42, s66
	s_cselect_b32 s9, -1, 0
	s_cmp_eq_u32 s43, 0
	s_cselect_b32 s9, s9, -1
	s_cmp_lg_u32 s9, 0
	s_cselect_b32 s8, s8, s43
	s_cselect_b32 s42, s44, s42
	s_cmp_ge_u32 s27, s66
	s_cselect_b32 s9, -1, 0
	s_cmp_eq_u32 s26, 0
	s_cselect_b32 s9, s9, -1
	s_cmp_lg_u32 s9, 0
	s_cselect_b32 s9, s8, s26
	s_cselect_b32 s8, s42, s27
	s_cbranch_execnz .LBB100_235
.LBB100_234:                            ;   in Loop: Header=BB100_9 Depth=1
	v_cvt_f32_u32_e32 v5, s66
	s_sub_i32 s8, 0, s66
	v_rcp_iflag_f32_e32 v5, v5
	s_nop 0
	v_mul_f32_e32 v5, 0x4f7ffffe, v5
	v_cvt_u32_f32_e32 v5, v5
	s_nop 0
	v_readfirstlane_b32 s9, v5
	s_mul_i32 s8, s8, s9
	s_mul_hi_u32 s8, s9, s8
	s_add_i32 s9, s9, s8
	s_mul_hi_u32 s8, s33, s9
	s_mul_i32 s8, s8, s66
	s_sub_i32 s8, s33, s8
	s_sub_i32 s9, s8, s66
	s_cmp_ge_u32 s8, s66
	s_cselect_b32 s8, s9, s8
	s_sub_i32 s9, s8, s66
	s_cmp_ge_u32 s8, s66
	s_cselect_b32 s72, s9, s8
	s_mov_b64 s[8:9], s[72:73]
.LBB100_235:                            ;   in Loop: Header=BB100_9 Depth=1
	s_sub_u32 s26, s33, s8
	s_subb_u32 s27, s79, s9
	v_cmp_gt_u64_e32 vcc, s[26:27], v[0:1]
                                        ; implicit-def: $vgpr8_vgpr9
	s_and_saveexec_b64 s[8:9], vcc
	s_cbranch_execz .LBB100_244
; %bb.236:                              ;   in Loop: Header=BB100_9 Depth=1
	s_mov_b64 s[42:43], 0
	v_mov_b64_e32 v[10:11], v[18:19]
	v_mov_b64_e32 v[14:15], v[0:1]
                                        ; implicit-def: $sgpr44_sgpr45
	s_branch .LBB100_239
.LBB100_237:                            ;   in Loop: Header=BB100_239 Depth=2
	s_or_b64 exec, exec, s[46:47]
	s_waitcnt lgkmcnt(0)
	s_barrier
	ds_read_b128 v[6:9], v3 offset:3072
	s_mov_b64 s[46:47], -1
	s_mov_b64 s[48:49], -1
	s_waitcnt lgkmcnt(0)
	s_barrier
	v_cmp_eq_u64_e32 vcc, 0, v[6:7]
	s_cbranch_vccnz .LBB100_242
.LBB100_238:                            ;   in Loop: Header=BB100_239 Depth=2
	s_and_b64 s[46:47], exec, s[46:47]
	s_or_b64 s[42:43], s[46:47], s[42:43]
	s_andn2_b64 s[44:45], s[44:45], exec
	s_and_b64 s[46:47], s[48:49], exec
	s_or_b64 s[44:45], s[44:45], s[46:47]
	s_andn2_b64 exec, exec, s[42:43]
	s_cbranch_execz .LBB100_243
.LBB100_239:                            ;   Parent Loop BB100_9 Depth=1
                                        ; =>  This Inner Loop Header: Depth=2
	v_cmp_gt_u64_e32 vcc, s[52:53], v[14:15]
	s_and_saveexec_b64 s[46:47], vcc
	s_cbranch_execz .LBB100_237
; %bb.240:                              ;   in Loop: Header=BB100_239 Depth=2
	global_load_dwordx2 v[6:7], v[10:11], off
	s_waitcnt vmcnt(0)
	v_xor_b32_e32 v5, 0x80000000, v7
	v_and_b32_e32 v9, v5, v35
	v_and_b32_e32 v8, v6, v34
	v_cmp_eq_u64_e32 vcc, v[8:9], v[28:29]
	s_and_b64 exec, exec, vcc
	s_cbranch_execz .LBB100_237
; %bb.241:                              ;   in Loop: Header=BB100_239 Depth=2
	v_mov_b32_e32 v5, v3
	ds_write_b128 v3, v[4:7] offset:3072
	s_branch .LBB100_237
.LBB100_242:                            ;   in Loop: Header=BB100_239 Depth=2
	v_lshl_add_u64 v[14:15], v[14:15], 0, s[66:67]
	v_cmp_le_u64_e32 vcc, s[26:27], v[14:15]
	v_lshl_add_u64 v[10:11], v[10:11], 0, s[68:69]
	s_mov_b64 s[48:49], 0
	s_orn2_b64 s[46:47], vcc, exec
	s_branch .LBB100_238
.LBB100_243:                            ;   in Loop: Header=BB100_9 Depth=1
	s_or_b64 exec, exec, s[42:43]
	s_andn2_b64 s[26:27], s[28:29], exec
	s_and_b64 s[28:29], s[44:45], exec
	s_or_b64 s[28:29], s[26:27], s[28:29]
.LBB100_244:                            ;   in Loop: Header=BB100_9 Depth=1
	s_or_b64 exec, exec, s[8:9]
	s_mov_b64 s[8:9], 0
	s_mov_b64 s[26:27], -1
.LBB100_245:                            ;   in Loop: Header=BB100_9 Depth=1
	s_orn2_b64 s[42:43], s[28:29], exec
.LBB100_246:                            ;   in Loop: Header=BB100_9 Depth=1
	s_or_b64 exec, exec, s[40:41]
	s_mov_b64 s[40:41], 0
	s_and_saveexec_b64 s[28:29], s[42:43]
	s_cbranch_execz .LBB100_257
; %bb.247:                              ;   in Loop: Header=BB100_9 Depth=1
	s_xor_b64 s[40:41], s[20:21], -1
	v_mov_b64_e32 v[6:7], 1
	v_mov_b32_e32 v2, 1
	s_and_saveexec_b64 s[20:21], s[40:41]
	s_cbranch_execz .LBB100_256
; %bb.248:                              ;   in Loop: Header=BB100_9 Depth=1
	v_cmp_ge_u64_e32 vcc, s[2:3], v[12:13]
	s_and_saveexec_b64 s[40:41], vcc
	s_xor_b64 s[40:41], exec, s[40:41]
	s_cbranch_execz .LBB100_253
; %bb.249:                              ;   in Loop: Header=BB100_9 Depth=1
	ds_read_b64 v[6:7], v3 offset:5120
	v_or_b32_e32 v29, s11, v29
	v_or_b32_e32 v28, s10, v28
	;; [unrolled: 1-line block ×4, first 2 shown]
	s_waitcnt lgkmcnt(0)
	v_cmp_ne_u64_e32 vcc, 0, v[6:7]
	s_cbranch_vccnz .LBB100_253
; %bb.250:                              ;   in Loop: Header=BB100_9 Depth=1
	s_mov_b64 s[10:11], exec
	v_readlane_b32 s42, v66, 0
	v_readlane_b32 s43, v66, 1
	s_and_b64 s[42:43], s[10:11], s[42:43]
	s_mov_b64 exec, s[42:43]
; %bb.251:                              ;   in Loop: Header=BB100_9 Depth=1
	v_mov_b64_e32 v[6:7], s[2:3]
	ds_write_b64 v3, v[6:7] offset:5128
; %bb.252:                              ;   in Loop: Header=BB100_9 Depth=1
	s_or_b64 exec, exec, s[10:11]
	s_waitcnt lgkmcnt(0)
	s_barrier
.LBB100_253:                            ;   in Loop: Header=BB100_9 Depth=1
	s_andn2_saveexec_b64 s[10:11], s[40:41]
; %bb.254:                              ;   in Loop: Header=BB100_9 Depth=1
	v_mov_b32_e32 v2, s3
	v_subrev_co_u32_e32 v12, vcc, s2, v12
	s_nop 1
	v_subb_co_u32_e32 v13, vcc, v13, v2, vcc
; %bb.255:                              ;   in Loop: Header=BB100_9 Depth=1
	s_or_b64 exec, exec, s[10:11]
	v_mov_b32_e32 v2, 8
	v_mov_b64_e32 v[6:7], v[12:13]
.LBB100_256:                            ;   in Loop: Header=BB100_9 Depth=1
	s_or_b64 exec, exec, s[20:21]
	s_mov_b64 s[40:41], exec
	v_mov_b64_e32 v[12:13], v[6:7]
.LBB100_257:                            ;   in Loop: Header=BB100_9 Depth=1
	s_or_b64 exec, exec, s[28:29]
	s_orn2_b64 s[20:21], s[40:41], exec
.LBB100_258:                            ;   in Loop: Header=BB100_9 Depth=1
	s_or_b64 exec, exec, s[18:19]
	s_andn2_b64 s[2:3], s[36:37], exec
	s_and_b64 s[10:11], s[26:27], exec
	s_or_b64 s[36:37], s[2:3], s[10:11]
	s_andn2_b64 s[2:3], s[34:35], exec
	s_and_b64 s[8:9], s[8:9], exec
	s_or_b64 s[34:35], s[2:3], s[8:9]
	s_and_b64 s[26:27], s[20:21], exec
	v_mov_b64_e32 v[10:11], v[12:13]
.LBB100_259:                            ;   in Loop: Header=BB100_9 Depth=1
	s_or_b64 exec, exec, s[38:39]
	s_orn2_b64 s[8:9], s[26:27], exec
.LBB100_260:                            ;   in Loop: Header=BB100_9 Depth=1
	s_or_b64 exec, exec, s[30:31]
	s_andn2_b64 s[2:3], s[22:23], exec
	s_and_b64 s[10:11], s[36:37], exec
	s_or_b64 s[22:23], s[2:3], s[10:11]
	s_andn2_b64 s[0:1], s[0:1], exec
	s_and_b64 s[2:3], s[34:35], exec
	s_or_b64 s[0:1], s[0:1], s[2:3]
	s_and_b64 s[26:27], s[8:9], exec
	v_mov_b64_e32 v[14:15], v[10:11]
.LBB100_261:                            ;   in Loop: Header=BB100_9 Depth=1
	s_or_b64 exec, exec, s[24:25]
	s_orn2_b64 s[8:9], s[26:27], exec
.LBB100_262:                            ;   in Loop: Header=BB100_9 Depth=1
	s_or_b64 exec, exec, s[16:17]
	s_mov_b64 s[10:11], 0
	s_and_saveexec_b64 s[2:3], s[8:9]
	s_xor_b64 s[2:3], exec, s[2:3]
	s_cbranch_execz .LBB100_7
; %bb.263:                              ;   in Loop: Header=BB100_9 Depth=1
	v_and_b32_e32 v2, 7, v2
	v_cmp_eq_u32_e32 vcc, 0, v2
	s_mov_b64 s[8:9], -1
	s_mov_b64 s[10:11], -1
	s_and_saveexec_b64 s[14:15], vcc
	s_cbranch_execz .LBB100_6
; %bb.264:                              ;   in Loop: Header=BB100_9 Depth=1
	s_xor_b32 s75, s75, 1
	s_add_i32 s16, s74, -2
	s_cmp_eq_u32 s74, 0
	s_cselect_b64 s[8:9], -1, 0
	s_xor_b64 s[10:11], exec, -1
	s_orn2_b64 s[8:9], s[8:9], exec
	s_mov_b32 s74, s16
	s_branch .LBB100_6
.LBB100_265:                            ;   in Loop: Header=BB100_9 Depth=1
                                        ; implicit-def: $sgpr44_sgpr45
	s_branch .LBB100_218
.LBB100_266:                            ;   in Loop: Header=BB100_9 Depth=1
                                        ; implicit-def: $sgpr8_sgpr9
	s_branch .LBB100_234
.LBB100_267:
	s_or_b64 exec, exec, s[90:91]
	s_xor_b64 s[6:7], s[96:97], -1
	s_xor_b64 s[0:1], s[92:93], -1
	;; [unrolled: 1-line block ×3, first 2 shown]
	s_mov_b64 s[2:3], 0
	s_and_saveexec_b64 s[8:9], s[0:1]
	s_xor_b64 s[0:1], exec, s[8:9]
	s_cbranch_execnz .LBB100_272
; %bb.268:
	s_andn2_saveexec_b64 s[0:1], s[0:1]
	s_cbranch_execnz .LBB100_285
.LBB100_269:
	s_or_b64 exec, exec, s[0:1]
	s_and_saveexec_b64 s[0:1], s[2:3]
.LBB100_270:
	; divergent unreachable
.LBB100_271:
	s_endpgm
.LBB100_272:
	s_and_saveexec_b64 s[2:3], s[6:7]
	s_xor_b64 s[2:3], exec, s[2:3]
	s_cbranch_execz .LBB100_283
; %bb.273:
	s_and_saveexec_b64 s[6:7], s[4:5]
	s_xor_b64 s[4:5], exec, s[6:7]
; %bb.274:
	v_xor_b32_e32 v29, 0x80000000, v29
	v_mov_b64_e32 v[8:9], v[28:29]
; %bb.275:
	s_or_b64 exec, exec, s[4:5]
	v_readlane_b32 s6, v66, 6
	v_readlane_b32 s18, v66, 10
	;; [unrolled: 1-line block ×3, first 2 shown]
	s_mul_i32 s4, s7, s18
	s_mul_hi_u32 s5, s6, s18
	s_add_i32 s5, s5, s4
	s_mul_i32 s4, s6, s18
	s_lshl_b64 s[4:5], s[4:5], 3
	v_readlane_b32 s6, v66, 8
	v_readlane_b32 s7, v66, 9
	s_add_u32 s4, s6, s4
	s_addc_u32 s5, s7, s5
	v_mov_b32_e32 v2, 0
	v_readlane_b32 s19, v66, 11
	global_store_dwordx2 v2, v[8:9], s[4:5]
	s_mov_b64 s[4:5], exec
	v_readlane_b32 s6, v66, 12
	v_readlane_b32 s7, v66, 13
	s_and_b64 s[6:7], s[4:5], s[6:7]
	s_mov_b64 exec, s[6:7]
	s_cbranch_execz .LBB100_282
; %bb.276:
	s_mov_b64 s[6:7], 0
                                        ; implicit-def: $sgpr8_sgpr9
                                        ; implicit-def: $sgpr12_sgpr13
                                        ; implicit-def: $sgpr10_sgpr11
	s_branch .LBB100_278
.LBB100_277:                            ;   in Loop: Header=BB100_278 Depth=1
	s_or_b64 exec, exec, s[14:15]
	s_and_b64 s[14:15], exec, s[12:13]
	s_or_b64 s[6:7], s[14:15], s[6:7]
	s_andn2_b64 s[8:9], s[8:9], exec
	s_and_b64 s[14:15], s[10:11], exec
	s_or_b64 s[8:9], s[8:9], s[14:15]
	s_andn2_b64 exec, exec, s[6:7]
	s_cbranch_execz .LBB100_280
.LBB100_278:                            ; =>This Inner Loop Header: Depth=1
	global_load_dwordx2 v[4:5], v[18:19], off
	v_mov_b64_e32 v[2:3], v[0:1]
	s_or_b64 s[10:11], s[10:11], exec
	s_or_b64 s[12:13], s[12:13], exec
                                        ; implicit-def: $vgpr0_vgpr1
	s_waitcnt vmcnt(0)
	v_cmp_ne_u64_e32 vcc, v[4:5], v[8:9]
	s_and_saveexec_b64 s[14:15], vcc
	s_cbranch_execz .LBB100_277
; %bb.279:                              ;   in Loop: Header=BB100_278 Depth=1
	v_lshl_add_u64 v[0:1], v[2:3], 0, s[66:67]
	v_cmp_le_u64_e32 vcc, s[52:53], v[0:1]
	s_andn2_b64 s[12:13], s[12:13], exec
	s_and_b64 s[16:17], vcc, exec
	v_lshl_add_u64 v[18:19], v[18:19], 0, s[68:69]
	s_andn2_b64 s[10:11], s[10:11], exec
	s_or_b64 s[12:13], s[12:13], s[16:17]
	s_branch .LBB100_277
.LBB100_280:
	s_or_b64 exec, exec, s[6:7]
	s_and_saveexec_b64 s[6:7], s[8:9]
	s_xor_b64 s[6:7], exec, s[6:7]
	s_cbranch_execz .LBB100_282
; %bb.281:
	v_readlane_b32 s8, v66, 2
	v_readlane_b32 s9, v66, 3
	s_mul_i32 s6, s9, s18
	s_mul_hi_u32 s7, s8, s18
	s_add_i32 s7, s7, s6
	s_mul_i32 s6, s8, s18
	s_lshl_b64 s[6:7], s[6:7], 3
	v_readlane_b32 s8, v66, 4
	v_readlane_b32 s9, v66, 5
	s_add_u32 s6, s8, s6
	s_addc_u32 s7, s9, s7
	v_mov_b32_e32 v0, 0
	global_store_dwordx2 v0, v[2:3], s[6:7]
.LBB100_282:
	s_or_b64 exec, exec, s[4:5]
.LBB100_283:
	s_or_saveexec_b64 s[2:3], s[2:3]
	s_mov_b64 s[4:5], 0
	s_xor_b64 exec, exec, s[2:3]
	s_cbranch_execnz .LBB100_286
.LBB100_284:
	s_or_b64 exec, exec, s[2:3]
	s_and_b64 s[2:3], s[4:5], exec
	s_andn2_saveexec_b64 s[0:1], s[0:1]
	s_cbranch_execz .LBB100_269
.LBB100_285:
	s_or_b64 s[2:3], s[2:3], exec
	s_trap 2
	s_or_b64 exec, exec, s[0:1]
	s_and_saveexec_b64 s[0:1], s[2:3]
	s_cbranch_execnz .LBB100_270
	s_branch .LBB100_271
.LBB100_286:
	s_mov_b64 s[4:5], exec
	s_trap 2
	s_branch .LBB100_284
	.section	.rodata,"a",@progbits
	.p2align	6, 0x0
	.amdhsa_kernel _ZN2at6native12_GLOBAL__N_112gatherMedianIlmLi1EEEvNS_4cuda6detail10TensorInfoIT_T0_EENS5_IlS7_EENS5_IKS6_S7_EES7_S7_S7_b
		.amdhsa_group_segment_fixed_size 5152
		.amdhsa_private_segment_fixed_size 0
		.amdhsa_kernarg_size 1536
		.amdhsa_user_sgpr_count 2
		.amdhsa_user_sgpr_dispatch_ptr 0
		.amdhsa_user_sgpr_queue_ptr 0
		.amdhsa_user_sgpr_kernarg_segment_ptr 1
		.amdhsa_user_sgpr_dispatch_id 0
		.amdhsa_user_sgpr_kernarg_preload_length 0
		.amdhsa_user_sgpr_kernarg_preload_offset 0
		.amdhsa_user_sgpr_private_segment_size 0
		.amdhsa_uses_dynamic_stack 0
		.amdhsa_enable_private_segment 0
		.amdhsa_system_sgpr_workgroup_id_x 1
		.amdhsa_system_sgpr_workgroup_id_y 1
		.amdhsa_system_sgpr_workgroup_id_z 1
		.amdhsa_system_sgpr_workgroup_info 0
		.amdhsa_system_vgpr_workitem_id 0
		.amdhsa_next_free_vgpr 67
		.amdhsa_next_free_sgpr 100
		.amdhsa_accum_offset 68
		.amdhsa_reserve_vcc 1
		.amdhsa_float_round_mode_32 0
		.amdhsa_float_round_mode_16_64 0
		.amdhsa_float_denorm_mode_32 3
		.amdhsa_float_denorm_mode_16_64 3
		.amdhsa_dx10_clamp 1
		.amdhsa_ieee_mode 1
		.amdhsa_fp16_overflow 0
		.amdhsa_tg_split 0
		.amdhsa_exception_fp_ieee_invalid_op 0
		.amdhsa_exception_fp_denorm_src 0
		.amdhsa_exception_fp_ieee_div_zero 0
		.amdhsa_exception_fp_ieee_overflow 0
		.amdhsa_exception_fp_ieee_underflow 0
		.amdhsa_exception_fp_ieee_inexact 0
		.amdhsa_exception_int_div_zero 0
	.end_amdhsa_kernel
	.section	.text._ZN2at6native12_GLOBAL__N_112gatherMedianIlmLi1EEEvNS_4cuda6detail10TensorInfoIT_T0_EENS5_IlS7_EENS5_IKS6_S7_EES7_S7_S7_b,"axG",@progbits,_ZN2at6native12_GLOBAL__N_112gatherMedianIlmLi1EEEvNS_4cuda6detail10TensorInfoIT_T0_EENS5_IlS7_EENS5_IKS6_S7_EES7_S7_S7_b,comdat
.Lfunc_end100:
	.size	_ZN2at6native12_GLOBAL__N_112gatherMedianIlmLi1EEEvNS_4cuda6detail10TensorInfoIT_T0_EENS5_IlS7_EENS5_IKS6_S7_EES7_S7_S7_b, .Lfunc_end100-_ZN2at6native12_GLOBAL__N_112gatherMedianIlmLi1EEEvNS_4cuda6detail10TensorInfoIT_T0_EENS5_IlS7_EENS5_IKS6_S7_EES7_S7_S7_b
                                        ; -- End function
	.set _ZN2at6native12_GLOBAL__N_112gatherMedianIlmLi1EEEvNS_4cuda6detail10TensorInfoIT_T0_EENS5_IlS7_EENS5_IKS6_S7_EES7_S7_S7_b.num_vgpr, 67
	.set _ZN2at6native12_GLOBAL__N_112gatherMedianIlmLi1EEEvNS_4cuda6detail10TensorInfoIT_T0_EENS5_IlS7_EENS5_IKS6_S7_EES7_S7_S7_b.num_agpr, 0
	.set _ZN2at6native12_GLOBAL__N_112gatherMedianIlmLi1EEEvNS_4cuda6detail10TensorInfoIT_T0_EENS5_IlS7_EENS5_IKS6_S7_EES7_S7_S7_b.numbered_sgpr, 100
	.set _ZN2at6native12_GLOBAL__N_112gatherMedianIlmLi1EEEvNS_4cuda6detail10TensorInfoIT_T0_EENS5_IlS7_EENS5_IKS6_S7_EES7_S7_S7_b.num_named_barrier, 0
	.set _ZN2at6native12_GLOBAL__N_112gatherMedianIlmLi1EEEvNS_4cuda6detail10TensorInfoIT_T0_EENS5_IlS7_EENS5_IKS6_S7_EES7_S7_S7_b.private_seg_size, 0
	.set _ZN2at6native12_GLOBAL__N_112gatherMedianIlmLi1EEEvNS_4cuda6detail10TensorInfoIT_T0_EENS5_IlS7_EENS5_IKS6_S7_EES7_S7_S7_b.uses_vcc, 1
	.set _ZN2at6native12_GLOBAL__N_112gatherMedianIlmLi1EEEvNS_4cuda6detail10TensorInfoIT_T0_EENS5_IlS7_EENS5_IKS6_S7_EES7_S7_S7_b.uses_flat_scratch, 0
	.set _ZN2at6native12_GLOBAL__N_112gatherMedianIlmLi1EEEvNS_4cuda6detail10TensorInfoIT_T0_EENS5_IlS7_EENS5_IKS6_S7_EES7_S7_S7_b.has_dyn_sized_stack, 0
	.set _ZN2at6native12_GLOBAL__N_112gatherMedianIlmLi1EEEvNS_4cuda6detail10TensorInfoIT_T0_EENS5_IlS7_EENS5_IKS6_S7_EES7_S7_S7_b.has_recursion, 0
	.set _ZN2at6native12_GLOBAL__N_112gatherMedianIlmLi1EEEvNS_4cuda6detail10TensorInfoIT_T0_EENS5_IlS7_EENS5_IKS6_S7_EES7_S7_S7_b.has_indirect_call, 0
	.section	.AMDGPU.csdata,"",@progbits
; Kernel info:
; codeLenInByte = 14536
; TotalNumSgprs: 106
; NumVgprs: 67
; NumAgprs: 0
; TotalNumVgprs: 67
; ScratchSize: 0
; MemoryBound: 0
; FloatMode: 240
; IeeeMode: 1
; LDSByteSize: 5152 bytes/workgroup (compile time only)
; SGPRBlocks: 13
; VGPRBlocks: 8
; NumSGPRsForWavesPerEU: 106
; NumVGPRsForWavesPerEU: 67
; AccumOffset: 68
; Occupancy: 7
; WaveLimiterHint : 1
; COMPUTE_PGM_RSRC2:SCRATCH_EN: 0
; COMPUTE_PGM_RSRC2:USER_SGPR: 2
; COMPUTE_PGM_RSRC2:TRAP_HANDLER: 0
; COMPUTE_PGM_RSRC2:TGID_X_EN: 1
; COMPUTE_PGM_RSRC2:TGID_Y_EN: 1
; COMPUTE_PGM_RSRC2:TGID_Z_EN: 1
; COMPUTE_PGM_RSRC2:TIDIG_COMP_CNT: 0
; COMPUTE_PGM_RSRC3_GFX90A:ACCUM_OFFSET: 16
; COMPUTE_PGM_RSRC3_GFX90A:TG_SPLIT: 0
	.section	.text._ZN2at6native12_GLOBAL__N_112gatherMedianIlmLi2EEEvNS_4cuda6detail10TensorInfoIT_T0_EENS5_IlS7_EENS5_IKS6_S7_EES7_S7_S7_b,"axG",@progbits,_ZN2at6native12_GLOBAL__N_112gatherMedianIlmLi2EEEvNS_4cuda6detail10TensorInfoIT_T0_EENS5_IlS7_EENS5_IKS6_S7_EES7_S7_S7_b,comdat
	.globl	_ZN2at6native12_GLOBAL__N_112gatherMedianIlmLi2EEEvNS_4cuda6detail10TensorInfoIT_T0_EENS5_IlS7_EENS5_IKS6_S7_EES7_S7_S7_b ; -- Begin function _ZN2at6native12_GLOBAL__N_112gatherMedianIlmLi2EEEvNS_4cuda6detail10TensorInfoIT_T0_EENS5_IlS7_EENS5_IKS6_S7_EES7_S7_S7_b
	.p2align	8
	.type	_ZN2at6native12_GLOBAL__N_112gatherMedianIlmLi2EEEvNS_4cuda6detail10TensorInfoIT_T0_EENS5_IlS7_EENS5_IKS6_S7_EES7_S7_S7_b,@function
_ZN2at6native12_GLOBAL__N_112gatherMedianIlmLi2EEEvNS_4cuda6detail10TensorInfoIT_T0_EENS5_IlS7_EENS5_IKS6_S7_EES7_S7_S7_b: ; @_ZN2at6native12_GLOBAL__N_112gatherMedianIlmLi2EEEvNS_4cuda6detail10TensorInfoIT_T0_EENS5_IlS7_EENS5_IKS6_S7_EES7_S7_S7_b
; %bb.0:
	s_load_dwordx2 s[8:9], s[0:1], 0x500
	s_load_dwordx4 s[52:55], s[0:1], 0x4e0
	s_add_u32 s12, s0, 0x500
	s_addc_u32 s13, s1, 0
	s_mov_b32 s25, 0
	s_waitcnt lgkmcnt(0)
	s_mul_i32 s4, s9, s4
	s_add_i32 s3, s4, s3
	s_mul_i32 s3, s3, s8
	s_add_i32 s24, s3, s2
	v_mov_b64_e32 v[2:3], s[24:25]
	v_cmp_le_u64_e32 vcc, s[54:55], v[2:3]
	s_cbranch_vccnz .LBB101_277
; %bb.1:
	s_load_dwordx2 s[16:17], s[0:1], 0x10
	s_load_dwordx2 s[14:15], s[0:1], 0x350
	s_load_dwordx2 s[10:11], s[0:1], 0x1b0
	s_mov_b64 s[4:5], 0
                                        ; implicit-def: $vgpr58 : SGPR spill to VGPR lane
	v_writelane_b32 v58, s4, 0
	s_waitcnt lgkmcnt(0)
	v_mov_b64_e32 v[2:3], s[16:17]
	v_cmp_lt_u64_e32 vcc, s[24:25], v[2:3]
	v_writelane_b32 v58, s5, 1
	s_mov_b64 s[4:5], 0
	s_cbranch_vccnz .LBB101_3
; %bb.2:
	v_cvt_f32_u32_e32 v1, s16
	s_sub_i32 s3, 0, s16
	v_rcp_iflag_f32_e32 v1, v1
	s_nop 0
	v_mul_f32_e32 v1, 0x4f7ffffe, v1
	v_cvt_u32_f32_e32 v1, v1
	s_nop 0
	v_readfirstlane_b32 s4, v1
	s_mul_i32 s3, s3, s4
	s_mul_hi_u32 s3, s4, s3
	s_add_i32 s4, s4, s3
	s_mul_hi_u32 s3, s24, s4
	s_mul_i32 s5, s3, s16
	s_sub_i32 s5, s24, s5
	s_add_i32 s4, s3, 1
	s_sub_i32 s6, s5, s16
	s_cmp_ge_u32 s5, s16
	s_cselect_b32 s3, s4, s3
	s_cselect_b32 s5, s6, s5
	s_add_i32 s4, s3, 1
	s_cmp_ge_u32 s5, s16
	s_cselect_b32 s4, s4, s3
.LBB101_3:
	s_load_dwordx2 s[68:69], s[0:1], 0x4f0
	v_writelane_b32 v58, s4, 2
	v_mov_b64_e32 v[2:3], s[10:11]
	v_cmp_lt_u64_e32 vcc, s[24:25], v[2:3]
	v_writelane_b32 v58, s5, 3
	v_writelane_b32 v58, s16, 4
	s_nop 1
	v_writelane_b32 v58, s17, 5
	s_cbranch_vccnz .LBB101_5
; %bb.4:
	v_cvt_f32_u32_e32 v1, s10
	s_sub_i32 s3, 0, s10
	v_rcp_iflag_f32_e32 v1, v1
	s_nop 0
	v_mul_f32_e32 v1, 0x4f7ffffe, v1
	v_cvt_u32_f32_e32 v1, v1
	s_nop 0
	v_readfirstlane_b32 s4, v1
	s_mul_i32 s3, s3, s4
	s_mul_hi_u32 s3, s4, s3
	s_add_i32 s4, s4, s3
	s_mul_hi_u32 s3, s24, s4
	s_mul_i32 s5, s3, s10
	s_sub_i32 s5, s24, s5
	s_add_i32 s4, s3, 1
	s_sub_i32 s6, s5, s10
	s_cmp_ge_u32 s5, s10
	s_cselect_b32 s3, s4, s3
	s_cselect_b32 s5, s6, s5
	s_add_i32 s4, s3, 1
	s_cmp_ge_u32 s5, s10
	s_cselect_b32 s4, s4, s3
	v_writelane_b32 v58, s4, 0
	s_nop 1
	v_writelane_b32 v58, s5, 1
.LBB101_5:
	v_mov_b64_e32 v[2:3], s[14:15]
	v_cmp_lt_u64_e32 vcc, s[24:25], v[2:3]
	v_writelane_b32 v58, s10, 6
	s_mov_b64 s[18:19], 0
	s_nop 0
	v_writelane_b32 v58, s11, 7
	s_cbranch_vccnz .LBB101_7
; %bb.6:
	v_cvt_f32_u32_e32 v1, s14
	s_sub_i32 s3, 0, s14
	v_rcp_iflag_f32_e32 v1, v1
	s_nop 0
	v_mul_f32_e32 v1, 0x4f7ffffe, v1
	v_cvt_u32_f32_e32 v1, v1
	s_nop 0
	v_readfirstlane_b32 s4, v1
	s_mul_i32 s3, s3, s4
	s_mul_hi_u32 s3, s4, s3
	s_add_i32 s4, s4, s3
	s_mul_hi_u32 s3, s24, s4
	s_mul_i32 s5, s3, s14
	s_sub_i32 s5, s24, s5
	s_add_i32 s4, s3, 1
	s_sub_i32 s6, s5, s14
	s_cmp_ge_u32 s5, s14
	s_cselect_b32 s3, s4, s3
	s_cselect_b32 s5, s6, s5
	s_add_i32 s4, s3, 1
	s_cmp_ge_u32 s5, s14
	s_cselect_b32 s18, s4, s3
.LBB101_7:
	s_load_dwordx2 s[20:21], s[0:1], 0x340
	v_cmp_eq_u32_e64 s[6:7], 0, v0
	s_mov_b64 s[4:5], exec
	s_nop 0
	v_writelane_b32 v58, s6, 8
	s_nop 1
	v_writelane_b32 v58, s7, 9
	s_and_b64 s[6:7], s[4:5], s[6:7]
	s_mov_b64 exec, s[6:7]
; %bb.8:
	v_mov_b32_e32 v2, 0
	v_mov_b32_e32 v3, v2
	ds_write_b64 v2, v[2:3] offset:5136
; %bb.9:
	s_or_b64 exec, exec, s[4:5]
	s_load_dwordx2 s[4:5], s[0:1], 0x1a0
	v_mov_b32_e32 v3, 0
	s_waitcnt lgkmcnt(0)
	s_barrier
	v_writelane_b32 v58, s4, 10
	s_barrier
	s_nop 0
	v_writelane_b32 v58, s5, 11
	s_load_dwordx2 s[4:5], s[0:1], 0x0
	s_waitcnt lgkmcnt(0)
	ds_read_b64 v[4:5], v3 offset:5136
	v_writelane_b32 v58, s4, 12
	s_nop 1
	v_writelane_b32 v58, s5, 13
	s_load_dwordx4 s[4:7], s[0:1], 0x410
	s_waitcnt lgkmcnt(0)
	v_readfirstlane_b32 s16, v4
	v_readfirstlane_b32 s17, v5
	s_mov_b64 s[22:23], exec
	v_readlane_b32 s10, v58, 8
	v_readlane_b32 s11, v58, 9
	s_and_b64 s[10:11], s[22:23], s[10:11]
	s_mov_b64 exec, s[10:11]
	s_cbranch_execz .LBB101_11
; %bb.10:
	v_mov_b32_e32 v4, s52
	v_mov_b32_e32 v5, s53
	;; [unrolled: 1-line block ×3, first 2 shown]
	ds_write_b32 v3, v3 offset:5144
	ds_write_b128 v3, v[2:5] offset:5120
.LBB101_11:
	s_or_b64 exec, exec, s[22:23]
	s_load_dword s3, s[0:1], 0x4f8
	s_load_dwordx4 s[28:31], s[0:1], 0x270
                                        ; kill: killed $sgpr0 killed $sgpr1
	v_mov_b32_e32 v1, v3
	v_mbcnt_lo_u32_b32 v2, -1, 0
	v_mbcnt_hi_u32_b32 v36, -1, v2
	s_waitcnt lgkmcnt(0)
	s_bitcmp1_b32 s3, 0
	v_writelane_b32 v58, s28, 14
	s_cselect_b64 s[10:11], -1, 0
	v_cmp_gt_u32_e32 vcc, 64, v0
	v_writelane_b32 v58, s29, 15
	v_writelane_b32 v58, s30, 16
	;; [unrolled: 1-line block ×3, first 2 shown]
	s_load_dwordx4 s[28:31], s[0:1], 0xd0
	v_cmp_lt_i64_e64 s[0:1], s[16:17], 1
	s_not_b64 s[16:17], s[16:17]
	s_or_b64 s[0:1], s[10:11], s[0:1]
	s_add_u32 s10, s52, s16
	s_addc_u32 s11, s53, s17
	s_lshr_b64 s[10:11], s[10:11], 1
	s_add_u32 s3, s10, 1
	s_addc_u32 s9, s11, 0
	s_and_b64 s[0:1], s[0:1], exec
	s_mul_i32 s0, s18, s15
	s_mul_hi_u32 s1, s18, s14
	s_cselect_b32 s17, s9, s53
	s_cselect_b32 s16, s3, s52
	s_add_i32 s1, s1, s0
	s_mul_i32 s0, s18, s14
	s_sub_u32 s0, s24, s0
	s_subb_u32 s1, 0, s1
	s_mul_i32 s3, s0, s7
	s_mul_hi_u32 s7, s0, s6
	s_add_i32 s3, s7, s3
	s_mul_i32 s1, s1, s6
	s_add_i32 s1, s3, s1
	s_mul_i32 s3, s18, s5
	s_mul_hi_u32 s5, s18, s4
	s_waitcnt lgkmcnt(0)
	v_writelane_b32 v58, s28, 18
	s_add_i32 s5, s5, s3
	s_mul_i32 s4, s18, s4
	v_writelane_b32 v58, s29, 19
	s_lshl_b64 s[4:5], s[4:5], 3
	v_writelane_b32 v58, s30, 20
	s_mul_i32 s0, s0, s6
	s_add_u32 s3, s20, s4
	v_writelane_b32 v58, s31, 21
	s_mov_b32 s10, s24
	s_addc_u32 s4, s21, s5
	s_lshl_b64 s[0:1], s[0:1], 3
	v_writelane_b32 v58, s10, 22
	s_add_u32 s76, s3, s0
	s_addc_u32 s77, s4, s1
	v_writelane_b32 v58, s11, 23
	v_cmp_gt_u64_e64 s[0:1], s[52:53], v[0:1]
	v_mov_b64_e32 v[4:5], 0x180
	s_nop 0
	v_writelane_b32 v58, s0, 24
	s_barrier
	s_nop 0
	v_writelane_b32 v58, s1, 25
	v_cmp_gt_i32_e64 s[0:1], 4, v36
	s_and_b64 s[84:85], vcc, s[0:1]
	v_cmp_gt_u64_e64 s[0:1], s[52:53], v[4:5]
	s_mov_b32 s83, 0
	v_lshlrev_b32_e32 v37, 3, v0
	v_writelane_b32 v58, s0, 26
	v_cmp_eq_u32_e64 s[4:5], 0, v36
	v_cmp_gt_u32_e64 s[6:7], 2, v0
	v_writelane_b32 v58, s1, 27
	v_mad_u64_u32 v[4:5], s[0:1], s68, v0, 0
	v_mov_b32_e32 v2, v5
	v_mad_u64_u32 v[6:7], s[0:1], s69, v0, v[2:3]
	s_load_dword s0, s[12:13], 0xc
	v_lshlrev_b32_e32 v2, 2, v36
	v_and_b32_e32 v39, 0x100, v2
	v_lshrrev_b32_e32 v2, 1, v0
	v_mov_b32_e32 v5, v6
	s_waitcnt lgkmcnt(0)
	s_and_b32 s80, s0, 0xffff
	s_bfe_u32 s0, s0, 0xa0006
	s_cmp_gt_u32 s80, 63
	s_cselect_b64 s[86:87], -1, 0
	s_add_u32 s1, s80, -1
	s_addc_u32 s3, 0, -1
	s_add_u32 s10, s1, s52
	s_addc_u32 s89, s3, s53
	s_cmp_lt_u32 s2, s8
	v_writelane_b32 v58, s1, 28
	s_cselect_b32 s1, 12, 18
	s_add_u32 s90, s12, s1
	s_addc_u32 s91, s13, 0
	s_add_i32 s1, s0, -1
	s_bfe_u32 s2, s80, 0x30006
	s_and_b32 s1, s1, 0xffff
	s_cmp_gt_u32 s1, 6
	v_writelane_b32 v58, s3, 29
	s_cselect_b64 s[8:9], -1, 0
	v_writelane_b32 v58, s8, 30
	s_and_b32 s11, s0, 0x3f8
	v_and_b32_e32 v2, 0x1e0, v2
	v_writelane_b32 v58, s9, 31
	s_cmp_lg_u32 s2, 0
	v_lshl_add_u64 v[18:19], v[4:5], 3, s[76:77]
	v_lshlrev_b64 v[4:5], v36, -1
	v_or_b32_e32 v40, 0xc00, v2
	v_writelane_b32 v58, s2, 32
	s_cselect_b64 s[0:1], -1, 0
	v_mov_b32_e32 v2, 0xc00
	v_add_u32_e32 v38, 0xc00, v37
	v_lshlrev_b32_e32 v20, 2, v0
	v_mov_b32_e32 v21, v3
	v_not_b32_e32 v23, v5
	v_not_b32_e32 v22, v4
	s_mov_b32 s81, s83
	v_writelane_b32 v58, s0, 33
	v_lshlrev_b32_e32 v41, 5, v0
	v_lshl_or_b32 v42, v36, 3, v2
	s_lshl_b32 s64, s80, 3
	s_mov_b32 s33, 62
	s_mov_b64 s[96:97], 0
	v_mov_b64_e32 v[8:9], 0
	v_mov_b64_e32 v[28:29], s[16:17]
	;; [unrolled: 1-line block ×5, first 2 shown]
	v_mov_b32_e32 v4, 1
	v_mov_b32_e32 v43, 0x4f800000
	;; [unrolled: 1-line block ×4, first 2 shown]
	s_mov_b32 s65, 0
	v_writelane_b32 v58, s1, 34
                                        ; implicit-def: $sgpr98_sgpr99
                                        ; implicit-def: $sgpr56_sgpr57
                                        ; implicit-def: $sgpr72_sgpr73
                                        ; implicit-def: $sgpr78_sgpr79
                                        ; implicit-def: $sgpr66_sgpr67
                                        ; implicit-def: $sgpr58_sgpr59
	s_branch .LBB101_15
.LBB101_12:                             ;   in Loop: Header=BB101_15 Depth=1
	s_or_b64 exec, exec, s[16:17]
	s_and_b64 s[12:13], s[12:13], exec
	s_andn2_b64 s[24:25], s[24:25], exec
	s_andn2_b64 s[0:1], s[0:1], exec
	s_orn2_b64 s[16:17], s[8:9], exec
.LBB101_13:                             ;   in Loop: Header=BB101_15 Depth=1
	s_or_b64 exec, exec, s[2:3]
	s_andn2_b64 s[2:3], s[58:59], exec
	s_and_b64 s[8:9], s[12:13], exec
	s_or_b64 s[58:59], s[2:3], s[8:9]
	s_andn2_b64 s[2:3], s[66:67], exec
	s_and_b64 s[8:9], s[24:25], exec
	s_or_b64 s[66:67], s[2:3], s[8:9]
	;; [unrolled: 3-line block ×3, first 2 shown]
	s_orn2_b64 s[0:1], s[16:17], exec
.LBB101_14:                             ;   in Loop: Header=BB101_15 Depth=1
	s_or_b64 exec, exec, s[14:15]
	s_and_b64 s[0:1], exec, s[0:1]
	s_or_b64 s[96:97], s[0:1], s[96:97]
	s_andn2_b64 s[0:1], s[72:73], exec
	s_and_b64 s[2:3], s[58:59], exec
	s_or_b64 s[72:73], s[0:1], s[2:3]
	s_andn2_b64 s[0:1], s[56:57], exec
	s_and_b64 s[2:3], s[66:67], exec
	;; [unrolled: 3-line block ×3, first 2 shown]
	s_or_b64 s[98:99], s[0:1], s[2:3]
	v_mov_b64_e32 v[28:29], v[14:15]
	s_andn2_b64 exec, exec, s[96:97]
	s_cbranch_execz .LBB101_273
.LBB101_15:                             ; =>This Loop Header: Depth=1
                                        ;     Child Loop BB101_21 Depth 2
                                        ;     Child Loop BB101_34 Depth 2
	;; [unrolled: 1-line block ×16, first 2 shown]
	ds_read_b128 v[10:13], v3 offset:5120
	s_waitcnt lgkmcnt(0)
	v_readfirstlane_b32 s61, v11
	v_readfirstlane_b32 s60, v10
	s_cmp_lg_u64 s[60:61], 0
	s_cbranch_scc1 .LBB101_42
; %bb.16:                               ;   in Loop: Header=BB101_15 Depth=1
	v_readlane_b32 s0, v58, 26
	v_readlane_b32 s1, v58, 27
	s_and_b64 vcc, exec, s[0:1]
	s_cbranch_vccz .LBB101_29
; %bb.17:                               ;   in Loop: Header=BB101_15 Depth=1
	s_mov_b64 s[0:1], 0x181
	v_cmp_gt_u64_e32 vcc, s[0:1], v[12:13]
	s_mov_b64 s[8:9], 0
	s_mov_b64 s[0:1], 0
	s_cbranch_vccz .LBB101_30
; %bb.18:                               ;   in Loop: Header=BB101_15 Depth=1
	s_mov_b64 s[12:13], exec
	v_readlane_b32 s0, v58, 24
	v_readlane_b32 s1, v58, 25
	s_and_b64 s[0:1], s[12:13], s[0:1]
	s_mov_b64 exec, s[0:1]
	s_cbranch_execz .LBB101_140
; %bb.19:                               ;   in Loop: Header=BB101_15 Depth=1
	global_load_ushort v2, v3, s[90:91]
	global_load_dwordx2 v[6:7], v[18:19], off
	s_mov_b64 s[14:15], 0
	v_mov_b64_e32 v[10:11], v[0:1]
	s_waitcnt vmcnt(1)
	v_and_b32_e32 v2, 0xffff, v2
	s_branch .LBB101_21
.LBB101_20:                             ;   in Loop: Header=BB101_21 Depth=2
	s_or_b64 exec, exec, s[2:3]
	v_mov_b64_e32 v[6:7], v[12:13]
	s_andn2_b64 exec, exec, s[14:15]
	s_cbranch_execz .LBB101_140
.LBB101_21:                             ;   Parent Loop BB101_15 Depth=1
                                        ; =>  This Inner Loop Header: Depth=2
	v_lshl_add_u64 v[10:11], v[10:11], 0, v[2:3]
	v_cmp_gt_u64_e64 s[0:1], s[52:53], v[10:11]
	v_cmp_le_u64_e32 vcc, s[52:53], v[10:11]
	v_mov_b64_e32 v[12:13], 0
	s_and_saveexec_b64 s[2:3], s[0:1]
	s_cbranch_execz .LBB101_23
; %bb.22:                               ;   in Loop: Header=BB101_21 Depth=2
	s_waitcnt lgkmcnt(0)
	v_mul_lo_u32 v5, v11, s68
	v_mul_lo_u32 v14, v10, s69
	v_mad_u64_u32 v[12:13], s[0:1], v10, s68, 0
	v_add3_u32 v13, v13, v14, v5
	v_lshl_add_u64 v[12:13], v[12:13], 3, s[76:77]
	global_load_dwordx2 v[12:13], v[12:13], off
.LBB101_23:                             ;   in Loop: Header=BB101_21 Depth=2
	s_or_b64 exec, exec, s[2:3]
	s_waitcnt vmcnt(0) lgkmcnt(0)
	v_xor_b32_e32 v5, 0x80000000, v7
	v_and_b32_e32 v15, v5, v27
	v_and_b32_e32 v14, v6, v26
	v_cmp_eq_u64_e64 s[0:1], v[14:15], v[24:25]
	s_cmp_lg_u64 s[0:1], 0
	s_cselect_b64 s[2:3], -1, 0
	s_and_b64 s[2:3], s[4:5], s[2:3]
	v_mov_b32_e32 v5, 0
	s_and_saveexec_b64 s[16:17], s[2:3]
	s_cbranch_execz .LBB101_27
; %bb.24:                               ;   in Loop: Header=BB101_21 Depth=2
	s_mov_b64 s[20:21], exec
	v_mbcnt_lo_u32_b32 v5, s20, 0
	v_mbcnt_hi_u32_b32 v5, s21, v5
	s_bcnt1_i32_b64 s22, s[0:1]
	v_cmp_eq_u32_e64 s[2:3], 0, v5
                                        ; implicit-def: $vgpr14
	s_and_saveexec_b64 s[18:19], s[2:3]
; %bb.25:                               ;   in Loop: Header=BB101_21 Depth=2
	s_bcnt1_i32_b64 s2, s[20:21]
	s_mul_i32 s2, s22, s2
	v_mov_b32_e32 v14, s2
	ds_add_rtn_u32 v14, v3, v14 offset:5144
; %bb.26:                               ;   in Loop: Header=BB101_21 Depth=2
	s_or_b64 exec, exec, s[18:19]
	s_waitcnt lgkmcnt(0)
	v_readfirstlane_b32 s2, v14
	s_nop 1
	v_mov_b32_e32 v14, s2
	v_mad_u32_u24 v5, s22, v5, v14
.LBB101_27:                             ;   in Loop: Header=BB101_21 Depth=2
	s_or_b64 exec, exec, s[16:17]
	ds_bpermute_b32 v5, v39, v5
	s_and_b64 s[2:3], exec, vcc
	s_or_b64 s[14:15], s[2:3], s[14:15]
	s_and_saveexec_b64 s[2:3], s[0:1]
	s_cbranch_execz .LBB101_20
; %bb.28:                               ;   in Loop: Header=BB101_21 Depth=2
	v_and_b32_e32 v15, s0, v22
	v_and_b32_e32 v14, s1, v23
	v_bcnt_u32_b32 v15, v15, 0
	v_bcnt_u32_b32 v14, v14, v15
	v_lshlrev_b32_e32 v14, 3, v14
	s_waitcnt lgkmcnt(0)
	v_lshl_add_u32 v5, v5, 3, v14
	ds_write_b64 v5, v[6:7]
	s_branch .LBB101_20
.LBB101_29:                             ;   in Loop: Header=BB101_15 Depth=1
	s_mov_b64 s[8:9], -1
	s_mov_b64 s[0:1], 0
.LBB101_30:                             ;   in Loop: Header=BB101_15 Depth=1
	s_and_b64 vcc, exec, s[8:9]
	s_cbranch_vccz .LBB101_40
.LBB101_31:                             ;   in Loop: Header=BB101_15 Depth=1
	s_mov_b64 s[0:1], exec
	v_readlane_b32 s2, v58, 24
	v_readlane_b32 s3, v58, 25
	s_and_b64 s[2:3], s[0:1], s[2:3]
	s_mov_b64 exec, s[2:3]
	s_cbranch_execz .LBB101_37
; %bb.32:                               ;   in Loop: Header=BB101_15 Depth=1
	global_load_ushort v2, v3, s[90:91]
	global_load_dwordx2 v[10:11], v[18:19], off
	v_mov_b32_e32 v5, v0
	s_waitcnt vmcnt(1)
	v_and_b32_e32 v6, 0xffff, v2
	v_add_u32_e32 v2, v6, v0
	v_cmp_gt_u64_e32 vcc, s[52:53], v[2:3]
	s_and_saveexec_b64 s[2:3], vcc
	s_cbranch_execz .LBB101_36
; %bb.33:                               ;   in Loop: Header=BB101_15 Depth=1
	v_mov_b32_e32 v7, v3
	s_mov_b64 s[8:9], 0
	v_mov_b64_e32 v[16:17], v[2:3]
	v_mov_b64_e32 v[12:13], v[0:1]
.LBB101_34:                             ;   Parent Loop BB101_15 Depth=1
                                        ; =>  This Inner Loop Header: Depth=2
	v_mov_b64_e32 v[30:31], v[16:17]
	v_mul_lo_u32 v2, v31, s68
	v_mul_lo_u32 v5, v30, s69
	v_mad_u64_u32 v[14:15], s[12:13], v30, s68, 0
	v_add3_u32 v15, v15, v5, v2
	v_lshl_add_u64 v[14:15], v[14:15], 3, s[76:77]
	global_load_dwordx2 v[14:15], v[14:15], off
	v_lshl_add_u64 v[16:17], v[30:31], 0, v[6:7]
	v_lshlrev_b32_e32 v2, 3, v12
	v_cmp_le_u64_e32 vcc, s[52:53], v[16:17]
	s_waitcnt vmcnt(1)
	ds_write_b64 v2, v[10:11]
	v_mov_b64_e32 v[12:13], v[30:31]
	s_or_b64 s[8:9], vcc, s[8:9]
	s_waitcnt vmcnt(0)
	v_mov_b64_e32 v[10:11], v[14:15]
	s_andn2_b64 exec, exec, s[8:9]
	s_cbranch_execnz .LBB101_34
; %bb.35:                               ;   in Loop: Header=BB101_15 Depth=1
	s_or_b64 exec, exec, s[8:9]
	v_sub_u32_e32 v5, v16, v6
	v_mov_b64_e32 v[10:11], v[14:15]
.LBB101_36:                             ;   in Loop: Header=BB101_15 Depth=1
	s_or_b64 exec, exec, s[2:3]
	v_lshlrev_b32_e32 v2, 3, v5
	s_waitcnt vmcnt(0)
	ds_write_b64 v2, v[10:11]
.LBB101_37:                             ;   in Loop: Header=BB101_15 Depth=1
	s_or_b64 exec, exec, s[0:1]
	s_waitcnt lgkmcnt(0)
	s_barrier
	s_mov_b64 s[0:1], exec
	v_readlane_b32 s2, v58, 8
	v_readlane_b32 s3, v58, 9
	s_and_b64 s[2:3], s[0:1], s[2:3]
	s_mov_b64 exec, s[2:3]
; %bb.38:                               ;   in Loop: Header=BB101_15 Depth=1
	ds_write_b64 v3, v[46:47] offset:5120
; %bb.39:                               ;   in Loop: Header=BB101_15 Depth=1
	s_or_b64 exec, exec, s[0:1]
	s_mov_b64 s[0:1], -1
	s_waitcnt lgkmcnt(0)
	s_barrier
.LBB101_40:                             ;   in Loop: Header=BB101_15 Depth=1
	s_mov_b64 s[60:61], 0
	s_and_b64 vcc, exec, s[0:1]
	s_cbranch_vccz .LBB101_42
; %bb.41:                               ;   in Loop: Header=BB101_15 Depth=1
	ds_read_b64 v[6:7], v3 offset:5120
	s_waitcnt lgkmcnt(0)
	v_readfirstlane_b32 s60, v6
.LBB101_42:                             ;   in Loop: Header=BB101_15 Depth=1
	s_cmp_lt_i32 s60, 1
	s_mov_b64 s[0:1], -1
                                        ; implicit-def: $vgpr16_vgpr17
                                        ; implicit-def: $vgpr12_vgpr13
	s_cbranch_scc1 .LBB101_52
; %bb.43:                               ;   in Loop: Header=BB101_15 Depth=1
	s_and_b64 vcc, exec, s[0:1]
	s_cbranch_vccnz .LBB101_66
.LBB101_44:                             ;   in Loop: Header=BB101_15 Depth=1
	s_lshl_b32 s2, s65, 6
	s_and_saveexec_b64 s[0:1], s[4:5]
	s_cbranch_execz .LBB101_46
.LBB101_45:                             ;   in Loop: Header=BB101_15 Depth=1
	v_lshl_add_u32 v2, s2, 3, v40
	ds_write_b128 v2, v[10:13]
	ds_write_b128 v2, v[14:17] offset:16
.LBB101_46:                             ;   in Loop: Header=BB101_15 Depth=1
	s_or_b64 exec, exec, s[0:1]
	s_waitcnt lgkmcnt(0)
	s_barrier
	s_and_saveexec_b64 s[0:1], s[84:85]
	s_cbranch_execz .LBB101_81
; %bb.47:                               ;   in Loop: Header=BB101_15 Depth=1
	s_andn2_b64 vcc, exec, s[86:87]
	v_mov_b64_e32 v[6:7], 0
	s_cbranch_vccnz .LBB101_80
; %bb.48:                               ;   in Loop: Header=BB101_15 Depth=1
	v_readlane_b32 s8, v58, 30
	v_readlane_b32 s9, v58, 31
	s_andn2_b64 vcc, exec, s[8:9]
	s_cbranch_vccnz .LBB101_76
; %bb.49:                               ;   in Loop: Header=BB101_15 Depth=1
	v_lshl_add_u32 v2, s65, 9, v42
	v_mov_b64_e32 v[6:7], 0
	s_mov_b32 s3, 0
.LBB101_50:                             ;   Parent Loop BB101_15 Depth=1
                                        ; =>  This Inner Loop Header: Depth=2
	ds_read2_b64 v[10:13], v2 offset1:4
	ds_read2_b64 v[14:17], v2 offset0:8 offset1:12
	ds_read2_b64 v[30:33], v2 offset0:16 offset1:20
	;; [unrolled: 1-line block ×3, first 2 shown]
	s_add_i32 s3, s3, 8
	s_waitcnt lgkmcnt(3)
	v_lshl_add_u64 v[6:7], v[10:11], 0, v[6:7]
	v_lshl_add_u64 v[6:7], v[12:13], 0, v[6:7]
	s_waitcnt lgkmcnt(2)
	v_lshl_add_u64 v[6:7], v[14:15], 0, v[6:7]
	v_lshl_add_u64 v[6:7], v[16:17], 0, v[6:7]
	s_waitcnt lgkmcnt(1)
	v_lshl_add_u64 v[6:7], v[30:31], 0, v[6:7]
	v_lshl_add_u64 v[6:7], v[32:33], 0, v[6:7]
	s_waitcnt lgkmcnt(0)
	v_lshl_add_u64 v[6:7], v[50:51], 0, v[6:7]
	v_add_u32_e32 v2, 0x100, v2
	s_cmp_eq_u32 s11, s3
	v_lshl_add_u64 v[6:7], v[52:53], 0, v[6:7]
	s_cbranch_scc0 .LBB101_50
; %bb.51:                               ;   in Loop: Header=BB101_15 Depth=1
	s_mov_b32 s3, s11
	s_branch .LBB101_77
.LBB101_52:                             ;   in Loop: Header=BB101_15 Depth=1
	global_load_ushort v5, v3, s[90:91]
	s_mov_b32 s0, s83
	s_waitcnt vmcnt(0)
	v_readfirstlane_b32 s1, v5
	s_and_b32 s1, 0xffff, s1
	s_lshl_b32 s82, s1, 2
	s_mov_b32 s1, s53
	s_cmp_lg_u64 s[0:1], 0
	s_cbranch_scc0 .LBB101_75
; %bb.53:                               ;   in Loop: Header=BB101_15 Depth=1
	v_cvt_f32_u32_e32 v2, s82
	s_sub_u32 s2, 0, s82
	s_subb_u32 s3, 0, 0
	v_fmac_f32_e32 v2, 0, v43
	v_rcp_f32_e32 v2, v2
	s_nop 0
	v_mul_f32_e32 v2, 0x5f7ffffc, v2
	v_mul_f32_e32 v6, 0x2f800000, v2
	v_trunc_f32_e32 v6, v6
	v_fmac_f32_e32 v2, 0xcf800000, v6
	v_cvt_u32_f32_e32 v6, v6
	v_cvt_u32_f32_e32 v2, v2
	v_readfirstlane_b32 s8, v6
	v_readfirstlane_b32 s0, v2
	s_mul_i32 s1, s2, s8
	s_mul_hi_u32 s12, s2, s0
	s_mul_i32 s9, s3, s0
	s_add_i32 s1, s12, s1
	s_mul_i32 s13, s2, s0
	s_add_i32 s1, s1, s9
	s_mul_hi_u32 s12, s0, s13
	s_mul_i32 s14, s0, s1
	s_mul_hi_u32 s9, s0, s1
	s_add_u32 s12, s12, s14
	s_addc_u32 s9, 0, s9
	s_mul_hi_u32 s15, s8, s13
	s_mul_i32 s13, s8, s13
	s_add_u32 s12, s12, s13
	s_mul_hi_u32 s14, s8, s1
	s_addc_u32 s9, s9, s15
	s_addc_u32 s12, s14, 0
	s_mul_i32 s1, s8, s1
	s_add_u32 s1, s9, s1
	s_addc_u32 s9, 0, s12
	s_add_u32 s12, s0, s1
	s_cselect_b64 s[0:1], -1, 0
	s_cmp_lg_u64 s[0:1], 0
	s_addc_u32 s8, s8, s9
	s_mul_i32 s0, s2, s8
	s_mul_hi_u32 s1, s2, s12
	s_add_i32 s0, s1, s0
	s_mul_i32 s3, s3, s12
	s_add_i32 s0, s0, s3
	s_mul_i32 s2, s2, s12
	s_mul_hi_u32 s3, s8, s2
	s_mul_i32 s9, s8, s2
	s_mul_i32 s14, s12, s0
	s_mul_hi_u32 s2, s12, s2
	s_mul_hi_u32 s13, s12, s0
	s_add_u32 s2, s2, s14
	s_addc_u32 s13, 0, s13
	s_add_u32 s2, s2, s9
	s_mul_hi_u32 s1, s8, s0
	s_addc_u32 s2, s13, s3
	s_addc_u32 s1, s1, 0
	s_mul_i32 s0, s8, s0
	s_add_u32 s0, s2, s0
	s_addc_u32 s2, 0, s1
	s_add_u32 s3, s12, s0
	s_cselect_b64 s[0:1], -1, 0
	s_cmp_lg_u64 s[0:1], 0
	s_addc_u32 s0, s8, s2
	s_mul_i32 s2, s52, s0
	s_mul_hi_u32 s8, s52, s3
	s_mul_hi_u32 s1, s52, s0
	s_add_u32 s2, s8, s2
	s_addc_u32 s1, 0, s1
	s_mul_hi_u32 s9, s53, s3
	s_mul_i32 s3, s53, s3
	s_add_u32 s2, s2, s3
	s_mul_hi_u32 s8, s53, s0
	s_addc_u32 s1, s1, s9
	s_addc_u32 s2, s8, 0
	s_mul_i32 s0, s53, s0
	s_add_u32 s0, s1, s0
	s_addc_u32 s1, 0, s2
	s_mul_i32 s1, s82, s1
	s_mul_hi_u32 s2, s82, s0
	s_add_i32 s2, s2, s1
	s_mul_i32 s0, s82, s0
	s_sub_u32 s3, s52, s0
	s_cselect_b64 s[0:1], -1, 0
	s_cmp_lg_u64 s[0:1], 0
	s_subb_u32 s2, s53, s2
	s_sub_u32 s8, s3, s82
	s_cselect_b64 s[0:1], -1, 0
	s_cmp_lg_u64 s[0:1], 0
	s_subb_u32 s9, s2, 0
	;; [unrolled: 4-line block ×3, first 2 shown]
	s_cmp_ge_u32 s8, s82
	s_cselect_b32 s1, -1, 0
	s_cmp_eq_u32 s9, 0
	s_cselect_b32 s1, s1, -1
	s_cmp_lg_u32 s1, 0
	s_cselect_b32 s0, s0, s9
	s_cselect_b32 s8, s12, s8
	s_cmp_ge_u32 s3, s82
	s_cselect_b32 s1, -1, 0
	s_cmp_eq_u32 s2, 0
	s_cselect_b32 s1, s1, -1
	s_cmp_lg_u32 s1, 0
	s_cselect_b32 s1, s0, s2
	s_cselect_b32 s0, s8, s3
	s_cbranch_execnz .LBB101_55
.LBB101_54:                             ;   in Loop: Header=BB101_15 Depth=1
	v_cvt_f32_u32_e32 v2, s82
	s_sub_i32 s0, 0, s82
	v_rcp_iflag_f32_e32 v2, v2
	s_nop 0
	v_mul_f32_e32 v2, 0x4f7ffffe, v2
	v_cvt_u32_f32_e32 v2, v2
	s_nop 0
	v_readfirstlane_b32 s1, v2
	s_mul_i32 s0, s0, s1
	s_mul_hi_u32 s0, s1, s0
	s_add_i32 s1, s1, s0
	s_mul_hi_u32 s0, s52, s1
	s_mul_i32 s0, s0, s82
	s_sub_i32 s0, s52, s0
	s_sub_i32 s1, s0, s82
	s_cmp_ge_u32 s0, s82
	s_cselect_b32 s0, s1, s0
	s_sub_i32 s1, s0, s82
	s_cmp_ge_u32 s0, s82
	s_cselect_b32 s0, s1, s0
	s_mov_b32 s1, s83
.LBB101_55:                             ;   in Loop: Header=BB101_15 Depth=1
	s_sub_u32 s50, s52, s0
	s_subb_u32 s51, s53, s1
	v_cmp_gt_u64_e32 vcc, s[50:51], v[20:21]
	v_mov_b64_e32 v[10:11], 0
	v_mov_b64_e32 v[12:13], 0
	;; [unrolled: 1-line block ×4, first 2 shown]
	s_and_saveexec_b64 s[62:63], vcc
	s_cbranch_execz .LBB101_59
; %bb.56:                               ;   in Loop: Header=BB101_15 Depth=1
	s_mov_b64 s[74:75], 0
	s_mov_b64 s[54:55], 0
	s_mov_b64 s[70:71], 0
	s_mov_b64 s[92:93], 0
	s_mov_b64 s[94:95], 0
	v_mov_b64_e32 v[6:7], v[20:21]
.LBB101_57:                             ;   Parent Loop BB101_15 Depth=1
                                        ; =>  This Inner Loop Header: Depth=2
	v_mul_lo_u32 v2, v7, s68
	v_mul_lo_u32 v10, v6, s69
	v_mad_u64_u32 v[12:13], s[0:1], v6, s68, 0
	v_add3_u32 v13, v13, v10, v2
	s_lshl_b64 s[0:1], s[68:69], 3
	v_lshl_add_u64 v[12:13], v[12:13], 3, s[76:77]
	global_load_dwordx2 v[30:31], v[12:13], off
	v_lshl_add_u64 v[12:13], v[12:13], 0, s[0:1]
	global_load_dwordx2 v[32:33], v[12:13], off
	;; [unrolled: 2-line block ×4, first 2 shown]
	v_mov_b32_e32 v17, v3
	v_mov_b32_e32 v15, v3
	;; [unrolled: 1-line block ×3, first 2 shown]
	v_lshl_add_u64 v[6:7], v[6:7], 0, s[82:83]
	v_cmp_le_u64_e32 vcc, s[50:51], v[6:7]
	s_waitcnt vmcnt(3)
	v_xor_b32_e32 v31, 0x80000000, v31
	v_and_b32_e32 v44, v30, v26
	s_waitcnt vmcnt(2)
	v_xor_b32_e32 v33, 0x80000000, v33
	v_and_b32_e32 v45, v31, v27
	v_lshrrev_b64 v[30:31], s33, v[30:31]
	s_waitcnt vmcnt(1)
	v_xor_b32_e32 v35, 0x80000000, v35
	v_and_b32_e32 v2, 3, v30
	v_lshrrev_b64 v[30:31], s33, v[32:33]
	v_and_b32_e32 v50, v32, v26
	v_cmp_eq_u64_e64 s[12:13], v[44:45], v[24:25]
	v_and_b32_e32 v51, v33, v27
	s_waitcnt vmcnt(0)
	v_xor_b32_e32 v13, 0x80000000, v13
	v_and_b32_e32 v16, 3, v30
	v_lshrrev_b64 v[30:31], s33, v[34:35]
	v_cmp_eq_u64_e64 s[2:3], 0, v[2:3]
	v_and_b32_e32 v44, v34, v26
	v_cmp_eq_u64_e64 s[0:1], v[50:51], v[24:25]
	v_and_b32_e32 v45, v35, v27
	v_and_b32_e32 v32, v12, v26
	;; [unrolled: 1-line block ×4, first 2 shown]
	v_lshrrev_b64 v[12:13], s33, v[12:13]
	v_cmp_eq_u64_e64 s[24:25], 0, v[16:17]
	s_and_b64 s[2:3], s[12:13], s[2:3]
	v_cmp_eq_u64_e64 s[28:29], 1, v[2:3]
	v_cmp_eq_u64_e64 s[30:31], 2, v[2:3]
	;; [unrolled: 1-line block ×4, first 2 shown]
	v_cndmask_b32_e64 v2, 0, 1, s[2:3]
	v_and_b32_e32 v10, 3, v12
	v_cmp_eq_u64_e64 s[2:3], 0, v[14:15]
	s_and_b64 s[8:9], s[0:1], s[24:25]
	v_cmp_eq_u64_e64 s[18:19], v[32:33], v[24:25]
	v_cmp_ne_u32_e64 s[42:43], 0, v2
	v_cndmask_b32_e64 v2, 0, 1, s[8:9]
	v_cmp_eq_u64_e64 s[44:45], 0, v[10:11]
	s_and_b64 s[2:3], s[14:15], s[2:3]
	s_bcnt1_i32_b64 s26, s[42:43]
	v_cmp_ne_u32_e64 s[42:43], 0, v2
	v_cndmask_b32_e64 v2, 0, 1, s[2:3]
	s_and_b64 s[8:9], s[18:19], s[44:45]
	v_cmp_ne_u32_e64 s[2:3], 0, v2
	v_cndmask_b32_e64 v2, 0, 1, s[8:9]
	s_bcnt1_i32_b64 s8, s[2:3]
	v_cmp_ne_u32_e64 s[2:3], 0, v2
	s_bcnt1_i32_b64 s27, s[42:43]
	s_bcnt1_i32_b64 s2, s[2:3]
	s_add_u32 s3, s26, s94
	s_addc_u32 s9, 0, s95
	s_add_u32 s3, s3, s27
	s_addc_u32 s9, s9, 0
	;; [unrolled: 2-line block ×3, first 2 shown]
	s_add_u32 s94, s3, s2
	v_cmp_eq_u64_e64 s[34:35], 1, v[16:17]
	s_addc_u32 s95, s8, 0
	s_and_b64 s[2:3], s[12:13], s[28:29]
	v_cmp_eq_u64_e64 s[38:39], 1, v[14:15]
	v_cndmask_b32_e64 v2, 0, 1, s[2:3]
	s_and_b64 s[2:3], s[0:1], s[34:35]
	v_cmp_eq_u64_e64 s[46:47], 1, v[10:11]
	v_cndmask_b32_e64 v12, 0, 1, s[2:3]
	s_and_b64 s[2:3], s[14:15], s[38:39]
	v_cndmask_b32_e64 v13, 0, 1, s[2:3]
	s_and_b64 s[2:3], s[18:19], s[46:47]
	v_cmp_eq_u64_e64 s[40:41], 2, v[14:15]
	v_cmp_eq_u64_e64 s[22:23], 3, v[14:15]
	v_cndmask_b32_e64 v14, 0, 1, s[2:3]
	v_cmp_ne_u32_e64 s[2:3], 0, v2
	v_cmp_ne_u32_e64 s[28:29], 0, v12
	;; [unrolled: 1-line block ×4, first 2 shown]
	s_bcnt1_i32_b64 s2, s[2:3]
	s_bcnt1_i32_b64 s3, s[28:29]
	;; [unrolled: 1-line block ×4, first 2 shown]
	s_add_u32 s2, s2, s92
	s_addc_u32 s26, 0, s93
	s_add_u32 s2, s2, s3
	s_addc_u32 s3, s26, 0
	;; [unrolled: 2-line block ×3, first 2 shown]
	s_add_u32 s92, s2, s9
	v_cmp_eq_u64_e64 s[36:37], 2, v[16:17]
	s_addc_u32 s93, s3, 0
	s_and_b64 s[2:3], s[12:13], s[30:31]
	v_cndmask_b32_e64 v2, 0, 1, s[2:3]
	s_and_b64 s[2:3], s[0:1], s[36:37]
	v_cmp_eq_u64_e64 s[48:49], 2, v[10:11]
	v_cndmask_b32_e64 v14, 0, 1, s[2:3]
	s_and_b64 s[2:3], s[14:15], s[40:41]
	v_cndmask_b32_e64 v15, 0, 1, s[2:3]
	s_and_b64 s[2:3], s[18:19], s[48:49]
	v_cmp_eq_u64_e64 s[20:21], 3, v[16:17]
	v_cndmask_b32_e64 v16, 0, 1, s[2:3]
	v_cmp_ne_u32_e64 s[2:3], 0, v2
	v_cmp_ne_u32_e64 s[28:29], 0, v14
	;; [unrolled: 1-line block ×4, first 2 shown]
	s_bcnt1_i32_b64 s2, s[2:3]
	s_bcnt1_i32_b64 s3, s[28:29]
	;; [unrolled: 1-line block ×4, first 2 shown]
	s_add_u32 s2, s2, s70
	s_addc_u32 s26, 0, s71
	s_add_u32 s2, s2, s3
	s_addc_u32 s3, s26, 0
	;; [unrolled: 2-line block ×4, first 2 shown]
	s_and_b64 s[0:1], s[0:1], s[20:21]
	v_cmp_eq_u64_e64 s[24:25], 3, v[10:11]
	v_cndmask_b32_e64 v16, 0, 1, s[0:1]
	s_and_b64 s[0:1], s[14:15], s[22:23]
	s_and_b64 s[2:3], s[12:13], s[16:17]
	v_cndmask_b32_e64 v17, 0, 1, s[0:1]
	s_and_b64 s[0:1], s[18:19], s[24:25]
	v_cndmask_b32_e64 v2, 0, 1, s[2:3]
	v_cndmask_b32_e64 v30, 0, 1, s[0:1]
	v_cmp_ne_u32_e64 s[0:1], 0, v2
	v_cmp_ne_u32_e64 s[2:3], 0, v16
	;; [unrolled: 1-line block ×4, first 2 shown]
	s_bcnt1_i32_b64 s0, s[0:1]
	s_bcnt1_i32_b64 s1, s[2:3]
	;; [unrolled: 1-line block ×4, first 2 shown]
	s_add_u32 s0, s0, s54
	s_addc_u32 s8, 0, s55
	s_add_u32 s0, s0, s1
	s_addc_u32 s1, s8, 0
	s_add_u32 s0, s0, s2
	s_addc_u32 s1, s1, 0
	s_add_u32 s54, s0, s3
	s_addc_u32 s55, s1, 0
	v_mov_b64_e32 v[10:11], s[94:95]
	v_mov_b64_e32 v[12:13], s[92:93]
	;; [unrolled: 1-line block ×3, first 2 shown]
	s_or_b64 s[74:75], vcc, s[74:75]
	v_mov_b64_e32 v[16:17], s[54:55]
	s_andn2_b64 exec, exec, s[74:75]
	s_cbranch_execnz .LBB101_57
; %bb.58:                               ;   in Loop: Header=BB101_15 Depth=1
	s_or_b64 exec, exec, s[74:75]
.LBB101_59:                             ;   in Loop: Header=BB101_15 Depth=1
	s_or_b64 exec, exec, s[62:63]
	v_lshl_add_u64 v[30:31], s[50:51], 0, v[0:1]
	v_and_b32_e32 v6, 0xffff, v5
	v_mov_b32_e32 v7, v3
	v_cmp_gt_u64_e32 vcc, s[52:53], v[30:31]
	s_and_saveexec_b64 s[2:3], vcc
	s_cbranch_execz .LBB101_65
; %bb.60:                               ;   in Loop: Header=BB101_15 Depth=1
	v_mul_lo_u32 v2, v31, s68
	v_mul_lo_u32 v5, v30, s69
	v_mad_u64_u32 v[32:33], s[0:1], v30, s68, 0
	v_add3_u32 v33, v33, v5, v2
	v_lshl_add_u64 v[32:33], v[32:33], 3, s[76:77]
	global_load_dwordx2 v[34:35], v[32:33], off
	s_mov_b64 s[8:9], 0
	s_branch .LBB101_62
.LBB101_61:                             ;   in Loop: Header=BB101_62 Depth=2
	s_or_b64 exec, exec, s[12:13]
	s_waitcnt vmcnt(0)
	v_xor_b32_e32 v35, 0x80000000, v35
	v_and_b32_e32 v45, v35, v27
	v_and_b32_e32 v44, v34, v26
	v_lshrrev_b64 v[34:35], s33, v[34:35]
	s_and_b64 s[0:1], exec, vcc
	v_and_b32_e32 v2, 3, v34
	s_or_b64 s[8:9], s[0:1], s[8:9]
	v_cmp_eq_u64_e32 vcc, v[44:45], v[24:25]
	v_cmp_eq_u64_e64 s[0:1], 0, v[2:3]
	s_and_b64 s[0:1], vcc, s[0:1]
	v_mov_b64_e32 v[34:35], v[32:33]
	v_cndmask_b32_e64 v5, 0, 1, s[0:1]
	v_cmp_ne_u32_e64 s[0:1], 0, v5
	s_bcnt1_i32_b64 s82, s[0:1]
	v_cmp_eq_u64_e64 s[0:1], 1, v[2:3]
	s_and_b64 s[0:1], vcc, s[0:1]
	v_lshl_add_u64 v[10:11], s[82:83], 0, v[10:11]
	v_cndmask_b32_e64 v5, 0, 1, s[0:1]
	v_cmp_ne_u32_e64 s[0:1], 0, v5
	s_bcnt1_i32_b64 s82, s[0:1]
	v_cmp_eq_u64_e64 s[0:1], 2, v[2:3]
	s_and_b64 s[0:1], vcc, s[0:1]
	v_lshl_add_u64 v[12:13], s[82:83], 0, v[12:13]
	;; [unrolled: 6-line block ×3, first 2 shown]
	v_cndmask_b32_e64 v2, 0, 1, s[0:1]
	v_cmp_ne_u32_e32 vcc, 0, v2
	s_bcnt1_i32_b64 s82, vcc
	v_lshl_add_u64 v[16:17], s[82:83], 0, v[16:17]
	s_andn2_b64 exec, exec, s[8:9]
	s_cbranch_execz .LBB101_64
.LBB101_62:                             ;   Parent Loop BB101_15 Depth=1
                                        ; =>  This Inner Loop Header: Depth=2
	v_lshl_add_u64 v[30:31], v[30:31], 0, v[6:7]
	v_cmp_gt_u64_e64 s[0:1], s[52:53], v[30:31]
	v_cmp_le_u64_e32 vcc, s[52:53], v[30:31]
	v_mov_b64_e32 v[32:33], 0
	s_and_saveexec_b64 s[12:13], s[0:1]
	s_cbranch_execz .LBB101_61
; %bb.63:                               ;   in Loop: Header=BB101_62 Depth=2
	v_mul_lo_u32 v2, v31, s68
	v_mul_lo_u32 v5, v30, s69
	v_mad_u64_u32 v[32:33], s[0:1], v30, s68, 0
	v_add3_u32 v33, v33, v5, v2
	v_lshl_add_u64 v[32:33], v[32:33], 3, s[76:77]
	global_load_dwordx2 v[32:33], v[32:33], off
	s_branch .LBB101_61
.LBB101_64:                             ;   in Loop: Header=BB101_15 Depth=1
	s_or_b64 exec, exec, s[8:9]
.LBB101_65:                             ;   in Loop: Header=BB101_15 Depth=1
	s_or_b64 exec, exec, s[2:3]
	s_branch .LBB101_44
.LBB101_66:                             ;   in Loop: Header=BB101_15 Depth=1
	global_load_ushort v5, v3, s[90:91]
	v_mov_b64_e32 v[10:11], 0
	v_mov_b64_e32 v[12:13], 0
	;; [unrolled: 1-line block ×4, first 2 shown]
	s_waitcnt vmcnt(0)
	v_readfirstlane_b32 s0, v5
	s_and_b32 s61, 0xffff, s0
	s_lshl_b32 s82, s61, 2
	v_cvt_f32_u32_e32 v2, s82
	s_sub_i32 s0, 0, s82
	v_rcp_iflag_f32_e32 v2, v2
	s_nop 0
	v_mul_f32_e32 v2, 0x4f7ffffe, v2
	v_cvt_u32_f32_e32 v2, v2
	s_nop 0
	v_readfirstlane_b32 s1, v2
	s_mul_i32 s0, s0, s1
	s_mul_hi_u32 s0, s1, s0
	s_add_i32 s1, s1, s0
	s_mul_hi_u32 s0, s60, s1
	s_mul_i32 s1, s0, s82
	s_sub_i32 s1, s60, s1
	s_add_i32 s2, s0, 1
	s_sub_i32 s3, s1, s82
	s_cmp_ge_u32 s1, s82
	s_cselect_b32 s0, s2, s0
	s_cselect_b32 s1, s3, s1
	s_add_i32 s2, s0, 1
	s_cmp_ge_u32 s1, s82
	s_cselect_b32 s0, s2, s0
	s_mul_hi_u32 s63, s61, s0
	s_mul_i32 s62, s61, s0
	s_lshl_b64 s[74:75], s[62:63], 2
	v_cmp_gt_u64_e32 vcc, s[74:75], v[20:21]
	s_and_saveexec_b64 s[54:55], vcc
	s_cbranch_execz .LBB101_70
; %bb.67:                               ;   in Loop: Header=BB101_15 Depth=1
	s_lshl_b32 s63, s61, 5
	s_mov_b64 s[70:71], 0
	v_mov_b32_e32 v44, v41
	s_mov_b64 s[92:93], 0
	s_mov_b64 s[94:95], 0
	s_mov_b64 s[26:27], 0
	s_mov_b64 s[8:9], 0
	v_mov_b64_e32 v[6:7], v[20:21]
.LBB101_68:                             ;   Parent Loop BB101_15 Depth=1
                                        ; =>  This Inner Loop Header: Depth=2
	ds_read_b128 v[14:17], v44
	ds_read_b128 v[10:13], v44 offset:16
	v_mov_b32_e32 v31, v3
	v_mov_b32_e32 v33, v3
	;; [unrolled: 1-line block ×3, first 2 shown]
	s_waitcnt lgkmcnt(1)
	v_xor_b32_e32 v15, 0x80000000, v15
	v_xor_b32_e32 v17, 0x80000000, v17
	v_and_b32_e32 v50, v14, v26
	v_and_b32_e32 v51, v15, v27
	v_lshrrev_b64 v[14:15], s33, v[14:15]
	s_waitcnt lgkmcnt(0)
	v_xor_b32_e32 v11, 0x80000000, v11
	v_and_b32_e32 v52, v16, v26
	v_and_b32_e32 v53, v17, v27
	v_lshrrev_b64 v[16:17], s33, v[16:17]
	v_and_b32_e32 v2, 3, v14
	v_xor_b32_e32 v13, 0x80000000, v13
	v_and_b32_e32 v54, v10, v26
	v_and_b32_e32 v55, v11, v27
	v_lshrrev_b64 v[10:11], s33, v[10:11]
	v_cmp_eq_u64_e64 s[16:17], v[50:51], v[24:25]
	v_and_b32_e32 v30, 3, v16
	v_cmp_eq_u64_e64 s[2:3], 0, v[2:3]
	v_and_b32_e32 v56, v12, v26
	v_and_b32_e32 v57, v13, v27
	v_lshrrev_b64 v[12:13], s33, v[12:13]
	v_cmp_eq_u64_e64 s[14:15], v[52:53], v[24:25]
	v_and_b32_e32 v32, 3, v10
	v_cmp_eq_u64_e64 s[28:29], 0, v[30:31]
	s_and_b64 s[2:3], s[16:17], s[2:3]
	v_cmp_eq_u64_e64 s[12:13], v[54:55], v[24:25]
	v_and_b32_e32 v34, 3, v12
	v_cmp_eq_u64_e64 s[30:31], 0, v[32:33]
	v_cmp_eq_u64_e64 s[36:37], 1, v[2:3]
	;; [unrolled: 1-line block ×4, first 2 shown]
	v_cndmask_b32_e64 v2, 0, 1, s[2:3]
	s_and_b64 s[2:3], s[14:15], s[28:29]
	v_cmp_eq_u64_e64 s[0:1], v[56:57], v[24:25]
	v_cmp_eq_u64_e64 s[34:35], 0, v[34:35]
	v_cndmask_b32_e64 v10, 0, 1, s[2:3]
	s_and_b64 s[2:3], s[12:13], s[30:31]
	v_cndmask_b32_e64 v11, 0, 1, s[2:3]
	s_and_b64 s[2:3], s[0:1], s[34:35]
	v_cndmask_b32_e64 v12, 0, 1, s[2:3]
	v_cmp_ne_u32_e64 s[2:3], 0, v2
	v_cmp_ne_u32_e64 s[28:29], 0, v10
	;; [unrolled: 1-line block ×4, first 2 shown]
	s_bcnt1_i32_b64 s2, s[2:3]
	s_bcnt1_i32_b64 s3, s[28:29]
	;; [unrolled: 1-line block ×4, first 2 shown]
	s_add_u32 s2, s2, s8
	s_addc_u32 s8, 0, s9
	s_add_u32 s2, s2, s3
	s_addc_u32 s3, s8, 0
	;; [unrolled: 2-line block ×3, first 2 shown]
	s_add_u32 s8, s2, s29
	v_cmp_eq_u64_e64 s[38:39], 1, v[30:31]
	s_addc_u32 s9, s3, 0
	s_and_b64 s[2:3], s[16:17], s[36:37]
	v_cmp_eq_u64_e64 s[40:41], 1, v[32:33]
	v_cndmask_b32_e64 v2, 0, 1, s[2:3]
	s_and_b64 s[2:3], s[14:15], s[38:39]
	v_cmp_eq_u64_e64 s[42:43], 1, v[34:35]
	v_cndmask_b32_e64 v12, 0, 1, s[2:3]
	s_and_b64 s[2:3], s[12:13], s[40:41]
	v_cndmask_b32_e64 v13, 0, 1, s[2:3]
	s_and_b64 s[2:3], s[0:1], s[42:43]
	v_cndmask_b32_e64 v14, 0, 1, s[2:3]
	v_cmp_ne_u32_e64 s[2:3], 0, v2
	v_cmp_ne_u32_e64 s[28:29], 0, v12
	;; [unrolled: 1-line block ×4, first 2 shown]
	s_bcnt1_i32_b64 s2, s[2:3]
	s_bcnt1_i32_b64 s3, s[28:29]
	;; [unrolled: 1-line block ×4, first 2 shown]
	s_add_u32 s2, s2, s26
	s_addc_u32 s26, 0, s27
	s_add_u32 s2, s2, s3
	s_addc_u32 s3, s26, 0
	;; [unrolled: 2-line block ×3, first 2 shown]
	s_add_u32 s26, s2, s29
	v_cmp_eq_u64_e64 s[46:47], 2, v[30:31]
	s_addc_u32 s27, s3, 0
	s_and_b64 s[2:3], s[16:17], s[44:45]
	v_cmp_eq_u64_e64 s[48:49], 2, v[32:33]
	v_cndmask_b32_e64 v2, 0, 1, s[2:3]
	s_and_b64 s[2:3], s[14:15], s[46:47]
	v_cmp_eq_u64_e64 s[50:51], 2, v[34:35]
	v_cndmask_b32_e64 v14, 0, 1, s[2:3]
	s_and_b64 s[2:3], s[12:13], s[48:49]
	v_cndmask_b32_e64 v15, 0, 1, s[2:3]
	s_and_b64 s[2:3], s[0:1], s[50:51]
	v_cndmask_b32_e64 v16, 0, 1, s[2:3]
	v_cmp_ne_u32_e64 s[2:3], 0, v2
	v_cmp_ne_u32_e64 s[28:29], 0, v14
	;; [unrolled: 1-line block ×4, first 2 shown]
	s_bcnt1_i32_b64 s2, s[2:3]
	s_bcnt1_i32_b64 s3, s[28:29]
	;; [unrolled: 1-line block ×4, first 2 shown]
	s_add_u32 s2, s2, s94
	s_addc_u32 s30, 0, s95
	s_add_u32 s2, s2, s3
	s_addc_u32 s3, s30, 0
	;; [unrolled: 2-line block ×3, first 2 shown]
	s_add_u32 s94, s2, s29
	v_cmp_eq_u64_e64 s[22:23], 3, v[30:31]
	s_addc_u32 s95, s3, 0
	s_and_b64 s[2:3], s[16:17], s[24:25]
	v_cmp_eq_u64_e64 s[20:21], 3, v[32:33]
	v_cmp_eq_u64_e64 s[18:19], 3, v[34:35]
	v_cndmask_b32_e64 v2, 0, 1, s[2:3]
	s_and_b64 s[2:3], s[14:15], s[22:23]
	v_cndmask_b32_e64 v16, 0, 1, s[2:3]
	s_and_b64 s[2:3], s[12:13], s[20:21]
	s_and_b64 s[0:1], s[0:1], s[18:19]
	v_cndmask_b32_e64 v17, 0, 1, s[2:3]
	v_cndmask_b32_e64 v30, 0, 1, s[0:1]
	v_cmp_ne_u32_e64 s[0:1], 0, v2
	v_cmp_ne_u32_e64 s[2:3], 0, v16
	v_cmp_ne_u32_e64 s[12:13], 0, v17
	v_cmp_ne_u32_e64 s[14:15], 0, v30
	s_bcnt1_i32_b64 s0, s[0:1]
	s_bcnt1_i32_b64 s1, s[2:3]
	;; [unrolled: 1-line block ×4, first 2 shown]
	s_add_u32 s0, s0, s92
	s_addc_u32 s12, 0, s93
	s_add_u32 s0, s0, s1
	s_addc_u32 s1, s12, 0
	;; [unrolled: 2-line block ×3, first 2 shown]
	v_lshl_add_u64 v[6:7], v[6:7], 0, s[82:83]
	s_add_u32 s92, s0, s3
	v_cmp_le_u64_e32 vcc, s[74:75], v[6:7]
	s_addc_u32 s93, s1, 0
	v_add_u32_e32 v44, s63, v44
	v_mov_b64_e32 v[10:11], s[8:9]
	v_mov_b64_e32 v[12:13], s[26:27]
	v_mov_b64_e32 v[14:15], s[94:95]
	s_or_b64 s[70:71], vcc, s[70:71]
	v_mov_b64_e32 v[16:17], s[92:93]
	s_andn2_b64 exec, exec, s[70:71]
	s_cbranch_execnz .LBB101_68
; %bb.69:                               ;   in Loop: Header=BB101_15 Depth=1
	s_or_b64 exec, exec, s[70:71]
.LBB101_70:                             ;   in Loop: Header=BB101_15 Depth=1
	s_or_b64 exec, exec, s[54:55]
	s_and_b32 s8, s60, 0x7fffffff
	s_mov_b32 s9, s83
	v_lshl_add_u64 v[30:31], s[74:75], 0, v[0:1]
	v_and_b32_e32 v6, 0xffff, v5
	v_mov_b32_e32 v7, v3
	v_cmp_gt_u64_e32 vcc, s[8:9], v[30:31]
	s_and_saveexec_b64 s[18:19], vcc
	s_cbranch_execz .LBB101_74
; %bb.71:                               ;   in Loop: Header=BB101_15 Depth=1
	v_lshl_add_u32 v5, s62, 5, v37
	s_lshl_b32 s22, s61, 3
	s_mov_b64 s[20:21], 0
.LBB101_72:                             ;   Parent Loop BB101_15 Depth=1
                                        ; =>  This Inner Loop Header: Depth=2
	ds_read_b64 v[32:33], v5
	v_lshl_add_u64 v[30:31], v[30:31], 0, v[6:7]
	v_cmp_le_u64_e32 vcc, s[8:9], v[30:31]
	v_add_u32_e32 v5, s22, v5
	s_waitcnt lgkmcnt(0)
	v_xor_b32_e32 v33, 0x80000000, v33
	v_and_b32_e32 v34, v32, v26
	v_and_b32_e32 v35, v33, v27
	v_lshrrev_b64 v[32:33], s33, v[32:33]
	v_and_b32_e32 v2, 3, v32
	v_cmp_eq_u64_e64 s[0:1], v[34:35], v[24:25]
	v_cmp_eq_u64_e64 s[2:3], 0, v[2:3]
	;; [unrolled: 1-line block ×3, first 2 shown]
	s_and_b64 s[2:3], s[0:1], s[2:3]
	v_cmp_eq_u64_e64 s[14:15], 2, v[2:3]
	v_cmp_eq_u64_e64 s[16:17], 3, v[2:3]
	v_cndmask_b32_e64 v2, 0, 1, s[2:3]
	s_and_b64 s[2:3], s[0:1], s[12:13]
	v_cndmask_b32_e64 v32, 0, 1, s[2:3]
	s_and_b64 s[2:3], s[0:1], s[14:15]
	s_and_b64 s[0:1], s[0:1], s[16:17]
	v_cndmask_b32_e64 v34, 0, 1, s[0:1]
	v_cmp_ne_u32_e64 s[0:1], 0, v2
	v_cndmask_b32_e64 v33, 0, 1, s[2:3]
	v_cmp_ne_u32_e64 s[2:3], 0, v32
	s_bcnt1_i32_b64 s82, s[0:1]
	v_cmp_ne_u32_e64 s[12:13], 0, v33
	v_lshl_add_u64 v[10:11], s[82:83], 0, v[10:11]
	s_bcnt1_i32_b64 s82, s[2:3]
	v_cmp_ne_u32_e64 s[14:15], 0, v34
	v_lshl_add_u64 v[12:13], s[82:83], 0, v[12:13]
	s_bcnt1_i32_b64 s82, s[12:13]
	v_lshl_add_u64 v[14:15], s[82:83], 0, v[14:15]
	s_bcnt1_i32_b64 s82, s[14:15]
	s_or_b64 s[20:21], vcc, s[20:21]
	v_lshl_add_u64 v[16:17], s[82:83], 0, v[16:17]
	s_andn2_b64 exec, exec, s[20:21]
	s_cbranch_execnz .LBB101_72
; %bb.73:                               ;   in Loop: Header=BB101_15 Depth=1
	s_or_b64 exec, exec, s[20:21]
.LBB101_74:                             ;   in Loop: Header=BB101_15 Depth=1
	s_or_b64 exec, exec, s[18:19]
	s_lshl_b32 s2, s65, 6
	s_and_saveexec_b64 s[0:1], s[4:5]
	s_cbranch_execnz .LBB101_45
	s_branch .LBB101_46
.LBB101_75:                             ;   in Loop: Header=BB101_15 Depth=1
                                        ; implicit-def: $sgpr0_sgpr1
	s_branch .LBB101_54
.LBB101_76:                             ;   in Loop: Header=BB101_15 Depth=1
	s_mov_b32 s3, 0
	v_mov_b64_e32 v[6:7], 0
.LBB101_77:                             ;   in Loop: Header=BB101_15 Depth=1
	v_readlane_b32 s8, v58, 33
	v_readlane_b32 s9, v58, 34
	s_andn2_b64 vcc, exec, s[8:9]
	s_cbranch_vccnz .LBB101_80
; %bb.78:                               ;   in Loop: Header=BB101_15 Depth=1
	s_lshl_b32 s8, s65, 9
	s_lshl_b32 s3, s3, 5
	s_add_i32 s8, s8, s3
	v_add_u32_e32 v2, s8, v42
	v_readlane_b32 s3, v58, 32
.LBB101_79:                             ;   Parent Loop BB101_15 Depth=1
                                        ; =>  This Inner Loop Header: Depth=2
	ds_read_b64 v[10:11], v2
	s_add_i32 s3, s3, -1
	v_add_u32_e32 v2, 32, v2
	s_cmp_lg_u32 s3, 0
	s_waitcnt lgkmcnt(0)
	v_lshl_add_u64 v[6:7], v[10:11], 0, v[6:7]
	s_cbranch_scc1 .LBB101_79
.LBB101_80:                             ;   in Loop: Header=BB101_15 Depth=1
	v_add_lshl_u32 v2, s2, v36, 3
	ds_write_b64 v2, v[6:7] offset:3072
.LBB101_81:                             ;   in Loop: Header=BB101_15 Depth=1
	s_or_b64 exec, exec, s[0:1]
	s_lshl_b32 s0, s2, 3
	v_mov_b32_e32 v2, s0
	s_waitcnt lgkmcnt(0)
	s_barrier
	ds_read_b128 v[14:17], v2 offset:3088
	ds_read_b128 v[10:13], v2 offset:3072
	s_lshl_b64 s[12:13], 3, s33
	v_cmp_eq_u64_e64 s[0:1], 1, v[28:29]
	s_not_b64 s[22:23], s[12:13]
	s_waitcnt lgkmcnt(1)
	v_readfirstlane_b32 s20, v14
	s_waitcnt lgkmcnt(0)
	v_cmp_eq_u64_e32 vcc, 1, v[10:11]
	v_readfirstlane_b32 s21, v15
	v_readfirstlane_b32 s2, v16
	;; [unrolled: 1-line block ×3, first 2 shown]
	s_and_b64 s[16:17], vcc, s[0:1]
	s_mov_b64 s[0:1], -1
	s_mov_b64 s[24:25], -1
                                        ; implicit-def: $sgpr18_sgpr19
                                        ; implicit-def: $sgpr8_sgpr9
	s_and_saveexec_b64 s[14:15], s[16:17]
	s_cbranch_execz .LBB101_113
; %bb.82:                               ;   in Loop: Header=BB101_15 Depth=1
	ds_read_b64 v[6:7], v3 offset:5120
	s_waitcnt lgkmcnt(0)
	s_barrier
	v_readfirstlane_b32 s26, v6
	v_readfirstlane_b32 s27, v7
	s_and_saveexec_b64 s[8:9], s[6:7]
; %bb.83:                               ;   in Loop: Header=BB101_15 Depth=1
	ds_write_b64 v38, v[48:49]
; %bb.84:                               ;   in Loop: Header=BB101_15 Depth=1
	s_or_b64 exec, exec, s[8:9]
	v_and_b32_e32 v25, s23, v25
	v_and_b32_e32 v24, s22, v24
	v_or_b32_e32 v27, s13, v27
	v_or_b32_e32 v26, s12, v26
	s_mov_b64 s[8:9], -1
	s_mov_b64 s[18:19], 0
	s_cmp_eq_u64 s[26:27], 0
	s_mov_b64 s[24:25], 0
	s_mov_b64 s[28:29], -1
	s_waitcnt lgkmcnt(0)
	s_barrier
                                        ; implicit-def: $vgpr8_vgpr9
	s_cbranch_scc1 .LBB101_98
; %bb.85:                               ;   in Loop: Header=BB101_15 Depth=1
	v_readlane_b32 s24, v58, 28
	s_add_u32 s34, s26, s24
	v_readlane_b32 s24, v58, 29
	s_addc_u32 s25, s27, s24
	s_mov_b32 s24, s83
	s_cmp_lg_u64 s[24:25], 0
	s_cbranch_scc0 .LBB101_139
; %bb.86:                               ;   in Loop: Header=BB101_15 Depth=1
	v_cvt_f32_u32_e32 v2, s80
	s_sub_u32 s24, 0, s80
	s_subb_u32 s30, 0, 0
	v_fmac_f32_e32 v2, 0, v43
	v_rcp_f32_e32 v2, v2
	s_nop 0
	v_mul_f32_e32 v2, 0x5f7ffffc, v2
	v_mul_f32_e32 v5, 0x2f800000, v2
	v_trunc_f32_e32 v5, v5
	v_fmac_f32_e32 v2, 0xcf800000, v5
	v_cvt_u32_f32_e32 v5, v5
	v_cvt_u32_f32_e32 v2, v2
	v_readfirstlane_b32 s31, v5
	v_readfirstlane_b32 s28, v2
	s_mul_i32 s29, s24, s31
	s_mul_hi_u32 s36, s24, s28
	s_mul_i32 s35, s30, s28
	s_add_i32 s29, s36, s29
	s_mul_i32 s37, s24, s28
	s_add_i32 s29, s29, s35
	s_mul_hi_u32 s36, s28, s37
	s_mul_i32 s38, s28, s29
	s_mul_hi_u32 s35, s28, s29
	s_add_u32 s36, s36, s38
	s_addc_u32 s35, 0, s35
	s_mul_hi_u32 s39, s31, s37
	s_mul_i32 s37, s31, s37
	s_add_u32 s36, s36, s37
	s_mul_hi_u32 s38, s31, s29
	s_addc_u32 s35, s35, s39
	s_addc_u32 s36, s38, 0
	s_mul_i32 s29, s31, s29
	s_add_u32 s29, s35, s29
	s_addc_u32 s35, 0, s36
	s_add_u32 s36, s28, s29
	s_cselect_b64 s[28:29], -1, 0
	s_cmp_lg_u64 s[28:29], 0
	s_addc_u32 s31, s31, s35
	s_mul_i32 s28, s24, s31
	s_mul_hi_u32 s29, s24, s36
	s_add_i32 s28, s29, s28
	s_mul_i32 s30, s30, s36
	s_add_i32 s28, s28, s30
	s_mul_i32 s24, s24, s36
	s_mul_hi_u32 s30, s31, s24
	s_mul_i32 s35, s31, s24
	s_mul_i32 s38, s36, s28
	s_mul_hi_u32 s24, s36, s24
	s_mul_hi_u32 s37, s36, s28
	s_add_u32 s24, s24, s38
	s_addc_u32 s37, 0, s37
	s_add_u32 s24, s24, s35
	s_mul_hi_u32 s29, s31, s28
	s_addc_u32 s24, s37, s30
	s_addc_u32 s29, s29, 0
	s_mul_i32 s28, s31, s28
	s_add_u32 s24, s24, s28
	s_addc_u32 s30, 0, s29
	s_add_u32 s24, s36, s24
	s_cselect_b64 s[28:29], -1, 0
	s_cmp_lg_u64 s[28:29], 0
	s_addc_u32 s28, s31, s30
	s_mul_i32 s30, s34, s28
	s_mul_hi_u32 s31, s34, s24
	s_mul_hi_u32 s29, s34, s28
	s_add_u32 s30, s31, s30
	s_addc_u32 s29, 0, s29
	s_mul_hi_u32 s35, s25, s24
	s_mul_i32 s24, s25, s24
	s_add_u32 s24, s30, s24
	s_mul_hi_u32 s31, s25, s28
	s_addc_u32 s24, s29, s35
	s_addc_u32 s29, s31, 0
	s_mul_i32 s28, s25, s28
	s_add_u32 s24, s24, s28
	s_addc_u32 s28, 0, s29
	s_mul_i32 s28, s80, s28
	s_mul_hi_u32 s29, s80, s24
	s_add_i32 s30, s29, s28
	s_mul_i32 s24, s80, s24
	s_sub_u32 s24, s34, s24
	s_cselect_b64 s[28:29], -1, 0
	s_cmp_lg_u64 s[28:29], 0
	s_subb_u32 s30, s25, s30
	s_sub_u32 s31, s24, s80
	s_cselect_b64 s[28:29], -1, 0
	s_cmp_lg_u64 s[28:29], 0
	s_subb_u32 s35, s30, 0
	;; [unrolled: 4-line block ×3, first 2 shown]
	s_cmp_ge_u32 s31, s80
	s_cselect_b32 s29, -1, 0
	s_cmp_eq_u32 s35, 0
	s_cselect_b32 s29, s29, -1
	s_cmp_lg_u32 s29, 0
	s_cselect_b32 s28, s28, s35
	s_cselect_b32 s31, s36, s31
	s_cmp_ge_u32 s24, s80
	s_cselect_b32 s29, -1, 0
	s_cmp_eq_u32 s30, 0
	s_cselect_b32 s29, s29, -1
	s_cmp_lg_u32 s29, 0
	s_cselect_b32 s29, s28, s30
	s_cselect_b32 s28, s31, s24
	s_cbranch_execnz .LBB101_88
.LBB101_87:                             ;   in Loop: Header=BB101_15 Depth=1
	v_cvt_f32_u32_e32 v2, s80
	s_sub_i32 s24, 0, s80
	v_rcp_iflag_f32_e32 v2, v2
	s_nop 0
	v_mul_f32_e32 v2, 0x4f7ffffe, v2
	v_cvt_u32_f32_e32 v2, v2
	s_nop 0
	v_readfirstlane_b32 s28, v2
	s_mul_i32 s24, s24, s28
	s_mul_hi_u32 s24, s28, s24
	s_add_i32 s28, s28, s24
	s_mul_hi_u32 s24, s34, s28
	s_mul_i32 s24, s24, s80
	s_sub_i32 s24, s34, s24
	s_sub_i32 s28, s24, s80
	s_cmp_ge_u32 s24, s80
	s_cselect_b32 s24, s28, s24
	s_sub_i32 s28, s24, s80
	s_cmp_ge_u32 s24, s80
	s_cselect_b32 s82, s28, s24
	s_mov_b64 s[28:29], s[82:83]
.LBB101_88:                             ;   in Loop: Header=BB101_15 Depth=1
	s_sub_u32 s34, s34, s28
	s_subb_u32 s35, s25, s29
	v_cmp_gt_u64_e32 vcc, s[34:35], v[0:1]
	s_mov_b64 s[28:29], 0
	s_mov_b64 s[24:25], 0
                                        ; implicit-def: $vgpr8_vgpr9
	s_and_saveexec_b64 s[30:31], vcc
	s_cbranch_execz .LBB101_97
; %bb.89:                               ;   in Loop: Header=BB101_15 Depth=1
	v_mov_b32_e32 v2, v37
	v_mov_b64_e32 v[14:15], v[0:1]
                                        ; implicit-def: $sgpr36_sgpr37
	s_branch .LBB101_92
.LBB101_90:                             ;   in Loop: Header=BB101_92 Depth=2
	s_or_b64 exec, exec, s[38:39]
	s_waitcnt lgkmcnt(0)
	s_barrier
	ds_read_b128 v[6:9], v3 offset:3072
	s_mov_b64 s[38:39], -1
	s_mov_b64 s[40:41], -1
	s_waitcnt lgkmcnt(0)
	s_barrier
	v_cmp_ne_u64_e32 vcc, 0, v[6:7]
	s_cbranch_vccz .LBB101_95
.LBB101_91:                             ;   in Loop: Header=BB101_92 Depth=2
	s_and_b64 s[38:39], exec, s[38:39]
	s_or_b64 s[24:25], s[38:39], s[24:25]
	s_andn2_b64 s[36:37], s[36:37], exec
	s_and_b64 s[38:39], s[40:41], exec
	s_or_b64 s[36:37], s[36:37], s[38:39]
	s_andn2_b64 exec, exec, s[24:25]
	s_cbranch_execz .LBB101_96
.LBB101_92:                             ;   Parent Loop BB101_15 Depth=1
                                        ; =>  This Inner Loop Header: Depth=2
	v_cmp_gt_u64_e32 vcc, s[26:27], v[14:15]
	s_and_saveexec_b64 s[38:39], vcc
	s_cbranch_execz .LBB101_90
; %bb.93:                               ;   in Loop: Header=BB101_92 Depth=2
	ds_read_b64 v[6:7], v2
	s_waitcnt lgkmcnt(0)
	v_xor_b32_e32 v5, 0x80000000, v7
	v_and_b32_e32 v9, v5, v27
	v_and_b32_e32 v8, v6, v26
	v_cmp_eq_u64_e32 vcc, v[8:9], v[24:25]
	s_and_b64 exec, exec, vcc
	s_cbranch_execz .LBB101_90
; %bb.94:                               ;   in Loop: Header=BB101_92 Depth=2
	v_mov_b32_e32 v5, v3
	ds_write_b128 v3, v[4:7] offset:3072
	s_branch .LBB101_90
.LBB101_95:                             ;   in Loop: Header=BB101_92 Depth=2
	v_lshl_add_u64 v[14:15], v[14:15], 0, s[80:81]
	v_cmp_le_u64_e32 vcc, s[34:35], v[14:15]
	v_add_u32_e32 v2, s64, v2
	s_mov_b64 s[40:41], 0
	s_orn2_b64 s[38:39], vcc, exec
	s_branch .LBB101_91
.LBB101_96:                             ;   in Loop: Header=BB101_15 Depth=1
	s_or_b64 exec, exec, s[24:25]
	s_and_b64 s[24:25], s[36:37], exec
.LBB101_97:                             ;   in Loop: Header=BB101_15 Depth=1
	s_or_b64 exec, exec, s[30:31]
.LBB101_98:                             ;   in Loop: Header=BB101_15 Depth=1
	s_and_b64 vcc, exec, s[28:29]
	s_cbranch_vccz .LBB101_112
; %bb.99:                               ;   in Loop: Header=BB101_15 Depth=1
	s_mov_b32 s88, s83
	s_cmp_lg_u64 s[88:89], 0
	s_cbranch_scc0 .LBB101_143
; %bb.100:                              ;   in Loop: Header=BB101_15 Depth=1
	v_cvt_f32_u32_e32 v2, s80
	s_sub_u32 s18, 0, s80
	s_subb_u32 s19, 0, 0
	v_fmac_f32_e32 v2, 0, v43
	v_rcp_f32_e32 v2, v2
	s_nop 0
	v_mul_f32_e32 v2, 0x5f7ffffc, v2
	v_mul_f32_e32 v5, 0x2f800000, v2
	v_trunc_f32_e32 v5, v5
	v_fmac_f32_e32 v2, 0xcf800000, v5
	v_cvt_u32_f32_e32 v5, v5
	v_cvt_u32_f32_e32 v2, v2
	v_readfirstlane_b32 s26, v5
	v_readfirstlane_b32 s8, v2
	s_mul_i32 s9, s18, s26
	s_mul_hi_u32 s28, s18, s8
	s_mul_i32 s27, s19, s8
	s_add_i32 s9, s28, s9
	s_mul_i32 s29, s18, s8
	s_add_i32 s9, s9, s27
	s_mul_hi_u32 s28, s8, s29
	s_mul_i32 s30, s8, s9
	s_mul_hi_u32 s27, s8, s9
	s_add_u32 s28, s28, s30
	s_addc_u32 s27, 0, s27
	s_mul_hi_u32 s31, s26, s29
	s_mul_i32 s29, s26, s29
	s_add_u32 s28, s28, s29
	s_mul_hi_u32 s30, s26, s9
	s_addc_u32 s27, s27, s31
	s_addc_u32 s28, s30, 0
	s_mul_i32 s9, s26, s9
	s_add_u32 s9, s27, s9
	s_addc_u32 s27, 0, s28
	s_add_u32 s28, s8, s9
	s_cselect_b64 s[8:9], -1, 0
	s_cmp_lg_u64 s[8:9], 0
	s_addc_u32 s26, s26, s27
	s_mul_i32 s8, s18, s26
	s_mul_hi_u32 s9, s18, s28
	s_add_i32 s8, s9, s8
	s_mul_i32 s19, s19, s28
	s_add_i32 s8, s8, s19
	s_mul_i32 s18, s18, s28
	s_mul_hi_u32 s19, s26, s18
	s_mul_i32 s27, s26, s18
	s_mul_i32 s30, s28, s8
	s_mul_hi_u32 s18, s28, s18
	s_mul_hi_u32 s29, s28, s8
	s_add_u32 s18, s18, s30
	s_addc_u32 s29, 0, s29
	s_add_u32 s18, s18, s27
	s_mul_hi_u32 s9, s26, s8
	s_addc_u32 s18, s29, s19
	s_addc_u32 s9, s9, 0
	s_mul_i32 s8, s26, s8
	s_add_u32 s8, s18, s8
	s_addc_u32 s18, 0, s9
	s_add_u32 s19, s28, s8
	s_cselect_b64 s[8:9], -1, 0
	s_cmp_lg_u64 s[8:9], 0
	s_addc_u32 s8, s26, s18
	s_mul_i32 s18, s10, s8
	s_mul_hi_u32 s26, s10, s19
	s_mul_hi_u32 s9, s10, s8
	s_add_u32 s18, s26, s18
	s_addc_u32 s9, 0, s9
	s_mul_hi_u32 s27, s89, s19
	s_mul_i32 s19, s89, s19
	s_add_u32 s18, s18, s19
	s_mul_hi_u32 s26, s89, s8
	s_addc_u32 s9, s9, s27
	s_addc_u32 s18, s26, 0
	s_mul_i32 s8, s89, s8
	s_add_u32 s8, s9, s8
	s_addc_u32 s9, 0, s18
	s_mul_i32 s9, s80, s9
	s_mul_hi_u32 s18, s80, s8
	s_add_i32 s18, s18, s9
	s_mul_i32 s8, s80, s8
	s_sub_u32 s19, s10, s8
	s_cselect_b64 s[8:9], -1, 0
	s_cmp_lg_u64 s[8:9], 0
	s_subb_u32 s18, s89, s18
	s_sub_u32 s26, s19, s80
	s_cselect_b64 s[8:9], -1, 0
	s_cmp_lg_u64 s[8:9], 0
	s_subb_u32 s27, s18, 0
	;; [unrolled: 4-line block ×3, first 2 shown]
	s_cmp_ge_u32 s26, s80
	s_cselect_b32 s9, -1, 0
	s_cmp_eq_u32 s27, 0
	s_cselect_b32 s9, s9, -1
	s_cmp_lg_u32 s9, 0
	s_cselect_b32 s8, s8, s27
	s_cselect_b32 s26, s28, s26
	s_cmp_ge_u32 s19, s80
	s_cselect_b32 s9, -1, 0
	s_cmp_eq_u32 s18, 0
	s_cselect_b32 s9, s9, -1
	s_cmp_lg_u32 s9, 0
	s_cselect_b32 s9, s8, s18
	s_cselect_b32 s8, s26, s19
	s_cbranch_execnz .LBB101_102
.LBB101_101:                            ;   in Loop: Header=BB101_15 Depth=1
	v_cvt_f32_u32_e32 v2, s80
	s_sub_i32 s8, 0, s80
	v_rcp_iflag_f32_e32 v2, v2
	s_nop 0
	v_mul_f32_e32 v2, 0x4f7ffffe, v2
	v_cvt_u32_f32_e32 v2, v2
	s_nop 0
	v_readfirstlane_b32 s9, v2
	s_mul_i32 s8, s8, s9
	s_mul_hi_u32 s8, s9, s8
	s_add_i32 s9, s9, s8
	s_mul_hi_u32 s8, s10, s9
	s_mul_i32 s8, s8, s80
	s_sub_i32 s8, s10, s8
	s_sub_i32 s9, s8, s80
	s_cmp_ge_u32 s8, s80
	s_cselect_b32 s8, s9, s8
	s_sub_i32 s9, s8, s80
	s_cmp_ge_u32 s8, s80
	s_cselect_b32 s82, s9, s8
	s_mov_b64 s[8:9], s[82:83]
.LBB101_102:                            ;   in Loop: Header=BB101_15 Depth=1
	s_sub_u32 s18, s10, s8
	s_subb_u32 s19, s89, s9
	v_cmp_gt_u64_e32 vcc, s[18:19], v[0:1]
                                        ; implicit-def: $vgpr8_vgpr9
	s_and_saveexec_b64 s[8:9], vcc
	s_cbranch_execz .LBB101_111
; %bb.103:                              ;   in Loop: Header=BB101_15 Depth=1
	s_mov_b64 s[28:29], 0
	v_mov_b64_e32 v[14:15], v[0:1]
                                        ; implicit-def: $sgpr26_sgpr27
	s_branch .LBB101_106
.LBB101_104:                            ;   in Loop: Header=BB101_106 Depth=2
	s_or_b64 exec, exec, s[30:31]
	s_waitcnt lgkmcnt(0)
	s_barrier
	ds_read_b128 v[6:9], v3 offset:3072
	s_mov_b64 s[30:31], -1
	s_mov_b64 s[34:35], -1
	s_waitcnt lgkmcnt(0)
	s_barrier
	v_cmp_ne_u64_e32 vcc, 0, v[6:7]
	s_cbranch_vccz .LBB101_109
.LBB101_105:                            ;   in Loop: Header=BB101_106 Depth=2
	s_and_b64 s[30:31], exec, s[30:31]
	s_or_b64 s[28:29], s[30:31], s[28:29]
	s_andn2_b64 s[26:27], s[26:27], exec
	s_and_b64 s[30:31], s[34:35], exec
	s_or_b64 s[26:27], s[26:27], s[30:31]
	s_andn2_b64 exec, exec, s[28:29]
	s_cbranch_execz .LBB101_110
.LBB101_106:                            ;   Parent Loop BB101_15 Depth=1
                                        ; =>  This Inner Loop Header: Depth=2
	v_cmp_gt_u64_e32 vcc, s[52:53], v[14:15]
	s_and_saveexec_b64 s[30:31], vcc
	s_cbranch_execz .LBB101_104
; %bb.107:                              ;   in Loop: Header=BB101_106 Depth=2
	v_mul_lo_u32 v2, v15, s68
	v_mul_lo_u32 v5, v14, s69
	v_mad_u64_u32 v[6:7], s[34:35], v14, s68, 0
	v_add3_u32 v7, v7, v5, v2
	v_lshl_add_u64 v[6:7], v[6:7], 3, s[76:77]
	global_load_dwordx2 v[6:7], v[6:7], off
	s_waitcnt vmcnt(0)
	v_xor_b32_e32 v2, 0x80000000, v7
	v_and_b32_e32 v9, v2, v27
	v_and_b32_e32 v8, v6, v26
	v_cmp_eq_u64_e32 vcc, v[8:9], v[24:25]
	s_and_b64 exec, exec, vcc
	s_cbranch_execz .LBB101_104
; %bb.108:                              ;   in Loop: Header=BB101_106 Depth=2
	v_mov_b32_e32 v5, v3
	ds_write_b128 v3, v[4:7] offset:3072
	s_branch .LBB101_104
.LBB101_109:                            ;   in Loop: Header=BB101_106 Depth=2
	v_lshl_add_u64 v[14:15], v[14:15], 0, s[80:81]
	v_cmp_le_u64_e32 vcc, s[18:19], v[14:15]
	s_mov_b64 s[34:35], 0
	s_orn2_b64 s[30:31], vcc, exec
	s_branch .LBB101_105
.LBB101_110:                            ;   in Loop: Header=BB101_15 Depth=1
	s_or_b64 exec, exec, s[28:29]
	s_andn2_b64 s[18:19], s[24:25], exec
	s_and_b64 s[24:25], s[26:27], exec
	s_or_b64 s[24:25], s[18:19], s[24:25]
.LBB101_111:                            ;   in Loop: Header=BB101_15 Depth=1
	s_or_b64 exec, exec, s[8:9]
	s_mov_b64 s[8:9], 0
	s_mov_b64 s[18:19], -1
.LBB101_112:                            ;   in Loop: Header=BB101_15 Depth=1
	s_orn2_b64 s[24:25], s[24:25], exec
.LBB101_113:                            ;   in Loop: Header=BB101_15 Depth=1
	s_or_b64 exec, exec, s[14:15]
	s_andn2_b64 s[14:15], s[66:67], exec
	s_and_b64 s[18:19], s[18:19], exec
	s_or_b64 s[66:67], s[14:15], s[18:19]
	s_andn2_b64 s[14:15], s[78:79], exec
	s_and_b64 s[8:9], s[8:9], exec
	s_andn2_b64 s[58:59], s[58:59], exec
	s_or_b64 s[78:79], s[14:15], s[8:9]
                                        ; implicit-def: $vgpr14_vgpr15
	s_and_saveexec_b64 s[14:15], s[24:25]
	s_cbranch_execz .LBB101_14
; %bb.114:                              ;   in Loop: Header=BB101_15 Depth=1
	s_xor_b64 s[8:9], s[16:17], -1
	v_mov_b32_e32 v2, 1
	s_mov_b64 s[18:19], 0
	v_mov_b64_e32 v[14:15], 1
	s_and_saveexec_b64 s[0:1], s[8:9]
	s_cbranch_execz .LBB101_123
; %bb.115:                              ;   in Loop: Header=BB101_15 Depth=1
	v_cmp_le_u64_e32 vcc, v[28:29], v[10:11]
	s_and_saveexec_b64 s[8:9], vcc
	s_xor_b64 s[8:9], exec, s[8:9]
	s_cbranch_execz .LBB101_120
; %bb.116:                              ;   in Loop: Header=BB101_15 Depth=1
	ds_read_b64 v[6:7], v3 offset:5120
	v_and_b32_e32 v25, s23, v25
	v_and_b32_e32 v24, s22, v24
	v_or_b32_e32 v27, s13, v27
	v_or_b32_e32 v26, s12, v26
	s_waitcnt lgkmcnt(0)
	v_cmp_ne_u64_e32 vcc, 0, v[6:7]
	s_cbranch_vccnz .LBB101_120
; %bb.117:                              ;   in Loop: Header=BB101_15 Depth=1
	s_mov_b64 s[16:17], exec
	v_readlane_b32 s18, v58, 8
	v_readlane_b32 s19, v58, 9
	s_and_b64 s[18:19], s[16:17], s[18:19]
	s_mov_b64 exec, s[18:19]
; %bb.118:                              ;   in Loop: Header=BB101_15 Depth=1
	ds_write_b64 v3, v[10:11] offset:5128
; %bb.119:                              ;   in Loop: Header=BB101_15 Depth=1
	s_or_b64 exec, exec, s[16:17]
	s_waitcnt lgkmcnt(0)
	s_barrier
.LBB101_120:                            ;   in Loop: Header=BB101_15 Depth=1
	s_or_saveexec_b64 s[8:9], s[8:9]
	s_mov_b64 s[16:17], 0
	v_mov_b32_e32 v2, 8
	s_xor_b64 exec, exec, s[8:9]
; %bb.121:                              ;   in Loop: Header=BB101_15 Depth=1
	v_sub_co_u32_e32 v28, vcc, v28, v10
	s_mov_b64 s[16:17], exec
	s_nop 0
	v_subb_co_u32_e32 v29, vcc, v29, v11, vcc
	v_mov_b32_e32 v2, 0
; %bb.122:                              ;   in Loop: Header=BB101_15 Depth=1
	s_or_b64 exec, exec, s[8:9]
	s_and_b64 s[18:19], s[16:17], exec
	v_mov_b64_e32 v[14:15], v[28:29]
.LBB101_123:                            ;   in Loop: Header=BB101_15 Depth=1
	s_or_b64 exec, exec, s[0:1]
	s_mov_b64 s[16:17], -1
	s_mov_b64 s[8:9], -1
                                        ; implicit-def: $sgpr0_sgpr1
                                        ; implicit-def: $sgpr24_sgpr25
	s_and_saveexec_b64 s[26:27], s[18:19]
	s_xor_b64 s[18:19], exec, s[26:27]
	s_cbranch_execz .LBB101_268
; %bb.124:                              ;   in Loop: Header=BB101_15 Depth=1
	v_cmp_eq_u64_e32 vcc, 1, v[12:13]
	v_cmp_eq_u64_e64 s[0:1], 1, v[14:15]
	s_and_b64 s[30:31], vcc, s[0:1]
                                        ; implicit-def: $sgpr24_sgpr25
                                        ; implicit-def: $sgpr0_sgpr1
	s_and_saveexec_b64 s[28:29], s[30:31]
	s_cbranch_execz .LBB101_161
; %bb.125:                              ;   in Loop: Header=BB101_15 Depth=1
	ds_read_b64 v[6:7], v3 offset:5120
	s_waitcnt lgkmcnt(0)
	s_barrier
	v_readfirstlane_b32 s26, v6
	v_readfirstlane_b32 s27, v7
	s_and_saveexec_b64 s[0:1], s[6:7]
; %bb.126:                              ;   in Loop: Header=BB101_15 Depth=1
	ds_write_b64 v38, v[48:49]
; %bb.127:                              ;   in Loop: Header=BB101_15 Depth=1
	s_or_b64 exec, exec, s[0:1]
	s_lshl_b64 s[0:1], 1, s33
	v_and_b32_e32 v5, s23, v25
	v_and_b32_e32 v6, s22, v24
	v_or_b32_e32 v25, s1, v5
	v_or_b32_e32 v24, s0, v6
	;; [unrolled: 1-line block ×4, first 2 shown]
	s_mov_b64 s[0:1], -1
	s_mov_b64 s[24:25], 0
	s_cmp_eq_u64 s[26:27], 0
	s_mov_b64 s[8:9], 0
	s_mov_b64 s[34:35], -1
	s_waitcnt lgkmcnt(0)
	s_barrier
                                        ; implicit-def: $vgpr8_vgpr9
	s_cbranch_scc1 .LBB101_146
; %bb.128:                              ;   in Loop: Header=BB101_15 Depth=1
	v_readlane_b32 s8, v58, 28
	s_add_u32 s38, s26, s8
	v_readlane_b32 s8, v58, 29
	s_addc_u32 s9, s27, s8
	s_mov_b32 s8, s83
	s_cmp_lg_u64 s[8:9], 0
	s_cbranch_scc0 .LBB101_188
; %bb.129:                              ;   in Loop: Header=BB101_15 Depth=1
	v_cvt_f32_u32_e32 v5, s80
	s_sub_u32 s8, 0, s80
	s_subb_u32 s36, 0, 0
	v_fmac_f32_e32 v5, 0, v43
	v_rcp_f32_e32 v5, v5
	s_nop 0
	v_mul_f32_e32 v5, 0x5f7ffffc, v5
	v_mul_f32_e32 v6, 0x2f800000, v5
	v_trunc_f32_e32 v6, v6
	v_fmac_f32_e32 v5, 0xcf800000, v6
	v_cvt_u32_f32_e32 v6, v6
	v_cvt_u32_f32_e32 v5, v5
	v_readfirstlane_b32 s37, v6
	v_readfirstlane_b32 s34, v5
	s_mul_i32 s35, s8, s37
	s_mul_hi_u32 s40, s8, s34
	s_mul_i32 s39, s36, s34
	s_add_i32 s35, s40, s35
	s_mul_i32 s41, s8, s34
	s_add_i32 s35, s35, s39
	s_mul_hi_u32 s40, s34, s41
	s_mul_i32 s42, s34, s35
	s_mul_hi_u32 s39, s34, s35
	s_add_u32 s40, s40, s42
	s_addc_u32 s39, 0, s39
	s_mul_hi_u32 s43, s37, s41
	s_mul_i32 s41, s37, s41
	s_add_u32 s40, s40, s41
	s_mul_hi_u32 s42, s37, s35
	s_addc_u32 s39, s39, s43
	s_addc_u32 s40, s42, 0
	s_mul_i32 s35, s37, s35
	s_add_u32 s35, s39, s35
	s_addc_u32 s39, 0, s40
	s_add_u32 s40, s34, s35
	s_cselect_b64 s[34:35], -1, 0
	s_cmp_lg_u64 s[34:35], 0
	s_addc_u32 s37, s37, s39
	s_mul_i32 s34, s8, s37
	s_mul_hi_u32 s35, s8, s40
	s_add_i32 s34, s35, s34
	s_mul_i32 s36, s36, s40
	s_add_i32 s34, s34, s36
	s_mul_i32 s8, s8, s40
	s_mul_hi_u32 s36, s37, s8
	s_mul_i32 s39, s37, s8
	s_mul_i32 s42, s40, s34
	s_mul_hi_u32 s8, s40, s8
	s_mul_hi_u32 s41, s40, s34
	s_add_u32 s8, s8, s42
	s_addc_u32 s41, 0, s41
	s_add_u32 s8, s8, s39
	s_mul_hi_u32 s35, s37, s34
	s_addc_u32 s8, s41, s36
	s_addc_u32 s35, s35, 0
	s_mul_i32 s34, s37, s34
	s_add_u32 s8, s8, s34
	s_addc_u32 s36, 0, s35
	s_add_u32 s8, s40, s8
	s_cselect_b64 s[34:35], -1, 0
	s_cmp_lg_u64 s[34:35], 0
	s_addc_u32 s34, s37, s36
	s_mul_i32 s36, s38, s34
	s_mul_hi_u32 s37, s38, s8
	s_mul_hi_u32 s35, s38, s34
	s_add_u32 s36, s37, s36
	s_addc_u32 s35, 0, s35
	s_mul_hi_u32 s39, s9, s8
	s_mul_i32 s8, s9, s8
	s_add_u32 s8, s36, s8
	s_mul_hi_u32 s37, s9, s34
	s_addc_u32 s8, s35, s39
	s_addc_u32 s35, s37, 0
	s_mul_i32 s34, s9, s34
	s_add_u32 s8, s8, s34
	s_addc_u32 s34, 0, s35
	s_mul_i32 s34, s80, s34
	s_mul_hi_u32 s35, s80, s8
	s_add_i32 s36, s35, s34
	s_mul_i32 s8, s80, s8
	s_sub_u32 s8, s38, s8
	s_cselect_b64 s[34:35], -1, 0
	s_cmp_lg_u64 s[34:35], 0
	s_subb_u32 s36, s9, s36
	s_sub_u32 s37, s8, s80
	s_cselect_b64 s[34:35], -1, 0
	s_cmp_lg_u64 s[34:35], 0
	s_subb_u32 s39, s36, 0
	s_sub_u32 s40, s37, s80
	s_cselect_b64 s[34:35], -1, 0
	s_cmp_lg_u64 s[34:35], 0
	s_subb_u32 s34, s39, 0
	s_cmp_ge_u32 s37, s80
	s_cselect_b32 s35, -1, 0
	s_cmp_eq_u32 s39, 0
	s_cselect_b32 s35, s35, -1
	s_cmp_lg_u32 s35, 0
	s_cselect_b32 s34, s34, s39
	s_cselect_b32 s37, s40, s37
	s_cmp_ge_u32 s8, s80
	s_cselect_b32 s35, -1, 0
	s_cmp_eq_u32 s36, 0
	s_cselect_b32 s35, s35, -1
	s_cmp_lg_u32 s35, 0
	s_cselect_b32 s35, s34, s36
	s_cselect_b32 s34, s37, s8
	s_cbranch_execnz .LBB101_131
.LBB101_130:                            ;   in Loop: Header=BB101_15 Depth=1
	v_cvt_f32_u32_e32 v5, s80
	s_sub_i32 s8, 0, s80
	v_rcp_iflag_f32_e32 v5, v5
	s_nop 0
	v_mul_f32_e32 v5, 0x4f7ffffe, v5
	v_cvt_u32_f32_e32 v5, v5
	s_nop 0
	v_readfirstlane_b32 s34, v5
	s_mul_i32 s8, s8, s34
	s_mul_hi_u32 s8, s34, s8
	s_add_i32 s34, s34, s8
	s_mul_hi_u32 s8, s38, s34
	s_mul_i32 s8, s8, s80
	s_sub_i32 s8, s38, s8
	s_sub_i32 s34, s8, s80
	s_cmp_ge_u32 s8, s80
	s_cselect_b32 s8, s34, s8
	s_sub_i32 s34, s8, s80
	s_cmp_ge_u32 s8, s80
	s_cselect_b32 s82, s34, s8
	s_mov_b64 s[34:35], s[82:83]
.LBB101_131:                            ;   in Loop: Header=BB101_15 Depth=1
	s_sub_u32 s38, s38, s34
	s_subb_u32 s39, s9, s35
	v_cmp_gt_u64_e32 vcc, s[38:39], v[0:1]
	s_mov_b64 s[34:35], 0
	s_mov_b64 s[8:9], 0
                                        ; implicit-def: $vgpr8_vgpr9
	s_and_saveexec_b64 s[36:37], vcc
	s_cbranch_execz .LBB101_145
; %bb.132:                              ;   in Loop: Header=BB101_15 Depth=1
	v_mov_b32_e32 v16, v37
	v_mov_b64_e32 v[10:11], v[0:1]
                                        ; implicit-def: $sgpr40_sgpr41
	s_branch .LBB101_135
.LBB101_133:                            ;   in Loop: Header=BB101_135 Depth=2
	s_or_b64 exec, exec, s[42:43]
	s_waitcnt lgkmcnt(0)
	s_barrier
	ds_read_b128 v[6:9], v3 offset:3072
	s_mov_b64 s[42:43], -1
	s_mov_b64 s[44:45], -1
	s_waitcnt lgkmcnt(0)
	s_barrier
	v_cmp_ne_u64_e32 vcc, 0, v[6:7]
	s_cbranch_vccz .LBB101_138
.LBB101_134:                            ;   in Loop: Header=BB101_135 Depth=2
	s_and_b64 s[42:43], exec, s[42:43]
	s_or_b64 s[8:9], s[42:43], s[8:9]
	s_andn2_b64 s[40:41], s[40:41], exec
	s_and_b64 s[42:43], s[44:45], exec
	s_or_b64 s[40:41], s[40:41], s[42:43]
	s_andn2_b64 exec, exec, s[8:9]
	s_cbranch_execz .LBB101_144
.LBB101_135:                            ;   Parent Loop BB101_15 Depth=1
                                        ; =>  This Inner Loop Header: Depth=2
	v_cmp_gt_u64_e32 vcc, s[26:27], v[10:11]
	s_and_saveexec_b64 s[42:43], vcc
	s_cbranch_execz .LBB101_133
; %bb.136:                              ;   in Loop: Header=BB101_135 Depth=2
	ds_read_b64 v[6:7], v16
	s_waitcnt lgkmcnt(0)
	v_xor_b32_e32 v5, 0x80000000, v7
	v_and_b32_e32 v9, v5, v27
	v_and_b32_e32 v8, v6, v26
	v_cmp_eq_u64_e32 vcc, v[8:9], v[24:25]
	s_and_b64 exec, exec, vcc
	s_cbranch_execz .LBB101_133
; %bb.137:                              ;   in Loop: Header=BB101_135 Depth=2
	v_mov_b32_e32 v5, v3
	ds_write_b128 v3, v[4:7] offset:3072
	s_branch .LBB101_133
.LBB101_138:                            ;   in Loop: Header=BB101_135 Depth=2
	v_lshl_add_u64 v[10:11], v[10:11], 0, s[80:81]
	v_cmp_le_u64_e32 vcc, s[38:39], v[10:11]
	v_add_u32_e32 v16, s64, v16
	s_mov_b64 s[44:45], 0
	s_orn2_b64 s[42:43], vcc, exec
	s_branch .LBB101_134
.LBB101_139:                            ;   in Loop: Header=BB101_15 Depth=1
                                        ; implicit-def: $sgpr28_sgpr29
	s_branch .LBB101_87
.LBB101_140:                            ;   in Loop: Header=BB101_15 Depth=1
	s_or_b64 exec, exec, s[12:13]
	s_waitcnt lgkmcnt(0)
	s_barrier
	s_mov_b64 s[0:1], exec
	v_readlane_b32 s2, v58, 8
	v_readlane_b32 s3, v58, 9
	s_and_b64 s[2:3], s[0:1], s[2:3]
	s_mov_b64 exec, s[2:3]
	s_cbranch_execz .LBB101_142
; %bb.141:                              ;   in Loop: Header=BB101_15 Depth=1
	ds_read_b32 v6, v3 offset:5144
	s_waitcnt lgkmcnt(0)
	v_ashrrev_i32_e32 v7, 31, v6
	ds_write_b64 v3, v[6:7] offset:5120
.LBB101_142:                            ;   in Loop: Header=BB101_15 Depth=1
	s_or_b64 exec, exec, s[0:1]
	s_waitcnt lgkmcnt(0)
	s_barrier
	s_mov_b64 s[0:1], -1
	s_and_b64 vcc, exec, s[8:9]
	s_cbranch_vccnz .LBB101_31
	s_branch .LBB101_40
.LBB101_143:                            ;   in Loop: Header=BB101_15 Depth=1
                                        ; implicit-def: $sgpr8_sgpr9
	s_branch .LBB101_101
.LBB101_144:                            ;   in Loop: Header=BB101_15 Depth=1
	s_or_b64 exec, exec, s[8:9]
	s_and_b64 s[8:9], s[40:41], exec
.LBB101_145:                            ;   in Loop: Header=BB101_15 Depth=1
	s_or_b64 exec, exec, s[36:37]
.LBB101_146:                            ;   in Loop: Header=BB101_15 Depth=1
	s_and_b64 vcc, exec, s[34:35]
	s_cbranch_vccz .LBB101_160
; %bb.147:                              ;   in Loop: Header=BB101_15 Depth=1
	s_mov_b32 s88, s83
	s_cmp_lg_u64 s[88:89], 0
	s_cbranch_scc0 .LBB101_189
; %bb.148:                              ;   in Loop: Header=BB101_15 Depth=1
	v_cvt_f32_u32_e32 v5, s80
	s_sub_u32 s24, 0, s80
	s_subb_u32 s25, 0, 0
	v_fmac_f32_e32 v5, 0, v43
	v_rcp_f32_e32 v5, v5
	s_nop 0
	v_mul_f32_e32 v5, 0x5f7ffffc, v5
	v_mul_f32_e32 v6, 0x2f800000, v5
	v_trunc_f32_e32 v6, v6
	v_fmac_f32_e32 v5, 0xcf800000, v6
	v_cvt_u32_f32_e32 v6, v6
	v_cvt_u32_f32_e32 v5, v5
	v_readfirstlane_b32 s26, v6
	v_readfirstlane_b32 s0, v5
	s_mul_i32 s1, s24, s26
	s_mul_hi_u32 s34, s24, s0
	s_mul_i32 s27, s25, s0
	s_add_i32 s1, s34, s1
	s_mul_i32 s35, s24, s0
	s_add_i32 s1, s1, s27
	s_mul_hi_u32 s34, s0, s35
	s_mul_i32 s36, s0, s1
	s_mul_hi_u32 s27, s0, s1
	s_add_u32 s34, s34, s36
	s_addc_u32 s27, 0, s27
	s_mul_hi_u32 s37, s26, s35
	s_mul_i32 s35, s26, s35
	s_add_u32 s34, s34, s35
	s_mul_hi_u32 s36, s26, s1
	s_addc_u32 s27, s27, s37
	s_addc_u32 s34, s36, 0
	s_mul_i32 s1, s26, s1
	s_add_u32 s1, s27, s1
	s_addc_u32 s27, 0, s34
	s_add_u32 s34, s0, s1
	s_cselect_b64 s[0:1], -1, 0
	s_cmp_lg_u64 s[0:1], 0
	s_addc_u32 s26, s26, s27
	s_mul_i32 s0, s24, s26
	s_mul_hi_u32 s1, s24, s34
	s_add_i32 s0, s1, s0
	s_mul_i32 s25, s25, s34
	s_add_i32 s0, s0, s25
	s_mul_i32 s24, s24, s34
	s_mul_hi_u32 s25, s26, s24
	s_mul_i32 s27, s26, s24
	s_mul_i32 s36, s34, s0
	s_mul_hi_u32 s24, s34, s24
	s_mul_hi_u32 s35, s34, s0
	s_add_u32 s24, s24, s36
	s_addc_u32 s35, 0, s35
	s_add_u32 s24, s24, s27
	s_mul_hi_u32 s1, s26, s0
	s_addc_u32 s24, s35, s25
	s_addc_u32 s1, s1, 0
	s_mul_i32 s0, s26, s0
	s_add_u32 s0, s24, s0
	s_addc_u32 s24, 0, s1
	s_add_u32 s25, s34, s0
	s_cselect_b64 s[0:1], -1, 0
	s_cmp_lg_u64 s[0:1], 0
	s_addc_u32 s0, s26, s24
	s_mul_i32 s24, s10, s0
	s_mul_hi_u32 s26, s10, s25
	s_mul_hi_u32 s1, s10, s0
	s_add_u32 s24, s26, s24
	s_addc_u32 s1, 0, s1
	s_mul_hi_u32 s27, s89, s25
	s_mul_i32 s25, s89, s25
	s_add_u32 s24, s24, s25
	s_mul_hi_u32 s26, s89, s0
	s_addc_u32 s1, s1, s27
	s_addc_u32 s24, s26, 0
	s_mul_i32 s0, s89, s0
	s_add_u32 s0, s1, s0
	s_addc_u32 s1, 0, s24
	s_mul_i32 s1, s80, s1
	s_mul_hi_u32 s24, s80, s0
	s_add_i32 s24, s24, s1
	s_mul_i32 s0, s80, s0
	s_sub_u32 s25, s10, s0
	s_cselect_b64 s[0:1], -1, 0
	s_cmp_lg_u64 s[0:1], 0
	s_subb_u32 s24, s89, s24
	s_sub_u32 s26, s25, s80
	s_cselect_b64 s[0:1], -1, 0
	s_cmp_lg_u64 s[0:1], 0
	s_subb_u32 s27, s24, 0
	;; [unrolled: 4-line block ×3, first 2 shown]
	s_cmp_ge_u32 s26, s80
	s_cselect_b32 s1, -1, 0
	s_cmp_eq_u32 s27, 0
	s_cselect_b32 s1, s1, -1
	s_cmp_lg_u32 s1, 0
	s_cselect_b32 s0, s0, s27
	s_cselect_b32 s26, s34, s26
	s_cmp_ge_u32 s25, s80
	s_cselect_b32 s1, -1, 0
	s_cmp_eq_u32 s24, 0
	s_cselect_b32 s1, s1, -1
	s_cmp_lg_u32 s1, 0
	s_cselect_b32 s1, s0, s24
	s_cselect_b32 s0, s26, s25
	s_cbranch_execnz .LBB101_150
.LBB101_149:                            ;   in Loop: Header=BB101_15 Depth=1
	v_cvt_f32_u32_e32 v5, s80
	s_sub_i32 s0, 0, s80
	v_rcp_iflag_f32_e32 v5, v5
	s_nop 0
	v_mul_f32_e32 v5, 0x4f7ffffe, v5
	v_cvt_u32_f32_e32 v5, v5
	s_nop 0
	v_readfirstlane_b32 s1, v5
	s_mul_i32 s0, s0, s1
	s_mul_hi_u32 s0, s1, s0
	s_add_i32 s1, s1, s0
	s_mul_hi_u32 s0, s10, s1
	s_mul_i32 s0, s0, s80
	s_sub_i32 s0, s10, s0
	s_sub_i32 s1, s0, s80
	s_cmp_ge_u32 s0, s80
	s_cselect_b32 s0, s1, s0
	s_sub_i32 s1, s0, s80
	s_cmp_ge_u32 s0, s80
	s_cselect_b32 s82, s1, s0
	s_mov_b64 s[0:1], s[82:83]
.LBB101_150:                            ;   in Loop: Header=BB101_15 Depth=1
	s_sub_u32 s24, s10, s0
	s_subb_u32 s25, s89, s1
	v_cmp_gt_u64_e32 vcc, s[24:25], v[0:1]
                                        ; implicit-def: $vgpr8_vgpr9
	s_and_saveexec_b64 s[0:1], vcc
	s_cbranch_execz .LBB101_159
; %bb.151:                              ;   in Loop: Header=BB101_15 Depth=1
	s_mov_b64 s[26:27], 0
	v_mov_b64_e32 v[10:11], v[0:1]
                                        ; implicit-def: $sgpr34_sgpr35
	s_branch .LBB101_154
.LBB101_152:                            ;   in Loop: Header=BB101_154 Depth=2
	s_or_b64 exec, exec, s[36:37]
	s_waitcnt lgkmcnt(0)
	s_barrier
	ds_read_b128 v[6:9], v3 offset:3072
	s_mov_b64 s[36:37], -1
	s_mov_b64 s[38:39], -1
	s_waitcnt lgkmcnt(0)
	s_barrier
	v_cmp_eq_u64_e32 vcc, 0, v[6:7]
	s_cbranch_vccnz .LBB101_157
.LBB101_153:                            ;   in Loop: Header=BB101_154 Depth=2
	s_and_b64 s[36:37], exec, s[36:37]
	s_or_b64 s[26:27], s[36:37], s[26:27]
	s_andn2_b64 s[34:35], s[34:35], exec
	s_and_b64 s[36:37], s[38:39], exec
	s_or_b64 s[34:35], s[34:35], s[36:37]
	s_andn2_b64 exec, exec, s[26:27]
	s_cbranch_execz .LBB101_158
.LBB101_154:                            ;   Parent Loop BB101_15 Depth=1
                                        ; =>  This Inner Loop Header: Depth=2
	v_cmp_gt_u64_e32 vcc, s[52:53], v[10:11]
	s_and_saveexec_b64 s[36:37], vcc
	s_cbranch_execz .LBB101_152
; %bb.155:                              ;   in Loop: Header=BB101_154 Depth=2
	v_mul_lo_u32 v5, v11, s68
	v_mul_lo_u32 v8, v10, s69
	v_mad_u64_u32 v[6:7], s[38:39], v10, s68, 0
	v_add3_u32 v7, v7, v8, v5
	v_lshl_add_u64 v[6:7], v[6:7], 3, s[76:77]
	global_load_dwordx2 v[6:7], v[6:7], off
	s_waitcnt vmcnt(0)
	v_xor_b32_e32 v5, 0x80000000, v7
	v_and_b32_e32 v9, v5, v27
	v_and_b32_e32 v8, v6, v26
	v_cmp_eq_u64_e32 vcc, v[8:9], v[24:25]
	s_and_b64 exec, exec, vcc
	s_cbranch_execz .LBB101_152
; %bb.156:                              ;   in Loop: Header=BB101_154 Depth=2
	v_mov_b32_e32 v5, v3
	ds_write_b128 v3, v[4:7] offset:3072
	s_branch .LBB101_152
.LBB101_157:                            ;   in Loop: Header=BB101_154 Depth=2
	v_lshl_add_u64 v[10:11], v[10:11], 0, s[80:81]
	v_cmp_le_u64_e32 vcc, s[24:25], v[10:11]
	s_mov_b64 s[38:39], 0
	s_orn2_b64 s[36:37], vcc, exec
	s_branch .LBB101_153
.LBB101_158:                            ;   in Loop: Header=BB101_15 Depth=1
	s_or_b64 exec, exec, s[26:27]
	s_andn2_b64 s[8:9], s[8:9], exec
	s_and_b64 s[24:25], s[34:35], exec
	s_or_b64 s[8:9], s[8:9], s[24:25]
.LBB101_159:                            ;   in Loop: Header=BB101_15 Depth=1
	s_or_b64 exec, exec, s[0:1]
	s_mov_b64 s[0:1], 0
	s_mov_b64 s[24:25], -1
.LBB101_160:                            ;   in Loop: Header=BB101_15 Depth=1
	s_orn2_b64 s[8:9], s[8:9], exec
.LBB101_161:                            ;   in Loop: Header=BB101_15 Depth=1
	s_or_b64 exec, exec, s[28:29]
	s_mov_b64 s[26:27], 0
	s_and_saveexec_b64 s[28:29], s[8:9]
	s_cbranch_execz .LBB101_267
; %bb.162:                              ;   in Loop: Header=BB101_15 Depth=1
	s_xor_b64 s[30:31], s[30:31], -1
	v_mov_b32_e32 v2, 1
	v_mov_b64_e32 v[10:11], 1
	s_and_saveexec_b64 s[8:9], s[30:31]
	s_cbranch_execz .LBB101_172
; %bb.163:                              ;   in Loop: Header=BB101_15 Depth=1
	v_cmp_le_u64_e32 vcc, v[14:15], v[12:13]
	s_and_saveexec_b64 s[26:27], vcc
	s_xor_b64 s[26:27], exec, s[26:27]
	s_cbranch_execz .LBB101_169
; %bb.164:                              ;   in Loop: Header=BB101_15 Depth=1
	ds_read_b64 v[6:7], v3 offset:5120
	s_lshl_b64 s[30:31], 1, s33
	v_and_b32_e32 v2, s23, v25
	v_and_b32_e32 v5, s22, v24
	v_or_b32_e32 v25, s31, v2
	s_waitcnt lgkmcnt(0)
	v_cmp_ne_u64_e32 vcc, 0, v[6:7]
	v_or_b32_e32 v24, s30, v5
	v_or_b32_e32 v27, s13, v27
	;; [unrolled: 1-line block ×3, first 2 shown]
	s_cbranch_vccnz .LBB101_168
; %bb.165:                              ;   in Loop: Header=BB101_15 Depth=1
	s_mov_b64 s[30:31], exec
	v_readlane_b32 s34, v58, 8
	v_readlane_b32 s35, v58, 9
	s_and_b64 s[34:35], s[30:31], s[34:35]
	s_mov_b64 exec, s[34:35]
; %bb.166:                              ;   in Loop: Header=BB101_15 Depth=1
	ds_write_b64 v3, v[12:13] offset:5128
; %bb.167:                              ;   in Loop: Header=BB101_15 Depth=1
	s_or_b64 exec, exec, s[30:31]
	s_waitcnt lgkmcnt(0)
	s_barrier
.LBB101_168:                            ;   in Loop: Header=BB101_15 Depth=1
                                        ; implicit-def: $vgpr10_vgpr11_vgpr12_vgpr13
.LBB101_169:                            ;   in Loop: Header=BB101_15 Depth=1
	s_or_saveexec_b64 s[26:27], s[26:27]
	s_mov_b64 s[30:31], 0
	v_mov_b32_e32 v2, 8
	s_xor_b64 exec, exec, s[26:27]
; %bb.170:                              ;   in Loop: Header=BB101_15 Depth=1
	v_sub_co_u32_e32 v14, vcc, v14, v12
	s_mov_b64 s[30:31], exec
	s_nop 0
	v_subb_co_u32_e32 v15, vcc, v15, v13, vcc
	v_mov_b32_e32 v2, 0
; %bb.171:                              ;   in Loop: Header=BB101_15 Depth=1
	s_or_b64 exec, exec, s[26:27]
	s_and_b64 s[26:27], s[30:31], exec
	v_mov_b64_e32 v[10:11], v[14:15]
.LBB101_172:                            ;   in Loop: Header=BB101_15 Depth=1
	s_or_b64 exec, exec, s[8:9]
	s_mov_b64 s[8:9], -1
                                        ; implicit-def: $sgpr34_sgpr35
                                        ; implicit-def: $sgpr36_sgpr37
	s_and_saveexec_b64 s[30:31], s[26:27]
	s_cbranch_execz .LBB101_266
; %bb.173:                              ;   in Loop: Header=BB101_15 Depth=1
	s_cmp_eq_u64 s[20:21], 1
	s_cselect_b64 s[8:9], -1, 0
	v_cmp_eq_u64_e32 vcc, 1, v[10:11]
	s_and_b64 s[40:41], s[8:9], vcc
	s_mov_b64 s[8:9], -1
                                        ; implicit-def: $sgpr36_sgpr37
                                        ; implicit-def: $sgpr34_sgpr35
	s_and_saveexec_b64 s[38:39], s[40:41]
	s_cbranch_execz .LBB101_207
; %bb.174:                              ;   in Loop: Header=BB101_15 Depth=1
	ds_read_b64 v[6:7], v3 offset:5120
	s_waitcnt lgkmcnt(0)
	s_barrier
	v_readfirstlane_b32 s26, v6
	v_readfirstlane_b32 s27, v7
	s_and_saveexec_b64 s[8:9], s[6:7]
; %bb.175:                              ;   in Loop: Header=BB101_15 Depth=1
	ds_write_b64 v38, v[48:49]
; %bb.176:                              ;   in Loop: Header=BB101_15 Depth=1
	s_or_b64 exec, exec, s[8:9]
	s_lshl_b64 s[8:9], 2, s33
	v_and_b32_e32 v5, s23, v25
	v_and_b32_e32 v6, s22, v24
	v_or_b32_e32 v25, s9, v5
	v_or_b32_e32 v24, s8, v6
	v_or_b32_e32 v27, s13, v27
	v_or_b32_e32 v26, s12, v26
	s_mov_b64 s[34:35], -1
	s_mov_b64 s[36:37], 0
	s_cmp_eq_u64 s[26:27], 0
	s_mov_b64 s[8:9], 0
	s_mov_b64 s[42:43], -1
	s_waitcnt lgkmcnt(0)
	s_barrier
                                        ; implicit-def: $vgpr8_vgpr9
	s_cbranch_scc1 .LBB101_192
; %bb.177:                              ;   in Loop: Header=BB101_15 Depth=1
	v_readlane_b32 s8, v58, 28
	s_add_u32 s46, s26, s8
	v_readlane_b32 s8, v58, 29
	s_addc_u32 s9, s27, s8
	s_mov_b32 s8, s83
	s_cmp_lg_u64 s[8:9], 0
	s_cbranch_scc0 .LBB101_233
; %bb.178:                              ;   in Loop: Header=BB101_15 Depth=1
	v_cvt_f32_u32_e32 v5, s80
	s_sub_u32 s8, 0, s80
	s_subb_u32 s44, 0, 0
	v_fmac_f32_e32 v5, 0, v43
	v_rcp_f32_e32 v5, v5
	s_nop 0
	v_mul_f32_e32 v5, 0x5f7ffffc, v5
	v_mul_f32_e32 v6, 0x2f800000, v5
	v_trunc_f32_e32 v6, v6
	v_fmac_f32_e32 v5, 0xcf800000, v6
	v_cvt_u32_f32_e32 v6, v6
	v_cvt_u32_f32_e32 v5, v5
	v_readfirstlane_b32 s45, v6
	v_readfirstlane_b32 s42, v5
	s_mul_i32 s43, s8, s45
	s_mul_hi_u32 s48, s8, s42
	s_mul_i32 s47, s44, s42
	s_add_i32 s43, s48, s43
	s_mul_i32 s49, s8, s42
	s_add_i32 s43, s43, s47
	s_mul_hi_u32 s48, s42, s49
	s_mul_i32 s50, s42, s43
	s_mul_hi_u32 s47, s42, s43
	s_add_u32 s48, s48, s50
	s_addc_u32 s47, 0, s47
	s_mul_hi_u32 s51, s45, s49
	s_mul_i32 s49, s45, s49
	s_add_u32 s48, s48, s49
	s_mul_hi_u32 s50, s45, s43
	s_addc_u32 s47, s47, s51
	s_addc_u32 s48, s50, 0
	s_mul_i32 s43, s45, s43
	s_add_u32 s43, s47, s43
	s_addc_u32 s47, 0, s48
	s_add_u32 s48, s42, s43
	s_cselect_b64 s[42:43], -1, 0
	s_cmp_lg_u64 s[42:43], 0
	s_addc_u32 s45, s45, s47
	s_mul_i32 s42, s8, s45
	s_mul_hi_u32 s43, s8, s48
	s_add_i32 s42, s43, s42
	s_mul_i32 s44, s44, s48
	s_add_i32 s42, s42, s44
	s_mul_i32 s8, s8, s48
	s_mul_hi_u32 s44, s45, s8
	s_mul_i32 s47, s45, s8
	s_mul_i32 s50, s48, s42
	s_mul_hi_u32 s8, s48, s8
	s_mul_hi_u32 s49, s48, s42
	s_add_u32 s8, s8, s50
	s_addc_u32 s49, 0, s49
	s_add_u32 s8, s8, s47
	s_mul_hi_u32 s43, s45, s42
	s_addc_u32 s8, s49, s44
	s_addc_u32 s43, s43, 0
	s_mul_i32 s42, s45, s42
	s_add_u32 s8, s8, s42
	s_addc_u32 s44, 0, s43
	s_add_u32 s8, s48, s8
	s_cselect_b64 s[42:43], -1, 0
	s_cmp_lg_u64 s[42:43], 0
	s_addc_u32 s42, s45, s44
	s_mul_i32 s44, s46, s42
	s_mul_hi_u32 s45, s46, s8
	s_mul_hi_u32 s43, s46, s42
	s_add_u32 s44, s45, s44
	s_addc_u32 s43, 0, s43
	s_mul_hi_u32 s47, s9, s8
	s_mul_i32 s8, s9, s8
	s_add_u32 s8, s44, s8
	s_mul_hi_u32 s45, s9, s42
	s_addc_u32 s8, s43, s47
	s_addc_u32 s43, s45, 0
	s_mul_i32 s42, s9, s42
	s_add_u32 s8, s8, s42
	s_addc_u32 s42, 0, s43
	s_mul_i32 s42, s80, s42
	s_mul_hi_u32 s43, s80, s8
	s_add_i32 s44, s43, s42
	s_mul_i32 s8, s80, s8
	s_sub_u32 s8, s46, s8
	s_cselect_b64 s[42:43], -1, 0
	s_cmp_lg_u64 s[42:43], 0
	s_subb_u32 s44, s9, s44
	s_sub_u32 s45, s8, s80
	s_cselect_b64 s[42:43], -1, 0
	s_cmp_lg_u64 s[42:43], 0
	s_subb_u32 s47, s44, 0
	;; [unrolled: 4-line block ×3, first 2 shown]
	s_cmp_ge_u32 s45, s80
	s_cselect_b32 s43, -1, 0
	s_cmp_eq_u32 s47, 0
	s_cselect_b32 s43, s43, -1
	s_cmp_lg_u32 s43, 0
	s_cselect_b32 s42, s42, s47
	s_cselect_b32 s45, s48, s45
	s_cmp_ge_u32 s8, s80
	s_cselect_b32 s43, -1, 0
	s_cmp_eq_u32 s44, 0
	s_cselect_b32 s43, s43, -1
	s_cmp_lg_u32 s43, 0
	s_cselect_b32 s43, s42, s44
	s_cselect_b32 s42, s45, s8
	s_cbranch_execnz .LBB101_180
.LBB101_179:                            ;   in Loop: Header=BB101_15 Depth=1
	v_cvt_f32_u32_e32 v5, s80
	s_sub_i32 s8, 0, s80
	v_rcp_iflag_f32_e32 v5, v5
	s_nop 0
	v_mul_f32_e32 v5, 0x4f7ffffe, v5
	v_cvt_u32_f32_e32 v5, v5
	s_nop 0
	v_readfirstlane_b32 s42, v5
	s_mul_i32 s8, s8, s42
	s_mul_hi_u32 s8, s42, s8
	s_add_i32 s42, s42, s8
	s_mul_hi_u32 s8, s46, s42
	s_mul_i32 s8, s8, s80
	s_sub_i32 s8, s46, s8
	s_sub_i32 s42, s8, s80
	s_cmp_ge_u32 s8, s80
	s_cselect_b32 s8, s42, s8
	s_sub_i32 s42, s8, s80
	s_cmp_ge_u32 s8, s80
	s_cselect_b32 s82, s42, s8
	s_mov_b64 s[42:43], s[82:83]
.LBB101_180:                            ;   in Loop: Header=BB101_15 Depth=1
	s_sub_u32 s46, s46, s42
	s_subb_u32 s47, s9, s43
	v_cmp_gt_u64_e32 vcc, s[46:47], v[0:1]
	s_mov_b64 s[42:43], 0
	s_mov_b64 s[8:9], 0
                                        ; implicit-def: $vgpr8_vgpr9
	s_and_saveexec_b64 s[44:45], vcc
	s_cbranch_execz .LBB101_191
; %bb.181:                              ;   in Loop: Header=BB101_15 Depth=1
	v_mov_b32_e32 v14, v37
	v_mov_b64_e32 v[12:13], v[0:1]
                                        ; implicit-def: $sgpr48_sgpr49
	s_branch .LBB101_184
.LBB101_182:                            ;   in Loop: Header=BB101_184 Depth=2
	s_or_b64 exec, exec, s[50:51]
	s_waitcnt lgkmcnt(0)
	s_barrier
	ds_read_b128 v[6:9], v3 offset:3072
	s_mov_b64 s[50:51], -1
	s_mov_b64 s[54:55], -1
	s_waitcnt lgkmcnt(0)
	s_barrier
	v_cmp_ne_u64_e32 vcc, 0, v[6:7]
	s_cbranch_vccz .LBB101_187
.LBB101_183:                            ;   in Loop: Header=BB101_184 Depth=2
	s_and_b64 s[50:51], exec, s[50:51]
	s_or_b64 s[8:9], s[50:51], s[8:9]
	s_andn2_b64 s[48:49], s[48:49], exec
	s_and_b64 s[50:51], s[54:55], exec
	s_or_b64 s[48:49], s[48:49], s[50:51]
	s_andn2_b64 exec, exec, s[8:9]
	s_cbranch_execz .LBB101_190
.LBB101_184:                            ;   Parent Loop BB101_15 Depth=1
                                        ; =>  This Inner Loop Header: Depth=2
	v_cmp_gt_u64_e32 vcc, s[26:27], v[12:13]
	s_and_saveexec_b64 s[50:51], vcc
	s_cbranch_execz .LBB101_182
; %bb.185:                              ;   in Loop: Header=BB101_184 Depth=2
	ds_read_b64 v[6:7], v14
	s_waitcnt lgkmcnt(0)
	v_xor_b32_e32 v5, 0x80000000, v7
	v_and_b32_e32 v9, v5, v27
	v_and_b32_e32 v8, v6, v26
	v_cmp_eq_u64_e32 vcc, v[8:9], v[24:25]
	s_and_b64 exec, exec, vcc
	s_cbranch_execz .LBB101_182
; %bb.186:                              ;   in Loop: Header=BB101_184 Depth=2
	v_mov_b32_e32 v5, v3
	ds_write_b128 v3, v[4:7] offset:3072
	s_branch .LBB101_182
.LBB101_187:                            ;   in Loop: Header=BB101_184 Depth=2
	v_lshl_add_u64 v[12:13], v[12:13], 0, s[80:81]
	v_cmp_le_u64_e32 vcc, s[46:47], v[12:13]
	v_add_u32_e32 v14, s64, v14
	s_mov_b64 s[54:55], 0
	s_orn2_b64 s[50:51], vcc, exec
	s_branch .LBB101_183
.LBB101_188:                            ;   in Loop: Header=BB101_15 Depth=1
                                        ; implicit-def: $sgpr34_sgpr35
	s_branch .LBB101_130
.LBB101_189:                            ;   in Loop: Header=BB101_15 Depth=1
                                        ; implicit-def: $sgpr0_sgpr1
	s_branch .LBB101_149
.LBB101_190:                            ;   in Loop: Header=BB101_15 Depth=1
	s_or_b64 exec, exec, s[8:9]
	s_and_b64 s[8:9], s[48:49], exec
.LBB101_191:                            ;   in Loop: Header=BB101_15 Depth=1
	s_or_b64 exec, exec, s[44:45]
.LBB101_192:                            ;   in Loop: Header=BB101_15 Depth=1
	s_and_b64 vcc, exec, s[42:43]
	s_cbranch_vccz .LBB101_206
; %bb.193:                              ;   in Loop: Header=BB101_15 Depth=1
	s_mov_b32 s88, s83
	s_cmp_lg_u64 s[88:89], 0
	s_cbranch_scc0 .LBB101_234
; %bb.194:                              ;   in Loop: Header=BB101_15 Depth=1
	v_cvt_f32_u32_e32 v5, s80
	s_sub_u32 s34, 0, s80
	s_subb_u32 s35, 0, 0
	v_fmac_f32_e32 v5, 0, v43
	v_rcp_f32_e32 v5, v5
	s_nop 0
	v_mul_f32_e32 v5, 0x5f7ffffc, v5
	v_mul_f32_e32 v6, 0x2f800000, v5
	v_trunc_f32_e32 v6, v6
	v_fmac_f32_e32 v5, 0xcf800000, v6
	v_cvt_u32_f32_e32 v6, v6
	v_cvt_u32_f32_e32 v5, v5
	v_readfirstlane_b32 s36, v6
	v_readfirstlane_b32 s26, v5
	s_mul_i32 s27, s34, s36
	s_mul_hi_u32 s42, s34, s26
	s_mul_i32 s37, s35, s26
	s_add_i32 s27, s42, s27
	s_mul_i32 s43, s34, s26
	s_add_i32 s27, s27, s37
	s_mul_hi_u32 s42, s26, s43
	s_mul_i32 s44, s26, s27
	s_mul_hi_u32 s37, s26, s27
	s_add_u32 s42, s42, s44
	s_addc_u32 s37, 0, s37
	s_mul_hi_u32 s45, s36, s43
	s_mul_i32 s43, s36, s43
	s_add_u32 s42, s42, s43
	s_mul_hi_u32 s44, s36, s27
	s_addc_u32 s37, s37, s45
	s_addc_u32 s42, s44, 0
	s_mul_i32 s27, s36, s27
	s_add_u32 s27, s37, s27
	s_addc_u32 s37, 0, s42
	s_add_u32 s42, s26, s27
	s_cselect_b64 s[26:27], -1, 0
	s_cmp_lg_u64 s[26:27], 0
	s_addc_u32 s36, s36, s37
	s_mul_i32 s26, s34, s36
	s_mul_hi_u32 s27, s34, s42
	s_add_i32 s26, s27, s26
	s_mul_i32 s35, s35, s42
	s_add_i32 s26, s26, s35
	s_mul_i32 s34, s34, s42
	s_mul_hi_u32 s35, s36, s34
	s_mul_i32 s37, s36, s34
	s_mul_i32 s44, s42, s26
	s_mul_hi_u32 s34, s42, s34
	s_mul_hi_u32 s43, s42, s26
	s_add_u32 s34, s34, s44
	s_addc_u32 s43, 0, s43
	s_add_u32 s34, s34, s37
	s_mul_hi_u32 s27, s36, s26
	s_addc_u32 s34, s43, s35
	s_addc_u32 s27, s27, 0
	s_mul_i32 s26, s36, s26
	s_add_u32 s26, s34, s26
	s_addc_u32 s34, 0, s27
	s_add_u32 s35, s42, s26
	s_cselect_b64 s[26:27], -1, 0
	s_cmp_lg_u64 s[26:27], 0
	s_addc_u32 s26, s36, s34
	s_mul_i32 s34, s10, s26
	s_mul_hi_u32 s36, s10, s35
	s_mul_hi_u32 s27, s10, s26
	s_add_u32 s34, s36, s34
	s_addc_u32 s27, 0, s27
	s_mul_hi_u32 s37, s89, s35
	s_mul_i32 s35, s89, s35
	s_add_u32 s34, s34, s35
	s_mul_hi_u32 s36, s89, s26
	s_addc_u32 s27, s27, s37
	s_addc_u32 s34, s36, 0
	s_mul_i32 s26, s89, s26
	s_add_u32 s26, s27, s26
	s_addc_u32 s27, 0, s34
	s_mul_i32 s27, s80, s27
	s_mul_hi_u32 s34, s80, s26
	s_add_i32 s34, s34, s27
	s_mul_i32 s26, s80, s26
	s_sub_u32 s35, s10, s26
	s_cselect_b64 s[26:27], -1, 0
	s_cmp_lg_u64 s[26:27], 0
	s_subb_u32 s34, s89, s34
	s_sub_u32 s36, s35, s80
	s_cselect_b64 s[26:27], -1, 0
	s_cmp_lg_u64 s[26:27], 0
	s_subb_u32 s37, s34, 0
	;; [unrolled: 4-line block ×3, first 2 shown]
	s_cmp_ge_u32 s36, s80
	s_cselect_b32 s27, -1, 0
	s_cmp_eq_u32 s37, 0
	s_cselect_b32 s27, s27, -1
	s_cmp_lg_u32 s27, 0
	s_cselect_b32 s26, s26, s37
	s_cselect_b32 s36, s42, s36
	s_cmp_ge_u32 s35, s80
	s_cselect_b32 s27, -1, 0
	s_cmp_eq_u32 s34, 0
	s_cselect_b32 s27, s27, -1
	s_cmp_lg_u32 s27, 0
	s_cselect_b32 s27, s26, s34
	s_cselect_b32 s26, s36, s35
	s_cbranch_execnz .LBB101_196
.LBB101_195:                            ;   in Loop: Header=BB101_15 Depth=1
	v_cvt_f32_u32_e32 v5, s80
	s_sub_i32 s26, 0, s80
	v_rcp_iflag_f32_e32 v5, v5
	s_nop 0
	v_mul_f32_e32 v5, 0x4f7ffffe, v5
	v_cvt_u32_f32_e32 v5, v5
	s_nop 0
	v_readfirstlane_b32 s27, v5
	s_mul_i32 s26, s26, s27
	s_mul_hi_u32 s26, s27, s26
	s_add_i32 s27, s27, s26
	s_mul_hi_u32 s26, s10, s27
	s_mul_i32 s26, s26, s80
	s_sub_i32 s26, s10, s26
	s_sub_i32 s27, s26, s80
	s_cmp_ge_u32 s26, s80
	s_cselect_b32 s26, s27, s26
	s_sub_i32 s27, s26, s80
	s_cmp_ge_u32 s26, s80
	s_cselect_b32 s82, s27, s26
	s_mov_b64 s[26:27], s[82:83]
.LBB101_196:                            ;   in Loop: Header=BB101_15 Depth=1
	s_sub_u32 s34, s10, s26
	s_subb_u32 s35, s89, s27
	v_cmp_gt_u64_e32 vcc, s[34:35], v[0:1]
                                        ; implicit-def: $vgpr8_vgpr9
	s_and_saveexec_b64 s[26:27], vcc
	s_cbranch_execz .LBB101_205
; %bb.197:                              ;   in Loop: Header=BB101_15 Depth=1
	s_mov_b64 s[36:37], 0
	v_mov_b64_e32 v[12:13], v[0:1]
                                        ; implicit-def: $sgpr42_sgpr43
	s_branch .LBB101_200
.LBB101_198:                            ;   in Loop: Header=BB101_200 Depth=2
	s_or_b64 exec, exec, s[44:45]
	s_waitcnt lgkmcnt(0)
	s_barrier
	ds_read_b128 v[6:9], v3 offset:3072
	s_mov_b64 s[44:45], -1
	s_mov_b64 s[46:47], -1
	s_waitcnt lgkmcnt(0)
	s_barrier
	v_cmp_eq_u64_e32 vcc, 0, v[6:7]
	s_cbranch_vccnz .LBB101_203
.LBB101_199:                            ;   in Loop: Header=BB101_200 Depth=2
	s_and_b64 s[44:45], exec, s[44:45]
	s_or_b64 s[36:37], s[44:45], s[36:37]
	s_andn2_b64 s[42:43], s[42:43], exec
	s_and_b64 s[44:45], s[46:47], exec
	s_or_b64 s[42:43], s[42:43], s[44:45]
	s_andn2_b64 exec, exec, s[36:37]
	s_cbranch_execz .LBB101_204
.LBB101_200:                            ;   Parent Loop BB101_15 Depth=1
                                        ; =>  This Inner Loop Header: Depth=2
	v_cmp_gt_u64_e32 vcc, s[52:53], v[12:13]
	s_and_saveexec_b64 s[44:45], vcc
	s_cbranch_execz .LBB101_198
; %bb.201:                              ;   in Loop: Header=BB101_200 Depth=2
	v_mul_lo_u32 v5, v13, s68
	v_mul_lo_u32 v8, v12, s69
	v_mad_u64_u32 v[6:7], s[46:47], v12, s68, 0
	v_add3_u32 v7, v7, v8, v5
	v_lshl_add_u64 v[6:7], v[6:7], 3, s[76:77]
	global_load_dwordx2 v[6:7], v[6:7], off
	s_waitcnt vmcnt(0)
	v_xor_b32_e32 v5, 0x80000000, v7
	v_and_b32_e32 v9, v5, v27
	v_and_b32_e32 v8, v6, v26
	v_cmp_eq_u64_e32 vcc, v[8:9], v[24:25]
	s_and_b64 exec, exec, vcc
	s_cbranch_execz .LBB101_198
; %bb.202:                              ;   in Loop: Header=BB101_200 Depth=2
	v_mov_b32_e32 v5, v3
	ds_write_b128 v3, v[4:7] offset:3072
	s_branch .LBB101_198
.LBB101_203:                            ;   in Loop: Header=BB101_200 Depth=2
	v_lshl_add_u64 v[12:13], v[12:13], 0, s[80:81]
	v_cmp_le_u64_e32 vcc, s[34:35], v[12:13]
	s_mov_b64 s[46:47], 0
	s_orn2_b64 s[44:45], vcc, exec
	s_branch .LBB101_199
.LBB101_204:                            ;   in Loop: Header=BB101_15 Depth=1
	s_or_b64 exec, exec, s[36:37]
	s_andn2_b64 s[8:9], s[8:9], exec
	s_and_b64 s[34:35], s[42:43], exec
	s_or_b64 s[8:9], s[8:9], s[34:35]
.LBB101_205:                            ;   in Loop: Header=BB101_15 Depth=1
	s_or_b64 exec, exec, s[26:27]
	s_mov_b64 s[34:35], 0
	s_mov_b64 s[36:37], -1
.LBB101_206:                            ;   in Loop: Header=BB101_15 Depth=1
	s_orn2_b64 s[8:9], s[8:9], exec
.LBB101_207:                            ;   in Loop: Header=BB101_15 Depth=1
	s_or_b64 exec, exec, s[38:39]
	s_mov_b64 s[26:27], 0
	s_and_saveexec_b64 s[38:39], s[8:9]
	s_cbranch_execz .LBB101_265
; %bb.208:                              ;   in Loop: Header=BB101_15 Depth=1
	s_xor_b64 s[40:41], s[40:41], -1
	v_mov_b32_e32 v2, 1
	v_mov_b64_e32 v[12:13], 1
	s_and_saveexec_b64 s[8:9], s[40:41]
	s_cbranch_execz .LBB101_217
; %bb.209:                              ;   in Loop: Header=BB101_15 Depth=1
	v_cmp_ge_u64_e32 vcc, s[20:21], v[10:11]
	s_and_saveexec_b64 s[26:27], vcc
	s_xor_b64 s[26:27], exec, s[26:27]
	s_cbranch_execz .LBB101_214
; %bb.210:                              ;   in Loop: Header=BB101_15 Depth=1
	ds_read_b64 v[6:7], v3 offset:5120
	s_lshl_b64 s[40:41], 2, s33
	v_and_b32_e32 v2, s23, v25
	v_and_b32_e32 v5, s22, v24
	v_or_b32_e32 v25, s41, v2
	s_waitcnt lgkmcnt(0)
	v_cmp_ne_u64_e32 vcc, 0, v[6:7]
	v_or_b32_e32 v24, s40, v5
	v_or_b32_e32 v27, s13, v27
	;; [unrolled: 1-line block ×3, first 2 shown]
	s_cbranch_vccnz .LBB101_214
; %bb.211:                              ;   in Loop: Header=BB101_15 Depth=1
	s_mov_b64 s[22:23], exec
	v_readlane_b32 s40, v58, 8
	v_readlane_b32 s41, v58, 9
	s_and_b64 s[40:41], s[22:23], s[40:41]
	s_mov_b64 exec, s[40:41]
; %bb.212:                              ;   in Loop: Header=BB101_15 Depth=1
	v_mov_b64_e32 v[6:7], s[20:21]
	ds_write_b64 v3, v[6:7] offset:5128
; %bb.213:                              ;   in Loop: Header=BB101_15 Depth=1
	s_or_b64 exec, exec, s[22:23]
	s_waitcnt lgkmcnt(0)
	s_barrier
.LBB101_214:                            ;   in Loop: Header=BB101_15 Depth=1
	s_or_saveexec_b64 s[22:23], s[26:27]
	s_mov_b64 s[26:27], 0
	v_mov_b32_e32 v2, 8
	s_xor_b64 exec, exec, s[22:23]
; %bb.215:                              ;   in Loop: Header=BB101_15 Depth=1
	v_mov_b32_e32 v2, s21
	v_subrev_co_u32_e32 v10, vcc, s20, v10
	s_mov_b64 s[26:27], exec
	s_nop 0
	v_subb_co_u32_e32 v11, vcc, v11, v2, vcc
	v_mov_b32_e32 v2, 0
; %bb.216:                              ;   in Loop: Header=BB101_15 Depth=1
	s_or_b64 exec, exec, s[22:23]
	s_and_b64 s[26:27], s[26:27], exec
	v_mov_b64_e32 v[12:13], v[10:11]
.LBB101_217:                            ;   in Loop: Header=BB101_15 Depth=1
	s_or_b64 exec, exec, s[8:9]
	s_mov_b64 s[8:9], -1
                                        ; implicit-def: $sgpr44_sgpr45
                                        ; implicit-def: $sgpr42_sgpr43
	s_and_saveexec_b64 s[20:21], s[26:27]
	s_cbranch_execz .LBB101_264
; %bb.218:                              ;   in Loop: Header=BB101_15 Depth=1
	s_cmp_eq_u64 s[2:3], 1
	s_cselect_b64 s[8:9], -1, 0
	v_cmp_eq_u64_e32 vcc, 1, v[12:13]
	s_and_b64 s[22:23], s[8:9], vcc
	s_mov_b64 s[26:27], -1
                                        ; implicit-def: $sgpr44_sgpr45
                                        ; implicit-def: $sgpr42_sgpr43
	s_and_saveexec_b64 s[40:41], s[22:23]
	s_cbranch_execz .LBB101_252
; %bb.219:                              ;   in Loop: Header=BB101_15 Depth=1
	ds_read_b64 v[6:7], v3 offset:5120
	s_waitcnt lgkmcnt(0)
	s_barrier
	v_readfirstlane_b32 s26, v6
	v_readfirstlane_b32 s27, v7
	s_and_saveexec_b64 s[8:9], s[6:7]
; %bb.220:                              ;   in Loop: Header=BB101_15 Depth=1
	ds_write_b64 v38, v[48:49]
; %bb.221:                              ;   in Loop: Header=BB101_15 Depth=1
	s_or_b64 exec, exec, s[8:9]
	v_or_b32_e32 v25, s13, v25
	v_or_b32_e32 v24, s12, v24
	v_or_b32_e32 v27, s13, v27
	v_or_b32_e32 v26, s12, v26
	s_mov_b64 s[42:43], -1
	s_mov_b64 s[44:45], 0
	s_cmp_eq_u64 s[26:27], 0
	s_mov_b64 s[8:9], 0
	s_mov_b64 s[46:47], -1
	s_waitcnt lgkmcnt(0)
	s_barrier
                                        ; implicit-def: $vgpr8_vgpr9
	s_cbranch_scc1 .LBB101_237
; %bb.222:                              ;   in Loop: Header=BB101_15 Depth=1
	v_readlane_b32 s8, v58, 28
	s_add_u32 s50, s26, s8
	v_readlane_b32 s8, v58, 29
	s_addc_u32 s9, s27, s8
	s_mov_b32 s8, s83
	s_cmp_lg_u64 s[8:9], 0
	s_cbranch_scc0 .LBB101_271
; %bb.223:                              ;   in Loop: Header=BB101_15 Depth=1
	v_cvt_f32_u32_e32 v5, s80
	s_sub_u32 s8, 0, s80
	s_subb_u32 s48, 0, 0
	v_fmac_f32_e32 v5, 0, v43
	v_rcp_f32_e32 v5, v5
	s_nop 0
	v_mul_f32_e32 v5, 0x5f7ffffc, v5
	v_mul_f32_e32 v6, 0x2f800000, v5
	v_trunc_f32_e32 v6, v6
	v_fmac_f32_e32 v5, 0xcf800000, v6
	v_cvt_u32_f32_e32 v6, v6
	v_cvt_u32_f32_e32 v5, v5
	v_readfirstlane_b32 s49, v6
	v_readfirstlane_b32 s46, v5
	s_mul_i32 s47, s8, s49
	s_mul_hi_u32 s54, s8, s46
	s_mul_i32 s51, s48, s46
	s_add_i32 s47, s54, s47
	s_mul_i32 s55, s8, s46
	s_add_i32 s47, s47, s51
	s_mul_hi_u32 s54, s46, s55
	s_mul_i32 s60, s46, s47
	s_mul_hi_u32 s51, s46, s47
	s_add_u32 s54, s54, s60
	s_addc_u32 s51, 0, s51
	s_mul_hi_u32 s61, s49, s55
	s_mul_i32 s55, s49, s55
	s_add_u32 s54, s54, s55
	s_mul_hi_u32 s60, s49, s47
	s_addc_u32 s51, s51, s61
	s_addc_u32 s54, s60, 0
	s_mul_i32 s47, s49, s47
	s_add_u32 s47, s51, s47
	s_addc_u32 s51, 0, s54
	s_add_u32 s54, s46, s47
	s_cselect_b64 s[46:47], -1, 0
	s_cmp_lg_u64 s[46:47], 0
	s_addc_u32 s49, s49, s51
	s_mul_i32 s46, s8, s49
	s_mul_hi_u32 s47, s8, s54
	s_add_i32 s46, s47, s46
	s_mul_i32 s48, s48, s54
	s_add_i32 s46, s46, s48
	s_mul_i32 s8, s8, s54
	s_mul_hi_u32 s48, s49, s8
	s_mul_i32 s51, s49, s8
	s_mul_i32 s60, s54, s46
	s_mul_hi_u32 s8, s54, s8
	s_mul_hi_u32 s55, s54, s46
	s_add_u32 s8, s8, s60
	s_addc_u32 s55, 0, s55
	s_add_u32 s8, s8, s51
	s_mul_hi_u32 s47, s49, s46
	s_addc_u32 s8, s55, s48
	s_addc_u32 s47, s47, 0
	s_mul_i32 s46, s49, s46
	s_add_u32 s8, s8, s46
	s_addc_u32 s48, 0, s47
	s_add_u32 s8, s54, s8
	s_cselect_b64 s[46:47], -1, 0
	s_cmp_lg_u64 s[46:47], 0
	s_addc_u32 s46, s49, s48
	s_mul_i32 s48, s50, s46
	s_mul_hi_u32 s49, s50, s8
	s_mul_hi_u32 s47, s50, s46
	s_add_u32 s48, s49, s48
	s_addc_u32 s47, 0, s47
	s_mul_hi_u32 s51, s9, s8
	s_mul_i32 s8, s9, s8
	s_add_u32 s8, s48, s8
	s_mul_hi_u32 s49, s9, s46
	s_addc_u32 s8, s47, s51
	s_addc_u32 s47, s49, 0
	s_mul_i32 s46, s9, s46
	s_add_u32 s8, s8, s46
	s_addc_u32 s46, 0, s47
	s_mul_i32 s46, s80, s46
	s_mul_hi_u32 s47, s80, s8
	s_add_i32 s48, s47, s46
	s_mul_i32 s8, s80, s8
	s_sub_u32 s8, s50, s8
	s_cselect_b64 s[46:47], -1, 0
	s_cmp_lg_u64 s[46:47], 0
	s_subb_u32 s48, s9, s48
	s_sub_u32 s49, s8, s80
	s_cselect_b64 s[46:47], -1, 0
	s_cmp_lg_u64 s[46:47], 0
	s_subb_u32 s51, s48, 0
	;; [unrolled: 4-line block ×3, first 2 shown]
	s_cmp_ge_u32 s49, s80
	s_cselect_b32 s47, -1, 0
	s_cmp_eq_u32 s51, 0
	s_cselect_b32 s47, s47, -1
	s_cmp_lg_u32 s47, 0
	s_cselect_b32 s46, s46, s51
	s_cselect_b32 s49, s54, s49
	s_cmp_ge_u32 s8, s80
	s_cselect_b32 s47, -1, 0
	s_cmp_eq_u32 s48, 0
	s_cselect_b32 s47, s47, -1
	s_cmp_lg_u32 s47, 0
	s_cselect_b32 s47, s46, s48
	s_cselect_b32 s46, s49, s8
	s_cbranch_execnz .LBB101_225
.LBB101_224:                            ;   in Loop: Header=BB101_15 Depth=1
	v_cvt_f32_u32_e32 v5, s80
	s_sub_i32 s8, 0, s80
	v_rcp_iflag_f32_e32 v5, v5
	s_nop 0
	v_mul_f32_e32 v5, 0x4f7ffffe, v5
	v_cvt_u32_f32_e32 v5, v5
	s_nop 0
	v_readfirstlane_b32 s46, v5
	s_mul_i32 s8, s8, s46
	s_mul_hi_u32 s8, s46, s8
	s_add_i32 s46, s46, s8
	s_mul_hi_u32 s8, s50, s46
	s_mul_i32 s8, s8, s80
	s_sub_i32 s8, s50, s8
	s_sub_i32 s46, s8, s80
	s_cmp_ge_u32 s8, s80
	s_cselect_b32 s8, s46, s8
	s_sub_i32 s46, s8, s80
	s_cmp_ge_u32 s8, s80
	s_cselect_b32 s82, s46, s8
	s_mov_b64 s[46:47], s[82:83]
.LBB101_225:                            ;   in Loop: Header=BB101_15 Depth=1
	s_sub_u32 s50, s50, s46
	s_subb_u32 s51, s9, s47
	v_cmp_gt_u64_e32 vcc, s[50:51], v[0:1]
	s_mov_b64 s[46:47], 0
	s_mov_b64 s[8:9], 0
                                        ; implicit-def: $vgpr8_vgpr9
	s_and_saveexec_b64 s[48:49], vcc
	s_cbranch_execz .LBB101_236
; %bb.226:                              ;   in Loop: Header=BB101_15 Depth=1
	v_mov_b32_e32 v14, v37
	v_mov_b64_e32 v[10:11], v[0:1]
                                        ; implicit-def: $sgpr54_sgpr55
	s_branch .LBB101_229
.LBB101_227:                            ;   in Loop: Header=BB101_229 Depth=2
	s_or_b64 exec, exec, s[60:61]
	s_waitcnt lgkmcnt(0)
	s_barrier
	ds_read_b128 v[6:9], v3 offset:3072
	s_mov_b64 s[60:61], -1
	s_mov_b64 s[62:63], -1
	s_waitcnt lgkmcnt(0)
	s_barrier
	v_cmp_ne_u64_e32 vcc, 0, v[6:7]
	s_cbranch_vccz .LBB101_232
.LBB101_228:                            ;   in Loop: Header=BB101_229 Depth=2
	s_and_b64 s[60:61], exec, s[60:61]
	s_or_b64 s[8:9], s[60:61], s[8:9]
	s_andn2_b64 s[54:55], s[54:55], exec
	s_and_b64 s[60:61], s[62:63], exec
	s_or_b64 s[54:55], s[54:55], s[60:61]
	s_andn2_b64 exec, exec, s[8:9]
	s_cbranch_execz .LBB101_235
.LBB101_229:                            ;   Parent Loop BB101_15 Depth=1
                                        ; =>  This Inner Loop Header: Depth=2
	v_cmp_gt_u64_e32 vcc, s[26:27], v[10:11]
	s_and_saveexec_b64 s[60:61], vcc
	s_cbranch_execz .LBB101_227
; %bb.230:                              ;   in Loop: Header=BB101_229 Depth=2
	ds_read_b64 v[6:7], v14
	s_waitcnt lgkmcnt(0)
	v_xor_b32_e32 v5, 0x80000000, v7
	v_and_b32_e32 v9, v5, v27
	v_and_b32_e32 v8, v6, v26
	v_cmp_eq_u64_e32 vcc, v[8:9], v[24:25]
	s_and_b64 exec, exec, vcc
	s_cbranch_execz .LBB101_227
; %bb.231:                              ;   in Loop: Header=BB101_229 Depth=2
	v_mov_b32_e32 v5, v3
	ds_write_b128 v3, v[4:7] offset:3072
	s_branch .LBB101_227
.LBB101_232:                            ;   in Loop: Header=BB101_229 Depth=2
	v_lshl_add_u64 v[10:11], v[10:11], 0, s[80:81]
	v_cmp_le_u64_e32 vcc, s[50:51], v[10:11]
	v_add_u32_e32 v14, s64, v14
	s_mov_b64 s[62:63], 0
	s_orn2_b64 s[60:61], vcc, exec
	s_branch .LBB101_228
.LBB101_233:                            ;   in Loop: Header=BB101_15 Depth=1
                                        ; implicit-def: $sgpr42_sgpr43
	s_branch .LBB101_179
.LBB101_234:                            ;   in Loop: Header=BB101_15 Depth=1
                                        ; implicit-def: $sgpr26_sgpr27
	s_branch .LBB101_195
.LBB101_235:                            ;   in Loop: Header=BB101_15 Depth=1
	s_or_b64 exec, exec, s[8:9]
	s_and_b64 s[8:9], s[54:55], exec
.LBB101_236:                            ;   in Loop: Header=BB101_15 Depth=1
	s_or_b64 exec, exec, s[48:49]
.LBB101_237:                            ;   in Loop: Header=BB101_15 Depth=1
	s_and_b64 vcc, exec, s[46:47]
	s_cbranch_vccz .LBB101_251
; %bb.238:                              ;   in Loop: Header=BB101_15 Depth=1
	s_mov_b32 s88, s83
	s_cmp_lg_u64 s[88:89], 0
	s_cbranch_scc0 .LBB101_272
; %bb.239:                              ;   in Loop: Header=BB101_15 Depth=1
	v_cvt_f32_u32_e32 v5, s80
	s_sub_u32 s42, 0, s80
	s_subb_u32 s43, 0, 0
	v_fmac_f32_e32 v5, 0, v43
	v_rcp_f32_e32 v5, v5
	s_nop 0
	v_mul_f32_e32 v5, 0x5f7ffffc, v5
	v_mul_f32_e32 v6, 0x2f800000, v5
	v_trunc_f32_e32 v6, v6
	v_fmac_f32_e32 v5, 0xcf800000, v6
	v_cvt_u32_f32_e32 v6, v6
	v_cvt_u32_f32_e32 v5, v5
	v_readfirstlane_b32 s44, v6
	v_readfirstlane_b32 s26, v5
	s_mul_i32 s27, s42, s44
	s_mul_hi_u32 s46, s42, s26
	s_mul_i32 s45, s43, s26
	s_add_i32 s27, s46, s27
	s_mul_i32 s47, s42, s26
	s_add_i32 s27, s27, s45
	s_mul_hi_u32 s46, s26, s47
	s_mul_i32 s48, s26, s27
	s_mul_hi_u32 s45, s26, s27
	s_add_u32 s46, s46, s48
	s_addc_u32 s45, 0, s45
	s_mul_hi_u32 s49, s44, s47
	s_mul_i32 s47, s44, s47
	s_add_u32 s46, s46, s47
	s_mul_hi_u32 s48, s44, s27
	s_addc_u32 s45, s45, s49
	s_addc_u32 s46, s48, 0
	s_mul_i32 s27, s44, s27
	s_add_u32 s27, s45, s27
	s_addc_u32 s45, 0, s46
	s_add_u32 s46, s26, s27
	s_cselect_b64 s[26:27], -1, 0
	s_cmp_lg_u64 s[26:27], 0
	s_addc_u32 s44, s44, s45
	s_mul_i32 s26, s42, s44
	s_mul_hi_u32 s27, s42, s46
	s_add_i32 s26, s27, s26
	s_mul_i32 s43, s43, s46
	s_add_i32 s26, s26, s43
	s_mul_i32 s42, s42, s46
	s_mul_hi_u32 s43, s44, s42
	s_mul_i32 s45, s44, s42
	s_mul_i32 s48, s46, s26
	s_mul_hi_u32 s42, s46, s42
	s_mul_hi_u32 s47, s46, s26
	s_add_u32 s42, s42, s48
	s_addc_u32 s47, 0, s47
	s_add_u32 s42, s42, s45
	s_mul_hi_u32 s27, s44, s26
	s_addc_u32 s42, s47, s43
	s_addc_u32 s27, s27, 0
	s_mul_i32 s26, s44, s26
	s_add_u32 s26, s42, s26
	s_addc_u32 s42, 0, s27
	s_add_u32 s43, s46, s26
	s_cselect_b64 s[26:27], -1, 0
	s_cmp_lg_u64 s[26:27], 0
	s_addc_u32 s26, s44, s42
	s_mul_i32 s42, s10, s26
	s_mul_hi_u32 s44, s10, s43
	s_mul_hi_u32 s27, s10, s26
	s_add_u32 s42, s44, s42
	s_addc_u32 s27, 0, s27
	s_mul_hi_u32 s45, s89, s43
	s_mul_i32 s43, s89, s43
	s_add_u32 s42, s42, s43
	s_mul_hi_u32 s44, s89, s26
	s_addc_u32 s27, s27, s45
	s_addc_u32 s42, s44, 0
	s_mul_i32 s26, s89, s26
	s_add_u32 s26, s27, s26
	s_addc_u32 s27, 0, s42
	s_mul_i32 s27, s80, s27
	s_mul_hi_u32 s42, s80, s26
	s_add_i32 s42, s42, s27
	s_mul_i32 s26, s80, s26
	s_sub_u32 s43, s10, s26
	s_cselect_b64 s[26:27], -1, 0
	s_cmp_lg_u64 s[26:27], 0
	s_subb_u32 s42, s89, s42
	s_sub_u32 s44, s43, s80
	s_cselect_b64 s[26:27], -1, 0
	s_cmp_lg_u64 s[26:27], 0
	s_subb_u32 s45, s42, 0
	;; [unrolled: 4-line block ×3, first 2 shown]
	s_cmp_ge_u32 s44, s80
	s_cselect_b32 s27, -1, 0
	s_cmp_eq_u32 s45, 0
	s_cselect_b32 s27, s27, -1
	s_cmp_lg_u32 s27, 0
	s_cselect_b32 s26, s26, s45
	s_cselect_b32 s44, s46, s44
	s_cmp_ge_u32 s43, s80
	s_cselect_b32 s27, -1, 0
	s_cmp_eq_u32 s42, 0
	s_cselect_b32 s27, s27, -1
	s_cmp_lg_u32 s27, 0
	s_cselect_b32 s27, s26, s42
	s_cselect_b32 s26, s44, s43
	s_cbranch_execnz .LBB101_241
.LBB101_240:                            ;   in Loop: Header=BB101_15 Depth=1
	v_cvt_f32_u32_e32 v5, s80
	s_sub_i32 s26, 0, s80
	v_rcp_iflag_f32_e32 v5, v5
	s_nop 0
	v_mul_f32_e32 v5, 0x4f7ffffe, v5
	v_cvt_u32_f32_e32 v5, v5
	s_nop 0
	v_readfirstlane_b32 s27, v5
	s_mul_i32 s26, s26, s27
	s_mul_hi_u32 s26, s27, s26
	s_add_i32 s27, s27, s26
	s_mul_hi_u32 s26, s10, s27
	s_mul_i32 s26, s26, s80
	s_sub_i32 s26, s10, s26
	s_sub_i32 s27, s26, s80
	s_cmp_ge_u32 s26, s80
	s_cselect_b32 s26, s27, s26
	s_sub_i32 s27, s26, s80
	s_cmp_ge_u32 s26, s80
	s_cselect_b32 s82, s27, s26
	s_mov_b64 s[26:27], s[82:83]
.LBB101_241:                            ;   in Loop: Header=BB101_15 Depth=1
	s_sub_u32 s42, s10, s26
	s_subb_u32 s43, s89, s27
	v_cmp_gt_u64_e32 vcc, s[42:43], v[0:1]
                                        ; implicit-def: $vgpr8_vgpr9
	s_and_saveexec_b64 s[26:27], vcc
	s_cbranch_execz .LBB101_250
; %bb.242:                              ;   in Loop: Header=BB101_15 Depth=1
	s_mov_b64 s[44:45], 0
	v_mov_b64_e32 v[10:11], v[0:1]
                                        ; implicit-def: $sgpr46_sgpr47
	s_branch .LBB101_245
.LBB101_243:                            ;   in Loop: Header=BB101_245 Depth=2
	s_or_b64 exec, exec, s[48:49]
	s_waitcnt lgkmcnt(0)
	s_barrier
	ds_read_b128 v[6:9], v3 offset:3072
	s_mov_b64 s[48:49], -1
	s_mov_b64 s[50:51], -1
	s_waitcnt lgkmcnt(0)
	s_barrier
	v_cmp_eq_u64_e32 vcc, 0, v[6:7]
	s_cbranch_vccnz .LBB101_248
.LBB101_244:                            ;   in Loop: Header=BB101_245 Depth=2
	s_and_b64 s[48:49], exec, s[48:49]
	s_or_b64 s[44:45], s[48:49], s[44:45]
	s_andn2_b64 s[46:47], s[46:47], exec
	s_and_b64 s[48:49], s[50:51], exec
	s_or_b64 s[46:47], s[46:47], s[48:49]
	s_andn2_b64 exec, exec, s[44:45]
	s_cbranch_execz .LBB101_249
.LBB101_245:                            ;   Parent Loop BB101_15 Depth=1
                                        ; =>  This Inner Loop Header: Depth=2
	v_cmp_gt_u64_e32 vcc, s[52:53], v[10:11]
	s_and_saveexec_b64 s[48:49], vcc
	s_cbranch_execz .LBB101_243
; %bb.246:                              ;   in Loop: Header=BB101_245 Depth=2
	v_mul_lo_u32 v5, v11, s68
	v_mul_lo_u32 v8, v10, s69
	v_mad_u64_u32 v[6:7], s[50:51], v10, s68, 0
	v_add3_u32 v7, v7, v8, v5
	v_lshl_add_u64 v[6:7], v[6:7], 3, s[76:77]
	global_load_dwordx2 v[6:7], v[6:7], off
	s_waitcnt vmcnt(0)
	v_xor_b32_e32 v5, 0x80000000, v7
	v_and_b32_e32 v9, v5, v27
	v_and_b32_e32 v8, v6, v26
	v_cmp_eq_u64_e32 vcc, v[8:9], v[24:25]
	s_and_b64 exec, exec, vcc
	s_cbranch_execz .LBB101_243
; %bb.247:                              ;   in Loop: Header=BB101_245 Depth=2
	v_mov_b32_e32 v5, v3
	ds_write_b128 v3, v[4:7] offset:3072
	s_branch .LBB101_243
.LBB101_248:                            ;   in Loop: Header=BB101_245 Depth=2
	v_lshl_add_u64 v[10:11], v[10:11], 0, s[80:81]
	v_cmp_le_u64_e32 vcc, s[42:43], v[10:11]
	s_mov_b64 s[50:51], 0
	s_orn2_b64 s[48:49], vcc, exec
	s_branch .LBB101_244
.LBB101_249:                            ;   in Loop: Header=BB101_15 Depth=1
	s_or_b64 exec, exec, s[44:45]
	s_andn2_b64 s[8:9], s[8:9], exec
	s_and_b64 s[42:43], s[46:47], exec
	s_or_b64 s[8:9], s[8:9], s[42:43]
.LBB101_250:                            ;   in Loop: Header=BB101_15 Depth=1
	s_or_b64 exec, exec, s[26:27]
	s_mov_b64 s[42:43], 0
	s_mov_b64 s[44:45], -1
.LBB101_251:                            ;   in Loop: Header=BB101_15 Depth=1
	s_orn2_b64 s[26:27], s[8:9], exec
.LBB101_252:                            ;   in Loop: Header=BB101_15 Depth=1
	s_or_b64 exec, exec, s[40:41]
	s_mov_b64 s[40:41], 0
	s_and_saveexec_b64 s[8:9], s[26:27]
	s_cbranch_execz .LBB101_263
; %bb.253:                              ;   in Loop: Header=BB101_15 Depth=1
	s_xor_b64 s[26:27], s[22:23], -1
	v_mov_b64_e32 v[6:7], 1
	v_mov_b32_e32 v2, 1
	s_and_saveexec_b64 s[22:23], s[26:27]
	s_cbranch_execz .LBB101_262
; %bb.254:                              ;   in Loop: Header=BB101_15 Depth=1
	v_cmp_ge_u64_e32 vcc, s[2:3], v[12:13]
	s_and_saveexec_b64 s[26:27], vcc
	s_xor_b64 s[26:27], exec, s[26:27]
	s_cbranch_execz .LBB101_259
; %bb.255:                              ;   in Loop: Header=BB101_15 Depth=1
	ds_read_b64 v[6:7], v3 offset:5120
	v_or_b32_e32 v25, s13, v25
	v_or_b32_e32 v24, s12, v24
	;; [unrolled: 1-line block ×4, first 2 shown]
	s_waitcnt lgkmcnt(0)
	v_cmp_ne_u64_e32 vcc, 0, v[6:7]
	s_cbranch_vccnz .LBB101_259
; %bb.256:                              ;   in Loop: Header=BB101_15 Depth=1
	s_mov_b64 s[12:13], exec
	v_readlane_b32 s40, v58, 8
	v_readlane_b32 s41, v58, 9
	s_and_b64 s[40:41], s[12:13], s[40:41]
	s_mov_b64 exec, s[40:41]
; %bb.257:                              ;   in Loop: Header=BB101_15 Depth=1
	v_mov_b64_e32 v[6:7], s[2:3]
	ds_write_b64 v3, v[6:7] offset:5128
; %bb.258:                              ;   in Loop: Header=BB101_15 Depth=1
	s_or_b64 exec, exec, s[12:13]
	s_waitcnt lgkmcnt(0)
	s_barrier
.LBB101_259:                            ;   in Loop: Header=BB101_15 Depth=1
	s_andn2_saveexec_b64 s[12:13], s[26:27]
; %bb.260:                              ;   in Loop: Header=BB101_15 Depth=1
	v_mov_b32_e32 v2, s3
	v_subrev_co_u32_e32 v12, vcc, s2, v12
	s_nop 1
	v_subb_co_u32_e32 v13, vcc, v13, v2, vcc
; %bb.261:                              ;   in Loop: Header=BB101_15 Depth=1
	s_or_b64 exec, exec, s[12:13]
	v_mov_b32_e32 v2, 8
	v_mov_b64_e32 v[6:7], v[12:13]
.LBB101_262:                            ;   in Loop: Header=BB101_15 Depth=1
	s_or_b64 exec, exec, s[22:23]
	s_mov_b64 s[40:41], exec
	v_mov_b64_e32 v[12:13], v[6:7]
.LBB101_263:                            ;   in Loop: Header=BB101_15 Depth=1
	s_or_b64 exec, exec, s[8:9]
	s_orn2_b64 s[8:9], s[40:41], exec
.LBB101_264:                            ;   in Loop: Header=BB101_15 Depth=1
	s_or_b64 exec, exec, s[20:21]
	s_andn2_b64 s[2:3], s[36:37], exec
	s_and_b64 s[12:13], s[44:45], exec
	s_or_b64 s[36:37], s[2:3], s[12:13]
	s_andn2_b64 s[2:3], s[34:35], exec
	s_and_b64 s[12:13], s[42:43], exec
	s_or_b64 s[34:35], s[2:3], s[12:13]
	s_and_b64 s[26:27], s[8:9], exec
	v_mov_b64_e32 v[10:11], v[12:13]
.LBB101_265:                            ;   in Loop: Header=BB101_15 Depth=1
	s_or_b64 exec, exec, s[38:39]
	s_orn2_b64 s[8:9], s[26:27], exec
.LBB101_266:                            ;   in Loop: Header=BB101_15 Depth=1
	s_or_b64 exec, exec, s[30:31]
	s_andn2_b64 s[2:3], s[24:25], exec
	s_and_b64 s[12:13], s[36:37], exec
	s_or_b64 s[24:25], s[2:3], s[12:13]
	s_andn2_b64 s[0:1], s[0:1], exec
	s_and_b64 s[2:3], s[34:35], exec
	s_or_b64 s[0:1], s[0:1], s[2:3]
	s_and_b64 s[26:27], s[8:9], exec
	v_mov_b64_e32 v[14:15], v[10:11]
.LBB101_267:                            ;   in Loop: Header=BB101_15 Depth=1
	s_or_b64 exec, exec, s[28:29]
	s_orn2_b64 s[8:9], s[26:27], exec
.LBB101_268:                            ;   in Loop: Header=BB101_15 Depth=1
	s_or_b64 exec, exec, s[18:19]
	s_mov_b64 s[12:13], 0
	s_and_saveexec_b64 s[2:3], s[8:9]
	s_xor_b64 s[2:3], exec, s[2:3]
	s_cbranch_execz .LBB101_13
; %bb.269:                              ;   in Loop: Header=BB101_15 Depth=1
	v_and_b32_e32 v2, 7, v2
	v_cmp_eq_u32_e32 vcc, 0, v2
	s_mov_b64 s[8:9], -1
	s_mov_b64 s[12:13], -1
	s_and_saveexec_b64 s[16:17], vcc
	s_cbranch_execz .LBB101_12
; %bb.270:                              ;   in Loop: Header=BB101_15 Depth=1
	s_xor_b32 s65, s65, 1
	s_add_i32 s18, s33, -2
	s_cmp_eq_u32 s33, 0
	s_cselect_b64 s[8:9], -1, 0
	s_xor_b64 s[12:13], exec, -1
	s_orn2_b64 s[8:9], s[8:9], exec
	s_mov_b32 s33, s18
	s_branch .LBB101_12
.LBB101_271:                            ;   in Loop: Header=BB101_15 Depth=1
                                        ; implicit-def: $sgpr46_sgpr47
	s_branch .LBB101_224
.LBB101_272:                            ;   in Loop: Header=BB101_15 Depth=1
                                        ; implicit-def: $sgpr26_sgpr27
	s_branch .LBB101_240
.LBB101_273:
	s_or_b64 exec, exec, s[96:97]
	s_xor_b64 s[6:7], s[56:57], -1
	s_xor_b64 s[0:1], s[98:99], -1
	;; [unrolled: 1-line block ×3, first 2 shown]
	s_mov_b64 s[2:3], 0
	s_and_saveexec_b64 s[8:9], s[0:1]
	s_xor_b64 s[0:1], exec, s[8:9]
	s_cbranch_execnz .LBB101_278
; %bb.274:
	s_andn2_saveexec_b64 s[0:1], s[0:1]
	s_cbranch_execnz .LBB101_291
.LBB101_275:
	s_or_b64 exec, exec, s[0:1]
	s_and_saveexec_b64 s[0:1], s[2:3]
.LBB101_276:
	; divergent unreachable
.LBB101_277:
	s_endpgm
.LBB101_278:
	s_and_saveexec_b64 s[2:3], s[6:7]
	s_xor_b64 s[2:3], exec, s[2:3]
	s_cbranch_execz .LBB101_289
; %bb.279:
	s_and_saveexec_b64 s[6:7], s[4:5]
	s_xor_b64 s[4:5], exec, s[6:7]
; %bb.280:
	v_xor_b32_e32 v25, 0x80000000, v25
	v_mov_b64_e32 v[8:9], v[24:25]
; %bb.281:
	s_or_b64 exec, exec, s[4:5]
	v_readlane_b32 s6, v58, 4
	v_readlane_b32 s4, v58, 2
	v_readlane_b32 s7, v58, 5
	v_readlane_b32 s5, v58, 3
	s_mov_b32 s8, s4
	s_mul_i32 s4, s4, s7
	s_mul_hi_u32 s5, s8, s6
	s_add_i32 s5, s5, s4
	s_mul_i32 s4, s8, s6
	v_readlane_b32 s18, v58, 22
	v_readlane_b32 s12, v58, 18
	s_sub_u32 s4, s18, s4
	v_readlane_b32 s14, v58, 20
	v_readlane_b32 s15, v58, 21
	s_subb_u32 s5, 0, s5
	s_mul_i32 s6, s4, s15
	s_mul_hi_u32 s7, s4, s14
	v_readlane_b32 s13, v58, 19
	s_add_i32 s6, s7, s6
	s_mul_i32 s5, s5, s14
	s_add_i32 s5, s6, s5
	s_mul_i32 s6, s8, s13
	s_mul_hi_u32 s7, s8, s12
	s_add_i32 s7, s7, s6
	s_mul_i32 s6, s8, s12
	s_lshl_b64 s[6:7], s[6:7], 3
	v_readlane_b32 s8, v58, 12
	s_mul_i32 s4, s4, s14
	v_readlane_b32 s9, v58, 13
	s_add_u32 s6, s8, s6
	s_addc_u32 s7, s9, s7
	s_lshl_b64 s[4:5], s[4:5], 3
	s_add_u32 s4, s6, s4
	s_addc_u32 s5, s7, s5
	v_mov_b32_e32 v2, 0
	v_readlane_b32 s19, v58, 23
	global_store_dwordx2 v2, v[8:9], s[4:5]
	s_mov_b64 s[4:5], exec
	v_readlane_b32 s6, v58, 24
	v_readlane_b32 s7, v58, 25
	s_and_b64 s[6:7], s[4:5], s[6:7]
	s_mov_b64 exec, s[6:7]
	s_cbranch_execz .LBB101_288
; %bb.282:
	s_mov_b64 s[6:7], 0
                                        ; implicit-def: $sgpr8_sgpr9
                                        ; implicit-def: $sgpr12_sgpr13
                                        ; implicit-def: $sgpr10_sgpr11
	s_branch .LBB101_284
.LBB101_283:                            ;   in Loop: Header=BB101_284 Depth=1
	s_or_b64 exec, exec, s[14:15]
	s_and_b64 s[14:15], exec, s[12:13]
	s_or_b64 s[6:7], s[14:15], s[6:7]
	s_andn2_b64 s[8:9], s[8:9], exec
	s_and_b64 s[14:15], s[10:11], exec
	s_or_b64 s[8:9], s[8:9], s[14:15]
	s_andn2_b64 exec, exec, s[6:7]
	s_cbranch_execz .LBB101_286
.LBB101_284:                            ; =>This Inner Loop Header: Depth=1
	v_mov_b64_e32 v[2:3], v[0:1]
	v_mul_lo_u32 v4, v3, s68
	v_mul_lo_u32 v5, v2, s69
	v_mad_u64_u32 v[0:1], s[14:15], v2, s68, 0
	v_add3_u32 v1, v1, v5, v4
	v_lshl_add_u64 v[0:1], v[0:1], 3, s[76:77]
	global_load_dwordx2 v[0:1], v[0:1], off
	s_or_b64 s[10:11], s[10:11], exec
	s_or_b64 s[12:13], s[12:13], exec
	s_waitcnt vmcnt(0)
	v_cmp_ne_u64_e32 vcc, v[0:1], v[8:9]
                                        ; implicit-def: $vgpr0_vgpr1
	s_and_saveexec_b64 s[14:15], vcc
	s_cbranch_execz .LBB101_283
; %bb.285:                              ;   in Loop: Header=BB101_284 Depth=1
	v_lshl_add_u64 v[0:1], v[2:3], 0, s[80:81]
	v_cmp_le_u64_e32 vcc, s[52:53], v[0:1]
	s_andn2_b64 s[12:13], s[12:13], exec
	s_and_b64 s[16:17], vcc, exec
	s_andn2_b64 s[10:11], s[10:11], exec
	s_or_b64 s[12:13], s[12:13], s[16:17]
	s_branch .LBB101_283
.LBB101_286:
	s_or_b64 exec, exec, s[6:7]
	s_and_saveexec_b64 s[6:7], s[8:9]
	s_xor_b64 s[6:7], exec, s[6:7]
	s_cbranch_execz .LBB101_288
; %bb.287:
	v_readlane_b32 s8, v58, 6
	v_readlane_b32 s6, v58, 0
	;; [unrolled: 1-line block ×4, first 2 shown]
	s_mov_b32 s10, s6
	s_mul_i32 s6, s6, s9
	s_mul_hi_u32 s7, s10, s8
	s_add_i32 s7, s7, s6
	s_mul_i32 s6, s10, s8
	v_readlane_b32 s12, v58, 14
	s_sub_u32 s6, s18, s6
	v_readlane_b32 s14, v58, 16
	v_readlane_b32 s15, v58, 17
	s_subb_u32 s7, 0, s7
	s_mul_i32 s8, s6, s15
	s_mul_hi_u32 s9, s6, s14
	v_readlane_b32 s13, v58, 15
	s_add_i32 s8, s9, s8
	s_mul_i32 s7, s7, s14
	s_add_i32 s7, s8, s7
	s_mul_i32 s8, s10, s13
	s_mul_hi_u32 s9, s10, s12
	s_add_i32 s9, s9, s8
	s_mul_i32 s8, s10, s12
	s_lshl_b64 s[8:9], s[8:9], 3
	v_readlane_b32 s10, v58, 10
	s_mul_i32 s6, s6, s14
	v_readlane_b32 s11, v58, 11
	s_add_u32 s8, s10, s8
	s_addc_u32 s9, s11, s9
	s_lshl_b64 s[6:7], s[6:7], 3
	s_add_u32 s6, s8, s6
	s_addc_u32 s7, s9, s7
	v_mov_b32_e32 v0, 0
	global_store_dwordx2 v0, v[2:3], s[6:7]
.LBB101_288:
	s_or_b64 exec, exec, s[4:5]
.LBB101_289:
	s_or_saveexec_b64 s[2:3], s[2:3]
	s_mov_b64 s[4:5], 0
	s_xor_b64 exec, exec, s[2:3]
	s_cbranch_execnz .LBB101_292
.LBB101_290:
	s_or_b64 exec, exec, s[2:3]
	s_and_b64 s[2:3], s[4:5], exec
	s_andn2_saveexec_b64 s[0:1], s[0:1]
	s_cbranch_execz .LBB101_275
.LBB101_291:
	s_or_b64 s[2:3], s[2:3], exec
	s_trap 2
	s_or_b64 exec, exec, s[0:1]
	s_and_saveexec_b64 s[0:1], s[2:3]
	s_cbranch_execnz .LBB101_276
	s_branch .LBB101_277
.LBB101_292:
	s_mov_b64 s[4:5], exec
	s_trap 2
	s_branch .LBB101_290
	.section	.rodata,"a",@progbits
	.p2align	6, 0x0
	.amdhsa_kernel _ZN2at6native12_GLOBAL__N_112gatherMedianIlmLi2EEEvNS_4cuda6detail10TensorInfoIT_T0_EENS5_IlS7_EENS5_IKS6_S7_EES7_S7_S7_b
		.amdhsa_group_segment_fixed_size 5152
		.amdhsa_private_segment_fixed_size 0
		.amdhsa_kernarg_size 1536
		.amdhsa_user_sgpr_count 2
		.amdhsa_user_sgpr_dispatch_ptr 0
		.amdhsa_user_sgpr_queue_ptr 0
		.amdhsa_user_sgpr_kernarg_segment_ptr 1
		.amdhsa_user_sgpr_dispatch_id 0
		.amdhsa_user_sgpr_kernarg_preload_length 0
		.amdhsa_user_sgpr_kernarg_preload_offset 0
		.amdhsa_user_sgpr_private_segment_size 0
		.amdhsa_uses_dynamic_stack 0
		.amdhsa_enable_private_segment 0
		.amdhsa_system_sgpr_workgroup_id_x 1
		.amdhsa_system_sgpr_workgroup_id_y 1
		.amdhsa_system_sgpr_workgroup_id_z 1
		.amdhsa_system_sgpr_workgroup_info 0
		.amdhsa_system_vgpr_workitem_id 0
		.amdhsa_next_free_vgpr 59
		.amdhsa_next_free_sgpr 100
		.amdhsa_accum_offset 60
		.amdhsa_reserve_vcc 1
		.amdhsa_float_round_mode_32 0
		.amdhsa_float_round_mode_16_64 0
		.amdhsa_float_denorm_mode_32 3
		.amdhsa_float_denorm_mode_16_64 3
		.amdhsa_dx10_clamp 1
		.amdhsa_ieee_mode 1
		.amdhsa_fp16_overflow 0
		.amdhsa_tg_split 0
		.amdhsa_exception_fp_ieee_invalid_op 0
		.amdhsa_exception_fp_denorm_src 0
		.amdhsa_exception_fp_ieee_div_zero 0
		.amdhsa_exception_fp_ieee_overflow 0
		.amdhsa_exception_fp_ieee_underflow 0
		.amdhsa_exception_fp_ieee_inexact 0
		.amdhsa_exception_int_div_zero 0
	.end_amdhsa_kernel
	.section	.text._ZN2at6native12_GLOBAL__N_112gatherMedianIlmLi2EEEvNS_4cuda6detail10TensorInfoIT_T0_EENS5_IlS7_EENS5_IKS6_S7_EES7_S7_S7_b,"axG",@progbits,_ZN2at6native12_GLOBAL__N_112gatherMedianIlmLi2EEEvNS_4cuda6detail10TensorInfoIT_T0_EENS5_IlS7_EENS5_IKS6_S7_EES7_S7_S7_b,comdat
.Lfunc_end101:
	.size	_ZN2at6native12_GLOBAL__N_112gatherMedianIlmLi2EEEvNS_4cuda6detail10TensorInfoIT_T0_EENS5_IlS7_EENS5_IKS6_S7_EES7_S7_S7_b, .Lfunc_end101-_ZN2at6native12_GLOBAL__N_112gatherMedianIlmLi2EEEvNS_4cuda6detail10TensorInfoIT_T0_EENS5_IlS7_EENS5_IKS6_S7_EES7_S7_S7_b
                                        ; -- End function
	.set _ZN2at6native12_GLOBAL__N_112gatherMedianIlmLi2EEEvNS_4cuda6detail10TensorInfoIT_T0_EENS5_IlS7_EENS5_IKS6_S7_EES7_S7_S7_b.num_vgpr, 59
	.set _ZN2at6native12_GLOBAL__N_112gatherMedianIlmLi2EEEvNS_4cuda6detail10TensorInfoIT_T0_EENS5_IlS7_EENS5_IKS6_S7_EES7_S7_S7_b.num_agpr, 0
	.set _ZN2at6native12_GLOBAL__N_112gatherMedianIlmLi2EEEvNS_4cuda6detail10TensorInfoIT_T0_EENS5_IlS7_EENS5_IKS6_S7_EES7_S7_S7_b.numbered_sgpr, 100
	.set _ZN2at6native12_GLOBAL__N_112gatherMedianIlmLi2EEEvNS_4cuda6detail10TensorInfoIT_T0_EENS5_IlS7_EENS5_IKS6_S7_EES7_S7_S7_b.num_named_barrier, 0
	.set _ZN2at6native12_GLOBAL__N_112gatherMedianIlmLi2EEEvNS_4cuda6detail10TensorInfoIT_T0_EENS5_IlS7_EENS5_IKS6_S7_EES7_S7_S7_b.private_seg_size, 0
	.set _ZN2at6native12_GLOBAL__N_112gatherMedianIlmLi2EEEvNS_4cuda6detail10TensorInfoIT_T0_EENS5_IlS7_EENS5_IKS6_S7_EES7_S7_S7_b.uses_vcc, 1
	.set _ZN2at6native12_GLOBAL__N_112gatherMedianIlmLi2EEEvNS_4cuda6detail10TensorInfoIT_T0_EENS5_IlS7_EENS5_IKS6_S7_EES7_S7_S7_b.uses_flat_scratch, 0
	.set _ZN2at6native12_GLOBAL__N_112gatherMedianIlmLi2EEEvNS_4cuda6detail10TensorInfoIT_T0_EENS5_IlS7_EENS5_IKS6_S7_EES7_S7_S7_b.has_dyn_sized_stack, 0
	.set _ZN2at6native12_GLOBAL__N_112gatherMedianIlmLi2EEEvNS_4cuda6detail10TensorInfoIT_T0_EENS5_IlS7_EENS5_IKS6_S7_EES7_S7_S7_b.has_recursion, 0
	.set _ZN2at6native12_GLOBAL__N_112gatherMedianIlmLi2EEEvNS_4cuda6detail10TensorInfoIT_T0_EENS5_IlS7_EENS5_IKS6_S7_EES7_S7_S7_b.has_indirect_call, 0
	.section	.AMDGPU.csdata,"",@progbits
; Kernel info:
; codeLenInByte = 15028
; TotalNumSgprs: 106
; NumVgprs: 59
; NumAgprs: 0
; TotalNumVgprs: 59
; ScratchSize: 0
; MemoryBound: 0
; FloatMode: 240
; IeeeMode: 1
; LDSByteSize: 5152 bytes/workgroup (compile time only)
; SGPRBlocks: 13
; VGPRBlocks: 7
; NumSGPRsForWavesPerEU: 106
; NumVGPRsForWavesPerEU: 59
; AccumOffset: 60
; Occupancy: 7
; WaveLimiterHint : 1
; COMPUTE_PGM_RSRC2:SCRATCH_EN: 0
; COMPUTE_PGM_RSRC2:USER_SGPR: 2
; COMPUTE_PGM_RSRC2:TRAP_HANDLER: 0
; COMPUTE_PGM_RSRC2:TGID_X_EN: 1
; COMPUTE_PGM_RSRC2:TGID_Y_EN: 1
; COMPUTE_PGM_RSRC2:TGID_Z_EN: 1
; COMPUTE_PGM_RSRC2:TIDIG_COMP_CNT: 0
; COMPUTE_PGM_RSRC3_GFX90A:ACCUM_OFFSET: 14
; COMPUTE_PGM_RSRC3_GFX90A:TG_SPLIT: 0
	.section	.text._ZN2at6native12_GLOBAL__N_112gatherMedianIlmLi3EEEvNS_4cuda6detail10TensorInfoIT_T0_EENS5_IlS7_EENS5_IKS6_S7_EES7_S7_S7_b,"axG",@progbits,_ZN2at6native12_GLOBAL__N_112gatherMedianIlmLi3EEEvNS_4cuda6detail10TensorInfoIT_T0_EENS5_IlS7_EENS5_IKS6_S7_EES7_S7_S7_b,comdat
	.globl	_ZN2at6native12_GLOBAL__N_112gatherMedianIlmLi3EEEvNS_4cuda6detail10TensorInfoIT_T0_EENS5_IlS7_EENS5_IKS6_S7_EES7_S7_S7_b ; -- Begin function _ZN2at6native12_GLOBAL__N_112gatherMedianIlmLi3EEEvNS_4cuda6detail10TensorInfoIT_T0_EENS5_IlS7_EENS5_IKS6_S7_EES7_S7_S7_b
	.p2align	8
	.type	_ZN2at6native12_GLOBAL__N_112gatherMedianIlmLi3EEEvNS_4cuda6detail10TensorInfoIT_T0_EENS5_IlS7_EENS5_IKS6_S7_EES7_S7_S7_b,@function
_ZN2at6native12_GLOBAL__N_112gatherMedianIlmLi3EEEvNS_4cuda6detail10TensorInfoIT_T0_EENS5_IlS7_EENS5_IKS6_S7_EES7_S7_S7_b: ; @_ZN2at6native12_GLOBAL__N_112gatherMedianIlmLi3EEEvNS_4cuda6detail10TensorInfoIT_T0_EENS5_IlS7_EENS5_IKS6_S7_EES7_S7_S7_b
; %bb.0:
	s_load_dwordx2 s[16:17], s[0:1], 0x500
	s_load_dwordx4 s[52:55], s[0:1], 0x4e0
	s_add_u32 s18, s0, 0x500
	s_addc_u32 s19, s1, 0
	s_mov_b32 s31, 0
	s_waitcnt lgkmcnt(0)
	s_mul_i32 s4, s17, s4
	s_add_i32 s3, s4, s3
	s_mul_i32 s3, s3, s16
	s_add_i32 s30, s3, s2
	v_mov_b64_e32 v[2:3], s[30:31]
	v_cmp_le_u64_e32 vcc, s[54:55], v[2:3]
	s_cbranch_vccnz .LBB102_283
; %bb.1:
	s_load_dwordx4 s[4:7], s[0:1], 0x10
	s_mov_b64 s[8:9], 0
                                        ; implicit-def: $vgpr58 : SGPR spill to VGPR lane
	v_writelane_b32 v58, s8, 0
	s_waitcnt lgkmcnt(0)
	v_mov_b64_e32 v[2:3], s[6:7]
	v_writelane_b32 v58, s9, 1
	v_writelane_b32 v58, s4, 2
	v_cmp_lt_u64_e32 vcc, s[30:31], v[2:3]
	s_and_b64 vcc, exec, vcc
	v_writelane_b32 v58, s5, 3
	s_mov_b64 s[8:9], 0
	v_writelane_b32 v58, s6, 4
	v_writelane_b32 v58, s7, 5
	s_cbranch_vccnz .LBB102_3
; %bb.2:
	v_cvt_f32_u32_e32 v1, s6
	s_sub_i32 s3, 0, s6
	s_load_dwordx4 s[8:11], s[0:1], 0x10
	v_rcp_iflag_f32_e32 v1, v1
	s_nop 0
	v_mul_f32_e32 v1, 0x4f7ffffe, v1
	v_cvt_u32_f32_e32 v1, v1
	s_nop 0
	v_readfirstlane_b32 s4, v1
	s_mul_i32 s3, s3, s4
	s_mul_hi_u32 s3, s4, s3
	s_add_i32 s4, s4, s3
	s_mul_hi_u32 s3, s30, s4
	s_waitcnt lgkmcnt(0)
	s_mul_i32 s5, s3, s10
	s_load_dwordx4 s[8:11], s[0:1], 0x10
	s_sub_i32 s5, s30, s5
	s_add_i32 s4, s3, 1
	s_waitcnt lgkmcnt(0)
	s_sub_i32 s6, s5, s10
	s_load_dwordx4 s[8:11], s[0:1], 0x10
	s_waitcnt lgkmcnt(0)
	s_cmp_ge_u32 s5, s10
	s_load_dwordx4 s[8:11], s[0:1], 0x10
	s_cselect_b32 s3, s4, s3
	s_cselect_b32 s5, s6, s5
	s_add_i32 s4, s3, 1
	s_waitcnt lgkmcnt(0)
	s_mov_b32 s9, 0
	s_cmp_ge_u32 s5, s10
	s_cselect_b32 s8, s4, s3
	s_load_dwordx4 s[4:7], s[0:1], 0x10
.LBB102_3:
	s_waitcnt lgkmcnt(0)
	s_mov_b64 s[6:7], s[8:9]
	s_load_dwordx4 s[8:11], s[0:1], 0x1b0
	v_writelane_b32 v58, s6, 6
	v_mov_b64_e32 v[2:3], s[4:5]
	s_nop 0
	v_writelane_b32 v58, s7, 7
	s_waitcnt lgkmcnt(0)
	v_writelane_b32 v58, s8, 8
	v_cmp_lt_u64_e32 vcc, s[6:7], v[2:3]
	s_nop 0
	v_writelane_b32 v58, s9, 9
	v_writelane_b32 v58, s10, 10
	;; [unrolled: 1-line block ×3, first 2 shown]
	s_cbranch_vccnz .LBB102_5
; %bb.4:
	s_load_dwordx4 s[4:7], s[0:1], 0x10
	s_waitcnt lgkmcnt(0)
	s_mov_b64 s[10:11], s[6:7]
	s_mov_b64 s[8:9], s[4:5]
	v_cvt_f32_u32_e32 v1, s8
	s_sub_i32 s3, 0, s8
	v_readlane_b32 s6, v58, 6
	v_readlane_b32 s7, v58, 7
	v_rcp_iflag_f32_e32 v1, v1
	s_nop 0
	v_mul_f32_e32 v1, 0x4f7ffffe, v1
	v_cvt_u32_f32_e32 v1, v1
	s_nop 0
	v_readfirstlane_b32 s4, v1
	s_mul_i32 s3, s3, s4
	s_mul_hi_u32 s3, s4, s3
	s_add_i32 s4, s4, s3
	s_mul_hi_u32 s3, s6, s4
	s_mul_i32 s5, s3, s8
	s_sub_i32 s5, s6, s5
	s_add_i32 s4, s3, 1
	s_sub_i32 s6, s5, s8
	s_cmp_ge_u32 s5, s8
	s_cselect_b32 s3, s4, s3
	s_cselect_b32 s5, s6, s5
	s_add_i32 s4, s3, 1
	s_cmp_ge_u32 s5, s8
	s_load_dwordx4 s[8:11], s[0:1], 0x1b0
	s_cselect_b32 s4, s4, s3
	v_writelane_b32 v58, s4, 0
	s_nop 1
	v_writelane_b32 v58, s5, 1
.LBB102_5:
	s_waitcnt lgkmcnt(0)
	v_mov_b64_e32 v[2:3], s[10:11]
	v_cmp_lt_u64_e32 vcc, s[30:31], v[2:3]
	s_mov_b64 s[14:15], 0
	s_mov_b64 s[12:13], 0
	s_cbranch_vccnz .LBB102_7
; %bb.6:
	v_cvt_f32_u32_e32 v1, s10
	s_sub_i32 s3, 0, s10
	s_mov_b32 s13, 0
	v_rcp_iflag_f32_e32 v1, v1
	s_nop 0
	v_mul_f32_e32 v1, 0x4f7ffffe, v1
	v_cvt_u32_f32_e32 v1, v1
	s_nop 0
	v_readfirstlane_b32 s4, v1
	s_mul_i32 s3, s3, s4
	s_mul_hi_u32 s3, s4, s3
	s_add_i32 s4, s4, s3
	s_mul_hi_u32 s3, s30, s4
	s_mul_i32 s5, s3, s10
	s_sub_i32 s5, s30, s5
	s_add_i32 s4, s3, 1
	s_sub_i32 s6, s5, s10
	s_cmp_ge_u32 s5, s10
	s_cselect_b32 s3, s4, s3
	s_cselect_b32 s5, s6, s5
	s_add_i32 s4, s3, 1
	s_cmp_ge_u32 s5, s10
	s_cselect_b32 s12, s4, s3
.LBB102_7:
	s_load_dwordx4 s[4:7], s[0:1], 0x350
	v_mov_b64_e32 v[2:3], s[8:9]
	v_writelane_b32 v58, s12, 12
	s_nop 1
	v_cmp_lt_u64_e32 vcc, s[12:13], v[2:3]
	v_writelane_b32 v58, s13, 13
	s_cbranch_vccnz .LBB102_9
; %bb.8:
	s_load_dwordx4 s[8:11], s[0:1], 0x1b0
	s_waitcnt lgkmcnt(0)
	s_mov_b64 s[14:15], s[10:11]
	s_mov_b64 s[12:13], s[8:9]
	v_cvt_f32_u32_e32 v1, s12
	s_sub_i32 s3, 0, s12
	v_readlane_b32 s10, v58, 12
	v_readlane_b32 s11, v58, 13
	v_rcp_iflag_f32_e32 v1, v1
	s_nop 0
	v_mul_f32_e32 v1, 0x4f7ffffe, v1
	v_cvt_u32_f32_e32 v1, v1
	s_nop 0
	v_readfirstlane_b32 s8, v1
	s_mul_i32 s3, s3, s8
	s_mul_hi_u32 s3, s8, s3
	s_add_i32 s8, s8, s3
	s_mul_hi_u32 s3, s10, s8
	s_mul_i32 s9, s3, s12
	s_sub_i32 s9, s10, s9
	s_add_i32 s8, s3, 1
	s_sub_i32 s10, s9, s12
	s_cmp_ge_u32 s9, s12
	s_cselect_b32 s3, s8, s3
	s_cselect_b32 s9, s10, s9
	s_add_i32 s8, s3, 1
	s_cmp_ge_u32 s9, s12
	s_cselect_b32 s14, s8, s3
.LBB102_9:
	s_load_dwordx2 s[80:81], s[0:1], 0x4f0
	s_waitcnt lgkmcnt(0)
	v_mov_b64_e32 v[2:3], s[6:7]
	v_cmp_lt_u64_e32 vcc, s[30:31], v[2:3]
	v_writelane_b32 v58, s14, 14
	s_mov_b64 s[8:9], 0
	s_mov_b64 s[20:21], 0
	v_writelane_b32 v58, s15, 15
	s_cbranch_vccnz .LBB102_11
; %bb.10:
	v_cvt_f32_u32_e32 v1, s6
	s_sub_i32 s3, 0, s6
	s_mov_b32 s21, 0
	v_rcp_iflag_f32_e32 v1, v1
	s_nop 0
	v_mul_f32_e32 v1, 0x4f7ffffe, v1
	v_cvt_u32_f32_e32 v1, v1
	s_nop 0
	v_readfirstlane_b32 s9, v1
	s_mul_i32 s3, s3, s9
	s_mul_hi_u32 s3, s9, s3
	s_add_i32 s9, s9, s3
	s_mul_hi_u32 s3, s30, s9
	s_mul_i32 s10, s3, s6
	s_sub_i32 s10, s30, s10
	s_add_i32 s9, s3, 1
	s_sub_i32 s11, s10, s6
	s_cmp_ge_u32 s10, s6
	s_cselect_b32 s3, s9, s3
	s_cselect_b32 s10, s11, s10
	s_add_i32 s9, s3, 1
	s_cmp_ge_u32 s10, s6
	s_cselect_b32 s20, s9, s3
.LBB102_11:
	s_load_dwordx2 s[22:23], s[0:1], 0x420
	s_load_dwordx4 s[12:15], s[0:1], 0x410
	v_mov_b64_e32 v[2:3], s[4:5]
	v_cmp_lt_u64_e32 vcc, s[20:21], v[2:3]
	s_cbranch_vccnz .LBB102_13
; %bb.12:
	v_cvt_f32_u32_e32 v1, s4
	s_sub_i32 s3, 0, s4
	v_rcp_iflag_f32_e32 v1, v1
	s_nop 0
	v_mul_f32_e32 v1, 0x4f7ffffe, v1
	v_cvt_u32_f32_e32 v1, v1
	s_nop 0
	v_readfirstlane_b32 s8, v1
	s_mul_i32 s3, s3, s8
	s_mul_hi_u32 s3, s8, s3
	s_add_i32 s8, s8, s3
	s_mul_hi_u32 s3, s20, s8
	s_mul_i32 s9, s3, s4
	s_sub_i32 s9, s20, s9
	s_add_i32 s8, s3, 1
	s_sub_i32 s10, s9, s4
	s_cmp_ge_u32 s9, s4
	s_cselect_b32 s3, s8, s3
	s_cselect_b32 s9, s10, s9
	s_add_i32 s8, s3, 1
	s_cmp_ge_u32 s9, s4
	s_cselect_b32 s8, s8, s3
.LBB102_13:
	s_load_dwordx2 s[10:11], s[0:1], 0x280
	s_load_dwordx4 s[24:27], s[0:1], 0x270
	s_waitcnt lgkmcnt(0)
	v_writelane_b32 v58, s10, 16
	s_nop 1
	v_writelane_b32 v58, s11, 17
	v_writelane_b32 v58, s24, 18
	s_load_dwordx2 s[10:11], s[0:1], 0xe0
	s_nop 0
	v_writelane_b32 v58, s25, 19
	v_writelane_b32 v58, s26, 20
	;; [unrolled: 1-line block ×3, first 2 shown]
	s_load_dwordx4 s[24:27], s[0:1], 0xd0
	s_waitcnt lgkmcnt(0)
	v_writelane_b32 v58, s10, 22
	s_nop 1
	v_writelane_b32 v58, s11, 23
	v_writelane_b32 v58, s24, 24
	v_cmp_eq_u32_e64 s[10:11], 0, v0
	s_nop 0
	v_writelane_b32 v58, s25, 25
	v_writelane_b32 v58, s26, 26
	;; [unrolled: 1-line block ×3, first 2 shown]
	s_load_dwordx2 s[26:27], s[0:1], 0x340
	s_mov_b64 s[24:25], exec
	v_writelane_b32 v58, s10, 28
	s_nop 1
	v_writelane_b32 v58, s11, 29
	s_and_b64 s[10:11], s[24:25], s[10:11]
	s_mov_b64 exec, s[10:11]
; %bb.14:
	v_mov_b32_e32 v2, 0
	v_mov_b32_e32 v3, v2
	ds_write_b64 v2, v[2:3] offset:5136
; %bb.15:
	s_or_b64 exec, exec, s[24:25]
	s_load_dwordx2 s[10:11], s[0:1], 0x1a0
	v_mov_b32_e32 v3, 0
	s_waitcnt lgkmcnt(0)
	s_barrier
	v_writelane_b32 v58, s10, 30
	s_barrier
	ds_read_b64 v[4:5], v3 offset:5136
	v_writelane_b32 v58, s11, 31
	s_load_dwordx2 s[10:11], s[0:1], 0x0
	s_waitcnt lgkmcnt(0)
	v_readfirstlane_b32 s24, v4
	v_readfirstlane_b32 s25, v5
	v_writelane_b32 v58, s10, 32
	s_nop 1
	v_writelane_b32 v58, s11, 33
	s_mov_b64 s[28:29], exec
	v_readlane_b32 s10, v58, 28
	v_readlane_b32 s11, v58, 29
	s_and_b64 s[10:11], s[28:29], s[10:11]
	s_mov_b64 exec, s[10:11]
	s_cbranch_execz .LBB102_17
; %bb.16:
	v_mov_b32_e32 v4, s52
	v_mov_b32_e32 v5, s53
	;; [unrolled: 1-line block ×3, first 2 shown]
	ds_write_b32 v3, v3 offset:5144
	ds_write_b128 v3, v[2:5] offset:5120
.LBB102_17:
	s_or_b64 exec, exec, s[28:29]
	s_load_dword s3, s[0:1], 0x4f8
	v_cmp_lt_i64_e64 s[0:1], s[24:25], 1
	s_mul_i32 s7, s20, s7
	v_mov_b32_e32 v1, v3
	v_mbcnt_lo_u32_b32 v2, -1, 0
	s_waitcnt lgkmcnt(0)
	s_bitcmp1_b32 s3, 0
	s_cselect_b64 s[10:11], -1, 0
	s_not_b64 s[24:25], s[24:25]
	s_or_b64 s[0:1], s[10:11], s[0:1]
	s_add_u32 s10, s52, s24
	s_addc_u32 s11, s53, s25
	s_lshr_b64 s[10:11], s[10:11], 1
	s_add_u32 s3, s10, 1
	s_addc_u32 s9, s11, 0
	s_and_b64 s[0:1], s[0:1], exec
	s_mul_hi_u32 s0, s20, s6
	s_cselect_b32 s25, s9, s53
	s_cselect_b32 s24, s3, s52
	s_add_i32 s0, s0, s7
	s_mul_i32 s1, s20, s6
	s_mov_b32 s6, s30
	v_writelane_b32 v58, s6, 34
	s_sub_u32 s3, s30, s1
	s_subb_u32 s0, 0, s0
	v_writelane_b32 v58, s7, 35
	s_mul_i32 s1, s3, s23
	s_mul_hi_u32 s6, s3, s22
	s_add_i32 s1, s6, s1
	s_mul_i32 s0, s0, s22
	s_add_i32 s1, s1, s0
	s_mul_i32 s0, s3, s22
	s_mul_i32 s3, s8, s5
	s_mul_hi_u32 s5, s8, s4
	s_add_i32 s5, s5, s3
	s_mul_i32 s3, s8, s4
	s_sub_u32 s3, s20, s3
	s_subb_u32 s4, s21, s5
	s_mul_i32 s5, s3, s15
	s_mul_hi_u32 s6, s3, s14
	s_add_i32 s5, s6, s5
	s_mul_i32 s4, s4, s14
	s_add_i32 s5, s5, s4
	s_mul_i32 s4, s3, s14
	s_mul_i32 s3, s8, s13
	s_mul_hi_u32 s6, s8, s12
	s_add_i32 s7, s6, s3
	s_mul_i32 s6, s8, s12
	s_lshl_b64 s[6:7], s[6:7], 3
	s_add_u32 s3, s26, s6
	s_addc_u32 s6, s27, s7
	s_lshl_b64 s[4:5], s[4:5], 3
	s_add_u32 s3, s3, s4
	s_addc_u32 s4, s6, s5
	;; [unrolled: 3-line block ×3, first 2 shown]
	v_cmp_gt_u64_e64 s[0:1], s[52:53], v[0:1]
	v_mbcnt_hi_u32_b32 v36, -1, v2
	v_cmp_gt_u32_e32 vcc, 64, v0
	v_writelane_b32 v58, s0, 36
	v_mov_b64_e32 v[4:5], 0x180
	s_nop 0
	v_writelane_b32 v58, s1, 37
	v_cmp_gt_i32_e64 s[0:1], 4, v36
	s_and_b64 s[96:97], vcc, s[0:1]
	v_cmp_gt_u64_e64 s[0:1], s[52:53], v[4:5]
	s_barrier
	s_nop 0
	v_writelane_b32 v58, s0, 38
	s_mov_b32 s95, 0
	v_lshlrev_b32_e32 v37, 3, v0
	v_writelane_b32 v58, s1, 39
	v_mad_u64_u32 v[4:5], s[0:1], s80, v0, 0
	v_mov_b32_e32 v2, v5
	v_mad_u64_u32 v[6:7], s[0:1], s81, v0, v[2:3]
	s_load_dword s0, s[18:19], 0xc
	v_lshlrev_b32_e32 v2, 2, v36
	v_and_b32_e32 v39, 0x100, v2
	v_lshrrev_b32_e32 v2, 1, v0
	v_mov_b32_e32 v5, v6
	s_waitcnt lgkmcnt(0)
	s_and_b32 s92, s0, 0xffff
	s_bfe_u32 s0, s0, 0xa0006
	s_cmp_gt_u32 s92, 63
	s_cselect_b64 s[98:99], -1, 0
	s_add_u32 s1, s92, -1
	s_addc_u32 s3, 0, -1
	s_add_u32 s10, s1, s52
	s_addc_u32 s85, s3, s53
	s_cmp_lt_u32 s2, s16
	v_writelane_b32 v58, s1, 40
	s_cselect_b32 s1, 12, 18
	s_add_u32 s82, s18, s1
	s_addc_u32 s83, s19, 0
	s_add_i32 s1, s0, -1
	s_bfe_u32 s2, s92, 0x30006
	s_and_b32 s1, s1, 0xffff
	s_cmp_gt_u32 s1, 6
	v_writelane_b32 v58, s3, 41
	s_cselect_b64 s[8:9], -1, 0
	v_writelane_b32 v58, s8, 42
	s_and_b32 s11, s0, 0x3f8
	v_and_b32_e32 v2, 0x1e0, v2
	v_writelane_b32 v58, s9, 43
	s_cmp_lg_u32 s2, 0
	v_lshl_add_u64 v[18:19], v[4:5], 3, s[90:91]
	v_lshlrev_b64 v[4:5], v36, -1
	v_or_b32_e32 v40, 0xc00, v2
	v_writelane_b32 v58, s2, 44
	s_cselect_b64 s[0:1], -1, 0
	v_mov_b32_e32 v2, 0xc00
	v_cmp_eq_u32_e64 s[4:5], 0, v36
	v_cmp_gt_u32_e64 s[6:7], 2, v0
	v_add_u32_e32 v38, 0xc00, v37
	v_lshlrev_b32_e32 v20, 2, v0
	v_mov_b32_e32 v21, v3
	v_not_b32_e32 v23, v5
	v_not_b32_e32 v22, v4
	s_mov_b32 s93, s95
	v_writelane_b32 v58, s0, 45
	v_lshlrev_b32_e32 v41, 5, v0
	v_lshl_or_b32 v42, v36, 3, v2
	s_lshl_b32 s72, s92, 3
	s_mov_b32 s33, 62
	s_mov_b64 s[88:89], 0
	v_mov_b64_e32 v[8:9], 0
	v_mov_b64_e32 v[28:29], s[24:25]
	;; [unrolled: 1-line block ×5, first 2 shown]
	v_mov_b32_e32 v4, 1
	v_mov_b32_e32 v43, 0x4f800000
	;; [unrolled: 1-line block ×4, first 2 shown]
	s_mov_b32 s73, 0
	v_writelane_b32 v58, s1, 46
                                        ; implicit-def: $sgpr74_sgpr75
                                        ; implicit-def: $sgpr68_sgpr69
                                        ; implicit-def: $sgpr86_sgpr87
                                        ; implicit-def: $sgpr78_sgpr79
                                        ; implicit-def: $sgpr54_sgpr55
                                        ; implicit-def: $sgpr70_sgpr71
	s_branch .LBB102_21
.LBB102_18:                             ;   in Loop: Header=BB102_21 Depth=1
	s_or_b64 exec, exec, s[16:17]
	s_and_b64 s[12:13], s[12:13], exec
	s_andn2_b64 s[24:25], s[24:25], exec
	s_andn2_b64 s[0:1], s[0:1], exec
	s_orn2_b64 s[16:17], s[8:9], exec
.LBB102_19:                             ;   in Loop: Header=BB102_21 Depth=1
	s_or_b64 exec, exec, s[2:3]
	s_andn2_b64 s[2:3], s[70:71], exec
	s_and_b64 s[8:9], s[12:13], exec
	s_or_b64 s[70:71], s[2:3], s[8:9]
	s_andn2_b64 s[2:3], s[54:55], exec
	s_and_b64 s[8:9], s[24:25], exec
	s_or_b64 s[54:55], s[2:3], s[8:9]
	;; [unrolled: 3-line block ×3, first 2 shown]
	s_orn2_b64 s[0:1], s[16:17], exec
.LBB102_20:                             ;   in Loop: Header=BB102_21 Depth=1
	s_or_b64 exec, exec, s[14:15]
	s_and_b64 s[0:1], exec, s[0:1]
	s_or_b64 s[88:89], s[0:1], s[88:89]
	s_andn2_b64 s[0:1], s[86:87], exec
	s_and_b64 s[2:3], s[70:71], exec
	s_or_b64 s[86:87], s[0:1], s[2:3]
	s_andn2_b64 s[0:1], s[68:69], exec
	s_and_b64 s[2:3], s[54:55], exec
	;; [unrolled: 3-line block ×3, first 2 shown]
	s_or_b64 s[74:75], s[0:1], s[2:3]
	v_mov_b64_e32 v[28:29], v[14:15]
	s_andn2_b64 exec, exec, s[88:89]
	s_cbranch_execz .LBB102_279
.LBB102_21:                             ; =>This Loop Header: Depth=1
                                        ;     Child Loop BB102_27 Depth 2
                                        ;     Child Loop BB102_40 Depth 2
	;; [unrolled: 1-line block ×16, first 2 shown]
	ds_read_b128 v[10:13], v3 offset:5120
	s_waitcnt lgkmcnt(0)
	v_readfirstlane_b32 s77, v11
	v_readfirstlane_b32 s76, v10
	s_cmp_lg_u64 s[76:77], 0
	s_cbranch_scc1 .LBB102_48
; %bb.22:                               ;   in Loop: Header=BB102_21 Depth=1
	v_readlane_b32 s0, v58, 38
	v_readlane_b32 s1, v58, 39
	s_and_b64 vcc, exec, s[0:1]
	s_cbranch_vccz .LBB102_35
; %bb.23:                               ;   in Loop: Header=BB102_21 Depth=1
	s_mov_b64 s[0:1], 0x181
	v_cmp_gt_u64_e32 vcc, s[0:1], v[12:13]
	s_mov_b64 s[8:9], 0
	s_mov_b64 s[0:1], 0
	s_cbranch_vccz .LBB102_36
; %bb.24:                               ;   in Loop: Header=BB102_21 Depth=1
	s_mov_b64 s[12:13], exec
	v_readlane_b32 s0, v58, 36
	v_readlane_b32 s1, v58, 37
	s_and_b64 s[0:1], s[12:13], s[0:1]
	s_mov_b64 exec, s[0:1]
	s_cbranch_execz .LBB102_146
; %bb.25:                               ;   in Loop: Header=BB102_21 Depth=1
	global_load_ushort v2, v3, s[82:83]
	global_load_dwordx2 v[6:7], v[18:19], off
	s_mov_b64 s[14:15], 0
	v_mov_b64_e32 v[10:11], v[0:1]
	s_waitcnt vmcnt(1)
	v_and_b32_e32 v2, 0xffff, v2
	s_branch .LBB102_27
.LBB102_26:                             ;   in Loop: Header=BB102_27 Depth=2
	s_or_b64 exec, exec, s[2:3]
	v_mov_b64_e32 v[6:7], v[12:13]
	s_andn2_b64 exec, exec, s[14:15]
	s_cbranch_execz .LBB102_146
.LBB102_27:                             ;   Parent Loop BB102_21 Depth=1
                                        ; =>  This Inner Loop Header: Depth=2
	v_lshl_add_u64 v[10:11], v[10:11], 0, v[2:3]
	v_cmp_gt_u64_e64 s[0:1], s[52:53], v[10:11]
	v_cmp_le_u64_e32 vcc, s[52:53], v[10:11]
	v_mov_b64_e32 v[12:13], 0
	s_and_saveexec_b64 s[2:3], s[0:1]
	s_cbranch_execz .LBB102_29
; %bb.28:                               ;   in Loop: Header=BB102_27 Depth=2
	s_waitcnt lgkmcnt(0)
	v_mul_lo_u32 v5, v11, s80
	v_mul_lo_u32 v14, v10, s81
	v_mad_u64_u32 v[12:13], s[0:1], v10, s80, 0
	v_add3_u32 v13, v13, v14, v5
	v_lshl_add_u64 v[12:13], v[12:13], 3, s[90:91]
	global_load_dwordx2 v[12:13], v[12:13], off
.LBB102_29:                             ;   in Loop: Header=BB102_27 Depth=2
	s_or_b64 exec, exec, s[2:3]
	s_waitcnt vmcnt(0) lgkmcnt(0)
	v_xor_b32_e32 v5, 0x80000000, v7
	v_and_b32_e32 v15, v5, v27
	v_and_b32_e32 v14, v6, v26
	v_cmp_eq_u64_e64 s[0:1], v[14:15], v[24:25]
	s_cmp_lg_u64 s[0:1], 0
	s_cselect_b64 s[2:3], -1, 0
	s_and_b64 s[2:3], s[4:5], s[2:3]
	v_mov_b32_e32 v5, 0
	s_and_saveexec_b64 s[16:17], s[2:3]
	s_cbranch_execz .LBB102_33
; %bb.30:                               ;   in Loop: Header=BB102_27 Depth=2
	s_mov_b64 s[20:21], exec
	v_mbcnt_lo_u32_b32 v5, s20, 0
	v_mbcnt_hi_u32_b32 v5, s21, v5
	s_bcnt1_i32_b64 s22, s[0:1]
	v_cmp_eq_u32_e64 s[2:3], 0, v5
                                        ; implicit-def: $vgpr14
	s_and_saveexec_b64 s[18:19], s[2:3]
; %bb.31:                               ;   in Loop: Header=BB102_27 Depth=2
	s_bcnt1_i32_b64 s2, s[20:21]
	s_mul_i32 s2, s22, s2
	v_mov_b32_e32 v14, s2
	ds_add_rtn_u32 v14, v3, v14 offset:5144
; %bb.32:                               ;   in Loop: Header=BB102_27 Depth=2
	s_or_b64 exec, exec, s[18:19]
	s_waitcnt lgkmcnt(0)
	v_readfirstlane_b32 s2, v14
	s_nop 1
	v_mov_b32_e32 v14, s2
	v_mad_u32_u24 v5, s22, v5, v14
.LBB102_33:                             ;   in Loop: Header=BB102_27 Depth=2
	s_or_b64 exec, exec, s[16:17]
	ds_bpermute_b32 v5, v39, v5
	s_and_b64 s[2:3], exec, vcc
	s_or_b64 s[14:15], s[2:3], s[14:15]
	s_and_saveexec_b64 s[2:3], s[0:1]
	s_cbranch_execz .LBB102_26
; %bb.34:                               ;   in Loop: Header=BB102_27 Depth=2
	v_and_b32_e32 v15, s0, v22
	v_and_b32_e32 v14, s1, v23
	v_bcnt_u32_b32 v15, v15, 0
	v_bcnt_u32_b32 v14, v14, v15
	v_lshlrev_b32_e32 v14, 3, v14
	s_waitcnt lgkmcnt(0)
	v_lshl_add_u32 v5, v5, 3, v14
	ds_write_b64 v5, v[6:7]
	s_branch .LBB102_26
.LBB102_35:                             ;   in Loop: Header=BB102_21 Depth=1
	s_mov_b64 s[8:9], -1
	s_mov_b64 s[0:1], 0
.LBB102_36:                             ;   in Loop: Header=BB102_21 Depth=1
	s_and_b64 vcc, exec, s[8:9]
	s_cbranch_vccz .LBB102_46
.LBB102_37:                             ;   in Loop: Header=BB102_21 Depth=1
	s_mov_b64 s[0:1], exec
	v_readlane_b32 s2, v58, 36
	v_readlane_b32 s3, v58, 37
	s_and_b64 s[2:3], s[0:1], s[2:3]
	s_mov_b64 exec, s[2:3]
	s_cbranch_execz .LBB102_43
; %bb.38:                               ;   in Loop: Header=BB102_21 Depth=1
	global_load_ushort v2, v3, s[82:83]
	global_load_dwordx2 v[10:11], v[18:19], off
	v_mov_b32_e32 v5, v0
	s_waitcnt vmcnt(1)
	v_and_b32_e32 v6, 0xffff, v2
	v_add_u32_e32 v2, v6, v0
	v_cmp_gt_u64_e32 vcc, s[52:53], v[2:3]
	s_and_saveexec_b64 s[2:3], vcc
	s_cbranch_execz .LBB102_42
; %bb.39:                               ;   in Loop: Header=BB102_21 Depth=1
	v_mov_b32_e32 v7, v3
	s_mov_b64 s[8:9], 0
	v_mov_b64_e32 v[16:17], v[2:3]
	v_mov_b64_e32 v[12:13], v[0:1]
.LBB102_40:                             ;   Parent Loop BB102_21 Depth=1
                                        ; =>  This Inner Loop Header: Depth=2
	v_mov_b64_e32 v[30:31], v[16:17]
	v_mul_lo_u32 v2, v31, s80
	v_mul_lo_u32 v5, v30, s81
	v_mad_u64_u32 v[14:15], s[12:13], v30, s80, 0
	v_add3_u32 v15, v15, v5, v2
	v_lshl_add_u64 v[14:15], v[14:15], 3, s[90:91]
	global_load_dwordx2 v[14:15], v[14:15], off
	v_lshl_add_u64 v[16:17], v[30:31], 0, v[6:7]
	v_lshlrev_b32_e32 v2, 3, v12
	v_cmp_le_u64_e32 vcc, s[52:53], v[16:17]
	s_waitcnt vmcnt(1)
	ds_write_b64 v2, v[10:11]
	v_mov_b64_e32 v[12:13], v[30:31]
	s_or_b64 s[8:9], vcc, s[8:9]
	s_waitcnt vmcnt(0)
	v_mov_b64_e32 v[10:11], v[14:15]
	s_andn2_b64 exec, exec, s[8:9]
	s_cbranch_execnz .LBB102_40
; %bb.41:                               ;   in Loop: Header=BB102_21 Depth=1
	s_or_b64 exec, exec, s[8:9]
	v_sub_u32_e32 v5, v16, v6
	v_mov_b64_e32 v[10:11], v[14:15]
.LBB102_42:                             ;   in Loop: Header=BB102_21 Depth=1
	s_or_b64 exec, exec, s[2:3]
	v_lshlrev_b32_e32 v2, 3, v5
	s_waitcnt vmcnt(0)
	ds_write_b64 v2, v[10:11]
.LBB102_43:                             ;   in Loop: Header=BB102_21 Depth=1
	s_or_b64 exec, exec, s[0:1]
	s_waitcnt lgkmcnt(0)
	s_barrier
	s_mov_b64 s[0:1], exec
	v_readlane_b32 s2, v58, 28
	v_readlane_b32 s3, v58, 29
	s_and_b64 s[2:3], s[0:1], s[2:3]
	s_mov_b64 exec, s[2:3]
; %bb.44:                               ;   in Loop: Header=BB102_21 Depth=1
	ds_write_b64 v3, v[46:47] offset:5120
; %bb.45:                               ;   in Loop: Header=BB102_21 Depth=1
	s_or_b64 exec, exec, s[0:1]
	s_mov_b64 s[0:1], -1
	s_waitcnt lgkmcnt(0)
	s_barrier
.LBB102_46:                             ;   in Loop: Header=BB102_21 Depth=1
	s_mov_b64 s[76:77], 0
	s_and_b64 vcc, exec, s[0:1]
	s_cbranch_vccz .LBB102_48
; %bb.47:                               ;   in Loop: Header=BB102_21 Depth=1
	ds_read_b64 v[6:7], v3 offset:5120
	s_waitcnt lgkmcnt(0)
	v_readfirstlane_b32 s76, v6
.LBB102_48:                             ;   in Loop: Header=BB102_21 Depth=1
	s_cmp_lt_i32 s76, 1
	s_mov_b64 s[0:1], -1
                                        ; implicit-def: $vgpr16_vgpr17
                                        ; implicit-def: $vgpr12_vgpr13
	s_cbranch_scc1 .LBB102_58
; %bb.49:                               ;   in Loop: Header=BB102_21 Depth=1
	s_and_b64 vcc, exec, s[0:1]
	s_cbranch_vccnz .LBB102_72
.LBB102_50:                             ;   in Loop: Header=BB102_21 Depth=1
	s_lshl_b32 s2, s73, 6
	s_and_saveexec_b64 s[0:1], s[4:5]
	s_cbranch_execz .LBB102_52
.LBB102_51:                             ;   in Loop: Header=BB102_21 Depth=1
	v_lshl_add_u32 v2, s2, 3, v40
	ds_write_b128 v2, v[10:13]
	ds_write_b128 v2, v[14:17] offset:16
.LBB102_52:                             ;   in Loop: Header=BB102_21 Depth=1
	s_or_b64 exec, exec, s[0:1]
	s_waitcnt lgkmcnt(0)
	s_barrier
	s_and_saveexec_b64 s[0:1], s[96:97]
	s_cbranch_execz .LBB102_87
; %bb.53:                               ;   in Loop: Header=BB102_21 Depth=1
	s_andn2_b64 vcc, exec, s[98:99]
	v_mov_b64_e32 v[6:7], 0
	s_cbranch_vccnz .LBB102_86
; %bb.54:                               ;   in Loop: Header=BB102_21 Depth=1
	v_readlane_b32 s8, v58, 42
	v_readlane_b32 s9, v58, 43
	s_andn2_b64 vcc, exec, s[8:9]
	s_cbranch_vccnz .LBB102_82
; %bb.55:                               ;   in Loop: Header=BB102_21 Depth=1
	v_lshl_add_u32 v2, s73, 9, v42
	v_mov_b64_e32 v[6:7], 0
	s_mov_b32 s3, 0
.LBB102_56:                             ;   Parent Loop BB102_21 Depth=1
                                        ; =>  This Inner Loop Header: Depth=2
	ds_read2_b64 v[10:13], v2 offset1:4
	ds_read2_b64 v[14:17], v2 offset0:8 offset1:12
	ds_read2_b64 v[30:33], v2 offset0:16 offset1:20
	ds_read2_b64 v[50:53], v2 offset0:24 offset1:28
	s_add_i32 s3, s3, 8
	s_waitcnt lgkmcnt(3)
	v_lshl_add_u64 v[6:7], v[10:11], 0, v[6:7]
	v_lshl_add_u64 v[6:7], v[12:13], 0, v[6:7]
	s_waitcnt lgkmcnt(2)
	v_lshl_add_u64 v[6:7], v[14:15], 0, v[6:7]
	v_lshl_add_u64 v[6:7], v[16:17], 0, v[6:7]
	;; [unrolled: 3-line block ×3, first 2 shown]
	s_waitcnt lgkmcnt(0)
	v_lshl_add_u64 v[6:7], v[50:51], 0, v[6:7]
	v_add_u32_e32 v2, 0x100, v2
	s_cmp_eq_u32 s11, s3
	v_lshl_add_u64 v[6:7], v[52:53], 0, v[6:7]
	s_cbranch_scc0 .LBB102_56
; %bb.57:                               ;   in Loop: Header=BB102_21 Depth=1
	s_mov_b32 s3, s11
	s_branch .LBB102_83
.LBB102_58:                             ;   in Loop: Header=BB102_21 Depth=1
	global_load_ushort v5, v3, s[82:83]
	s_mov_b32 s0, s95
	s_waitcnt vmcnt(0)
	v_readfirstlane_b32 s1, v5
	s_and_b32 s1, 0xffff, s1
	s_lshl_b32 s94, s1, 2
	s_mov_b32 s1, s53
	s_cmp_lg_u64 s[0:1], 0
	s_cbranch_scc0 .LBB102_81
; %bb.59:                               ;   in Loop: Header=BB102_21 Depth=1
	v_cvt_f32_u32_e32 v2, s94
	s_sub_u32 s2, 0, s94
	s_subb_u32 s3, 0, 0
	v_fmac_f32_e32 v2, 0, v43
	v_rcp_f32_e32 v2, v2
	s_nop 0
	v_mul_f32_e32 v2, 0x5f7ffffc, v2
	v_mul_f32_e32 v6, 0x2f800000, v2
	v_trunc_f32_e32 v6, v6
	v_fmac_f32_e32 v2, 0xcf800000, v6
	v_cvt_u32_f32_e32 v6, v6
	v_cvt_u32_f32_e32 v2, v2
	v_readfirstlane_b32 s8, v6
	v_readfirstlane_b32 s0, v2
	s_mul_i32 s1, s2, s8
	s_mul_hi_u32 s12, s2, s0
	s_mul_i32 s9, s3, s0
	s_add_i32 s1, s12, s1
	s_mul_i32 s13, s2, s0
	s_add_i32 s1, s1, s9
	s_mul_hi_u32 s12, s0, s13
	s_mul_i32 s14, s0, s1
	s_mul_hi_u32 s9, s0, s1
	s_add_u32 s12, s12, s14
	s_addc_u32 s9, 0, s9
	s_mul_hi_u32 s15, s8, s13
	s_mul_i32 s13, s8, s13
	s_add_u32 s12, s12, s13
	s_mul_hi_u32 s14, s8, s1
	s_addc_u32 s9, s9, s15
	s_addc_u32 s12, s14, 0
	s_mul_i32 s1, s8, s1
	s_add_u32 s1, s9, s1
	s_addc_u32 s9, 0, s12
	s_add_u32 s12, s0, s1
	s_cselect_b64 s[0:1], -1, 0
	s_cmp_lg_u64 s[0:1], 0
	s_addc_u32 s8, s8, s9
	s_mul_i32 s0, s2, s8
	s_mul_hi_u32 s1, s2, s12
	s_add_i32 s0, s1, s0
	s_mul_i32 s3, s3, s12
	s_add_i32 s0, s0, s3
	s_mul_i32 s2, s2, s12
	s_mul_hi_u32 s3, s8, s2
	s_mul_i32 s9, s8, s2
	s_mul_i32 s14, s12, s0
	s_mul_hi_u32 s2, s12, s2
	s_mul_hi_u32 s13, s12, s0
	s_add_u32 s2, s2, s14
	s_addc_u32 s13, 0, s13
	s_add_u32 s2, s2, s9
	s_mul_hi_u32 s1, s8, s0
	s_addc_u32 s2, s13, s3
	s_addc_u32 s1, s1, 0
	s_mul_i32 s0, s8, s0
	s_add_u32 s0, s2, s0
	s_addc_u32 s2, 0, s1
	s_add_u32 s3, s12, s0
	s_cselect_b64 s[0:1], -1, 0
	s_cmp_lg_u64 s[0:1], 0
	s_addc_u32 s0, s8, s2
	s_mul_i32 s2, s52, s0
	s_mul_hi_u32 s8, s52, s3
	s_mul_hi_u32 s1, s52, s0
	s_add_u32 s2, s8, s2
	s_addc_u32 s1, 0, s1
	s_mul_hi_u32 s9, s53, s3
	s_mul_i32 s3, s53, s3
	s_add_u32 s2, s2, s3
	s_mul_hi_u32 s8, s53, s0
	s_addc_u32 s1, s1, s9
	s_addc_u32 s2, s8, 0
	s_mul_i32 s0, s53, s0
	s_add_u32 s0, s1, s0
	s_addc_u32 s1, 0, s2
	s_mul_i32 s1, s94, s1
	s_mul_hi_u32 s2, s94, s0
	s_add_i32 s2, s2, s1
	s_mul_i32 s0, s94, s0
	s_sub_u32 s3, s52, s0
	s_cselect_b64 s[0:1], -1, 0
	s_cmp_lg_u64 s[0:1], 0
	s_subb_u32 s2, s53, s2
	s_sub_u32 s8, s3, s94
	s_cselect_b64 s[0:1], -1, 0
	s_cmp_lg_u64 s[0:1], 0
	s_subb_u32 s9, s2, 0
	;; [unrolled: 4-line block ×3, first 2 shown]
	s_cmp_ge_u32 s8, s94
	s_cselect_b32 s1, -1, 0
	s_cmp_eq_u32 s9, 0
	s_cselect_b32 s1, s1, -1
	s_cmp_lg_u32 s1, 0
	s_cselect_b32 s0, s0, s9
	s_cselect_b32 s8, s12, s8
	s_cmp_ge_u32 s3, s94
	s_cselect_b32 s1, -1, 0
	s_cmp_eq_u32 s2, 0
	s_cselect_b32 s1, s1, -1
	s_cmp_lg_u32 s1, 0
	s_cselect_b32 s1, s0, s2
	s_cselect_b32 s0, s8, s3
	s_cbranch_execnz .LBB102_61
.LBB102_60:                             ;   in Loop: Header=BB102_21 Depth=1
	v_cvt_f32_u32_e32 v2, s94
	s_sub_i32 s0, 0, s94
	v_rcp_iflag_f32_e32 v2, v2
	s_nop 0
	v_mul_f32_e32 v2, 0x4f7ffffe, v2
	v_cvt_u32_f32_e32 v2, v2
	s_nop 0
	v_readfirstlane_b32 s1, v2
	s_mul_i32 s0, s0, s1
	s_mul_hi_u32 s0, s1, s0
	s_add_i32 s1, s1, s0
	s_mul_hi_u32 s0, s52, s1
	s_mul_i32 s0, s0, s94
	s_sub_i32 s0, s52, s0
	s_sub_i32 s1, s0, s94
	s_cmp_ge_u32 s0, s94
	s_cselect_b32 s0, s1, s0
	s_sub_i32 s1, s0, s94
	s_cmp_ge_u32 s0, s94
	s_cselect_b32 s0, s1, s0
	s_mov_b32 s1, s95
.LBB102_61:                             ;   in Loop: Header=BB102_21 Depth=1
	s_sub_u32 s50, s52, s0
	s_subb_u32 s51, s53, s1
	v_cmp_gt_u64_e32 vcc, s[50:51], v[20:21]
	v_mov_b64_e32 v[10:11], 0
	v_mov_b64_e32 v[12:13], 0
	v_mov_b64_e32 v[14:15], 0
	v_mov_b64_e32 v[16:17], 0
	s_and_saveexec_b64 s[56:57], vcc
	s_cbranch_execz .LBB102_65
; %bb.62:                               ;   in Loop: Header=BB102_21 Depth=1
	s_mov_b64 s[58:59], 0
	s_mov_b64 s[64:65], 0
	;; [unrolled: 1-line block ×5, first 2 shown]
	v_mov_b64_e32 v[6:7], v[20:21]
.LBB102_63:                             ;   Parent Loop BB102_21 Depth=1
                                        ; =>  This Inner Loop Header: Depth=2
	v_mul_lo_u32 v2, v7, s80
	v_mul_lo_u32 v10, v6, s81
	v_mad_u64_u32 v[12:13], s[0:1], v6, s80, 0
	v_add3_u32 v13, v13, v10, v2
	s_lshl_b64 s[0:1], s[80:81], 3
	v_lshl_add_u64 v[12:13], v[12:13], 3, s[90:91]
	global_load_dwordx2 v[30:31], v[12:13], off
	v_lshl_add_u64 v[12:13], v[12:13], 0, s[0:1]
	global_load_dwordx2 v[32:33], v[12:13], off
	;; [unrolled: 2-line block ×4, first 2 shown]
	v_mov_b32_e32 v17, v3
	v_mov_b32_e32 v15, v3
	;; [unrolled: 1-line block ×3, first 2 shown]
	v_lshl_add_u64 v[6:7], v[6:7], 0, s[94:95]
	v_cmp_le_u64_e32 vcc, s[50:51], v[6:7]
	s_waitcnt vmcnt(3)
	v_xor_b32_e32 v31, 0x80000000, v31
	v_and_b32_e32 v44, v30, v26
	s_waitcnt vmcnt(2)
	v_xor_b32_e32 v33, 0x80000000, v33
	v_and_b32_e32 v45, v31, v27
	v_lshrrev_b64 v[30:31], s33, v[30:31]
	s_waitcnt vmcnt(1)
	v_xor_b32_e32 v35, 0x80000000, v35
	v_and_b32_e32 v2, 3, v30
	v_lshrrev_b64 v[30:31], s33, v[32:33]
	v_and_b32_e32 v50, v32, v26
	v_cmp_eq_u64_e64 s[12:13], v[44:45], v[24:25]
	v_and_b32_e32 v51, v33, v27
	s_waitcnt vmcnt(0)
	v_xor_b32_e32 v13, 0x80000000, v13
	v_and_b32_e32 v16, 3, v30
	v_lshrrev_b64 v[30:31], s33, v[34:35]
	v_cmp_eq_u64_e64 s[2:3], 0, v[2:3]
	v_and_b32_e32 v44, v34, v26
	v_cmp_eq_u64_e64 s[0:1], v[50:51], v[24:25]
	v_and_b32_e32 v45, v35, v27
	v_and_b32_e32 v32, v12, v26
	;; [unrolled: 1-line block ×4, first 2 shown]
	v_lshrrev_b64 v[12:13], s33, v[12:13]
	v_cmp_eq_u64_e64 s[24:25], 0, v[16:17]
	s_and_b64 s[2:3], s[12:13], s[2:3]
	v_cmp_eq_u64_e64 s[28:29], 1, v[2:3]
	v_cmp_eq_u64_e64 s[30:31], 2, v[2:3]
	;; [unrolled: 1-line block ×4, first 2 shown]
	v_cndmask_b32_e64 v2, 0, 1, s[2:3]
	v_and_b32_e32 v10, 3, v12
	v_cmp_eq_u64_e64 s[2:3], 0, v[14:15]
	s_and_b64 s[8:9], s[0:1], s[24:25]
	v_cmp_eq_u64_e64 s[18:19], v[32:33], v[24:25]
	v_cmp_ne_u32_e64 s[42:43], 0, v2
	v_cndmask_b32_e64 v2, 0, 1, s[8:9]
	v_cmp_eq_u64_e64 s[44:45], 0, v[10:11]
	s_and_b64 s[2:3], s[14:15], s[2:3]
	s_bcnt1_i32_b64 s26, s[42:43]
	v_cmp_ne_u32_e64 s[42:43], 0, v2
	v_cndmask_b32_e64 v2, 0, 1, s[2:3]
	s_and_b64 s[8:9], s[18:19], s[44:45]
	v_cmp_ne_u32_e64 s[2:3], 0, v2
	v_cndmask_b32_e64 v2, 0, 1, s[8:9]
	s_bcnt1_i32_b64 s8, s[2:3]
	v_cmp_ne_u32_e64 s[2:3], 0, v2
	s_bcnt1_i32_b64 s27, s[42:43]
	s_bcnt1_i32_b64 s2, s[2:3]
	s_add_u32 s3, s26, s62
	s_addc_u32 s9, 0, s63
	s_add_u32 s3, s3, s27
	s_addc_u32 s9, s9, 0
	;; [unrolled: 2-line block ×3, first 2 shown]
	s_add_u32 s62, s3, s2
	v_cmp_eq_u64_e64 s[34:35], 1, v[16:17]
	s_addc_u32 s63, s8, 0
	s_and_b64 s[2:3], s[12:13], s[28:29]
	v_cmp_eq_u64_e64 s[38:39], 1, v[14:15]
	v_cndmask_b32_e64 v2, 0, 1, s[2:3]
	s_and_b64 s[2:3], s[0:1], s[34:35]
	v_cmp_eq_u64_e64 s[46:47], 1, v[10:11]
	v_cndmask_b32_e64 v12, 0, 1, s[2:3]
	s_and_b64 s[2:3], s[14:15], s[38:39]
	v_cndmask_b32_e64 v13, 0, 1, s[2:3]
	s_and_b64 s[2:3], s[18:19], s[46:47]
	v_cmp_eq_u64_e64 s[40:41], 2, v[14:15]
	v_cmp_eq_u64_e64 s[22:23], 3, v[14:15]
	v_cndmask_b32_e64 v14, 0, 1, s[2:3]
	v_cmp_ne_u32_e64 s[2:3], 0, v2
	v_cmp_ne_u32_e64 s[28:29], 0, v12
	;; [unrolled: 1-line block ×4, first 2 shown]
	s_bcnt1_i32_b64 s2, s[2:3]
	s_bcnt1_i32_b64 s3, s[28:29]
	s_bcnt1_i32_b64 s8, s[34:35]
	s_bcnt1_i32_b64 s9, s[38:39]
	s_add_u32 s2, s2, s60
	s_addc_u32 s26, 0, s61
	s_add_u32 s2, s2, s3
	s_addc_u32 s3, s26, 0
	;; [unrolled: 2-line block ×3, first 2 shown]
	s_add_u32 s60, s2, s9
	v_cmp_eq_u64_e64 s[36:37], 2, v[16:17]
	s_addc_u32 s61, s3, 0
	s_and_b64 s[2:3], s[12:13], s[30:31]
	v_cndmask_b32_e64 v2, 0, 1, s[2:3]
	s_and_b64 s[2:3], s[0:1], s[36:37]
	v_cmp_eq_u64_e64 s[48:49], 2, v[10:11]
	v_cndmask_b32_e64 v14, 0, 1, s[2:3]
	s_and_b64 s[2:3], s[14:15], s[40:41]
	v_cndmask_b32_e64 v15, 0, 1, s[2:3]
	s_and_b64 s[2:3], s[18:19], s[48:49]
	v_cmp_eq_u64_e64 s[20:21], 3, v[16:17]
	v_cndmask_b32_e64 v16, 0, 1, s[2:3]
	v_cmp_ne_u32_e64 s[2:3], 0, v2
	v_cmp_ne_u32_e64 s[28:29], 0, v14
	;; [unrolled: 1-line block ×4, first 2 shown]
	s_bcnt1_i32_b64 s2, s[2:3]
	s_bcnt1_i32_b64 s3, s[28:29]
	;; [unrolled: 1-line block ×4, first 2 shown]
	s_add_u32 s2, s2, s66
	s_addc_u32 s26, 0, s67
	s_add_u32 s2, s2, s3
	s_addc_u32 s3, s26, 0
	;; [unrolled: 2-line block ×4, first 2 shown]
	s_and_b64 s[0:1], s[0:1], s[20:21]
	v_cmp_eq_u64_e64 s[24:25], 3, v[10:11]
	v_cndmask_b32_e64 v16, 0, 1, s[0:1]
	s_and_b64 s[0:1], s[14:15], s[22:23]
	s_and_b64 s[2:3], s[12:13], s[16:17]
	v_cndmask_b32_e64 v17, 0, 1, s[0:1]
	s_and_b64 s[0:1], s[18:19], s[24:25]
	v_cndmask_b32_e64 v2, 0, 1, s[2:3]
	v_cndmask_b32_e64 v30, 0, 1, s[0:1]
	v_cmp_ne_u32_e64 s[0:1], 0, v2
	v_cmp_ne_u32_e64 s[2:3], 0, v16
	v_cmp_ne_u32_e64 s[12:13], 0, v17
	v_cmp_ne_u32_e64 s[14:15], 0, v30
	s_bcnt1_i32_b64 s0, s[0:1]
	s_bcnt1_i32_b64 s1, s[2:3]
	;; [unrolled: 1-line block ×4, first 2 shown]
	s_add_u32 s0, s0, s64
	s_addc_u32 s8, 0, s65
	s_add_u32 s0, s0, s1
	s_addc_u32 s1, s8, 0
	;; [unrolled: 2-line block ×4, first 2 shown]
	v_mov_b64_e32 v[10:11], s[62:63]
	v_mov_b64_e32 v[12:13], s[60:61]
	;; [unrolled: 1-line block ×3, first 2 shown]
	s_or_b64 s[58:59], vcc, s[58:59]
	v_mov_b64_e32 v[16:17], s[64:65]
	s_andn2_b64 exec, exec, s[58:59]
	s_cbranch_execnz .LBB102_63
; %bb.64:                               ;   in Loop: Header=BB102_21 Depth=1
	s_or_b64 exec, exec, s[58:59]
.LBB102_65:                             ;   in Loop: Header=BB102_21 Depth=1
	s_or_b64 exec, exec, s[56:57]
	v_lshl_add_u64 v[30:31], s[50:51], 0, v[0:1]
	v_and_b32_e32 v6, 0xffff, v5
	v_mov_b32_e32 v7, v3
	v_cmp_gt_u64_e32 vcc, s[52:53], v[30:31]
	s_and_saveexec_b64 s[2:3], vcc
	s_cbranch_execz .LBB102_71
; %bb.66:                               ;   in Loop: Header=BB102_21 Depth=1
	v_mul_lo_u32 v2, v31, s80
	v_mul_lo_u32 v5, v30, s81
	v_mad_u64_u32 v[32:33], s[0:1], v30, s80, 0
	v_add3_u32 v33, v33, v5, v2
	v_lshl_add_u64 v[32:33], v[32:33], 3, s[90:91]
	global_load_dwordx2 v[34:35], v[32:33], off
	s_mov_b64 s[8:9], 0
	s_branch .LBB102_68
.LBB102_67:                             ;   in Loop: Header=BB102_68 Depth=2
	s_or_b64 exec, exec, s[12:13]
	s_waitcnt vmcnt(0)
	v_xor_b32_e32 v35, 0x80000000, v35
	v_and_b32_e32 v45, v35, v27
	v_and_b32_e32 v44, v34, v26
	v_lshrrev_b64 v[34:35], s33, v[34:35]
	s_and_b64 s[0:1], exec, vcc
	v_and_b32_e32 v2, 3, v34
	s_or_b64 s[8:9], s[0:1], s[8:9]
	v_cmp_eq_u64_e32 vcc, v[44:45], v[24:25]
	v_cmp_eq_u64_e64 s[0:1], 0, v[2:3]
	s_and_b64 s[0:1], vcc, s[0:1]
	v_mov_b64_e32 v[34:35], v[32:33]
	v_cndmask_b32_e64 v5, 0, 1, s[0:1]
	v_cmp_ne_u32_e64 s[0:1], 0, v5
	s_bcnt1_i32_b64 s94, s[0:1]
	v_cmp_eq_u64_e64 s[0:1], 1, v[2:3]
	s_and_b64 s[0:1], vcc, s[0:1]
	v_lshl_add_u64 v[10:11], s[94:95], 0, v[10:11]
	v_cndmask_b32_e64 v5, 0, 1, s[0:1]
	v_cmp_ne_u32_e64 s[0:1], 0, v5
	s_bcnt1_i32_b64 s94, s[0:1]
	v_cmp_eq_u64_e64 s[0:1], 2, v[2:3]
	s_and_b64 s[0:1], vcc, s[0:1]
	v_lshl_add_u64 v[12:13], s[94:95], 0, v[12:13]
	;; [unrolled: 6-line block ×3, first 2 shown]
	v_cndmask_b32_e64 v2, 0, 1, s[0:1]
	v_cmp_ne_u32_e32 vcc, 0, v2
	s_bcnt1_i32_b64 s94, vcc
	v_lshl_add_u64 v[16:17], s[94:95], 0, v[16:17]
	s_andn2_b64 exec, exec, s[8:9]
	s_cbranch_execz .LBB102_70
.LBB102_68:                             ;   Parent Loop BB102_21 Depth=1
                                        ; =>  This Inner Loop Header: Depth=2
	v_lshl_add_u64 v[30:31], v[30:31], 0, v[6:7]
	v_cmp_gt_u64_e64 s[0:1], s[52:53], v[30:31]
	v_cmp_le_u64_e32 vcc, s[52:53], v[30:31]
	v_mov_b64_e32 v[32:33], 0
	s_and_saveexec_b64 s[12:13], s[0:1]
	s_cbranch_execz .LBB102_67
; %bb.69:                               ;   in Loop: Header=BB102_68 Depth=2
	v_mul_lo_u32 v2, v31, s80
	v_mul_lo_u32 v5, v30, s81
	v_mad_u64_u32 v[32:33], s[0:1], v30, s80, 0
	v_add3_u32 v33, v33, v5, v2
	v_lshl_add_u64 v[32:33], v[32:33], 3, s[90:91]
	global_load_dwordx2 v[32:33], v[32:33], off
	s_branch .LBB102_67
.LBB102_70:                             ;   in Loop: Header=BB102_21 Depth=1
	s_or_b64 exec, exec, s[8:9]
.LBB102_71:                             ;   in Loop: Header=BB102_21 Depth=1
	s_or_b64 exec, exec, s[2:3]
	s_branch .LBB102_50
.LBB102_72:                             ;   in Loop: Header=BB102_21 Depth=1
	global_load_ushort v5, v3, s[82:83]
	v_mov_b64_e32 v[10:11], 0
	v_mov_b64_e32 v[12:13], 0
	;; [unrolled: 1-line block ×4, first 2 shown]
	s_waitcnt vmcnt(0)
	v_readfirstlane_b32 s0, v5
	s_and_b32 s77, 0xffff, s0
	s_lshl_b32 s94, s77, 2
	v_cvt_f32_u32_e32 v2, s94
	s_sub_i32 s0, 0, s94
	v_rcp_iflag_f32_e32 v2, v2
	s_nop 0
	v_mul_f32_e32 v2, 0x4f7ffffe, v2
	v_cvt_u32_f32_e32 v2, v2
	s_nop 0
	v_readfirstlane_b32 s1, v2
	s_mul_i32 s0, s0, s1
	s_mul_hi_u32 s0, s1, s0
	s_add_i32 s1, s1, s0
	s_mul_hi_u32 s0, s76, s1
	s_mul_i32 s1, s0, s94
	s_sub_i32 s1, s76, s1
	s_add_i32 s2, s0, 1
	s_sub_i32 s3, s1, s94
	s_cmp_ge_u32 s1, s94
	s_cselect_b32 s0, s2, s0
	s_cselect_b32 s1, s3, s1
	s_add_i32 s2, s0, 1
	s_cmp_ge_u32 s1, s94
	s_cselect_b32 s0, s2, s0
	s_mul_hi_u32 s57, s77, s0
	s_mul_i32 s56, s77, s0
	s_lshl_b64 s[58:59], s[56:57], 2
	v_cmp_gt_u64_e32 vcc, s[58:59], v[20:21]
	s_and_saveexec_b64 s[64:65], vcc
	s_cbranch_execz .LBB102_76
; %bb.73:                               ;   in Loop: Header=BB102_21 Depth=1
	s_lshl_b32 s57, s77, 5
	s_mov_b64 s[60:61], 0
	v_mov_b32_e32 v44, v41
	s_mov_b64 s[62:63], 0
	s_mov_b64 s[66:67], 0
	;; [unrolled: 1-line block ×4, first 2 shown]
	v_mov_b64_e32 v[6:7], v[20:21]
.LBB102_74:                             ;   Parent Loop BB102_21 Depth=1
                                        ; =>  This Inner Loop Header: Depth=2
	ds_read_b128 v[14:17], v44
	ds_read_b128 v[10:13], v44 offset:16
	v_mov_b32_e32 v31, v3
	v_mov_b32_e32 v33, v3
	;; [unrolled: 1-line block ×3, first 2 shown]
	s_waitcnt lgkmcnt(1)
	v_xor_b32_e32 v15, 0x80000000, v15
	v_xor_b32_e32 v17, 0x80000000, v17
	v_and_b32_e32 v50, v14, v26
	v_and_b32_e32 v51, v15, v27
	v_lshrrev_b64 v[14:15], s33, v[14:15]
	s_waitcnt lgkmcnt(0)
	v_xor_b32_e32 v11, 0x80000000, v11
	v_and_b32_e32 v52, v16, v26
	v_and_b32_e32 v53, v17, v27
	v_lshrrev_b64 v[16:17], s33, v[16:17]
	v_and_b32_e32 v2, 3, v14
	v_xor_b32_e32 v13, 0x80000000, v13
	v_and_b32_e32 v54, v10, v26
	v_and_b32_e32 v55, v11, v27
	v_lshrrev_b64 v[10:11], s33, v[10:11]
	v_cmp_eq_u64_e64 s[16:17], v[50:51], v[24:25]
	v_and_b32_e32 v30, 3, v16
	v_cmp_eq_u64_e64 s[2:3], 0, v[2:3]
	v_and_b32_e32 v56, v12, v26
	v_and_b32_e32 v57, v13, v27
	v_lshrrev_b64 v[12:13], s33, v[12:13]
	v_cmp_eq_u64_e64 s[14:15], v[52:53], v[24:25]
	v_and_b32_e32 v32, 3, v10
	v_cmp_eq_u64_e64 s[28:29], 0, v[30:31]
	s_and_b64 s[2:3], s[16:17], s[2:3]
	v_cmp_eq_u64_e64 s[12:13], v[54:55], v[24:25]
	v_and_b32_e32 v34, 3, v12
	v_cmp_eq_u64_e64 s[30:31], 0, v[32:33]
	v_cmp_eq_u64_e64 s[36:37], 1, v[2:3]
	;; [unrolled: 1-line block ×4, first 2 shown]
	v_cndmask_b32_e64 v2, 0, 1, s[2:3]
	s_and_b64 s[2:3], s[14:15], s[28:29]
	v_cmp_eq_u64_e64 s[0:1], v[56:57], v[24:25]
	v_cmp_eq_u64_e64 s[34:35], 0, v[34:35]
	v_cndmask_b32_e64 v10, 0, 1, s[2:3]
	s_and_b64 s[2:3], s[12:13], s[30:31]
	v_cndmask_b32_e64 v11, 0, 1, s[2:3]
	s_and_b64 s[2:3], s[0:1], s[34:35]
	v_cndmask_b32_e64 v12, 0, 1, s[2:3]
	v_cmp_ne_u32_e64 s[2:3], 0, v2
	v_cmp_ne_u32_e64 s[28:29], 0, v10
	;; [unrolled: 1-line block ×4, first 2 shown]
	s_bcnt1_i32_b64 s2, s[2:3]
	s_bcnt1_i32_b64 s3, s[28:29]
	;; [unrolled: 1-line block ×4, first 2 shown]
	s_add_u32 s2, s2, s8
	s_addc_u32 s8, 0, s9
	s_add_u32 s2, s2, s3
	s_addc_u32 s3, s8, 0
	;; [unrolled: 2-line block ×3, first 2 shown]
	s_add_u32 s8, s2, s29
	v_cmp_eq_u64_e64 s[38:39], 1, v[30:31]
	s_addc_u32 s9, s3, 0
	s_and_b64 s[2:3], s[16:17], s[36:37]
	v_cmp_eq_u64_e64 s[40:41], 1, v[32:33]
	v_cndmask_b32_e64 v2, 0, 1, s[2:3]
	s_and_b64 s[2:3], s[14:15], s[38:39]
	v_cmp_eq_u64_e64 s[42:43], 1, v[34:35]
	v_cndmask_b32_e64 v12, 0, 1, s[2:3]
	s_and_b64 s[2:3], s[12:13], s[40:41]
	v_cndmask_b32_e64 v13, 0, 1, s[2:3]
	s_and_b64 s[2:3], s[0:1], s[42:43]
	v_cndmask_b32_e64 v14, 0, 1, s[2:3]
	v_cmp_ne_u32_e64 s[2:3], 0, v2
	v_cmp_ne_u32_e64 s[28:29], 0, v12
	;; [unrolled: 1-line block ×4, first 2 shown]
	s_bcnt1_i32_b64 s2, s[2:3]
	s_bcnt1_i32_b64 s3, s[28:29]
	;; [unrolled: 1-line block ×4, first 2 shown]
	s_add_u32 s2, s2, s26
	s_addc_u32 s26, 0, s27
	s_add_u32 s2, s2, s3
	s_addc_u32 s3, s26, 0
	;; [unrolled: 2-line block ×3, first 2 shown]
	s_add_u32 s26, s2, s29
	v_cmp_eq_u64_e64 s[46:47], 2, v[30:31]
	s_addc_u32 s27, s3, 0
	s_and_b64 s[2:3], s[16:17], s[44:45]
	v_cmp_eq_u64_e64 s[48:49], 2, v[32:33]
	v_cndmask_b32_e64 v2, 0, 1, s[2:3]
	s_and_b64 s[2:3], s[14:15], s[46:47]
	v_cmp_eq_u64_e64 s[50:51], 2, v[34:35]
	v_cndmask_b32_e64 v14, 0, 1, s[2:3]
	s_and_b64 s[2:3], s[12:13], s[48:49]
	v_cndmask_b32_e64 v15, 0, 1, s[2:3]
	s_and_b64 s[2:3], s[0:1], s[50:51]
	v_cndmask_b32_e64 v16, 0, 1, s[2:3]
	v_cmp_ne_u32_e64 s[2:3], 0, v2
	v_cmp_ne_u32_e64 s[28:29], 0, v14
	;; [unrolled: 1-line block ×4, first 2 shown]
	s_bcnt1_i32_b64 s2, s[2:3]
	s_bcnt1_i32_b64 s3, s[28:29]
	s_bcnt1_i32_b64 s28, s[30:31]
	s_bcnt1_i32_b64 s29, s[34:35]
	s_add_u32 s2, s2, s66
	s_addc_u32 s30, 0, s67
	s_add_u32 s2, s2, s3
	s_addc_u32 s3, s30, 0
	;; [unrolled: 2-line block ×3, first 2 shown]
	s_add_u32 s66, s2, s29
	v_cmp_eq_u64_e64 s[22:23], 3, v[30:31]
	s_addc_u32 s67, s3, 0
	s_and_b64 s[2:3], s[16:17], s[24:25]
	v_cmp_eq_u64_e64 s[20:21], 3, v[32:33]
	v_cmp_eq_u64_e64 s[18:19], 3, v[34:35]
	v_cndmask_b32_e64 v2, 0, 1, s[2:3]
	s_and_b64 s[2:3], s[14:15], s[22:23]
	v_cndmask_b32_e64 v16, 0, 1, s[2:3]
	s_and_b64 s[2:3], s[12:13], s[20:21]
	s_and_b64 s[0:1], s[0:1], s[18:19]
	v_cndmask_b32_e64 v17, 0, 1, s[2:3]
	v_cndmask_b32_e64 v30, 0, 1, s[0:1]
	v_cmp_ne_u32_e64 s[0:1], 0, v2
	v_cmp_ne_u32_e64 s[2:3], 0, v16
	;; [unrolled: 1-line block ×4, first 2 shown]
	s_bcnt1_i32_b64 s0, s[0:1]
	s_bcnt1_i32_b64 s1, s[2:3]
	;; [unrolled: 1-line block ×4, first 2 shown]
	s_add_u32 s0, s0, s62
	s_addc_u32 s12, 0, s63
	s_add_u32 s0, s0, s1
	s_addc_u32 s1, s12, 0
	;; [unrolled: 2-line block ×3, first 2 shown]
	v_lshl_add_u64 v[6:7], v[6:7], 0, s[94:95]
	s_add_u32 s62, s0, s3
	v_cmp_le_u64_e32 vcc, s[58:59], v[6:7]
	s_addc_u32 s63, s1, 0
	v_add_u32_e32 v44, s57, v44
	v_mov_b64_e32 v[10:11], s[8:9]
	v_mov_b64_e32 v[12:13], s[26:27]
	;; [unrolled: 1-line block ×3, first 2 shown]
	s_or_b64 s[60:61], vcc, s[60:61]
	v_mov_b64_e32 v[16:17], s[62:63]
	s_andn2_b64 exec, exec, s[60:61]
	s_cbranch_execnz .LBB102_74
; %bb.75:                               ;   in Loop: Header=BB102_21 Depth=1
	s_or_b64 exec, exec, s[60:61]
.LBB102_76:                             ;   in Loop: Header=BB102_21 Depth=1
	s_or_b64 exec, exec, s[64:65]
	s_and_b32 s8, s76, 0x7fffffff
	s_mov_b32 s9, s95
	v_lshl_add_u64 v[30:31], s[58:59], 0, v[0:1]
	v_and_b32_e32 v6, 0xffff, v5
	v_mov_b32_e32 v7, v3
	v_cmp_gt_u64_e32 vcc, s[8:9], v[30:31]
	s_and_saveexec_b64 s[18:19], vcc
	s_cbranch_execz .LBB102_80
; %bb.77:                               ;   in Loop: Header=BB102_21 Depth=1
	v_lshl_add_u32 v5, s56, 5, v37
	s_lshl_b32 s22, s77, 3
	s_mov_b64 s[20:21], 0
.LBB102_78:                             ;   Parent Loop BB102_21 Depth=1
                                        ; =>  This Inner Loop Header: Depth=2
	ds_read_b64 v[32:33], v5
	v_lshl_add_u64 v[30:31], v[30:31], 0, v[6:7]
	v_cmp_le_u64_e32 vcc, s[8:9], v[30:31]
	v_add_u32_e32 v5, s22, v5
	s_waitcnt lgkmcnt(0)
	v_xor_b32_e32 v33, 0x80000000, v33
	v_and_b32_e32 v34, v32, v26
	v_and_b32_e32 v35, v33, v27
	v_lshrrev_b64 v[32:33], s33, v[32:33]
	v_and_b32_e32 v2, 3, v32
	v_cmp_eq_u64_e64 s[0:1], v[34:35], v[24:25]
	v_cmp_eq_u64_e64 s[2:3], 0, v[2:3]
	;; [unrolled: 1-line block ×3, first 2 shown]
	s_and_b64 s[2:3], s[0:1], s[2:3]
	v_cmp_eq_u64_e64 s[14:15], 2, v[2:3]
	v_cmp_eq_u64_e64 s[16:17], 3, v[2:3]
	v_cndmask_b32_e64 v2, 0, 1, s[2:3]
	s_and_b64 s[2:3], s[0:1], s[12:13]
	v_cndmask_b32_e64 v32, 0, 1, s[2:3]
	s_and_b64 s[2:3], s[0:1], s[14:15]
	s_and_b64 s[0:1], s[0:1], s[16:17]
	v_cndmask_b32_e64 v34, 0, 1, s[0:1]
	v_cmp_ne_u32_e64 s[0:1], 0, v2
	v_cndmask_b32_e64 v33, 0, 1, s[2:3]
	v_cmp_ne_u32_e64 s[2:3], 0, v32
	s_bcnt1_i32_b64 s94, s[0:1]
	v_cmp_ne_u32_e64 s[12:13], 0, v33
	v_lshl_add_u64 v[10:11], s[94:95], 0, v[10:11]
	s_bcnt1_i32_b64 s94, s[2:3]
	v_cmp_ne_u32_e64 s[14:15], 0, v34
	v_lshl_add_u64 v[12:13], s[94:95], 0, v[12:13]
	s_bcnt1_i32_b64 s94, s[12:13]
	v_lshl_add_u64 v[14:15], s[94:95], 0, v[14:15]
	s_bcnt1_i32_b64 s94, s[14:15]
	s_or_b64 s[20:21], vcc, s[20:21]
	v_lshl_add_u64 v[16:17], s[94:95], 0, v[16:17]
	s_andn2_b64 exec, exec, s[20:21]
	s_cbranch_execnz .LBB102_78
; %bb.79:                               ;   in Loop: Header=BB102_21 Depth=1
	s_or_b64 exec, exec, s[20:21]
.LBB102_80:                             ;   in Loop: Header=BB102_21 Depth=1
	s_or_b64 exec, exec, s[18:19]
	s_lshl_b32 s2, s73, 6
	s_and_saveexec_b64 s[0:1], s[4:5]
	s_cbranch_execnz .LBB102_51
	s_branch .LBB102_52
.LBB102_81:                             ;   in Loop: Header=BB102_21 Depth=1
                                        ; implicit-def: $sgpr0_sgpr1
	s_branch .LBB102_60
.LBB102_82:                             ;   in Loop: Header=BB102_21 Depth=1
	s_mov_b32 s3, 0
	v_mov_b64_e32 v[6:7], 0
.LBB102_83:                             ;   in Loop: Header=BB102_21 Depth=1
	v_readlane_b32 s8, v58, 45
	v_readlane_b32 s9, v58, 46
	s_andn2_b64 vcc, exec, s[8:9]
	s_cbranch_vccnz .LBB102_86
; %bb.84:                               ;   in Loop: Header=BB102_21 Depth=1
	s_lshl_b32 s8, s73, 9
	s_lshl_b32 s3, s3, 5
	s_add_i32 s8, s8, s3
	v_add_u32_e32 v2, s8, v42
	v_readlane_b32 s3, v58, 44
.LBB102_85:                             ;   Parent Loop BB102_21 Depth=1
                                        ; =>  This Inner Loop Header: Depth=2
	ds_read_b64 v[10:11], v2
	s_add_i32 s3, s3, -1
	v_add_u32_e32 v2, 32, v2
	s_cmp_lg_u32 s3, 0
	s_waitcnt lgkmcnt(0)
	v_lshl_add_u64 v[6:7], v[10:11], 0, v[6:7]
	s_cbranch_scc1 .LBB102_85
.LBB102_86:                             ;   in Loop: Header=BB102_21 Depth=1
	v_add_lshl_u32 v2, s2, v36, 3
	ds_write_b64 v2, v[6:7] offset:3072
.LBB102_87:                             ;   in Loop: Header=BB102_21 Depth=1
	s_or_b64 exec, exec, s[0:1]
	s_lshl_b32 s0, s2, 3
	v_mov_b32_e32 v2, s0
	s_waitcnt lgkmcnt(0)
	s_barrier
	ds_read_b128 v[14:17], v2 offset:3088
	ds_read_b128 v[10:13], v2 offset:3072
	s_lshl_b64 s[12:13], 3, s33
	v_cmp_eq_u64_e64 s[0:1], 1, v[28:29]
	s_not_b64 s[22:23], s[12:13]
	s_waitcnt lgkmcnt(1)
	v_readfirstlane_b32 s20, v14
	s_waitcnt lgkmcnt(0)
	v_cmp_eq_u64_e32 vcc, 1, v[10:11]
	v_readfirstlane_b32 s21, v15
	v_readfirstlane_b32 s2, v16
	;; [unrolled: 1-line block ×3, first 2 shown]
	s_and_b64 s[16:17], vcc, s[0:1]
	s_mov_b64 s[0:1], -1
	s_mov_b64 s[24:25], -1
                                        ; implicit-def: $sgpr18_sgpr19
                                        ; implicit-def: $sgpr8_sgpr9
	s_and_saveexec_b64 s[14:15], s[16:17]
	s_cbranch_execz .LBB102_119
; %bb.88:                               ;   in Loop: Header=BB102_21 Depth=1
	ds_read_b64 v[6:7], v3 offset:5120
	s_waitcnt lgkmcnt(0)
	s_barrier
	v_readfirstlane_b32 s26, v6
	v_readfirstlane_b32 s27, v7
	s_and_saveexec_b64 s[8:9], s[6:7]
; %bb.89:                               ;   in Loop: Header=BB102_21 Depth=1
	ds_write_b64 v38, v[48:49]
; %bb.90:                               ;   in Loop: Header=BB102_21 Depth=1
	s_or_b64 exec, exec, s[8:9]
	v_and_b32_e32 v25, s23, v25
	v_and_b32_e32 v24, s22, v24
	v_or_b32_e32 v27, s13, v27
	v_or_b32_e32 v26, s12, v26
	s_mov_b64 s[8:9], -1
	s_mov_b64 s[18:19], 0
	s_cmp_eq_u64 s[26:27], 0
	s_mov_b64 s[24:25], 0
	s_mov_b64 s[28:29], -1
	s_waitcnt lgkmcnt(0)
	s_barrier
                                        ; implicit-def: $vgpr8_vgpr9
	s_cbranch_scc1 .LBB102_104
; %bb.91:                               ;   in Loop: Header=BB102_21 Depth=1
	v_readlane_b32 s24, v58, 40
	s_add_u32 s34, s26, s24
	v_readlane_b32 s24, v58, 41
	s_addc_u32 s25, s27, s24
	s_mov_b32 s24, s95
	s_cmp_lg_u64 s[24:25], 0
	s_cbranch_scc0 .LBB102_145
; %bb.92:                               ;   in Loop: Header=BB102_21 Depth=1
	v_cvt_f32_u32_e32 v2, s92
	s_sub_u32 s24, 0, s92
	s_subb_u32 s30, 0, 0
	v_fmac_f32_e32 v2, 0, v43
	v_rcp_f32_e32 v2, v2
	s_nop 0
	v_mul_f32_e32 v2, 0x5f7ffffc, v2
	v_mul_f32_e32 v5, 0x2f800000, v2
	v_trunc_f32_e32 v5, v5
	v_fmac_f32_e32 v2, 0xcf800000, v5
	v_cvt_u32_f32_e32 v5, v5
	v_cvt_u32_f32_e32 v2, v2
	v_readfirstlane_b32 s31, v5
	v_readfirstlane_b32 s28, v2
	s_mul_i32 s29, s24, s31
	s_mul_hi_u32 s36, s24, s28
	s_mul_i32 s35, s30, s28
	s_add_i32 s29, s36, s29
	s_mul_i32 s37, s24, s28
	s_add_i32 s29, s29, s35
	s_mul_hi_u32 s36, s28, s37
	s_mul_i32 s38, s28, s29
	s_mul_hi_u32 s35, s28, s29
	s_add_u32 s36, s36, s38
	s_addc_u32 s35, 0, s35
	s_mul_hi_u32 s39, s31, s37
	s_mul_i32 s37, s31, s37
	s_add_u32 s36, s36, s37
	s_mul_hi_u32 s38, s31, s29
	s_addc_u32 s35, s35, s39
	s_addc_u32 s36, s38, 0
	s_mul_i32 s29, s31, s29
	s_add_u32 s29, s35, s29
	s_addc_u32 s35, 0, s36
	s_add_u32 s36, s28, s29
	s_cselect_b64 s[28:29], -1, 0
	s_cmp_lg_u64 s[28:29], 0
	s_addc_u32 s31, s31, s35
	s_mul_i32 s28, s24, s31
	s_mul_hi_u32 s29, s24, s36
	s_add_i32 s28, s29, s28
	s_mul_i32 s30, s30, s36
	s_add_i32 s28, s28, s30
	s_mul_i32 s24, s24, s36
	s_mul_hi_u32 s30, s31, s24
	s_mul_i32 s35, s31, s24
	s_mul_i32 s38, s36, s28
	s_mul_hi_u32 s24, s36, s24
	s_mul_hi_u32 s37, s36, s28
	s_add_u32 s24, s24, s38
	s_addc_u32 s37, 0, s37
	s_add_u32 s24, s24, s35
	s_mul_hi_u32 s29, s31, s28
	s_addc_u32 s24, s37, s30
	s_addc_u32 s29, s29, 0
	s_mul_i32 s28, s31, s28
	s_add_u32 s24, s24, s28
	s_addc_u32 s30, 0, s29
	s_add_u32 s24, s36, s24
	s_cselect_b64 s[28:29], -1, 0
	s_cmp_lg_u64 s[28:29], 0
	s_addc_u32 s28, s31, s30
	s_mul_i32 s30, s34, s28
	s_mul_hi_u32 s31, s34, s24
	s_mul_hi_u32 s29, s34, s28
	s_add_u32 s30, s31, s30
	s_addc_u32 s29, 0, s29
	s_mul_hi_u32 s35, s25, s24
	s_mul_i32 s24, s25, s24
	s_add_u32 s24, s30, s24
	s_mul_hi_u32 s31, s25, s28
	s_addc_u32 s24, s29, s35
	s_addc_u32 s29, s31, 0
	s_mul_i32 s28, s25, s28
	s_add_u32 s24, s24, s28
	s_addc_u32 s28, 0, s29
	s_mul_i32 s28, s92, s28
	s_mul_hi_u32 s29, s92, s24
	s_add_i32 s30, s29, s28
	s_mul_i32 s24, s92, s24
	s_sub_u32 s24, s34, s24
	s_cselect_b64 s[28:29], -1, 0
	s_cmp_lg_u64 s[28:29], 0
	s_subb_u32 s30, s25, s30
	s_sub_u32 s31, s24, s92
	s_cselect_b64 s[28:29], -1, 0
	s_cmp_lg_u64 s[28:29], 0
	s_subb_u32 s35, s30, 0
	;; [unrolled: 4-line block ×3, first 2 shown]
	s_cmp_ge_u32 s31, s92
	s_cselect_b32 s29, -1, 0
	s_cmp_eq_u32 s35, 0
	s_cselect_b32 s29, s29, -1
	s_cmp_lg_u32 s29, 0
	s_cselect_b32 s28, s28, s35
	s_cselect_b32 s31, s36, s31
	s_cmp_ge_u32 s24, s92
	s_cselect_b32 s29, -1, 0
	s_cmp_eq_u32 s30, 0
	s_cselect_b32 s29, s29, -1
	s_cmp_lg_u32 s29, 0
	s_cselect_b32 s29, s28, s30
	s_cselect_b32 s28, s31, s24
	s_cbranch_execnz .LBB102_94
.LBB102_93:                             ;   in Loop: Header=BB102_21 Depth=1
	v_cvt_f32_u32_e32 v2, s92
	s_sub_i32 s24, 0, s92
	v_rcp_iflag_f32_e32 v2, v2
	s_nop 0
	v_mul_f32_e32 v2, 0x4f7ffffe, v2
	v_cvt_u32_f32_e32 v2, v2
	s_nop 0
	v_readfirstlane_b32 s28, v2
	s_mul_i32 s24, s24, s28
	s_mul_hi_u32 s24, s28, s24
	s_add_i32 s28, s28, s24
	s_mul_hi_u32 s24, s34, s28
	s_mul_i32 s24, s24, s92
	s_sub_i32 s24, s34, s24
	s_sub_i32 s28, s24, s92
	s_cmp_ge_u32 s24, s92
	s_cselect_b32 s24, s28, s24
	s_sub_i32 s28, s24, s92
	s_cmp_ge_u32 s24, s92
	s_cselect_b32 s94, s28, s24
	s_mov_b64 s[28:29], s[94:95]
.LBB102_94:                             ;   in Loop: Header=BB102_21 Depth=1
	s_sub_u32 s34, s34, s28
	s_subb_u32 s35, s25, s29
	v_cmp_gt_u64_e32 vcc, s[34:35], v[0:1]
	s_mov_b64 s[28:29], 0
	s_mov_b64 s[24:25], 0
                                        ; implicit-def: $vgpr8_vgpr9
	s_and_saveexec_b64 s[30:31], vcc
	s_cbranch_execz .LBB102_103
; %bb.95:                               ;   in Loop: Header=BB102_21 Depth=1
	v_mov_b32_e32 v2, v37
	v_mov_b64_e32 v[14:15], v[0:1]
                                        ; implicit-def: $sgpr36_sgpr37
	s_branch .LBB102_98
.LBB102_96:                             ;   in Loop: Header=BB102_98 Depth=2
	s_or_b64 exec, exec, s[38:39]
	s_waitcnt lgkmcnt(0)
	s_barrier
	ds_read_b128 v[6:9], v3 offset:3072
	s_mov_b64 s[38:39], -1
	s_mov_b64 s[40:41], -1
	s_waitcnt lgkmcnt(0)
	s_barrier
	v_cmp_ne_u64_e32 vcc, 0, v[6:7]
	s_cbranch_vccz .LBB102_101
.LBB102_97:                             ;   in Loop: Header=BB102_98 Depth=2
	s_and_b64 s[38:39], exec, s[38:39]
	s_or_b64 s[24:25], s[38:39], s[24:25]
	s_andn2_b64 s[36:37], s[36:37], exec
	s_and_b64 s[38:39], s[40:41], exec
	s_or_b64 s[36:37], s[36:37], s[38:39]
	s_andn2_b64 exec, exec, s[24:25]
	s_cbranch_execz .LBB102_102
.LBB102_98:                             ;   Parent Loop BB102_21 Depth=1
                                        ; =>  This Inner Loop Header: Depth=2
	v_cmp_gt_u64_e32 vcc, s[26:27], v[14:15]
	s_and_saveexec_b64 s[38:39], vcc
	s_cbranch_execz .LBB102_96
; %bb.99:                               ;   in Loop: Header=BB102_98 Depth=2
	ds_read_b64 v[6:7], v2
	s_waitcnt lgkmcnt(0)
	v_xor_b32_e32 v5, 0x80000000, v7
	v_and_b32_e32 v9, v5, v27
	v_and_b32_e32 v8, v6, v26
	v_cmp_eq_u64_e32 vcc, v[8:9], v[24:25]
	s_and_b64 exec, exec, vcc
	s_cbranch_execz .LBB102_96
; %bb.100:                              ;   in Loop: Header=BB102_98 Depth=2
	v_mov_b32_e32 v5, v3
	ds_write_b128 v3, v[4:7] offset:3072
	s_branch .LBB102_96
.LBB102_101:                            ;   in Loop: Header=BB102_98 Depth=2
	v_lshl_add_u64 v[14:15], v[14:15], 0, s[92:93]
	v_cmp_le_u64_e32 vcc, s[34:35], v[14:15]
	v_add_u32_e32 v2, s72, v2
	s_mov_b64 s[40:41], 0
	s_orn2_b64 s[38:39], vcc, exec
	s_branch .LBB102_97
.LBB102_102:                            ;   in Loop: Header=BB102_21 Depth=1
	s_or_b64 exec, exec, s[24:25]
	s_and_b64 s[24:25], s[36:37], exec
.LBB102_103:                            ;   in Loop: Header=BB102_21 Depth=1
	s_or_b64 exec, exec, s[30:31]
.LBB102_104:                            ;   in Loop: Header=BB102_21 Depth=1
	s_and_b64 vcc, exec, s[28:29]
	s_cbranch_vccz .LBB102_118
; %bb.105:                              ;   in Loop: Header=BB102_21 Depth=1
	s_mov_b32 s84, s95
	s_cmp_lg_u64 s[84:85], 0
	s_cbranch_scc0 .LBB102_149
; %bb.106:                              ;   in Loop: Header=BB102_21 Depth=1
	v_cvt_f32_u32_e32 v2, s92
	s_sub_u32 s18, 0, s92
	s_subb_u32 s19, 0, 0
	v_fmac_f32_e32 v2, 0, v43
	v_rcp_f32_e32 v2, v2
	s_nop 0
	v_mul_f32_e32 v2, 0x5f7ffffc, v2
	v_mul_f32_e32 v5, 0x2f800000, v2
	v_trunc_f32_e32 v5, v5
	v_fmac_f32_e32 v2, 0xcf800000, v5
	v_cvt_u32_f32_e32 v5, v5
	v_cvt_u32_f32_e32 v2, v2
	v_readfirstlane_b32 s26, v5
	v_readfirstlane_b32 s8, v2
	s_mul_i32 s9, s18, s26
	s_mul_hi_u32 s28, s18, s8
	s_mul_i32 s27, s19, s8
	s_add_i32 s9, s28, s9
	s_mul_i32 s29, s18, s8
	s_add_i32 s9, s9, s27
	s_mul_hi_u32 s28, s8, s29
	s_mul_i32 s30, s8, s9
	s_mul_hi_u32 s27, s8, s9
	s_add_u32 s28, s28, s30
	s_addc_u32 s27, 0, s27
	s_mul_hi_u32 s31, s26, s29
	s_mul_i32 s29, s26, s29
	s_add_u32 s28, s28, s29
	s_mul_hi_u32 s30, s26, s9
	s_addc_u32 s27, s27, s31
	s_addc_u32 s28, s30, 0
	s_mul_i32 s9, s26, s9
	s_add_u32 s9, s27, s9
	s_addc_u32 s27, 0, s28
	s_add_u32 s28, s8, s9
	s_cselect_b64 s[8:9], -1, 0
	s_cmp_lg_u64 s[8:9], 0
	s_addc_u32 s26, s26, s27
	s_mul_i32 s8, s18, s26
	s_mul_hi_u32 s9, s18, s28
	s_add_i32 s8, s9, s8
	s_mul_i32 s19, s19, s28
	s_add_i32 s8, s8, s19
	s_mul_i32 s18, s18, s28
	s_mul_hi_u32 s19, s26, s18
	s_mul_i32 s27, s26, s18
	s_mul_i32 s30, s28, s8
	s_mul_hi_u32 s18, s28, s18
	s_mul_hi_u32 s29, s28, s8
	s_add_u32 s18, s18, s30
	s_addc_u32 s29, 0, s29
	s_add_u32 s18, s18, s27
	s_mul_hi_u32 s9, s26, s8
	s_addc_u32 s18, s29, s19
	s_addc_u32 s9, s9, 0
	s_mul_i32 s8, s26, s8
	s_add_u32 s8, s18, s8
	s_addc_u32 s18, 0, s9
	s_add_u32 s19, s28, s8
	s_cselect_b64 s[8:9], -1, 0
	s_cmp_lg_u64 s[8:9], 0
	s_addc_u32 s8, s26, s18
	s_mul_i32 s18, s10, s8
	s_mul_hi_u32 s26, s10, s19
	s_mul_hi_u32 s9, s10, s8
	s_add_u32 s18, s26, s18
	s_addc_u32 s9, 0, s9
	s_mul_hi_u32 s27, s85, s19
	s_mul_i32 s19, s85, s19
	s_add_u32 s18, s18, s19
	s_mul_hi_u32 s26, s85, s8
	s_addc_u32 s9, s9, s27
	s_addc_u32 s18, s26, 0
	s_mul_i32 s8, s85, s8
	s_add_u32 s8, s9, s8
	s_addc_u32 s9, 0, s18
	s_mul_i32 s9, s92, s9
	s_mul_hi_u32 s18, s92, s8
	s_add_i32 s18, s18, s9
	s_mul_i32 s8, s92, s8
	s_sub_u32 s19, s10, s8
	s_cselect_b64 s[8:9], -1, 0
	s_cmp_lg_u64 s[8:9], 0
	s_subb_u32 s18, s85, s18
	s_sub_u32 s26, s19, s92
	s_cselect_b64 s[8:9], -1, 0
	s_cmp_lg_u64 s[8:9], 0
	s_subb_u32 s27, s18, 0
	;; [unrolled: 4-line block ×3, first 2 shown]
	s_cmp_ge_u32 s26, s92
	s_cselect_b32 s9, -1, 0
	s_cmp_eq_u32 s27, 0
	s_cselect_b32 s9, s9, -1
	s_cmp_lg_u32 s9, 0
	s_cselect_b32 s8, s8, s27
	s_cselect_b32 s26, s28, s26
	s_cmp_ge_u32 s19, s92
	s_cselect_b32 s9, -1, 0
	s_cmp_eq_u32 s18, 0
	s_cselect_b32 s9, s9, -1
	s_cmp_lg_u32 s9, 0
	s_cselect_b32 s9, s8, s18
	s_cselect_b32 s8, s26, s19
	s_cbranch_execnz .LBB102_108
.LBB102_107:                            ;   in Loop: Header=BB102_21 Depth=1
	v_cvt_f32_u32_e32 v2, s92
	s_sub_i32 s8, 0, s92
	v_rcp_iflag_f32_e32 v2, v2
	s_nop 0
	v_mul_f32_e32 v2, 0x4f7ffffe, v2
	v_cvt_u32_f32_e32 v2, v2
	s_nop 0
	v_readfirstlane_b32 s9, v2
	s_mul_i32 s8, s8, s9
	s_mul_hi_u32 s8, s9, s8
	s_add_i32 s9, s9, s8
	s_mul_hi_u32 s8, s10, s9
	s_mul_i32 s8, s8, s92
	s_sub_i32 s8, s10, s8
	s_sub_i32 s9, s8, s92
	s_cmp_ge_u32 s8, s92
	s_cselect_b32 s8, s9, s8
	s_sub_i32 s9, s8, s92
	s_cmp_ge_u32 s8, s92
	s_cselect_b32 s94, s9, s8
	s_mov_b64 s[8:9], s[94:95]
.LBB102_108:                            ;   in Loop: Header=BB102_21 Depth=1
	s_sub_u32 s18, s10, s8
	s_subb_u32 s19, s85, s9
	v_cmp_gt_u64_e32 vcc, s[18:19], v[0:1]
                                        ; implicit-def: $vgpr8_vgpr9
	s_and_saveexec_b64 s[8:9], vcc
	s_cbranch_execz .LBB102_117
; %bb.109:                              ;   in Loop: Header=BB102_21 Depth=1
	s_mov_b64 s[28:29], 0
	v_mov_b64_e32 v[14:15], v[0:1]
                                        ; implicit-def: $sgpr26_sgpr27
	s_branch .LBB102_112
.LBB102_110:                            ;   in Loop: Header=BB102_112 Depth=2
	s_or_b64 exec, exec, s[30:31]
	s_waitcnt lgkmcnt(0)
	s_barrier
	ds_read_b128 v[6:9], v3 offset:3072
	s_mov_b64 s[30:31], -1
	s_mov_b64 s[34:35], -1
	s_waitcnt lgkmcnt(0)
	s_barrier
	v_cmp_ne_u64_e32 vcc, 0, v[6:7]
	s_cbranch_vccz .LBB102_115
.LBB102_111:                            ;   in Loop: Header=BB102_112 Depth=2
	s_and_b64 s[30:31], exec, s[30:31]
	s_or_b64 s[28:29], s[30:31], s[28:29]
	s_andn2_b64 s[26:27], s[26:27], exec
	s_and_b64 s[30:31], s[34:35], exec
	s_or_b64 s[26:27], s[26:27], s[30:31]
	s_andn2_b64 exec, exec, s[28:29]
	s_cbranch_execz .LBB102_116
.LBB102_112:                            ;   Parent Loop BB102_21 Depth=1
                                        ; =>  This Inner Loop Header: Depth=2
	v_cmp_gt_u64_e32 vcc, s[52:53], v[14:15]
	s_and_saveexec_b64 s[30:31], vcc
	s_cbranch_execz .LBB102_110
; %bb.113:                              ;   in Loop: Header=BB102_112 Depth=2
	v_mul_lo_u32 v2, v15, s80
	v_mul_lo_u32 v5, v14, s81
	v_mad_u64_u32 v[6:7], s[34:35], v14, s80, 0
	v_add3_u32 v7, v7, v5, v2
	v_lshl_add_u64 v[6:7], v[6:7], 3, s[90:91]
	global_load_dwordx2 v[6:7], v[6:7], off
	s_waitcnt vmcnt(0)
	v_xor_b32_e32 v2, 0x80000000, v7
	v_and_b32_e32 v9, v2, v27
	v_and_b32_e32 v8, v6, v26
	v_cmp_eq_u64_e32 vcc, v[8:9], v[24:25]
	s_and_b64 exec, exec, vcc
	s_cbranch_execz .LBB102_110
; %bb.114:                              ;   in Loop: Header=BB102_112 Depth=2
	v_mov_b32_e32 v5, v3
	ds_write_b128 v3, v[4:7] offset:3072
	s_branch .LBB102_110
.LBB102_115:                            ;   in Loop: Header=BB102_112 Depth=2
	v_lshl_add_u64 v[14:15], v[14:15], 0, s[92:93]
	v_cmp_le_u64_e32 vcc, s[18:19], v[14:15]
	s_mov_b64 s[34:35], 0
	s_orn2_b64 s[30:31], vcc, exec
	s_branch .LBB102_111
.LBB102_116:                            ;   in Loop: Header=BB102_21 Depth=1
	s_or_b64 exec, exec, s[28:29]
	s_andn2_b64 s[18:19], s[24:25], exec
	s_and_b64 s[24:25], s[26:27], exec
	s_or_b64 s[24:25], s[18:19], s[24:25]
.LBB102_117:                            ;   in Loop: Header=BB102_21 Depth=1
	s_or_b64 exec, exec, s[8:9]
	s_mov_b64 s[8:9], 0
	s_mov_b64 s[18:19], -1
.LBB102_118:                            ;   in Loop: Header=BB102_21 Depth=1
	s_orn2_b64 s[24:25], s[24:25], exec
.LBB102_119:                            ;   in Loop: Header=BB102_21 Depth=1
	s_or_b64 exec, exec, s[14:15]
	s_andn2_b64 s[14:15], s[54:55], exec
	s_and_b64 s[18:19], s[18:19], exec
	s_or_b64 s[54:55], s[14:15], s[18:19]
	s_andn2_b64 s[14:15], s[78:79], exec
	s_and_b64 s[8:9], s[8:9], exec
	s_andn2_b64 s[70:71], s[70:71], exec
	s_or_b64 s[78:79], s[14:15], s[8:9]
                                        ; implicit-def: $vgpr14_vgpr15
	s_and_saveexec_b64 s[14:15], s[24:25]
	s_cbranch_execz .LBB102_20
; %bb.120:                              ;   in Loop: Header=BB102_21 Depth=1
	s_xor_b64 s[8:9], s[16:17], -1
	v_mov_b32_e32 v2, 1
	s_mov_b64 s[18:19], 0
	v_mov_b64_e32 v[14:15], 1
	s_and_saveexec_b64 s[0:1], s[8:9]
	s_cbranch_execz .LBB102_129
; %bb.121:                              ;   in Loop: Header=BB102_21 Depth=1
	v_cmp_le_u64_e32 vcc, v[28:29], v[10:11]
	s_and_saveexec_b64 s[8:9], vcc
	s_xor_b64 s[8:9], exec, s[8:9]
	s_cbranch_execz .LBB102_126
; %bb.122:                              ;   in Loop: Header=BB102_21 Depth=1
	ds_read_b64 v[6:7], v3 offset:5120
	v_and_b32_e32 v25, s23, v25
	v_and_b32_e32 v24, s22, v24
	v_or_b32_e32 v27, s13, v27
	v_or_b32_e32 v26, s12, v26
	s_waitcnt lgkmcnt(0)
	v_cmp_ne_u64_e32 vcc, 0, v[6:7]
	s_cbranch_vccnz .LBB102_126
; %bb.123:                              ;   in Loop: Header=BB102_21 Depth=1
	s_mov_b64 s[16:17], exec
	v_readlane_b32 s18, v58, 28
	v_readlane_b32 s19, v58, 29
	s_and_b64 s[18:19], s[16:17], s[18:19]
	s_mov_b64 exec, s[18:19]
; %bb.124:                              ;   in Loop: Header=BB102_21 Depth=1
	ds_write_b64 v3, v[10:11] offset:5128
; %bb.125:                              ;   in Loop: Header=BB102_21 Depth=1
	s_or_b64 exec, exec, s[16:17]
	s_waitcnt lgkmcnt(0)
	s_barrier
.LBB102_126:                            ;   in Loop: Header=BB102_21 Depth=1
	s_or_saveexec_b64 s[8:9], s[8:9]
	s_mov_b64 s[16:17], 0
	v_mov_b32_e32 v2, 8
	s_xor_b64 exec, exec, s[8:9]
; %bb.127:                              ;   in Loop: Header=BB102_21 Depth=1
	v_sub_co_u32_e32 v28, vcc, v28, v10
	s_mov_b64 s[16:17], exec
	s_nop 0
	v_subb_co_u32_e32 v29, vcc, v29, v11, vcc
	v_mov_b32_e32 v2, 0
; %bb.128:                              ;   in Loop: Header=BB102_21 Depth=1
	s_or_b64 exec, exec, s[8:9]
	s_and_b64 s[18:19], s[16:17], exec
	v_mov_b64_e32 v[14:15], v[28:29]
.LBB102_129:                            ;   in Loop: Header=BB102_21 Depth=1
	s_or_b64 exec, exec, s[0:1]
	s_mov_b64 s[16:17], -1
	s_mov_b64 s[8:9], -1
                                        ; implicit-def: $sgpr0_sgpr1
                                        ; implicit-def: $sgpr24_sgpr25
	s_and_saveexec_b64 s[26:27], s[18:19]
	s_xor_b64 s[18:19], exec, s[26:27]
	s_cbranch_execz .LBB102_274
; %bb.130:                              ;   in Loop: Header=BB102_21 Depth=1
	v_cmp_eq_u64_e32 vcc, 1, v[12:13]
	v_cmp_eq_u64_e64 s[0:1], 1, v[14:15]
	s_and_b64 s[30:31], vcc, s[0:1]
                                        ; implicit-def: $sgpr24_sgpr25
                                        ; implicit-def: $sgpr0_sgpr1
	s_and_saveexec_b64 s[28:29], s[30:31]
	s_cbranch_execz .LBB102_167
; %bb.131:                              ;   in Loop: Header=BB102_21 Depth=1
	ds_read_b64 v[6:7], v3 offset:5120
	s_waitcnt lgkmcnt(0)
	s_barrier
	v_readfirstlane_b32 s26, v6
	v_readfirstlane_b32 s27, v7
	s_and_saveexec_b64 s[0:1], s[6:7]
; %bb.132:                              ;   in Loop: Header=BB102_21 Depth=1
	ds_write_b64 v38, v[48:49]
; %bb.133:                              ;   in Loop: Header=BB102_21 Depth=1
	s_or_b64 exec, exec, s[0:1]
	s_lshl_b64 s[0:1], 1, s33
	v_and_b32_e32 v5, s23, v25
	v_and_b32_e32 v6, s22, v24
	v_or_b32_e32 v25, s1, v5
	v_or_b32_e32 v24, s0, v6
	;; [unrolled: 1-line block ×4, first 2 shown]
	s_mov_b64 s[0:1], -1
	s_mov_b64 s[24:25], 0
	s_cmp_eq_u64 s[26:27], 0
	s_mov_b64 s[8:9], 0
	s_mov_b64 s[34:35], -1
	s_waitcnt lgkmcnt(0)
	s_barrier
                                        ; implicit-def: $vgpr8_vgpr9
	s_cbranch_scc1 .LBB102_152
; %bb.134:                              ;   in Loop: Header=BB102_21 Depth=1
	v_readlane_b32 s8, v58, 40
	s_add_u32 s38, s26, s8
	v_readlane_b32 s8, v58, 41
	s_addc_u32 s9, s27, s8
	s_mov_b32 s8, s95
	s_cmp_lg_u64 s[8:9], 0
	s_cbranch_scc0 .LBB102_194
; %bb.135:                              ;   in Loop: Header=BB102_21 Depth=1
	v_cvt_f32_u32_e32 v5, s92
	s_sub_u32 s8, 0, s92
	s_subb_u32 s36, 0, 0
	v_fmac_f32_e32 v5, 0, v43
	v_rcp_f32_e32 v5, v5
	s_nop 0
	v_mul_f32_e32 v5, 0x5f7ffffc, v5
	v_mul_f32_e32 v6, 0x2f800000, v5
	v_trunc_f32_e32 v6, v6
	v_fmac_f32_e32 v5, 0xcf800000, v6
	v_cvt_u32_f32_e32 v6, v6
	v_cvt_u32_f32_e32 v5, v5
	v_readfirstlane_b32 s37, v6
	v_readfirstlane_b32 s34, v5
	s_mul_i32 s35, s8, s37
	s_mul_hi_u32 s40, s8, s34
	s_mul_i32 s39, s36, s34
	s_add_i32 s35, s40, s35
	s_mul_i32 s41, s8, s34
	s_add_i32 s35, s35, s39
	s_mul_hi_u32 s40, s34, s41
	s_mul_i32 s42, s34, s35
	s_mul_hi_u32 s39, s34, s35
	s_add_u32 s40, s40, s42
	s_addc_u32 s39, 0, s39
	s_mul_hi_u32 s43, s37, s41
	s_mul_i32 s41, s37, s41
	s_add_u32 s40, s40, s41
	s_mul_hi_u32 s42, s37, s35
	s_addc_u32 s39, s39, s43
	s_addc_u32 s40, s42, 0
	s_mul_i32 s35, s37, s35
	s_add_u32 s35, s39, s35
	s_addc_u32 s39, 0, s40
	s_add_u32 s40, s34, s35
	s_cselect_b64 s[34:35], -1, 0
	s_cmp_lg_u64 s[34:35], 0
	s_addc_u32 s37, s37, s39
	s_mul_i32 s34, s8, s37
	s_mul_hi_u32 s35, s8, s40
	s_add_i32 s34, s35, s34
	s_mul_i32 s36, s36, s40
	s_add_i32 s34, s34, s36
	s_mul_i32 s8, s8, s40
	s_mul_hi_u32 s36, s37, s8
	s_mul_i32 s39, s37, s8
	s_mul_i32 s42, s40, s34
	s_mul_hi_u32 s8, s40, s8
	s_mul_hi_u32 s41, s40, s34
	s_add_u32 s8, s8, s42
	s_addc_u32 s41, 0, s41
	s_add_u32 s8, s8, s39
	s_mul_hi_u32 s35, s37, s34
	s_addc_u32 s8, s41, s36
	s_addc_u32 s35, s35, 0
	s_mul_i32 s34, s37, s34
	s_add_u32 s8, s8, s34
	s_addc_u32 s36, 0, s35
	s_add_u32 s8, s40, s8
	s_cselect_b64 s[34:35], -1, 0
	s_cmp_lg_u64 s[34:35], 0
	s_addc_u32 s34, s37, s36
	s_mul_i32 s36, s38, s34
	s_mul_hi_u32 s37, s38, s8
	s_mul_hi_u32 s35, s38, s34
	s_add_u32 s36, s37, s36
	s_addc_u32 s35, 0, s35
	s_mul_hi_u32 s39, s9, s8
	s_mul_i32 s8, s9, s8
	s_add_u32 s8, s36, s8
	s_mul_hi_u32 s37, s9, s34
	s_addc_u32 s8, s35, s39
	s_addc_u32 s35, s37, 0
	s_mul_i32 s34, s9, s34
	s_add_u32 s8, s8, s34
	s_addc_u32 s34, 0, s35
	s_mul_i32 s34, s92, s34
	s_mul_hi_u32 s35, s92, s8
	s_add_i32 s36, s35, s34
	s_mul_i32 s8, s92, s8
	s_sub_u32 s8, s38, s8
	s_cselect_b64 s[34:35], -1, 0
	s_cmp_lg_u64 s[34:35], 0
	s_subb_u32 s36, s9, s36
	s_sub_u32 s37, s8, s92
	s_cselect_b64 s[34:35], -1, 0
	s_cmp_lg_u64 s[34:35], 0
	s_subb_u32 s39, s36, 0
	;; [unrolled: 4-line block ×3, first 2 shown]
	s_cmp_ge_u32 s37, s92
	s_cselect_b32 s35, -1, 0
	s_cmp_eq_u32 s39, 0
	s_cselect_b32 s35, s35, -1
	s_cmp_lg_u32 s35, 0
	s_cselect_b32 s34, s34, s39
	s_cselect_b32 s37, s40, s37
	s_cmp_ge_u32 s8, s92
	s_cselect_b32 s35, -1, 0
	s_cmp_eq_u32 s36, 0
	s_cselect_b32 s35, s35, -1
	s_cmp_lg_u32 s35, 0
	s_cselect_b32 s35, s34, s36
	s_cselect_b32 s34, s37, s8
	s_cbranch_execnz .LBB102_137
.LBB102_136:                            ;   in Loop: Header=BB102_21 Depth=1
	v_cvt_f32_u32_e32 v5, s92
	s_sub_i32 s8, 0, s92
	v_rcp_iflag_f32_e32 v5, v5
	s_nop 0
	v_mul_f32_e32 v5, 0x4f7ffffe, v5
	v_cvt_u32_f32_e32 v5, v5
	s_nop 0
	v_readfirstlane_b32 s34, v5
	s_mul_i32 s8, s8, s34
	s_mul_hi_u32 s8, s34, s8
	s_add_i32 s34, s34, s8
	s_mul_hi_u32 s8, s38, s34
	s_mul_i32 s8, s8, s92
	s_sub_i32 s8, s38, s8
	s_sub_i32 s34, s8, s92
	s_cmp_ge_u32 s8, s92
	s_cselect_b32 s8, s34, s8
	s_sub_i32 s34, s8, s92
	s_cmp_ge_u32 s8, s92
	s_cselect_b32 s94, s34, s8
	s_mov_b64 s[34:35], s[94:95]
.LBB102_137:                            ;   in Loop: Header=BB102_21 Depth=1
	s_sub_u32 s38, s38, s34
	s_subb_u32 s39, s9, s35
	v_cmp_gt_u64_e32 vcc, s[38:39], v[0:1]
	s_mov_b64 s[34:35], 0
	s_mov_b64 s[8:9], 0
                                        ; implicit-def: $vgpr8_vgpr9
	s_and_saveexec_b64 s[36:37], vcc
	s_cbranch_execz .LBB102_151
; %bb.138:                              ;   in Loop: Header=BB102_21 Depth=1
	v_mov_b32_e32 v16, v37
	v_mov_b64_e32 v[10:11], v[0:1]
                                        ; implicit-def: $sgpr40_sgpr41
	s_branch .LBB102_141
.LBB102_139:                            ;   in Loop: Header=BB102_141 Depth=2
	s_or_b64 exec, exec, s[42:43]
	s_waitcnt lgkmcnt(0)
	s_barrier
	ds_read_b128 v[6:9], v3 offset:3072
	s_mov_b64 s[42:43], -1
	s_mov_b64 s[44:45], -1
	s_waitcnt lgkmcnt(0)
	s_barrier
	v_cmp_ne_u64_e32 vcc, 0, v[6:7]
	s_cbranch_vccz .LBB102_144
.LBB102_140:                            ;   in Loop: Header=BB102_141 Depth=2
	s_and_b64 s[42:43], exec, s[42:43]
	s_or_b64 s[8:9], s[42:43], s[8:9]
	s_andn2_b64 s[40:41], s[40:41], exec
	s_and_b64 s[42:43], s[44:45], exec
	s_or_b64 s[40:41], s[40:41], s[42:43]
	s_andn2_b64 exec, exec, s[8:9]
	s_cbranch_execz .LBB102_150
.LBB102_141:                            ;   Parent Loop BB102_21 Depth=1
                                        ; =>  This Inner Loop Header: Depth=2
	v_cmp_gt_u64_e32 vcc, s[26:27], v[10:11]
	s_and_saveexec_b64 s[42:43], vcc
	s_cbranch_execz .LBB102_139
; %bb.142:                              ;   in Loop: Header=BB102_141 Depth=2
	ds_read_b64 v[6:7], v16
	s_waitcnt lgkmcnt(0)
	v_xor_b32_e32 v5, 0x80000000, v7
	v_and_b32_e32 v9, v5, v27
	v_and_b32_e32 v8, v6, v26
	v_cmp_eq_u64_e32 vcc, v[8:9], v[24:25]
	s_and_b64 exec, exec, vcc
	s_cbranch_execz .LBB102_139
; %bb.143:                              ;   in Loop: Header=BB102_141 Depth=2
	v_mov_b32_e32 v5, v3
	ds_write_b128 v3, v[4:7] offset:3072
	s_branch .LBB102_139
.LBB102_144:                            ;   in Loop: Header=BB102_141 Depth=2
	v_lshl_add_u64 v[10:11], v[10:11], 0, s[92:93]
	v_cmp_le_u64_e32 vcc, s[38:39], v[10:11]
	v_add_u32_e32 v16, s72, v16
	s_mov_b64 s[44:45], 0
	s_orn2_b64 s[42:43], vcc, exec
	s_branch .LBB102_140
.LBB102_145:                            ;   in Loop: Header=BB102_21 Depth=1
                                        ; implicit-def: $sgpr28_sgpr29
	s_branch .LBB102_93
.LBB102_146:                            ;   in Loop: Header=BB102_21 Depth=1
	s_or_b64 exec, exec, s[12:13]
	s_waitcnt lgkmcnt(0)
	s_barrier
	s_mov_b64 s[0:1], exec
	v_readlane_b32 s2, v58, 28
	v_readlane_b32 s3, v58, 29
	s_and_b64 s[2:3], s[0:1], s[2:3]
	s_mov_b64 exec, s[2:3]
	s_cbranch_execz .LBB102_148
; %bb.147:                              ;   in Loop: Header=BB102_21 Depth=1
	ds_read_b32 v6, v3 offset:5144
	s_waitcnt lgkmcnt(0)
	v_ashrrev_i32_e32 v7, 31, v6
	ds_write_b64 v3, v[6:7] offset:5120
.LBB102_148:                            ;   in Loop: Header=BB102_21 Depth=1
	s_or_b64 exec, exec, s[0:1]
	s_waitcnt lgkmcnt(0)
	s_barrier
	s_mov_b64 s[0:1], -1
	s_and_b64 vcc, exec, s[8:9]
	s_cbranch_vccnz .LBB102_37
	s_branch .LBB102_46
.LBB102_149:                            ;   in Loop: Header=BB102_21 Depth=1
                                        ; implicit-def: $sgpr8_sgpr9
	s_branch .LBB102_107
.LBB102_150:                            ;   in Loop: Header=BB102_21 Depth=1
	s_or_b64 exec, exec, s[8:9]
	s_and_b64 s[8:9], s[40:41], exec
.LBB102_151:                            ;   in Loop: Header=BB102_21 Depth=1
	s_or_b64 exec, exec, s[36:37]
.LBB102_152:                            ;   in Loop: Header=BB102_21 Depth=1
	s_and_b64 vcc, exec, s[34:35]
	s_cbranch_vccz .LBB102_166
; %bb.153:                              ;   in Loop: Header=BB102_21 Depth=1
	s_mov_b32 s84, s95
	s_cmp_lg_u64 s[84:85], 0
	s_cbranch_scc0 .LBB102_195
; %bb.154:                              ;   in Loop: Header=BB102_21 Depth=1
	v_cvt_f32_u32_e32 v5, s92
	s_sub_u32 s24, 0, s92
	s_subb_u32 s25, 0, 0
	v_fmac_f32_e32 v5, 0, v43
	v_rcp_f32_e32 v5, v5
	s_nop 0
	v_mul_f32_e32 v5, 0x5f7ffffc, v5
	v_mul_f32_e32 v6, 0x2f800000, v5
	v_trunc_f32_e32 v6, v6
	v_fmac_f32_e32 v5, 0xcf800000, v6
	v_cvt_u32_f32_e32 v6, v6
	v_cvt_u32_f32_e32 v5, v5
	v_readfirstlane_b32 s26, v6
	v_readfirstlane_b32 s0, v5
	s_mul_i32 s1, s24, s26
	s_mul_hi_u32 s34, s24, s0
	s_mul_i32 s27, s25, s0
	s_add_i32 s1, s34, s1
	s_mul_i32 s35, s24, s0
	s_add_i32 s1, s1, s27
	s_mul_hi_u32 s34, s0, s35
	s_mul_i32 s36, s0, s1
	s_mul_hi_u32 s27, s0, s1
	s_add_u32 s34, s34, s36
	s_addc_u32 s27, 0, s27
	s_mul_hi_u32 s37, s26, s35
	s_mul_i32 s35, s26, s35
	s_add_u32 s34, s34, s35
	s_mul_hi_u32 s36, s26, s1
	s_addc_u32 s27, s27, s37
	s_addc_u32 s34, s36, 0
	s_mul_i32 s1, s26, s1
	s_add_u32 s1, s27, s1
	s_addc_u32 s27, 0, s34
	s_add_u32 s34, s0, s1
	s_cselect_b64 s[0:1], -1, 0
	s_cmp_lg_u64 s[0:1], 0
	s_addc_u32 s26, s26, s27
	s_mul_i32 s0, s24, s26
	s_mul_hi_u32 s1, s24, s34
	s_add_i32 s0, s1, s0
	s_mul_i32 s25, s25, s34
	s_add_i32 s0, s0, s25
	s_mul_i32 s24, s24, s34
	s_mul_hi_u32 s25, s26, s24
	s_mul_i32 s27, s26, s24
	s_mul_i32 s36, s34, s0
	s_mul_hi_u32 s24, s34, s24
	s_mul_hi_u32 s35, s34, s0
	s_add_u32 s24, s24, s36
	s_addc_u32 s35, 0, s35
	s_add_u32 s24, s24, s27
	s_mul_hi_u32 s1, s26, s0
	s_addc_u32 s24, s35, s25
	s_addc_u32 s1, s1, 0
	s_mul_i32 s0, s26, s0
	s_add_u32 s0, s24, s0
	s_addc_u32 s24, 0, s1
	s_add_u32 s25, s34, s0
	s_cselect_b64 s[0:1], -1, 0
	s_cmp_lg_u64 s[0:1], 0
	s_addc_u32 s0, s26, s24
	s_mul_i32 s24, s10, s0
	s_mul_hi_u32 s26, s10, s25
	s_mul_hi_u32 s1, s10, s0
	s_add_u32 s24, s26, s24
	s_addc_u32 s1, 0, s1
	s_mul_hi_u32 s27, s85, s25
	s_mul_i32 s25, s85, s25
	s_add_u32 s24, s24, s25
	s_mul_hi_u32 s26, s85, s0
	s_addc_u32 s1, s1, s27
	s_addc_u32 s24, s26, 0
	s_mul_i32 s0, s85, s0
	s_add_u32 s0, s1, s0
	s_addc_u32 s1, 0, s24
	s_mul_i32 s1, s92, s1
	s_mul_hi_u32 s24, s92, s0
	s_add_i32 s24, s24, s1
	s_mul_i32 s0, s92, s0
	s_sub_u32 s25, s10, s0
	s_cselect_b64 s[0:1], -1, 0
	s_cmp_lg_u64 s[0:1], 0
	s_subb_u32 s24, s85, s24
	s_sub_u32 s26, s25, s92
	s_cselect_b64 s[0:1], -1, 0
	s_cmp_lg_u64 s[0:1], 0
	s_subb_u32 s27, s24, 0
	;; [unrolled: 4-line block ×3, first 2 shown]
	s_cmp_ge_u32 s26, s92
	s_cselect_b32 s1, -1, 0
	s_cmp_eq_u32 s27, 0
	s_cselect_b32 s1, s1, -1
	s_cmp_lg_u32 s1, 0
	s_cselect_b32 s0, s0, s27
	s_cselect_b32 s26, s34, s26
	s_cmp_ge_u32 s25, s92
	s_cselect_b32 s1, -1, 0
	s_cmp_eq_u32 s24, 0
	s_cselect_b32 s1, s1, -1
	s_cmp_lg_u32 s1, 0
	s_cselect_b32 s1, s0, s24
	s_cselect_b32 s0, s26, s25
	s_cbranch_execnz .LBB102_156
.LBB102_155:                            ;   in Loop: Header=BB102_21 Depth=1
	v_cvt_f32_u32_e32 v5, s92
	s_sub_i32 s0, 0, s92
	v_rcp_iflag_f32_e32 v5, v5
	s_nop 0
	v_mul_f32_e32 v5, 0x4f7ffffe, v5
	v_cvt_u32_f32_e32 v5, v5
	s_nop 0
	v_readfirstlane_b32 s1, v5
	s_mul_i32 s0, s0, s1
	s_mul_hi_u32 s0, s1, s0
	s_add_i32 s1, s1, s0
	s_mul_hi_u32 s0, s10, s1
	s_mul_i32 s0, s0, s92
	s_sub_i32 s0, s10, s0
	s_sub_i32 s1, s0, s92
	s_cmp_ge_u32 s0, s92
	s_cselect_b32 s0, s1, s0
	s_sub_i32 s1, s0, s92
	s_cmp_ge_u32 s0, s92
	s_cselect_b32 s94, s1, s0
	s_mov_b64 s[0:1], s[94:95]
.LBB102_156:                            ;   in Loop: Header=BB102_21 Depth=1
	s_sub_u32 s24, s10, s0
	s_subb_u32 s25, s85, s1
	v_cmp_gt_u64_e32 vcc, s[24:25], v[0:1]
                                        ; implicit-def: $vgpr8_vgpr9
	s_and_saveexec_b64 s[0:1], vcc
	s_cbranch_execz .LBB102_165
; %bb.157:                              ;   in Loop: Header=BB102_21 Depth=1
	s_mov_b64 s[26:27], 0
	v_mov_b64_e32 v[10:11], v[0:1]
                                        ; implicit-def: $sgpr34_sgpr35
	s_branch .LBB102_160
.LBB102_158:                            ;   in Loop: Header=BB102_160 Depth=2
	s_or_b64 exec, exec, s[36:37]
	s_waitcnt lgkmcnt(0)
	s_barrier
	ds_read_b128 v[6:9], v3 offset:3072
	s_mov_b64 s[36:37], -1
	s_mov_b64 s[38:39], -1
	s_waitcnt lgkmcnt(0)
	s_barrier
	v_cmp_eq_u64_e32 vcc, 0, v[6:7]
	s_cbranch_vccnz .LBB102_163
.LBB102_159:                            ;   in Loop: Header=BB102_160 Depth=2
	s_and_b64 s[36:37], exec, s[36:37]
	s_or_b64 s[26:27], s[36:37], s[26:27]
	s_andn2_b64 s[34:35], s[34:35], exec
	s_and_b64 s[36:37], s[38:39], exec
	s_or_b64 s[34:35], s[34:35], s[36:37]
	s_andn2_b64 exec, exec, s[26:27]
	s_cbranch_execz .LBB102_164
.LBB102_160:                            ;   Parent Loop BB102_21 Depth=1
                                        ; =>  This Inner Loop Header: Depth=2
	v_cmp_gt_u64_e32 vcc, s[52:53], v[10:11]
	s_and_saveexec_b64 s[36:37], vcc
	s_cbranch_execz .LBB102_158
; %bb.161:                              ;   in Loop: Header=BB102_160 Depth=2
	v_mul_lo_u32 v5, v11, s80
	v_mul_lo_u32 v8, v10, s81
	v_mad_u64_u32 v[6:7], s[38:39], v10, s80, 0
	v_add3_u32 v7, v7, v8, v5
	v_lshl_add_u64 v[6:7], v[6:7], 3, s[90:91]
	global_load_dwordx2 v[6:7], v[6:7], off
	s_waitcnt vmcnt(0)
	v_xor_b32_e32 v5, 0x80000000, v7
	v_and_b32_e32 v9, v5, v27
	v_and_b32_e32 v8, v6, v26
	v_cmp_eq_u64_e32 vcc, v[8:9], v[24:25]
	s_and_b64 exec, exec, vcc
	s_cbranch_execz .LBB102_158
; %bb.162:                              ;   in Loop: Header=BB102_160 Depth=2
	v_mov_b32_e32 v5, v3
	ds_write_b128 v3, v[4:7] offset:3072
	s_branch .LBB102_158
.LBB102_163:                            ;   in Loop: Header=BB102_160 Depth=2
	v_lshl_add_u64 v[10:11], v[10:11], 0, s[92:93]
	v_cmp_le_u64_e32 vcc, s[24:25], v[10:11]
	s_mov_b64 s[38:39], 0
	s_orn2_b64 s[36:37], vcc, exec
	s_branch .LBB102_159
.LBB102_164:                            ;   in Loop: Header=BB102_21 Depth=1
	s_or_b64 exec, exec, s[26:27]
	s_andn2_b64 s[8:9], s[8:9], exec
	s_and_b64 s[24:25], s[34:35], exec
	s_or_b64 s[8:9], s[8:9], s[24:25]
.LBB102_165:                            ;   in Loop: Header=BB102_21 Depth=1
	s_or_b64 exec, exec, s[0:1]
	s_mov_b64 s[0:1], 0
	s_mov_b64 s[24:25], -1
.LBB102_166:                            ;   in Loop: Header=BB102_21 Depth=1
	s_orn2_b64 s[8:9], s[8:9], exec
.LBB102_167:                            ;   in Loop: Header=BB102_21 Depth=1
	s_or_b64 exec, exec, s[28:29]
	s_mov_b64 s[26:27], 0
	s_and_saveexec_b64 s[28:29], s[8:9]
	s_cbranch_execz .LBB102_273
; %bb.168:                              ;   in Loop: Header=BB102_21 Depth=1
	s_xor_b64 s[30:31], s[30:31], -1
	v_mov_b32_e32 v2, 1
	v_mov_b64_e32 v[10:11], 1
	s_and_saveexec_b64 s[8:9], s[30:31]
	s_cbranch_execz .LBB102_178
; %bb.169:                              ;   in Loop: Header=BB102_21 Depth=1
	v_cmp_le_u64_e32 vcc, v[14:15], v[12:13]
	s_and_saveexec_b64 s[26:27], vcc
	s_xor_b64 s[26:27], exec, s[26:27]
	s_cbranch_execz .LBB102_175
; %bb.170:                              ;   in Loop: Header=BB102_21 Depth=1
	ds_read_b64 v[6:7], v3 offset:5120
	s_lshl_b64 s[30:31], 1, s33
	v_and_b32_e32 v2, s23, v25
	v_and_b32_e32 v5, s22, v24
	v_or_b32_e32 v25, s31, v2
	s_waitcnt lgkmcnt(0)
	v_cmp_ne_u64_e32 vcc, 0, v[6:7]
	v_or_b32_e32 v24, s30, v5
	v_or_b32_e32 v27, s13, v27
	;; [unrolled: 1-line block ×3, first 2 shown]
	s_cbranch_vccnz .LBB102_174
; %bb.171:                              ;   in Loop: Header=BB102_21 Depth=1
	s_mov_b64 s[30:31], exec
	v_readlane_b32 s34, v58, 28
	v_readlane_b32 s35, v58, 29
	s_and_b64 s[34:35], s[30:31], s[34:35]
	s_mov_b64 exec, s[34:35]
; %bb.172:                              ;   in Loop: Header=BB102_21 Depth=1
	ds_write_b64 v3, v[12:13] offset:5128
; %bb.173:                              ;   in Loop: Header=BB102_21 Depth=1
	s_or_b64 exec, exec, s[30:31]
	s_waitcnt lgkmcnt(0)
	s_barrier
.LBB102_174:                            ;   in Loop: Header=BB102_21 Depth=1
                                        ; implicit-def: $vgpr10_vgpr11_vgpr12_vgpr13
.LBB102_175:                            ;   in Loop: Header=BB102_21 Depth=1
	s_or_saveexec_b64 s[26:27], s[26:27]
	s_mov_b64 s[30:31], 0
	v_mov_b32_e32 v2, 8
	s_xor_b64 exec, exec, s[26:27]
; %bb.176:                              ;   in Loop: Header=BB102_21 Depth=1
	v_sub_co_u32_e32 v14, vcc, v14, v12
	s_mov_b64 s[30:31], exec
	s_nop 0
	v_subb_co_u32_e32 v15, vcc, v15, v13, vcc
	v_mov_b32_e32 v2, 0
; %bb.177:                              ;   in Loop: Header=BB102_21 Depth=1
	s_or_b64 exec, exec, s[26:27]
	s_and_b64 s[26:27], s[30:31], exec
	v_mov_b64_e32 v[10:11], v[14:15]
.LBB102_178:                            ;   in Loop: Header=BB102_21 Depth=1
	s_or_b64 exec, exec, s[8:9]
	s_mov_b64 s[8:9], -1
                                        ; implicit-def: $sgpr34_sgpr35
                                        ; implicit-def: $sgpr36_sgpr37
	s_and_saveexec_b64 s[30:31], s[26:27]
	s_cbranch_execz .LBB102_272
; %bb.179:                              ;   in Loop: Header=BB102_21 Depth=1
	s_cmp_eq_u64 s[20:21], 1
	s_cselect_b64 s[8:9], -1, 0
	v_cmp_eq_u64_e32 vcc, 1, v[10:11]
	s_and_b64 s[40:41], s[8:9], vcc
	s_mov_b64 s[8:9], -1
                                        ; implicit-def: $sgpr36_sgpr37
                                        ; implicit-def: $sgpr34_sgpr35
	s_and_saveexec_b64 s[38:39], s[40:41]
	s_cbranch_execz .LBB102_213
; %bb.180:                              ;   in Loop: Header=BB102_21 Depth=1
	ds_read_b64 v[6:7], v3 offset:5120
	s_waitcnt lgkmcnt(0)
	s_barrier
	v_readfirstlane_b32 s26, v6
	v_readfirstlane_b32 s27, v7
	s_and_saveexec_b64 s[8:9], s[6:7]
; %bb.181:                              ;   in Loop: Header=BB102_21 Depth=1
	ds_write_b64 v38, v[48:49]
; %bb.182:                              ;   in Loop: Header=BB102_21 Depth=1
	s_or_b64 exec, exec, s[8:9]
	s_lshl_b64 s[8:9], 2, s33
	v_and_b32_e32 v5, s23, v25
	v_and_b32_e32 v6, s22, v24
	v_or_b32_e32 v25, s9, v5
	v_or_b32_e32 v24, s8, v6
	;; [unrolled: 1-line block ×4, first 2 shown]
	s_mov_b64 s[34:35], -1
	s_mov_b64 s[36:37], 0
	s_cmp_eq_u64 s[26:27], 0
	s_mov_b64 s[8:9], 0
	s_mov_b64 s[42:43], -1
	s_waitcnt lgkmcnt(0)
	s_barrier
                                        ; implicit-def: $vgpr8_vgpr9
	s_cbranch_scc1 .LBB102_198
; %bb.183:                              ;   in Loop: Header=BB102_21 Depth=1
	v_readlane_b32 s8, v58, 40
	s_add_u32 s46, s26, s8
	v_readlane_b32 s8, v58, 41
	s_addc_u32 s9, s27, s8
	s_mov_b32 s8, s95
	s_cmp_lg_u64 s[8:9], 0
	s_cbranch_scc0 .LBB102_239
; %bb.184:                              ;   in Loop: Header=BB102_21 Depth=1
	v_cvt_f32_u32_e32 v5, s92
	s_sub_u32 s8, 0, s92
	s_subb_u32 s44, 0, 0
	v_fmac_f32_e32 v5, 0, v43
	v_rcp_f32_e32 v5, v5
	s_nop 0
	v_mul_f32_e32 v5, 0x5f7ffffc, v5
	v_mul_f32_e32 v6, 0x2f800000, v5
	v_trunc_f32_e32 v6, v6
	v_fmac_f32_e32 v5, 0xcf800000, v6
	v_cvt_u32_f32_e32 v6, v6
	v_cvt_u32_f32_e32 v5, v5
	v_readfirstlane_b32 s45, v6
	v_readfirstlane_b32 s42, v5
	s_mul_i32 s43, s8, s45
	s_mul_hi_u32 s48, s8, s42
	s_mul_i32 s47, s44, s42
	s_add_i32 s43, s48, s43
	s_mul_i32 s49, s8, s42
	s_add_i32 s43, s43, s47
	s_mul_hi_u32 s48, s42, s49
	s_mul_i32 s50, s42, s43
	s_mul_hi_u32 s47, s42, s43
	s_add_u32 s48, s48, s50
	s_addc_u32 s47, 0, s47
	s_mul_hi_u32 s51, s45, s49
	s_mul_i32 s49, s45, s49
	s_add_u32 s48, s48, s49
	s_mul_hi_u32 s50, s45, s43
	s_addc_u32 s47, s47, s51
	s_addc_u32 s48, s50, 0
	s_mul_i32 s43, s45, s43
	s_add_u32 s43, s47, s43
	s_addc_u32 s47, 0, s48
	s_add_u32 s48, s42, s43
	s_cselect_b64 s[42:43], -1, 0
	s_cmp_lg_u64 s[42:43], 0
	s_addc_u32 s45, s45, s47
	s_mul_i32 s42, s8, s45
	s_mul_hi_u32 s43, s8, s48
	s_add_i32 s42, s43, s42
	s_mul_i32 s44, s44, s48
	s_add_i32 s42, s42, s44
	s_mul_i32 s8, s8, s48
	s_mul_hi_u32 s44, s45, s8
	s_mul_i32 s47, s45, s8
	s_mul_i32 s50, s48, s42
	s_mul_hi_u32 s8, s48, s8
	s_mul_hi_u32 s49, s48, s42
	s_add_u32 s8, s8, s50
	s_addc_u32 s49, 0, s49
	s_add_u32 s8, s8, s47
	s_mul_hi_u32 s43, s45, s42
	s_addc_u32 s8, s49, s44
	s_addc_u32 s43, s43, 0
	s_mul_i32 s42, s45, s42
	s_add_u32 s8, s8, s42
	s_addc_u32 s44, 0, s43
	s_add_u32 s8, s48, s8
	s_cselect_b64 s[42:43], -1, 0
	s_cmp_lg_u64 s[42:43], 0
	s_addc_u32 s42, s45, s44
	s_mul_i32 s44, s46, s42
	s_mul_hi_u32 s45, s46, s8
	s_mul_hi_u32 s43, s46, s42
	s_add_u32 s44, s45, s44
	s_addc_u32 s43, 0, s43
	s_mul_hi_u32 s47, s9, s8
	s_mul_i32 s8, s9, s8
	s_add_u32 s8, s44, s8
	s_mul_hi_u32 s45, s9, s42
	s_addc_u32 s8, s43, s47
	s_addc_u32 s43, s45, 0
	s_mul_i32 s42, s9, s42
	s_add_u32 s8, s8, s42
	s_addc_u32 s42, 0, s43
	s_mul_i32 s42, s92, s42
	s_mul_hi_u32 s43, s92, s8
	s_add_i32 s44, s43, s42
	s_mul_i32 s8, s92, s8
	s_sub_u32 s8, s46, s8
	s_cselect_b64 s[42:43], -1, 0
	s_cmp_lg_u64 s[42:43], 0
	s_subb_u32 s44, s9, s44
	s_sub_u32 s45, s8, s92
	s_cselect_b64 s[42:43], -1, 0
	s_cmp_lg_u64 s[42:43], 0
	s_subb_u32 s47, s44, 0
	;; [unrolled: 4-line block ×3, first 2 shown]
	s_cmp_ge_u32 s45, s92
	s_cselect_b32 s43, -1, 0
	s_cmp_eq_u32 s47, 0
	s_cselect_b32 s43, s43, -1
	s_cmp_lg_u32 s43, 0
	s_cselect_b32 s42, s42, s47
	s_cselect_b32 s45, s48, s45
	s_cmp_ge_u32 s8, s92
	s_cselect_b32 s43, -1, 0
	s_cmp_eq_u32 s44, 0
	s_cselect_b32 s43, s43, -1
	s_cmp_lg_u32 s43, 0
	s_cselect_b32 s43, s42, s44
	s_cselect_b32 s42, s45, s8
	s_cbranch_execnz .LBB102_186
.LBB102_185:                            ;   in Loop: Header=BB102_21 Depth=1
	v_cvt_f32_u32_e32 v5, s92
	s_sub_i32 s8, 0, s92
	v_rcp_iflag_f32_e32 v5, v5
	s_nop 0
	v_mul_f32_e32 v5, 0x4f7ffffe, v5
	v_cvt_u32_f32_e32 v5, v5
	s_nop 0
	v_readfirstlane_b32 s42, v5
	s_mul_i32 s8, s8, s42
	s_mul_hi_u32 s8, s42, s8
	s_add_i32 s42, s42, s8
	s_mul_hi_u32 s8, s46, s42
	s_mul_i32 s8, s8, s92
	s_sub_i32 s8, s46, s8
	s_sub_i32 s42, s8, s92
	s_cmp_ge_u32 s8, s92
	s_cselect_b32 s8, s42, s8
	s_sub_i32 s42, s8, s92
	s_cmp_ge_u32 s8, s92
	s_cselect_b32 s94, s42, s8
	s_mov_b64 s[42:43], s[94:95]
.LBB102_186:                            ;   in Loop: Header=BB102_21 Depth=1
	s_sub_u32 s46, s46, s42
	s_subb_u32 s47, s9, s43
	v_cmp_gt_u64_e32 vcc, s[46:47], v[0:1]
	s_mov_b64 s[42:43], 0
	s_mov_b64 s[8:9], 0
                                        ; implicit-def: $vgpr8_vgpr9
	s_and_saveexec_b64 s[44:45], vcc
	s_cbranch_execz .LBB102_197
; %bb.187:                              ;   in Loop: Header=BB102_21 Depth=1
	v_mov_b32_e32 v14, v37
	v_mov_b64_e32 v[12:13], v[0:1]
                                        ; implicit-def: $sgpr48_sgpr49
	s_branch .LBB102_190
.LBB102_188:                            ;   in Loop: Header=BB102_190 Depth=2
	s_or_b64 exec, exec, s[50:51]
	s_waitcnt lgkmcnt(0)
	s_barrier
	ds_read_b128 v[6:9], v3 offset:3072
	s_mov_b64 s[50:51], -1
	s_mov_b64 s[56:57], -1
	s_waitcnt lgkmcnt(0)
	s_barrier
	v_cmp_ne_u64_e32 vcc, 0, v[6:7]
	s_cbranch_vccz .LBB102_193
.LBB102_189:                            ;   in Loop: Header=BB102_190 Depth=2
	s_and_b64 s[50:51], exec, s[50:51]
	s_or_b64 s[8:9], s[50:51], s[8:9]
	s_andn2_b64 s[48:49], s[48:49], exec
	s_and_b64 s[50:51], s[56:57], exec
	s_or_b64 s[48:49], s[48:49], s[50:51]
	s_andn2_b64 exec, exec, s[8:9]
	s_cbranch_execz .LBB102_196
.LBB102_190:                            ;   Parent Loop BB102_21 Depth=1
                                        ; =>  This Inner Loop Header: Depth=2
	v_cmp_gt_u64_e32 vcc, s[26:27], v[12:13]
	s_and_saveexec_b64 s[50:51], vcc
	s_cbranch_execz .LBB102_188
; %bb.191:                              ;   in Loop: Header=BB102_190 Depth=2
	ds_read_b64 v[6:7], v14
	s_waitcnt lgkmcnt(0)
	v_xor_b32_e32 v5, 0x80000000, v7
	v_and_b32_e32 v9, v5, v27
	v_and_b32_e32 v8, v6, v26
	v_cmp_eq_u64_e32 vcc, v[8:9], v[24:25]
	s_and_b64 exec, exec, vcc
	s_cbranch_execz .LBB102_188
; %bb.192:                              ;   in Loop: Header=BB102_190 Depth=2
	v_mov_b32_e32 v5, v3
	ds_write_b128 v3, v[4:7] offset:3072
	s_branch .LBB102_188
.LBB102_193:                            ;   in Loop: Header=BB102_190 Depth=2
	v_lshl_add_u64 v[12:13], v[12:13], 0, s[92:93]
	v_cmp_le_u64_e32 vcc, s[46:47], v[12:13]
	v_add_u32_e32 v14, s72, v14
	s_mov_b64 s[56:57], 0
	s_orn2_b64 s[50:51], vcc, exec
	s_branch .LBB102_189
.LBB102_194:                            ;   in Loop: Header=BB102_21 Depth=1
                                        ; implicit-def: $sgpr34_sgpr35
	s_branch .LBB102_136
.LBB102_195:                            ;   in Loop: Header=BB102_21 Depth=1
                                        ; implicit-def: $sgpr0_sgpr1
	s_branch .LBB102_155
.LBB102_196:                            ;   in Loop: Header=BB102_21 Depth=1
	s_or_b64 exec, exec, s[8:9]
	s_and_b64 s[8:9], s[48:49], exec
.LBB102_197:                            ;   in Loop: Header=BB102_21 Depth=1
	s_or_b64 exec, exec, s[44:45]
.LBB102_198:                            ;   in Loop: Header=BB102_21 Depth=1
	s_and_b64 vcc, exec, s[42:43]
	s_cbranch_vccz .LBB102_212
; %bb.199:                              ;   in Loop: Header=BB102_21 Depth=1
	s_mov_b32 s84, s95
	s_cmp_lg_u64 s[84:85], 0
	s_cbranch_scc0 .LBB102_240
; %bb.200:                              ;   in Loop: Header=BB102_21 Depth=1
	v_cvt_f32_u32_e32 v5, s92
	s_sub_u32 s34, 0, s92
	s_subb_u32 s35, 0, 0
	v_fmac_f32_e32 v5, 0, v43
	v_rcp_f32_e32 v5, v5
	s_nop 0
	v_mul_f32_e32 v5, 0x5f7ffffc, v5
	v_mul_f32_e32 v6, 0x2f800000, v5
	v_trunc_f32_e32 v6, v6
	v_fmac_f32_e32 v5, 0xcf800000, v6
	v_cvt_u32_f32_e32 v6, v6
	v_cvt_u32_f32_e32 v5, v5
	v_readfirstlane_b32 s36, v6
	v_readfirstlane_b32 s26, v5
	s_mul_i32 s27, s34, s36
	s_mul_hi_u32 s42, s34, s26
	s_mul_i32 s37, s35, s26
	s_add_i32 s27, s42, s27
	s_mul_i32 s43, s34, s26
	s_add_i32 s27, s27, s37
	s_mul_hi_u32 s42, s26, s43
	s_mul_i32 s44, s26, s27
	s_mul_hi_u32 s37, s26, s27
	s_add_u32 s42, s42, s44
	s_addc_u32 s37, 0, s37
	s_mul_hi_u32 s45, s36, s43
	s_mul_i32 s43, s36, s43
	s_add_u32 s42, s42, s43
	s_mul_hi_u32 s44, s36, s27
	s_addc_u32 s37, s37, s45
	s_addc_u32 s42, s44, 0
	s_mul_i32 s27, s36, s27
	s_add_u32 s27, s37, s27
	s_addc_u32 s37, 0, s42
	s_add_u32 s42, s26, s27
	s_cselect_b64 s[26:27], -1, 0
	s_cmp_lg_u64 s[26:27], 0
	s_addc_u32 s36, s36, s37
	s_mul_i32 s26, s34, s36
	s_mul_hi_u32 s27, s34, s42
	s_add_i32 s26, s27, s26
	s_mul_i32 s35, s35, s42
	s_add_i32 s26, s26, s35
	s_mul_i32 s34, s34, s42
	s_mul_hi_u32 s35, s36, s34
	s_mul_i32 s37, s36, s34
	s_mul_i32 s44, s42, s26
	s_mul_hi_u32 s34, s42, s34
	s_mul_hi_u32 s43, s42, s26
	s_add_u32 s34, s34, s44
	s_addc_u32 s43, 0, s43
	s_add_u32 s34, s34, s37
	s_mul_hi_u32 s27, s36, s26
	s_addc_u32 s34, s43, s35
	s_addc_u32 s27, s27, 0
	s_mul_i32 s26, s36, s26
	s_add_u32 s26, s34, s26
	s_addc_u32 s34, 0, s27
	s_add_u32 s35, s42, s26
	s_cselect_b64 s[26:27], -1, 0
	s_cmp_lg_u64 s[26:27], 0
	s_addc_u32 s26, s36, s34
	s_mul_i32 s34, s10, s26
	s_mul_hi_u32 s36, s10, s35
	s_mul_hi_u32 s27, s10, s26
	s_add_u32 s34, s36, s34
	s_addc_u32 s27, 0, s27
	s_mul_hi_u32 s37, s85, s35
	s_mul_i32 s35, s85, s35
	s_add_u32 s34, s34, s35
	s_mul_hi_u32 s36, s85, s26
	s_addc_u32 s27, s27, s37
	s_addc_u32 s34, s36, 0
	s_mul_i32 s26, s85, s26
	s_add_u32 s26, s27, s26
	s_addc_u32 s27, 0, s34
	s_mul_i32 s27, s92, s27
	s_mul_hi_u32 s34, s92, s26
	s_add_i32 s34, s34, s27
	s_mul_i32 s26, s92, s26
	s_sub_u32 s35, s10, s26
	s_cselect_b64 s[26:27], -1, 0
	s_cmp_lg_u64 s[26:27], 0
	s_subb_u32 s34, s85, s34
	s_sub_u32 s36, s35, s92
	s_cselect_b64 s[26:27], -1, 0
	s_cmp_lg_u64 s[26:27], 0
	s_subb_u32 s37, s34, 0
	;; [unrolled: 4-line block ×3, first 2 shown]
	s_cmp_ge_u32 s36, s92
	s_cselect_b32 s27, -1, 0
	s_cmp_eq_u32 s37, 0
	s_cselect_b32 s27, s27, -1
	s_cmp_lg_u32 s27, 0
	s_cselect_b32 s26, s26, s37
	s_cselect_b32 s36, s42, s36
	s_cmp_ge_u32 s35, s92
	s_cselect_b32 s27, -1, 0
	s_cmp_eq_u32 s34, 0
	s_cselect_b32 s27, s27, -1
	s_cmp_lg_u32 s27, 0
	s_cselect_b32 s27, s26, s34
	s_cselect_b32 s26, s36, s35
	s_cbranch_execnz .LBB102_202
.LBB102_201:                            ;   in Loop: Header=BB102_21 Depth=1
	v_cvt_f32_u32_e32 v5, s92
	s_sub_i32 s26, 0, s92
	v_rcp_iflag_f32_e32 v5, v5
	s_nop 0
	v_mul_f32_e32 v5, 0x4f7ffffe, v5
	v_cvt_u32_f32_e32 v5, v5
	s_nop 0
	v_readfirstlane_b32 s27, v5
	s_mul_i32 s26, s26, s27
	s_mul_hi_u32 s26, s27, s26
	s_add_i32 s27, s27, s26
	s_mul_hi_u32 s26, s10, s27
	s_mul_i32 s26, s26, s92
	s_sub_i32 s26, s10, s26
	s_sub_i32 s27, s26, s92
	s_cmp_ge_u32 s26, s92
	s_cselect_b32 s26, s27, s26
	s_sub_i32 s27, s26, s92
	s_cmp_ge_u32 s26, s92
	s_cselect_b32 s94, s27, s26
	s_mov_b64 s[26:27], s[94:95]
.LBB102_202:                            ;   in Loop: Header=BB102_21 Depth=1
	s_sub_u32 s34, s10, s26
	s_subb_u32 s35, s85, s27
	v_cmp_gt_u64_e32 vcc, s[34:35], v[0:1]
                                        ; implicit-def: $vgpr8_vgpr9
	s_and_saveexec_b64 s[26:27], vcc
	s_cbranch_execz .LBB102_211
; %bb.203:                              ;   in Loop: Header=BB102_21 Depth=1
	s_mov_b64 s[36:37], 0
	v_mov_b64_e32 v[12:13], v[0:1]
                                        ; implicit-def: $sgpr42_sgpr43
	s_branch .LBB102_206
.LBB102_204:                            ;   in Loop: Header=BB102_206 Depth=2
	s_or_b64 exec, exec, s[44:45]
	s_waitcnt lgkmcnt(0)
	s_barrier
	ds_read_b128 v[6:9], v3 offset:3072
	s_mov_b64 s[44:45], -1
	s_mov_b64 s[46:47], -1
	s_waitcnt lgkmcnt(0)
	s_barrier
	v_cmp_eq_u64_e32 vcc, 0, v[6:7]
	s_cbranch_vccnz .LBB102_209
.LBB102_205:                            ;   in Loop: Header=BB102_206 Depth=2
	s_and_b64 s[44:45], exec, s[44:45]
	s_or_b64 s[36:37], s[44:45], s[36:37]
	s_andn2_b64 s[42:43], s[42:43], exec
	s_and_b64 s[44:45], s[46:47], exec
	s_or_b64 s[42:43], s[42:43], s[44:45]
	s_andn2_b64 exec, exec, s[36:37]
	s_cbranch_execz .LBB102_210
.LBB102_206:                            ;   Parent Loop BB102_21 Depth=1
                                        ; =>  This Inner Loop Header: Depth=2
	v_cmp_gt_u64_e32 vcc, s[52:53], v[12:13]
	s_and_saveexec_b64 s[44:45], vcc
	s_cbranch_execz .LBB102_204
; %bb.207:                              ;   in Loop: Header=BB102_206 Depth=2
	v_mul_lo_u32 v5, v13, s80
	v_mul_lo_u32 v8, v12, s81
	v_mad_u64_u32 v[6:7], s[46:47], v12, s80, 0
	v_add3_u32 v7, v7, v8, v5
	v_lshl_add_u64 v[6:7], v[6:7], 3, s[90:91]
	global_load_dwordx2 v[6:7], v[6:7], off
	s_waitcnt vmcnt(0)
	v_xor_b32_e32 v5, 0x80000000, v7
	v_and_b32_e32 v9, v5, v27
	v_and_b32_e32 v8, v6, v26
	v_cmp_eq_u64_e32 vcc, v[8:9], v[24:25]
	s_and_b64 exec, exec, vcc
	s_cbranch_execz .LBB102_204
; %bb.208:                              ;   in Loop: Header=BB102_206 Depth=2
	v_mov_b32_e32 v5, v3
	ds_write_b128 v3, v[4:7] offset:3072
	s_branch .LBB102_204
.LBB102_209:                            ;   in Loop: Header=BB102_206 Depth=2
	v_lshl_add_u64 v[12:13], v[12:13], 0, s[92:93]
	v_cmp_le_u64_e32 vcc, s[34:35], v[12:13]
	s_mov_b64 s[46:47], 0
	s_orn2_b64 s[44:45], vcc, exec
	s_branch .LBB102_205
.LBB102_210:                            ;   in Loop: Header=BB102_21 Depth=1
	s_or_b64 exec, exec, s[36:37]
	s_andn2_b64 s[8:9], s[8:9], exec
	s_and_b64 s[34:35], s[42:43], exec
	s_or_b64 s[8:9], s[8:9], s[34:35]
.LBB102_211:                            ;   in Loop: Header=BB102_21 Depth=1
	s_or_b64 exec, exec, s[26:27]
	s_mov_b64 s[34:35], 0
	s_mov_b64 s[36:37], -1
.LBB102_212:                            ;   in Loop: Header=BB102_21 Depth=1
	s_orn2_b64 s[8:9], s[8:9], exec
.LBB102_213:                            ;   in Loop: Header=BB102_21 Depth=1
	s_or_b64 exec, exec, s[38:39]
	s_mov_b64 s[26:27], 0
	s_and_saveexec_b64 s[38:39], s[8:9]
	s_cbranch_execz .LBB102_271
; %bb.214:                              ;   in Loop: Header=BB102_21 Depth=1
	s_xor_b64 s[40:41], s[40:41], -1
	v_mov_b32_e32 v2, 1
	v_mov_b64_e32 v[12:13], 1
	s_and_saveexec_b64 s[8:9], s[40:41]
	s_cbranch_execz .LBB102_223
; %bb.215:                              ;   in Loop: Header=BB102_21 Depth=1
	v_cmp_ge_u64_e32 vcc, s[20:21], v[10:11]
	s_and_saveexec_b64 s[26:27], vcc
	s_xor_b64 s[26:27], exec, s[26:27]
	s_cbranch_execz .LBB102_220
; %bb.216:                              ;   in Loop: Header=BB102_21 Depth=1
	ds_read_b64 v[6:7], v3 offset:5120
	s_lshl_b64 s[40:41], 2, s33
	v_and_b32_e32 v2, s23, v25
	v_and_b32_e32 v5, s22, v24
	v_or_b32_e32 v25, s41, v2
	s_waitcnt lgkmcnt(0)
	v_cmp_ne_u64_e32 vcc, 0, v[6:7]
	v_or_b32_e32 v24, s40, v5
	v_or_b32_e32 v27, s13, v27
	v_or_b32_e32 v26, s12, v26
	s_cbranch_vccnz .LBB102_220
; %bb.217:                              ;   in Loop: Header=BB102_21 Depth=1
	s_mov_b64 s[22:23], exec
	v_readlane_b32 s40, v58, 28
	v_readlane_b32 s41, v58, 29
	s_and_b64 s[40:41], s[22:23], s[40:41]
	s_mov_b64 exec, s[40:41]
; %bb.218:                              ;   in Loop: Header=BB102_21 Depth=1
	v_mov_b64_e32 v[6:7], s[20:21]
	ds_write_b64 v3, v[6:7] offset:5128
; %bb.219:                              ;   in Loop: Header=BB102_21 Depth=1
	s_or_b64 exec, exec, s[22:23]
	s_waitcnt lgkmcnt(0)
	s_barrier
.LBB102_220:                            ;   in Loop: Header=BB102_21 Depth=1
	s_or_saveexec_b64 s[22:23], s[26:27]
	s_mov_b64 s[26:27], 0
	v_mov_b32_e32 v2, 8
	s_xor_b64 exec, exec, s[22:23]
; %bb.221:                              ;   in Loop: Header=BB102_21 Depth=1
	v_mov_b32_e32 v2, s21
	v_subrev_co_u32_e32 v10, vcc, s20, v10
	s_mov_b64 s[26:27], exec
	s_nop 0
	v_subb_co_u32_e32 v11, vcc, v11, v2, vcc
	v_mov_b32_e32 v2, 0
; %bb.222:                              ;   in Loop: Header=BB102_21 Depth=1
	s_or_b64 exec, exec, s[22:23]
	s_and_b64 s[26:27], s[26:27], exec
	v_mov_b64_e32 v[12:13], v[10:11]
.LBB102_223:                            ;   in Loop: Header=BB102_21 Depth=1
	s_or_b64 exec, exec, s[8:9]
	s_mov_b64 s[8:9], -1
                                        ; implicit-def: $sgpr44_sgpr45
                                        ; implicit-def: $sgpr42_sgpr43
	s_and_saveexec_b64 s[20:21], s[26:27]
	s_cbranch_execz .LBB102_270
; %bb.224:                              ;   in Loop: Header=BB102_21 Depth=1
	s_cmp_eq_u64 s[2:3], 1
	s_cselect_b64 s[8:9], -1, 0
	v_cmp_eq_u64_e32 vcc, 1, v[12:13]
	s_and_b64 s[22:23], s[8:9], vcc
	s_mov_b64 s[26:27], -1
                                        ; implicit-def: $sgpr44_sgpr45
                                        ; implicit-def: $sgpr42_sgpr43
	s_and_saveexec_b64 s[40:41], s[22:23]
	s_cbranch_execz .LBB102_258
; %bb.225:                              ;   in Loop: Header=BB102_21 Depth=1
	ds_read_b64 v[6:7], v3 offset:5120
	s_waitcnt lgkmcnt(0)
	s_barrier
	v_readfirstlane_b32 s26, v6
	v_readfirstlane_b32 s27, v7
	s_and_saveexec_b64 s[8:9], s[6:7]
; %bb.226:                              ;   in Loop: Header=BB102_21 Depth=1
	ds_write_b64 v38, v[48:49]
; %bb.227:                              ;   in Loop: Header=BB102_21 Depth=1
	s_or_b64 exec, exec, s[8:9]
	v_or_b32_e32 v25, s13, v25
	v_or_b32_e32 v24, s12, v24
	;; [unrolled: 1-line block ×4, first 2 shown]
	s_mov_b64 s[42:43], -1
	s_mov_b64 s[44:45], 0
	s_cmp_eq_u64 s[26:27], 0
	s_mov_b64 s[8:9], 0
	s_mov_b64 s[46:47], -1
	s_waitcnt lgkmcnt(0)
	s_barrier
                                        ; implicit-def: $vgpr8_vgpr9
	s_cbranch_scc1 .LBB102_243
; %bb.228:                              ;   in Loop: Header=BB102_21 Depth=1
	v_readlane_b32 s8, v58, 40
	s_add_u32 s50, s26, s8
	v_readlane_b32 s8, v58, 41
	s_addc_u32 s9, s27, s8
	s_mov_b32 s8, s95
	s_cmp_lg_u64 s[8:9], 0
	s_cbranch_scc0 .LBB102_277
; %bb.229:                              ;   in Loop: Header=BB102_21 Depth=1
	v_cvt_f32_u32_e32 v5, s92
	s_sub_u32 s8, 0, s92
	s_subb_u32 s48, 0, 0
	v_fmac_f32_e32 v5, 0, v43
	v_rcp_f32_e32 v5, v5
	s_nop 0
	v_mul_f32_e32 v5, 0x5f7ffffc, v5
	v_mul_f32_e32 v6, 0x2f800000, v5
	v_trunc_f32_e32 v6, v6
	v_fmac_f32_e32 v5, 0xcf800000, v6
	v_cvt_u32_f32_e32 v6, v6
	v_cvt_u32_f32_e32 v5, v5
	v_readfirstlane_b32 s49, v6
	v_readfirstlane_b32 s46, v5
	s_mul_i32 s47, s8, s49
	s_mul_hi_u32 s56, s8, s46
	s_mul_i32 s51, s48, s46
	s_add_i32 s47, s56, s47
	s_mul_i32 s57, s8, s46
	s_add_i32 s47, s47, s51
	s_mul_hi_u32 s56, s46, s57
	s_mul_i32 s58, s46, s47
	s_mul_hi_u32 s51, s46, s47
	s_add_u32 s56, s56, s58
	s_addc_u32 s51, 0, s51
	s_mul_hi_u32 s59, s49, s57
	s_mul_i32 s57, s49, s57
	s_add_u32 s56, s56, s57
	s_mul_hi_u32 s58, s49, s47
	s_addc_u32 s51, s51, s59
	s_addc_u32 s56, s58, 0
	s_mul_i32 s47, s49, s47
	s_add_u32 s47, s51, s47
	s_addc_u32 s51, 0, s56
	s_add_u32 s56, s46, s47
	s_cselect_b64 s[46:47], -1, 0
	s_cmp_lg_u64 s[46:47], 0
	s_addc_u32 s49, s49, s51
	s_mul_i32 s46, s8, s49
	s_mul_hi_u32 s47, s8, s56
	s_add_i32 s46, s47, s46
	s_mul_i32 s48, s48, s56
	s_add_i32 s46, s46, s48
	s_mul_i32 s8, s8, s56
	s_mul_hi_u32 s48, s49, s8
	s_mul_i32 s51, s49, s8
	s_mul_i32 s58, s56, s46
	s_mul_hi_u32 s8, s56, s8
	s_mul_hi_u32 s57, s56, s46
	s_add_u32 s8, s8, s58
	s_addc_u32 s57, 0, s57
	s_add_u32 s8, s8, s51
	s_mul_hi_u32 s47, s49, s46
	s_addc_u32 s8, s57, s48
	s_addc_u32 s47, s47, 0
	s_mul_i32 s46, s49, s46
	s_add_u32 s8, s8, s46
	s_addc_u32 s48, 0, s47
	s_add_u32 s8, s56, s8
	s_cselect_b64 s[46:47], -1, 0
	s_cmp_lg_u64 s[46:47], 0
	s_addc_u32 s46, s49, s48
	s_mul_i32 s48, s50, s46
	s_mul_hi_u32 s49, s50, s8
	s_mul_hi_u32 s47, s50, s46
	s_add_u32 s48, s49, s48
	s_addc_u32 s47, 0, s47
	s_mul_hi_u32 s51, s9, s8
	s_mul_i32 s8, s9, s8
	s_add_u32 s8, s48, s8
	s_mul_hi_u32 s49, s9, s46
	s_addc_u32 s8, s47, s51
	s_addc_u32 s47, s49, 0
	s_mul_i32 s46, s9, s46
	s_add_u32 s8, s8, s46
	s_addc_u32 s46, 0, s47
	s_mul_i32 s46, s92, s46
	s_mul_hi_u32 s47, s92, s8
	s_add_i32 s48, s47, s46
	s_mul_i32 s8, s92, s8
	s_sub_u32 s8, s50, s8
	s_cselect_b64 s[46:47], -1, 0
	s_cmp_lg_u64 s[46:47], 0
	s_subb_u32 s48, s9, s48
	s_sub_u32 s49, s8, s92
	s_cselect_b64 s[46:47], -1, 0
	s_cmp_lg_u64 s[46:47], 0
	s_subb_u32 s51, s48, 0
	;; [unrolled: 4-line block ×3, first 2 shown]
	s_cmp_ge_u32 s49, s92
	s_cselect_b32 s47, -1, 0
	s_cmp_eq_u32 s51, 0
	s_cselect_b32 s47, s47, -1
	s_cmp_lg_u32 s47, 0
	s_cselect_b32 s46, s46, s51
	s_cselect_b32 s49, s56, s49
	s_cmp_ge_u32 s8, s92
	s_cselect_b32 s47, -1, 0
	s_cmp_eq_u32 s48, 0
	s_cselect_b32 s47, s47, -1
	s_cmp_lg_u32 s47, 0
	s_cselect_b32 s47, s46, s48
	s_cselect_b32 s46, s49, s8
	s_cbranch_execnz .LBB102_231
.LBB102_230:                            ;   in Loop: Header=BB102_21 Depth=1
	v_cvt_f32_u32_e32 v5, s92
	s_sub_i32 s8, 0, s92
	v_rcp_iflag_f32_e32 v5, v5
	s_nop 0
	v_mul_f32_e32 v5, 0x4f7ffffe, v5
	v_cvt_u32_f32_e32 v5, v5
	s_nop 0
	v_readfirstlane_b32 s46, v5
	s_mul_i32 s8, s8, s46
	s_mul_hi_u32 s8, s46, s8
	s_add_i32 s46, s46, s8
	s_mul_hi_u32 s8, s50, s46
	s_mul_i32 s8, s8, s92
	s_sub_i32 s8, s50, s8
	s_sub_i32 s46, s8, s92
	s_cmp_ge_u32 s8, s92
	s_cselect_b32 s8, s46, s8
	s_sub_i32 s46, s8, s92
	s_cmp_ge_u32 s8, s92
	s_cselect_b32 s94, s46, s8
	s_mov_b64 s[46:47], s[94:95]
.LBB102_231:                            ;   in Loop: Header=BB102_21 Depth=1
	s_sub_u32 s50, s50, s46
	s_subb_u32 s51, s9, s47
	v_cmp_gt_u64_e32 vcc, s[50:51], v[0:1]
	s_mov_b64 s[46:47], 0
	s_mov_b64 s[8:9], 0
                                        ; implicit-def: $vgpr8_vgpr9
	s_and_saveexec_b64 s[48:49], vcc
	s_cbranch_execz .LBB102_242
; %bb.232:                              ;   in Loop: Header=BB102_21 Depth=1
	v_mov_b32_e32 v14, v37
	v_mov_b64_e32 v[10:11], v[0:1]
                                        ; implicit-def: $sgpr56_sgpr57
	s_branch .LBB102_235
.LBB102_233:                            ;   in Loop: Header=BB102_235 Depth=2
	s_or_b64 exec, exec, s[58:59]
	s_waitcnt lgkmcnt(0)
	s_barrier
	ds_read_b128 v[6:9], v3 offset:3072
	s_mov_b64 s[58:59], -1
	s_mov_b64 s[60:61], -1
	s_waitcnt lgkmcnt(0)
	s_barrier
	v_cmp_ne_u64_e32 vcc, 0, v[6:7]
	s_cbranch_vccz .LBB102_238
.LBB102_234:                            ;   in Loop: Header=BB102_235 Depth=2
	s_and_b64 s[58:59], exec, s[58:59]
	s_or_b64 s[8:9], s[58:59], s[8:9]
	s_andn2_b64 s[56:57], s[56:57], exec
	s_and_b64 s[58:59], s[60:61], exec
	s_or_b64 s[56:57], s[56:57], s[58:59]
	s_andn2_b64 exec, exec, s[8:9]
	s_cbranch_execz .LBB102_241
.LBB102_235:                            ;   Parent Loop BB102_21 Depth=1
                                        ; =>  This Inner Loop Header: Depth=2
	v_cmp_gt_u64_e32 vcc, s[26:27], v[10:11]
	s_and_saveexec_b64 s[58:59], vcc
	s_cbranch_execz .LBB102_233
; %bb.236:                              ;   in Loop: Header=BB102_235 Depth=2
	ds_read_b64 v[6:7], v14
	s_waitcnt lgkmcnt(0)
	v_xor_b32_e32 v5, 0x80000000, v7
	v_and_b32_e32 v9, v5, v27
	v_and_b32_e32 v8, v6, v26
	v_cmp_eq_u64_e32 vcc, v[8:9], v[24:25]
	s_and_b64 exec, exec, vcc
	s_cbranch_execz .LBB102_233
; %bb.237:                              ;   in Loop: Header=BB102_235 Depth=2
	v_mov_b32_e32 v5, v3
	ds_write_b128 v3, v[4:7] offset:3072
	s_branch .LBB102_233
.LBB102_238:                            ;   in Loop: Header=BB102_235 Depth=2
	v_lshl_add_u64 v[10:11], v[10:11], 0, s[92:93]
	v_cmp_le_u64_e32 vcc, s[50:51], v[10:11]
	v_add_u32_e32 v14, s72, v14
	s_mov_b64 s[60:61], 0
	s_orn2_b64 s[58:59], vcc, exec
	s_branch .LBB102_234
.LBB102_239:                            ;   in Loop: Header=BB102_21 Depth=1
                                        ; implicit-def: $sgpr42_sgpr43
	s_branch .LBB102_185
.LBB102_240:                            ;   in Loop: Header=BB102_21 Depth=1
                                        ; implicit-def: $sgpr26_sgpr27
	s_branch .LBB102_201
.LBB102_241:                            ;   in Loop: Header=BB102_21 Depth=1
	s_or_b64 exec, exec, s[8:9]
	s_and_b64 s[8:9], s[56:57], exec
.LBB102_242:                            ;   in Loop: Header=BB102_21 Depth=1
	s_or_b64 exec, exec, s[48:49]
.LBB102_243:                            ;   in Loop: Header=BB102_21 Depth=1
	s_and_b64 vcc, exec, s[46:47]
	s_cbranch_vccz .LBB102_257
; %bb.244:                              ;   in Loop: Header=BB102_21 Depth=1
	s_mov_b32 s84, s95
	s_cmp_lg_u64 s[84:85], 0
	s_cbranch_scc0 .LBB102_278
; %bb.245:                              ;   in Loop: Header=BB102_21 Depth=1
	v_cvt_f32_u32_e32 v5, s92
	s_sub_u32 s42, 0, s92
	s_subb_u32 s43, 0, 0
	v_fmac_f32_e32 v5, 0, v43
	v_rcp_f32_e32 v5, v5
	s_nop 0
	v_mul_f32_e32 v5, 0x5f7ffffc, v5
	v_mul_f32_e32 v6, 0x2f800000, v5
	v_trunc_f32_e32 v6, v6
	v_fmac_f32_e32 v5, 0xcf800000, v6
	v_cvt_u32_f32_e32 v6, v6
	v_cvt_u32_f32_e32 v5, v5
	v_readfirstlane_b32 s44, v6
	v_readfirstlane_b32 s26, v5
	s_mul_i32 s27, s42, s44
	s_mul_hi_u32 s46, s42, s26
	s_mul_i32 s45, s43, s26
	s_add_i32 s27, s46, s27
	s_mul_i32 s47, s42, s26
	s_add_i32 s27, s27, s45
	s_mul_hi_u32 s46, s26, s47
	s_mul_i32 s48, s26, s27
	s_mul_hi_u32 s45, s26, s27
	s_add_u32 s46, s46, s48
	s_addc_u32 s45, 0, s45
	s_mul_hi_u32 s49, s44, s47
	s_mul_i32 s47, s44, s47
	s_add_u32 s46, s46, s47
	s_mul_hi_u32 s48, s44, s27
	s_addc_u32 s45, s45, s49
	s_addc_u32 s46, s48, 0
	s_mul_i32 s27, s44, s27
	s_add_u32 s27, s45, s27
	s_addc_u32 s45, 0, s46
	s_add_u32 s46, s26, s27
	s_cselect_b64 s[26:27], -1, 0
	s_cmp_lg_u64 s[26:27], 0
	s_addc_u32 s44, s44, s45
	s_mul_i32 s26, s42, s44
	s_mul_hi_u32 s27, s42, s46
	s_add_i32 s26, s27, s26
	s_mul_i32 s43, s43, s46
	s_add_i32 s26, s26, s43
	s_mul_i32 s42, s42, s46
	s_mul_hi_u32 s43, s44, s42
	s_mul_i32 s45, s44, s42
	s_mul_i32 s48, s46, s26
	s_mul_hi_u32 s42, s46, s42
	s_mul_hi_u32 s47, s46, s26
	s_add_u32 s42, s42, s48
	s_addc_u32 s47, 0, s47
	s_add_u32 s42, s42, s45
	s_mul_hi_u32 s27, s44, s26
	s_addc_u32 s42, s47, s43
	s_addc_u32 s27, s27, 0
	s_mul_i32 s26, s44, s26
	s_add_u32 s26, s42, s26
	s_addc_u32 s42, 0, s27
	s_add_u32 s43, s46, s26
	s_cselect_b64 s[26:27], -1, 0
	s_cmp_lg_u64 s[26:27], 0
	s_addc_u32 s26, s44, s42
	s_mul_i32 s42, s10, s26
	s_mul_hi_u32 s44, s10, s43
	s_mul_hi_u32 s27, s10, s26
	s_add_u32 s42, s44, s42
	s_addc_u32 s27, 0, s27
	s_mul_hi_u32 s45, s85, s43
	s_mul_i32 s43, s85, s43
	s_add_u32 s42, s42, s43
	s_mul_hi_u32 s44, s85, s26
	s_addc_u32 s27, s27, s45
	s_addc_u32 s42, s44, 0
	s_mul_i32 s26, s85, s26
	s_add_u32 s26, s27, s26
	s_addc_u32 s27, 0, s42
	s_mul_i32 s27, s92, s27
	s_mul_hi_u32 s42, s92, s26
	s_add_i32 s42, s42, s27
	s_mul_i32 s26, s92, s26
	s_sub_u32 s43, s10, s26
	s_cselect_b64 s[26:27], -1, 0
	s_cmp_lg_u64 s[26:27], 0
	s_subb_u32 s42, s85, s42
	s_sub_u32 s44, s43, s92
	s_cselect_b64 s[26:27], -1, 0
	s_cmp_lg_u64 s[26:27], 0
	s_subb_u32 s45, s42, 0
	;; [unrolled: 4-line block ×3, first 2 shown]
	s_cmp_ge_u32 s44, s92
	s_cselect_b32 s27, -1, 0
	s_cmp_eq_u32 s45, 0
	s_cselect_b32 s27, s27, -1
	s_cmp_lg_u32 s27, 0
	s_cselect_b32 s26, s26, s45
	s_cselect_b32 s44, s46, s44
	s_cmp_ge_u32 s43, s92
	s_cselect_b32 s27, -1, 0
	s_cmp_eq_u32 s42, 0
	s_cselect_b32 s27, s27, -1
	s_cmp_lg_u32 s27, 0
	s_cselect_b32 s27, s26, s42
	s_cselect_b32 s26, s44, s43
	s_cbranch_execnz .LBB102_247
.LBB102_246:                            ;   in Loop: Header=BB102_21 Depth=1
	v_cvt_f32_u32_e32 v5, s92
	s_sub_i32 s26, 0, s92
	v_rcp_iflag_f32_e32 v5, v5
	s_nop 0
	v_mul_f32_e32 v5, 0x4f7ffffe, v5
	v_cvt_u32_f32_e32 v5, v5
	s_nop 0
	v_readfirstlane_b32 s27, v5
	s_mul_i32 s26, s26, s27
	s_mul_hi_u32 s26, s27, s26
	s_add_i32 s27, s27, s26
	s_mul_hi_u32 s26, s10, s27
	s_mul_i32 s26, s26, s92
	s_sub_i32 s26, s10, s26
	s_sub_i32 s27, s26, s92
	s_cmp_ge_u32 s26, s92
	s_cselect_b32 s26, s27, s26
	s_sub_i32 s27, s26, s92
	s_cmp_ge_u32 s26, s92
	s_cselect_b32 s94, s27, s26
	s_mov_b64 s[26:27], s[94:95]
.LBB102_247:                            ;   in Loop: Header=BB102_21 Depth=1
	s_sub_u32 s42, s10, s26
	s_subb_u32 s43, s85, s27
	v_cmp_gt_u64_e32 vcc, s[42:43], v[0:1]
                                        ; implicit-def: $vgpr8_vgpr9
	s_and_saveexec_b64 s[26:27], vcc
	s_cbranch_execz .LBB102_256
; %bb.248:                              ;   in Loop: Header=BB102_21 Depth=1
	s_mov_b64 s[44:45], 0
	v_mov_b64_e32 v[10:11], v[0:1]
                                        ; implicit-def: $sgpr46_sgpr47
	s_branch .LBB102_251
.LBB102_249:                            ;   in Loop: Header=BB102_251 Depth=2
	s_or_b64 exec, exec, s[48:49]
	s_waitcnt lgkmcnt(0)
	s_barrier
	ds_read_b128 v[6:9], v3 offset:3072
	s_mov_b64 s[48:49], -1
	s_mov_b64 s[50:51], -1
	s_waitcnt lgkmcnt(0)
	s_barrier
	v_cmp_eq_u64_e32 vcc, 0, v[6:7]
	s_cbranch_vccnz .LBB102_254
.LBB102_250:                            ;   in Loop: Header=BB102_251 Depth=2
	s_and_b64 s[48:49], exec, s[48:49]
	s_or_b64 s[44:45], s[48:49], s[44:45]
	s_andn2_b64 s[46:47], s[46:47], exec
	s_and_b64 s[48:49], s[50:51], exec
	s_or_b64 s[46:47], s[46:47], s[48:49]
	s_andn2_b64 exec, exec, s[44:45]
	s_cbranch_execz .LBB102_255
.LBB102_251:                            ;   Parent Loop BB102_21 Depth=1
                                        ; =>  This Inner Loop Header: Depth=2
	v_cmp_gt_u64_e32 vcc, s[52:53], v[10:11]
	s_and_saveexec_b64 s[48:49], vcc
	s_cbranch_execz .LBB102_249
; %bb.252:                              ;   in Loop: Header=BB102_251 Depth=2
	v_mul_lo_u32 v5, v11, s80
	v_mul_lo_u32 v8, v10, s81
	v_mad_u64_u32 v[6:7], s[50:51], v10, s80, 0
	v_add3_u32 v7, v7, v8, v5
	v_lshl_add_u64 v[6:7], v[6:7], 3, s[90:91]
	global_load_dwordx2 v[6:7], v[6:7], off
	s_waitcnt vmcnt(0)
	v_xor_b32_e32 v5, 0x80000000, v7
	v_and_b32_e32 v9, v5, v27
	v_and_b32_e32 v8, v6, v26
	v_cmp_eq_u64_e32 vcc, v[8:9], v[24:25]
	s_and_b64 exec, exec, vcc
	s_cbranch_execz .LBB102_249
; %bb.253:                              ;   in Loop: Header=BB102_251 Depth=2
	v_mov_b32_e32 v5, v3
	ds_write_b128 v3, v[4:7] offset:3072
	s_branch .LBB102_249
.LBB102_254:                            ;   in Loop: Header=BB102_251 Depth=2
	v_lshl_add_u64 v[10:11], v[10:11], 0, s[92:93]
	v_cmp_le_u64_e32 vcc, s[42:43], v[10:11]
	s_mov_b64 s[50:51], 0
	s_orn2_b64 s[48:49], vcc, exec
	s_branch .LBB102_250
.LBB102_255:                            ;   in Loop: Header=BB102_21 Depth=1
	s_or_b64 exec, exec, s[44:45]
	s_andn2_b64 s[8:9], s[8:9], exec
	s_and_b64 s[42:43], s[46:47], exec
	s_or_b64 s[8:9], s[8:9], s[42:43]
.LBB102_256:                            ;   in Loop: Header=BB102_21 Depth=1
	s_or_b64 exec, exec, s[26:27]
	s_mov_b64 s[42:43], 0
	s_mov_b64 s[44:45], -1
.LBB102_257:                            ;   in Loop: Header=BB102_21 Depth=1
	s_orn2_b64 s[26:27], s[8:9], exec
.LBB102_258:                            ;   in Loop: Header=BB102_21 Depth=1
	s_or_b64 exec, exec, s[40:41]
	s_mov_b64 s[40:41], 0
	s_and_saveexec_b64 s[8:9], s[26:27]
	s_cbranch_execz .LBB102_269
; %bb.259:                              ;   in Loop: Header=BB102_21 Depth=1
	s_xor_b64 s[26:27], s[22:23], -1
	v_mov_b64_e32 v[6:7], 1
	v_mov_b32_e32 v2, 1
	s_and_saveexec_b64 s[22:23], s[26:27]
	s_cbranch_execz .LBB102_268
; %bb.260:                              ;   in Loop: Header=BB102_21 Depth=1
	v_cmp_ge_u64_e32 vcc, s[2:3], v[12:13]
	s_and_saveexec_b64 s[26:27], vcc
	s_xor_b64 s[26:27], exec, s[26:27]
	s_cbranch_execz .LBB102_265
; %bb.261:                              ;   in Loop: Header=BB102_21 Depth=1
	ds_read_b64 v[6:7], v3 offset:5120
	v_or_b32_e32 v25, s13, v25
	v_or_b32_e32 v24, s12, v24
	;; [unrolled: 1-line block ×4, first 2 shown]
	s_waitcnt lgkmcnt(0)
	v_cmp_ne_u64_e32 vcc, 0, v[6:7]
	s_cbranch_vccnz .LBB102_265
; %bb.262:                              ;   in Loop: Header=BB102_21 Depth=1
	s_mov_b64 s[12:13], exec
	v_readlane_b32 s40, v58, 28
	v_readlane_b32 s41, v58, 29
	s_and_b64 s[40:41], s[12:13], s[40:41]
	s_mov_b64 exec, s[40:41]
; %bb.263:                              ;   in Loop: Header=BB102_21 Depth=1
	v_mov_b64_e32 v[6:7], s[2:3]
	ds_write_b64 v3, v[6:7] offset:5128
; %bb.264:                              ;   in Loop: Header=BB102_21 Depth=1
	s_or_b64 exec, exec, s[12:13]
	s_waitcnt lgkmcnt(0)
	s_barrier
.LBB102_265:                            ;   in Loop: Header=BB102_21 Depth=1
	s_andn2_saveexec_b64 s[12:13], s[26:27]
; %bb.266:                              ;   in Loop: Header=BB102_21 Depth=1
	v_mov_b32_e32 v2, s3
	v_subrev_co_u32_e32 v12, vcc, s2, v12
	s_nop 1
	v_subb_co_u32_e32 v13, vcc, v13, v2, vcc
; %bb.267:                              ;   in Loop: Header=BB102_21 Depth=1
	s_or_b64 exec, exec, s[12:13]
	v_mov_b32_e32 v2, 8
	v_mov_b64_e32 v[6:7], v[12:13]
.LBB102_268:                            ;   in Loop: Header=BB102_21 Depth=1
	s_or_b64 exec, exec, s[22:23]
	s_mov_b64 s[40:41], exec
	v_mov_b64_e32 v[12:13], v[6:7]
.LBB102_269:                            ;   in Loop: Header=BB102_21 Depth=1
	s_or_b64 exec, exec, s[8:9]
	s_orn2_b64 s[8:9], s[40:41], exec
.LBB102_270:                            ;   in Loop: Header=BB102_21 Depth=1
	s_or_b64 exec, exec, s[20:21]
	s_andn2_b64 s[2:3], s[36:37], exec
	s_and_b64 s[12:13], s[44:45], exec
	s_or_b64 s[36:37], s[2:3], s[12:13]
	s_andn2_b64 s[2:3], s[34:35], exec
	s_and_b64 s[12:13], s[42:43], exec
	s_or_b64 s[34:35], s[2:3], s[12:13]
	s_and_b64 s[26:27], s[8:9], exec
	v_mov_b64_e32 v[10:11], v[12:13]
.LBB102_271:                            ;   in Loop: Header=BB102_21 Depth=1
	s_or_b64 exec, exec, s[38:39]
	s_orn2_b64 s[8:9], s[26:27], exec
.LBB102_272:                            ;   in Loop: Header=BB102_21 Depth=1
	s_or_b64 exec, exec, s[30:31]
	s_andn2_b64 s[2:3], s[24:25], exec
	s_and_b64 s[12:13], s[36:37], exec
	s_or_b64 s[24:25], s[2:3], s[12:13]
	s_andn2_b64 s[0:1], s[0:1], exec
	s_and_b64 s[2:3], s[34:35], exec
	s_or_b64 s[0:1], s[0:1], s[2:3]
	s_and_b64 s[26:27], s[8:9], exec
	v_mov_b64_e32 v[14:15], v[10:11]
.LBB102_273:                            ;   in Loop: Header=BB102_21 Depth=1
	s_or_b64 exec, exec, s[28:29]
	s_orn2_b64 s[8:9], s[26:27], exec
.LBB102_274:                            ;   in Loop: Header=BB102_21 Depth=1
	s_or_b64 exec, exec, s[18:19]
	s_mov_b64 s[12:13], 0
	s_and_saveexec_b64 s[2:3], s[8:9]
	s_xor_b64 s[2:3], exec, s[2:3]
	s_cbranch_execz .LBB102_19
; %bb.275:                              ;   in Loop: Header=BB102_21 Depth=1
	v_and_b32_e32 v2, 7, v2
	v_cmp_eq_u32_e32 vcc, 0, v2
	s_mov_b64 s[8:9], -1
	s_mov_b64 s[12:13], -1
	s_and_saveexec_b64 s[16:17], vcc
	s_cbranch_execz .LBB102_18
; %bb.276:                              ;   in Loop: Header=BB102_21 Depth=1
	s_xor_b32 s73, s73, 1
	s_add_i32 s18, s33, -2
	s_cmp_eq_u32 s33, 0
	s_cselect_b64 s[8:9], -1, 0
	s_xor_b64 s[12:13], exec, -1
	s_orn2_b64 s[8:9], s[8:9], exec
	s_mov_b32 s33, s18
	s_branch .LBB102_18
.LBB102_277:                            ;   in Loop: Header=BB102_21 Depth=1
                                        ; implicit-def: $sgpr46_sgpr47
	s_branch .LBB102_230
.LBB102_278:                            ;   in Loop: Header=BB102_21 Depth=1
                                        ; implicit-def: $sgpr26_sgpr27
	s_branch .LBB102_246
.LBB102_279:
	s_or_b64 exec, exec, s[88:89]
	s_xor_b64 s[6:7], s[68:69], -1
	s_xor_b64 s[0:1], s[74:75], -1
	;; [unrolled: 1-line block ×3, first 2 shown]
	s_mov_b64 s[2:3], 0
	s_and_saveexec_b64 s[8:9], s[0:1]
	s_xor_b64 s[0:1], exec, s[8:9]
	s_cbranch_execnz .LBB102_284
; %bb.280:
	s_andn2_saveexec_b64 s[0:1], s[0:1]
	s_cbranch_execnz .LBB102_297
.LBB102_281:
	s_or_b64 exec, exec, s[0:1]
	s_and_saveexec_b64 s[0:1], s[2:3]
.LBB102_282:
	; divergent unreachable
.LBB102_283:
	s_endpgm
.LBB102_284:
	s_and_saveexec_b64 s[2:3], s[6:7]
	s_xor_b64 s[2:3], exec, s[2:3]
	s_cbranch_execz .LBB102_295
; %bb.285:
	s_and_saveexec_b64 s[6:7], s[4:5]
	s_xor_b64 s[4:5], exec, s[6:7]
; %bb.286:
	v_xor_b32_e32 v25, 0x80000000, v25
	v_mov_b64_e32 v[8:9], v[24:25]
; %bb.287:
	s_or_b64 exec, exec, s[4:5]
	v_readlane_b32 s8, v58, 2
	v_readlane_b32 s4, v58, 0
	;; [unrolled: 1-line block ×4, first 2 shown]
	s_mov_b32 s14, s4
	s_mul_i32 s4, s4, s9
	s_mul_hi_u32 s5, s14, s8
	s_add_i32 s5, s5, s4
	s_mul_i32 s4, s14, s8
	v_readlane_b32 s12, v58, 6
	v_readlane_b32 s16, v58, 24
	;; [unrolled: 1-line block ×3, first 2 shown]
	s_sub_u32 s4, s12, s4
	v_readlane_b32 s18, v58, 26
	v_readlane_b32 s19, v58, 27
	s_subb_u32 s5, s13, s5
	s_mul_i32 s6, s4, s19
	s_mul_hi_u32 s7, s4, s18
	v_readlane_b32 s10, v58, 4
	v_readlane_b32 s11, v58, 5
	;; [unrolled: 1-line block ×3, first 2 shown]
	s_add_i32 s6, s7, s6
	s_mul_i32 s5, s5, s18
	s_add_i32 s5, s6, s5
	s_mul_i32 s6, s14, s17
	s_mul_hi_u32 s7, s14, s16
	s_mul_i32 s8, s12, s11
	s_mul_hi_u32 s9, s12, s10
	s_mul_i32 s4, s4, s18
	s_add_i32 s7, s7, s6
	s_add_i32 s9, s9, s8
	s_mul_i32 s8, s12, s10
	v_readlane_b32 s18, v58, 34
	v_readlane_b32 s12, v58, 22
	s_sub_u32 s8, s18, s8
	v_readlane_b32 s13, v58, 23
	s_subb_u32 s9, 0, s9
	s_mul_i32 s10, s8, s13
	s_mul_hi_u32 s11, s8, s12
	s_mul_i32 s6, s14, s16
	s_add_i32 s10, s11, s10
	s_mul_i32 s9, s9, s12
	s_add_i32 s9, s10, s9
	s_lshl_b64 s[6:7], s[6:7], 3
	v_readlane_b32 s10, v58, 32
	v_readlane_b32 s11, v58, 33
	s_add_u32 s6, s10, s6
	s_addc_u32 s7, s11, s7
	s_lshl_b64 s[4:5], s[4:5], 3
	s_mul_i32 s8, s8, s12
	s_add_u32 s6, s6, s4
	s_addc_u32 s7, s7, s5
	s_lshl_b64 s[4:5], s[8:9], 3
	s_add_u32 s4, s6, s4
	s_addc_u32 s5, s7, s5
	v_mov_b32_e32 v2, 0
	v_readlane_b32 s19, v58, 35
	global_store_dwordx2 v2, v[8:9], s[4:5]
	s_mov_b64 s[4:5], exec
	v_readlane_b32 s6, v58, 36
	v_readlane_b32 s7, v58, 37
	s_and_b64 s[6:7], s[4:5], s[6:7]
	s_mov_b64 exec, s[6:7]
	s_cbranch_execz .LBB102_294
; %bb.288:
	s_mov_b64 s[6:7], 0
                                        ; implicit-def: $sgpr8_sgpr9
                                        ; implicit-def: $sgpr12_sgpr13
                                        ; implicit-def: $sgpr10_sgpr11
	s_branch .LBB102_290
.LBB102_289:                            ;   in Loop: Header=BB102_290 Depth=1
	s_or_b64 exec, exec, s[14:15]
	s_and_b64 s[14:15], exec, s[12:13]
	s_or_b64 s[6:7], s[14:15], s[6:7]
	s_andn2_b64 s[8:9], s[8:9], exec
	s_and_b64 s[14:15], s[10:11], exec
	s_or_b64 s[8:9], s[8:9], s[14:15]
	s_andn2_b64 exec, exec, s[6:7]
	s_cbranch_execz .LBB102_292
.LBB102_290:                            ; =>This Inner Loop Header: Depth=1
	v_mov_b64_e32 v[2:3], v[0:1]
	v_mul_lo_u32 v4, v3, s80
	v_mul_lo_u32 v5, v2, s81
	v_mad_u64_u32 v[0:1], s[14:15], v2, s80, 0
	v_add3_u32 v1, v1, v5, v4
	v_lshl_add_u64 v[0:1], v[0:1], 3, s[90:91]
	global_load_dwordx2 v[0:1], v[0:1], off
	s_or_b64 s[10:11], s[10:11], exec
	s_or_b64 s[12:13], s[12:13], exec
	s_waitcnt vmcnt(0)
	v_cmp_ne_u64_e32 vcc, v[0:1], v[8:9]
                                        ; implicit-def: $vgpr0_vgpr1
	s_and_saveexec_b64 s[14:15], vcc
	s_cbranch_execz .LBB102_289
; %bb.291:                              ;   in Loop: Header=BB102_290 Depth=1
	v_lshl_add_u64 v[0:1], v[2:3], 0, s[92:93]
	v_cmp_le_u64_e32 vcc, s[52:53], v[0:1]
	s_andn2_b64 s[12:13], s[12:13], exec
	s_and_b64 s[16:17], vcc, exec
	s_andn2_b64 s[10:11], s[10:11], exec
	s_or_b64 s[12:13], s[12:13], s[16:17]
	s_branch .LBB102_289
.LBB102_292:
	s_or_b64 exec, exec, s[6:7]
	s_and_saveexec_b64 s[6:7], s[8:9]
	s_xor_b64 s[6:7], exec, s[6:7]
	s_cbranch_execz .LBB102_294
; %bb.293:
	v_readlane_b32 s12, v58, 8
	v_readlane_b32 s6, v58, 14
	;; [unrolled: 1-line block ×4, first 2 shown]
	s_mov_b32 s10, s6
	s_mul_i32 s6, s6, s13
	s_mul_hi_u32 s7, s10, s12
	s_add_i32 s7, s7, s6
	s_mul_i32 s6, s10, s12
	v_readlane_b32 s12, v58, 12
	v_readlane_b32 s20, v58, 18
	;; [unrolled: 1-line block ×3, first 2 shown]
	s_sub_u32 s6, s12, s6
	v_readlane_b32 s22, v58, 20
	v_readlane_b32 s23, v58, 21
	s_subb_u32 s7, s13, s7
	s_mul_i32 s8, s6, s23
	s_mul_hi_u32 s9, s6, s22
	v_readlane_b32 s21, v58, 19
	s_add_i32 s8, s9, s8
	s_mul_i32 s7, s7, s22
	v_readlane_b32 s14, v58, 10
	v_readlane_b32 s15, v58, 11
	s_add_i32 s7, s8, s7
	s_mul_i32 s8, s10, s21
	s_mul_hi_u32 s9, s10, s20
	s_add_i32 s9, s9, s8
	s_mul_i32 s8, s10, s20
	s_mul_i32 s10, s12, s15
	s_mul_hi_u32 s11, s12, s14
	s_add_i32 s11, s11, s10
	s_mul_i32 s10, s12, s14
	v_readlane_b32 s14, v58, 16
	s_sub_u32 s10, s18, s10
	v_readlane_b32 s15, v58, 17
	s_subb_u32 s11, 0, s11
	s_mul_i32 s12, s10, s15
	s_mul_hi_u32 s13, s10, s14
	s_add_i32 s12, s13, s12
	s_mul_i32 s11, s11, s14
	s_add_i32 s11, s12, s11
	s_lshl_b64 s[8:9], s[8:9], 3
	v_readlane_b32 s12, v58, 30
	s_mul_i32 s6, s6, s22
	v_readlane_b32 s13, v58, 31
	s_add_u32 s8, s12, s8
	s_addc_u32 s9, s13, s9
	s_lshl_b64 s[6:7], s[6:7], 3
	s_mul_i32 s10, s10, s14
	s_add_u32 s8, s8, s6
	s_addc_u32 s9, s9, s7
	s_lshl_b64 s[6:7], s[10:11], 3
	s_add_u32 s6, s8, s6
	s_addc_u32 s7, s9, s7
	v_mov_b32_e32 v0, 0
	global_store_dwordx2 v0, v[2:3], s[6:7]
.LBB102_294:
	s_or_b64 exec, exec, s[4:5]
.LBB102_295:
	s_or_saveexec_b64 s[2:3], s[2:3]
	s_mov_b64 s[4:5], 0
	s_xor_b64 exec, exec, s[2:3]
	s_cbranch_execnz .LBB102_298
.LBB102_296:
	s_or_b64 exec, exec, s[2:3]
	s_and_b64 s[2:3], s[4:5], exec
	s_andn2_saveexec_b64 s[0:1], s[0:1]
	s_cbranch_execz .LBB102_281
.LBB102_297:
	s_or_b64 s[2:3], s[2:3], exec
	s_trap 2
	s_or_b64 exec, exec, s[0:1]
	s_and_saveexec_b64 s[0:1], s[2:3]
	s_cbranch_execnz .LBB102_282
	s_branch .LBB102_283
.LBB102_298:
	s_mov_b64 s[4:5], exec
	s_trap 2
	s_branch .LBB102_296
	.section	.rodata,"a",@progbits
	.p2align	6, 0x0
	.amdhsa_kernel _ZN2at6native12_GLOBAL__N_112gatherMedianIlmLi3EEEvNS_4cuda6detail10TensorInfoIT_T0_EENS5_IlS7_EENS5_IKS6_S7_EES7_S7_S7_b
		.amdhsa_group_segment_fixed_size 5152
		.amdhsa_private_segment_fixed_size 0
		.amdhsa_kernarg_size 1536
		.amdhsa_user_sgpr_count 2
		.amdhsa_user_sgpr_dispatch_ptr 0
		.amdhsa_user_sgpr_queue_ptr 0
		.amdhsa_user_sgpr_kernarg_segment_ptr 1
		.amdhsa_user_sgpr_dispatch_id 0
		.amdhsa_user_sgpr_kernarg_preload_length 0
		.amdhsa_user_sgpr_kernarg_preload_offset 0
		.amdhsa_user_sgpr_private_segment_size 0
		.amdhsa_uses_dynamic_stack 0
		.amdhsa_enable_private_segment 0
		.amdhsa_system_sgpr_workgroup_id_x 1
		.amdhsa_system_sgpr_workgroup_id_y 1
		.amdhsa_system_sgpr_workgroup_id_z 1
		.amdhsa_system_sgpr_workgroup_info 0
		.amdhsa_system_vgpr_workitem_id 0
		.amdhsa_next_free_vgpr 59
		.amdhsa_next_free_sgpr 100
		.amdhsa_accum_offset 60
		.amdhsa_reserve_vcc 1
		.amdhsa_float_round_mode_32 0
		.amdhsa_float_round_mode_16_64 0
		.amdhsa_float_denorm_mode_32 3
		.amdhsa_float_denorm_mode_16_64 3
		.amdhsa_dx10_clamp 1
		.amdhsa_ieee_mode 1
		.amdhsa_fp16_overflow 0
		.amdhsa_tg_split 0
		.amdhsa_exception_fp_ieee_invalid_op 0
		.amdhsa_exception_fp_denorm_src 0
		.amdhsa_exception_fp_ieee_div_zero 0
		.amdhsa_exception_fp_ieee_overflow 0
		.amdhsa_exception_fp_ieee_underflow 0
		.amdhsa_exception_fp_ieee_inexact 0
		.amdhsa_exception_int_div_zero 0
	.end_amdhsa_kernel
	.section	.text._ZN2at6native12_GLOBAL__N_112gatherMedianIlmLi3EEEvNS_4cuda6detail10TensorInfoIT_T0_EENS5_IlS7_EENS5_IKS6_S7_EES7_S7_S7_b,"axG",@progbits,_ZN2at6native12_GLOBAL__N_112gatherMedianIlmLi3EEEvNS_4cuda6detail10TensorInfoIT_T0_EENS5_IlS7_EENS5_IKS6_S7_EES7_S7_S7_b,comdat
.Lfunc_end102:
	.size	_ZN2at6native12_GLOBAL__N_112gatherMedianIlmLi3EEEvNS_4cuda6detail10TensorInfoIT_T0_EENS5_IlS7_EENS5_IKS6_S7_EES7_S7_S7_b, .Lfunc_end102-_ZN2at6native12_GLOBAL__N_112gatherMedianIlmLi3EEEvNS_4cuda6detail10TensorInfoIT_T0_EENS5_IlS7_EENS5_IKS6_S7_EES7_S7_S7_b
                                        ; -- End function
	.set _ZN2at6native12_GLOBAL__N_112gatherMedianIlmLi3EEEvNS_4cuda6detail10TensorInfoIT_T0_EENS5_IlS7_EENS5_IKS6_S7_EES7_S7_S7_b.num_vgpr, 59
	.set _ZN2at6native12_GLOBAL__N_112gatherMedianIlmLi3EEEvNS_4cuda6detail10TensorInfoIT_T0_EENS5_IlS7_EENS5_IKS6_S7_EES7_S7_S7_b.num_agpr, 0
	.set _ZN2at6native12_GLOBAL__N_112gatherMedianIlmLi3EEEvNS_4cuda6detail10TensorInfoIT_T0_EENS5_IlS7_EENS5_IKS6_S7_EES7_S7_S7_b.numbered_sgpr, 100
	.set _ZN2at6native12_GLOBAL__N_112gatherMedianIlmLi3EEEvNS_4cuda6detail10TensorInfoIT_T0_EENS5_IlS7_EENS5_IKS6_S7_EES7_S7_S7_b.num_named_barrier, 0
	.set _ZN2at6native12_GLOBAL__N_112gatherMedianIlmLi3EEEvNS_4cuda6detail10TensorInfoIT_T0_EENS5_IlS7_EENS5_IKS6_S7_EES7_S7_S7_b.private_seg_size, 0
	.set _ZN2at6native12_GLOBAL__N_112gatherMedianIlmLi3EEEvNS_4cuda6detail10TensorInfoIT_T0_EENS5_IlS7_EENS5_IKS6_S7_EES7_S7_S7_b.uses_vcc, 1
	.set _ZN2at6native12_GLOBAL__N_112gatherMedianIlmLi3EEEvNS_4cuda6detail10TensorInfoIT_T0_EENS5_IlS7_EENS5_IKS6_S7_EES7_S7_S7_b.uses_flat_scratch, 0
	.set _ZN2at6native12_GLOBAL__N_112gatherMedianIlmLi3EEEvNS_4cuda6detail10TensorInfoIT_T0_EENS5_IlS7_EENS5_IKS6_S7_EES7_S7_S7_b.has_dyn_sized_stack, 0
	.set _ZN2at6native12_GLOBAL__N_112gatherMedianIlmLi3EEEvNS_4cuda6detail10TensorInfoIT_T0_EENS5_IlS7_EENS5_IKS6_S7_EES7_S7_S7_b.has_recursion, 0
	.set _ZN2at6native12_GLOBAL__N_112gatherMedianIlmLi3EEEvNS_4cuda6detail10TensorInfoIT_T0_EENS5_IlS7_EENS5_IKS6_S7_EES7_S7_S7_b.has_indirect_call, 0
	.section	.AMDGPU.csdata,"",@progbits
; Kernel info:
; codeLenInByte = 15932
; TotalNumSgprs: 106
; NumVgprs: 59
; NumAgprs: 0
; TotalNumVgprs: 59
; ScratchSize: 0
; MemoryBound: 0
; FloatMode: 240
; IeeeMode: 1
; LDSByteSize: 5152 bytes/workgroup (compile time only)
; SGPRBlocks: 13
; VGPRBlocks: 7
; NumSGPRsForWavesPerEU: 106
; NumVGPRsForWavesPerEU: 59
; AccumOffset: 60
; Occupancy: 7
; WaveLimiterHint : 1
; COMPUTE_PGM_RSRC2:SCRATCH_EN: 0
; COMPUTE_PGM_RSRC2:USER_SGPR: 2
; COMPUTE_PGM_RSRC2:TRAP_HANDLER: 0
; COMPUTE_PGM_RSRC2:TGID_X_EN: 1
; COMPUTE_PGM_RSRC2:TGID_Y_EN: 1
; COMPUTE_PGM_RSRC2:TGID_Z_EN: 1
; COMPUTE_PGM_RSRC2:TIDIG_COMP_CNT: 0
; COMPUTE_PGM_RSRC3_GFX90A:ACCUM_OFFSET: 14
; COMPUTE_PGM_RSRC3_GFX90A:TG_SPLIT: 0
	.section	.text._ZN2at6native12_GLOBAL__N_112gatherMedianIlmLin1EEEvNS_4cuda6detail10TensorInfoIT_T0_EENS5_IlS7_EENS5_IKS6_S7_EES7_S7_S7_b,"axG",@progbits,_ZN2at6native12_GLOBAL__N_112gatherMedianIlmLin1EEEvNS_4cuda6detail10TensorInfoIT_T0_EENS5_IlS7_EENS5_IKS6_S7_EES7_S7_S7_b,comdat
	.globl	_ZN2at6native12_GLOBAL__N_112gatherMedianIlmLin1EEEvNS_4cuda6detail10TensorInfoIT_T0_EENS5_IlS7_EENS5_IKS6_S7_EES7_S7_S7_b ; -- Begin function _ZN2at6native12_GLOBAL__N_112gatherMedianIlmLin1EEEvNS_4cuda6detail10TensorInfoIT_T0_EENS5_IlS7_EENS5_IKS6_S7_EES7_S7_S7_b
	.p2align	8
	.type	_ZN2at6native12_GLOBAL__N_112gatherMedianIlmLin1EEEvNS_4cuda6detail10TensorInfoIT_T0_EENS5_IlS7_EENS5_IKS6_S7_EES7_S7_S7_b,@function
_ZN2at6native12_GLOBAL__N_112gatherMedianIlmLin1EEEvNS_4cuda6detail10TensorInfoIT_T0_EENS5_IlS7_EENS5_IKS6_S7_EES7_S7_S7_b: ; @_ZN2at6native12_GLOBAL__N_112gatherMedianIlmLin1EEEvNS_4cuda6detail10TensorInfoIT_T0_EENS5_IlS7_EENS5_IKS6_S7_EES7_S7_S7_b
; %bb.0:
	s_load_dwordx2 s[12:13], s[0:1], 0x500
	s_load_dwordx4 s[52:55], s[0:1], 0x4e0
	s_add_u32 s14, s0, 0x500
	s_addc_u32 s15, s1, 0
	s_mov_b32 s5, 0
	s_waitcnt lgkmcnt(0)
	s_mul_i32 s4, s13, s4
	s_add_i32 s3, s4, s3
	s_mul_i32 s3, s3, s12
	s_add_i32 s4, s3, s2
	v_mov_b64_e32 v[2:3], s[4:5]
	v_cmp_le_u64_e32 vcc, s[54:55], v[2:3]
	s_cbranch_vccnz .LBB103_296
; %bb.1:
	s_load_dword s6, s[0:1], 0x198
	s_load_dwordx2 s[56:57], s[0:1], 0x4f0
	s_mov_b64 s[54:55], 0
	s_mov_b64 s[20:21], s[4:5]
	s_waitcnt lgkmcnt(0)
	s_cmp_lt_i32 s6, 2
	s_cbranch_scc1 .LBB103_9
; %bb.2:
	s_add_i32 s3, s6, 1
	s_add_i32 s8, s6, -1
	s_mov_b32 s6, 0
	s_mov_b32 s9, s6
	s_lshl_b64 s[8:9], s[8:9], 3
	s_add_u32 s7, s0, s8
	s_addc_u32 s9, s1, s9
	s_add_u32 s8, s7, 8
	s_addc_u32 s9, s9, 0
	s_mov_b64 s[10:11], s[4:5]
.LBB103_3:                              ; =>This Inner Loop Header: Depth=1
	s_load_dwordx2 s[16:17], s[8:9], 0x0
	s_waitcnt lgkmcnt(0)
	s_or_b64 s[18:19], s[10:11], s[16:17]
	s_mov_b32 s7, s19
	s_cmp_lg_u64 s[6:7], 0
	s_cbranch_scc0 .LBB103_8
; %bb.4:                                ;   in Loop: Header=BB103_3 Depth=1
	v_cvt_f32_u32_e32 v1, s16
	v_cvt_f32_u32_e32 v2, s17
	s_sub_u32 s7, 0, s16
	s_subb_u32 s13, 0, s17
	v_fmac_f32_e32 v1, 0x4f800000, v2
	v_rcp_f32_e32 v1, v1
	s_nop 0
	v_mul_f32_e32 v1, 0x5f7ffffc, v1
	v_mul_f32_e32 v2, 0x2f800000, v1
	v_trunc_f32_e32 v2, v2
	v_fmac_f32_e32 v1, 0xcf800000, v2
	v_cvt_u32_f32_e32 v2, v2
	v_cvt_u32_f32_e32 v1, v1
	v_readfirstlane_b32 s20, v2
	v_readfirstlane_b32 s18, v1
	s_mul_i32 s19, s7, s20
	s_mul_hi_u32 s22, s7, s18
	s_mul_i32 s21, s13, s18
	s_add_i32 s19, s22, s19
	s_mul_i32 s23, s7, s18
	s_add_i32 s19, s19, s21
	s_mul_i32 s22, s18, s19
	s_mul_hi_u32 s24, s18, s23
	s_mul_hi_u32 s21, s18, s19
	s_add_u32 s22, s24, s22
	s_addc_u32 s21, 0, s21
	s_mul_hi_u32 s25, s20, s23
	s_mul_i32 s23, s20, s23
	s_add_u32 s22, s22, s23
	s_mul_hi_u32 s24, s20, s19
	s_addc_u32 s21, s21, s25
	s_addc_u32 s22, s24, 0
	s_mul_i32 s19, s20, s19
	s_add_u32 s19, s21, s19
	s_addc_u32 s21, 0, s22
	s_add_u32 s22, s18, s19
	s_cselect_b64 s[18:19], -1, 0
	s_cmp_lg_u64 s[18:19], 0
	s_addc_u32 s20, s20, s21
	s_mul_i32 s18, s7, s20
	s_mul_hi_u32 s19, s7, s22
	s_add_i32 s18, s19, s18
	s_mul_i32 s13, s13, s22
	s_add_i32 s18, s18, s13
	s_mul_i32 s7, s7, s22
	s_mul_hi_u32 s19, s20, s7
	s_mul_i32 s21, s20, s7
	s_mul_i32 s24, s22, s18
	s_mul_hi_u32 s7, s22, s7
	s_mul_hi_u32 s23, s22, s18
	s_add_u32 s7, s7, s24
	s_addc_u32 s23, 0, s23
	s_add_u32 s7, s7, s21
	s_mul_hi_u32 s13, s20, s18
	s_addc_u32 s7, s23, s19
	s_addc_u32 s13, s13, 0
	s_mul_i32 s18, s20, s18
	s_add_u32 s7, s7, s18
	s_addc_u32 s13, 0, s13
	s_add_u32 s7, s22, s7
	s_cselect_b64 s[18:19], -1, 0
	s_cmp_lg_u64 s[18:19], 0
	s_addc_u32 s13, s20, s13
	s_mul_i32 s19, s10, s13
	s_mul_hi_u32 s20, s10, s7
	s_mul_hi_u32 s18, s10, s13
	s_add_u32 s19, s20, s19
	s_addc_u32 s18, 0, s18
	s_mul_hi_u32 s21, s11, s7
	s_mul_i32 s7, s11, s7
	s_add_u32 s7, s19, s7
	s_mul_hi_u32 s20, s11, s13
	s_addc_u32 s7, s18, s21
	s_addc_u32 s18, s20, 0
	s_mul_i32 s13, s11, s13
	s_add_u32 s7, s7, s13
	s_addc_u32 s13, 0, s18
	s_mul_i32 s18, s16, s13
	s_mul_hi_u32 s19, s16, s7
	s_add_i32 s18, s19, s18
	s_mul_i32 s19, s17, s7
	s_add_i32 s22, s18, s19
	s_sub_i32 s20, s11, s22
	s_mul_i32 s18, s16, s7
	s_sub_u32 s23, s10, s18
	s_cselect_b64 s[18:19], -1, 0
	s_cmp_lg_u64 s[18:19], 0
	s_subb_u32 s24, s20, s17
	s_sub_u32 s25, s23, s16
	s_cselect_b64 s[20:21], -1, 0
	s_cmp_lg_u64 s[20:21], 0
	s_subb_u32 s20, s24, 0
	s_cmp_ge_u32 s20, s17
	s_cselect_b32 s21, -1, 0
	s_cmp_ge_u32 s25, s16
	s_cselect_b32 s24, -1, 0
	s_cmp_eq_u32 s20, s17
	s_cselect_b32 s20, s24, s21
	s_add_u32 s21, s7, 1
	s_addc_u32 s24, s13, 0
	s_add_u32 s25, s7, 2
	s_addc_u32 s26, s13, 0
	s_cmp_lg_u32 s20, 0
	s_cselect_b32 s20, s25, s21
	s_cselect_b32 s21, s26, s24
	s_cmp_lg_u64 s[18:19], 0
	s_subb_u32 s18, s11, s22
	s_cmp_ge_u32 s18, s17
	s_cselect_b32 s19, -1, 0
	s_cmp_ge_u32 s23, s16
	s_cselect_b32 s22, -1, 0
	s_cmp_eq_u32 s18, s17
	s_cselect_b32 s18, s22, s19
	s_cmp_lg_u32 s18, 0
	s_cselect_b32 s21, s21, s13
	s_cselect_b32 s20, s20, s7
	s_cbranch_execnz .LBB103_6
.LBB103_5:                              ;   in Loop: Header=BB103_3 Depth=1
	v_cvt_f32_u32_e32 v1, s16
	s_sub_i32 s7, 0, s16
	s_mov_b32 s21, s6
	v_rcp_iflag_f32_e32 v1, v1
	s_nop 0
	v_mul_f32_e32 v1, 0x4f7ffffe, v1
	v_cvt_u32_f32_e32 v1, v1
	s_nop 0
	v_readfirstlane_b32 s13, v1
	s_mul_i32 s7, s7, s13
	s_mul_hi_u32 s7, s13, s7
	s_add_i32 s13, s13, s7
	s_mul_hi_u32 s7, s10, s13
	s_mul_i32 s18, s7, s16
	s_sub_i32 s18, s10, s18
	s_add_i32 s13, s7, 1
	s_sub_i32 s19, s18, s16
	s_cmp_ge_u32 s18, s16
	s_cselect_b32 s7, s13, s7
	s_cselect_b32 s18, s19, s18
	s_add_i32 s13, s7, 1
	s_cmp_ge_u32 s18, s16
	s_cselect_b32 s20, s13, s7
.LBB103_6:                              ;   in Loop: Header=BB103_3 Depth=1
	s_mul_i32 s7, s20, s17
	s_mul_hi_u32 s13, s20, s16
	s_load_dwordx2 s[18:19], s[8:9], 0xc8
	s_add_i32 s7, s13, s7
	s_mul_i32 s13, s21, s16
	s_add_i32 s7, s7, s13
	s_mul_i32 s13, s20, s16
	s_sub_u32 s10, s10, s13
	s_subb_u32 s7, s11, s7
	s_waitcnt lgkmcnt(0)
	s_mul_i32 s7, s18, s7
	s_mul_hi_u32 s11, s18, s10
	s_add_i32 s7, s11, s7
	s_mul_i32 s11, s19, s10
	s_add_i32 s7, s7, s11
	s_mul_i32 s10, s18, s10
	s_add_u32 s54, s10, s54
	s_addc_u32 s55, s7, s55
	s_add_i32 s3, s3, -1
	s_add_u32 s8, s8, -8
	s_addc_u32 s9, s9, -1
	s_cmp_gt_u32 s3, 2
	s_cbranch_scc0 .LBB103_9
; %bb.7:                                ;   in Loop: Header=BB103_3 Depth=1
	s_mov_b64 s[10:11], s[20:21]
	s_branch .LBB103_3
.LBB103_8:                              ;   in Loop: Header=BB103_3 Depth=1
                                        ; implicit-def: $sgpr20_sgpr21
	s_branch .LBB103_5
.LBB103_9:
	s_load_dword s8, s[0:1], 0x338
	s_load_dwordx2 s[6:7], s[0:1], 0xd0
                                        ; implicit-def: $vgpr74 : SGPR spill to VGPR lane
	s_mov_b64 s[58:59], 0
	v_writelane_b32 v74, s20, 0
	s_mov_b64 s[64:65], s[4:5]
	s_nop 0
	v_writelane_b32 v74, s21, 1
	s_waitcnt lgkmcnt(0)
	v_writelane_b32 v74, s6, 2
	s_nop 1
	v_writelane_b32 v74, s7, 3
	s_add_u32 s6, s0, 0x1a0
	s_addc_u32 s7, s1, 0
	s_cmp_lt_i32 s8, 2
	s_cbranch_scc1 .LBB103_17
; %bb.10:
	s_add_i32 s3, s8, 1
	s_add_i32 s10, s8, -1
	s_mov_b32 s8, 0
	s_mov_b32 s11, s8
	s_lshl_b64 s[10:11], s[10:11], 3
	s_add_u32 s9, s6, s10
	s_addc_u32 s11, s7, s11
	s_add_u32 s10, s9, 8
	s_addc_u32 s11, s11, 0
	s_mov_b64 s[16:17], s[4:5]
.LBB103_11:                             ; =>This Inner Loop Header: Depth=1
	s_load_dwordx2 s[18:19], s[10:11], 0x0
	s_waitcnt lgkmcnt(0)
	s_or_b64 s[20:21], s[16:17], s[18:19]
	s_mov_b32 s9, s21
	s_cmp_lg_u64 s[8:9], 0
	s_cbranch_scc0 .LBB103_16
; %bb.12:                               ;   in Loop: Header=BB103_11 Depth=1
	v_cvt_f32_u32_e32 v1, s18
	v_cvt_f32_u32_e32 v2, s19
	s_sub_u32 s9, 0, s18
	s_subb_u32 s13, 0, s19
	v_fmac_f32_e32 v1, 0x4f800000, v2
	v_rcp_f32_e32 v1, v1
	s_nop 0
	v_mul_f32_e32 v1, 0x5f7ffffc, v1
	v_mul_f32_e32 v2, 0x2f800000, v1
	v_trunc_f32_e32 v2, v2
	v_fmac_f32_e32 v1, 0xcf800000, v2
	v_cvt_u32_f32_e32 v2, v2
	v_cvt_u32_f32_e32 v1, v1
	v_readfirstlane_b32 s22, v2
	v_readfirstlane_b32 s20, v1
	s_mul_i32 s21, s9, s22
	s_mul_hi_u32 s24, s9, s20
	s_mul_i32 s23, s13, s20
	s_add_i32 s21, s24, s21
	s_mul_i32 s25, s9, s20
	s_add_i32 s21, s21, s23
	s_mul_i32 s24, s20, s21
	s_mul_hi_u32 s26, s20, s25
	s_mul_hi_u32 s23, s20, s21
	s_add_u32 s24, s26, s24
	s_addc_u32 s23, 0, s23
	s_mul_hi_u32 s27, s22, s25
	s_mul_i32 s25, s22, s25
	s_add_u32 s24, s24, s25
	s_mul_hi_u32 s26, s22, s21
	s_addc_u32 s23, s23, s27
	s_addc_u32 s24, s26, 0
	s_mul_i32 s21, s22, s21
	s_add_u32 s21, s23, s21
	s_addc_u32 s23, 0, s24
	s_add_u32 s24, s20, s21
	s_cselect_b64 s[20:21], -1, 0
	s_cmp_lg_u64 s[20:21], 0
	s_addc_u32 s22, s22, s23
	s_mul_i32 s20, s9, s22
	s_mul_hi_u32 s21, s9, s24
	s_add_i32 s20, s21, s20
	s_mul_i32 s13, s13, s24
	s_add_i32 s20, s20, s13
	s_mul_i32 s9, s9, s24
	s_mul_hi_u32 s21, s22, s9
	s_mul_i32 s23, s22, s9
	s_mul_i32 s26, s24, s20
	s_mul_hi_u32 s9, s24, s9
	s_mul_hi_u32 s25, s24, s20
	s_add_u32 s9, s9, s26
	s_addc_u32 s25, 0, s25
	s_add_u32 s9, s9, s23
	s_mul_hi_u32 s13, s22, s20
	s_addc_u32 s9, s25, s21
	s_addc_u32 s13, s13, 0
	s_mul_i32 s20, s22, s20
	s_add_u32 s9, s9, s20
	s_addc_u32 s13, 0, s13
	s_add_u32 s9, s24, s9
	s_cselect_b64 s[20:21], -1, 0
	s_cmp_lg_u64 s[20:21], 0
	s_addc_u32 s13, s22, s13
	s_mul_i32 s21, s16, s13
	s_mul_hi_u32 s22, s16, s9
	s_mul_hi_u32 s20, s16, s13
	s_add_u32 s21, s22, s21
	s_addc_u32 s20, 0, s20
	s_mul_hi_u32 s23, s17, s9
	s_mul_i32 s9, s17, s9
	s_add_u32 s9, s21, s9
	s_mul_hi_u32 s22, s17, s13
	s_addc_u32 s9, s20, s23
	s_addc_u32 s20, s22, 0
	s_mul_i32 s13, s17, s13
	s_add_u32 s9, s9, s13
	s_addc_u32 s13, 0, s20
	s_mul_i32 s20, s18, s13
	s_mul_hi_u32 s21, s18, s9
	s_add_i32 s20, s21, s20
	s_mul_i32 s21, s19, s9
	s_add_i32 s24, s20, s21
	s_sub_i32 s22, s17, s24
	s_mul_i32 s20, s18, s9
	s_sub_u32 s25, s16, s20
	s_cselect_b64 s[20:21], -1, 0
	s_cmp_lg_u64 s[20:21], 0
	s_subb_u32 s26, s22, s19
	s_sub_u32 s27, s25, s18
	s_cselect_b64 s[22:23], -1, 0
	s_cmp_lg_u64 s[22:23], 0
	s_subb_u32 s22, s26, 0
	s_cmp_ge_u32 s22, s19
	s_cselect_b32 s23, -1, 0
	s_cmp_ge_u32 s27, s18
	s_cselect_b32 s26, -1, 0
	s_cmp_eq_u32 s22, s19
	s_cselect_b32 s22, s26, s23
	s_add_u32 s23, s9, 1
	s_addc_u32 s26, s13, 0
	s_add_u32 s27, s9, 2
	s_addc_u32 s28, s13, 0
	s_cmp_lg_u32 s22, 0
	s_cselect_b32 s22, s27, s23
	s_cselect_b32 s23, s28, s26
	s_cmp_lg_u64 s[20:21], 0
	s_subb_u32 s20, s17, s24
	s_cmp_ge_u32 s20, s19
	s_cselect_b32 s21, -1, 0
	s_cmp_ge_u32 s25, s18
	s_cselect_b32 s24, -1, 0
	s_cmp_eq_u32 s20, s19
	s_cselect_b32 s20, s24, s21
	s_cmp_lg_u32 s20, 0
	s_cselect_b32 s65, s23, s13
	s_cselect_b32 s64, s22, s9
	s_cbranch_execnz .LBB103_14
.LBB103_13:                             ;   in Loop: Header=BB103_11 Depth=1
	v_cvt_f32_u32_e32 v1, s18
	s_sub_i32 s9, 0, s18
	s_mov_b32 s65, s8
	v_rcp_iflag_f32_e32 v1, v1
	s_nop 0
	v_mul_f32_e32 v1, 0x4f7ffffe, v1
	v_cvt_u32_f32_e32 v1, v1
	s_nop 0
	v_readfirstlane_b32 s13, v1
	s_mul_i32 s9, s9, s13
	s_mul_hi_u32 s9, s13, s9
	s_add_i32 s13, s13, s9
	s_mul_hi_u32 s9, s16, s13
	s_mul_i32 s20, s9, s18
	s_sub_i32 s20, s16, s20
	s_add_i32 s13, s9, 1
	s_sub_i32 s21, s20, s18
	s_cmp_ge_u32 s20, s18
	s_cselect_b32 s9, s13, s9
	s_cselect_b32 s20, s21, s20
	s_add_i32 s13, s9, 1
	s_cmp_ge_u32 s20, s18
	s_cselect_b32 s64, s13, s9
.LBB103_14:                             ;   in Loop: Header=BB103_11 Depth=1
	s_mul_i32 s9, s64, s19
	s_mul_hi_u32 s13, s64, s18
	s_load_dwordx2 s[20:21], s[10:11], 0xc8
	s_add_i32 s9, s13, s9
	s_mul_i32 s13, s65, s18
	s_add_i32 s9, s9, s13
	s_mul_i32 s13, s64, s18
	s_sub_u32 s13, s16, s13
	s_subb_u32 s9, s17, s9
	s_waitcnt lgkmcnt(0)
	s_mul_i32 s9, s20, s9
	s_mul_hi_u32 s16, s20, s13
	s_add_i32 s9, s16, s9
	s_mul_i32 s16, s21, s13
	s_add_i32 s9, s9, s16
	s_mul_i32 s13, s20, s13
	s_add_u32 s58, s13, s58
	s_addc_u32 s59, s9, s59
	s_add_i32 s3, s3, -1
	s_add_u32 s10, s10, -8
	s_addc_u32 s11, s11, -1
	s_cmp_gt_u32 s3, 2
	s_cbranch_scc0 .LBB103_17
; %bb.15:                               ;   in Loop: Header=BB103_11 Depth=1
	s_mov_b64 s[16:17], s[64:65]
	s_branch .LBB103_11
.LBB103_16:                             ;   in Loop: Header=BB103_11 Depth=1
                                        ; implicit-def: $sgpr64_sgpr65
	s_branch .LBB103_13
.LBB103_17:
	s_load_dword s8, s[0:1], 0x4d8
	s_load_dwordx2 s[10:11], s[6:7], 0xd0
	s_add_u32 s9, s0, 0x340
                                        ; kill: killed $sgpr6 killed $sgpr7
	s_mov_b64 s[6:7], 0
	s_waitcnt lgkmcnt(0)
	v_writelane_b32 v74, s10, 4
	s_nop 1
	v_writelane_b32 v74, s11, 5
	s_addc_u32 s10, s1, 0
	s_cmp_lt_i32 s8, 2
	s_cbranch_scc1 .LBB103_25
; %bb.18:
	s_add_i32 s3, s8, 1
	s_add_i32 s6, s8, -1
	s_mov_b32 s8, 0
	s_mov_b32 s7, s8
	s_lshl_b64 s[6:7], s[6:7], 3
	s_add_u32 s6, s9, s6
	s_addc_u32 s7, s10, s7
	s_add_u32 s10, s6, 8
	s_addc_u32 s11, s7, 0
	s_mov_b64 s[6:7], 0
.LBB103_19:                             ; =>This Inner Loop Header: Depth=1
	s_load_dwordx2 s[16:17], s[10:11], 0x0
	s_waitcnt lgkmcnt(0)
	s_or_b64 s[18:19], s[4:5], s[16:17]
	s_mov_b32 s9, s19
	s_cmp_lg_u64 s[8:9], 0
	s_cbranch_scc0 .LBB103_24
; %bb.20:                               ;   in Loop: Header=BB103_19 Depth=1
	v_cvt_f32_u32_e32 v1, s16
	v_cvt_f32_u32_e32 v2, s17
	s_sub_u32 s9, 0, s16
	s_subb_u32 s13, 0, s17
	v_fmac_f32_e32 v1, 0x4f800000, v2
	v_rcp_f32_e32 v1, v1
	s_nop 0
	v_mul_f32_e32 v1, 0x5f7ffffc, v1
	v_mul_f32_e32 v2, 0x2f800000, v1
	v_trunc_f32_e32 v2, v2
	v_fmac_f32_e32 v1, 0xcf800000, v2
	v_cvt_u32_f32_e32 v2, v2
	v_cvt_u32_f32_e32 v1, v1
	v_readfirstlane_b32 s20, v2
	v_readfirstlane_b32 s18, v1
	s_mul_i32 s19, s9, s20
	s_mul_hi_u32 s22, s9, s18
	s_mul_i32 s21, s13, s18
	s_add_i32 s19, s22, s19
	s_mul_i32 s23, s9, s18
	s_add_i32 s19, s19, s21
	s_mul_i32 s22, s18, s19
	s_mul_hi_u32 s24, s18, s23
	s_mul_hi_u32 s21, s18, s19
	s_add_u32 s22, s24, s22
	s_addc_u32 s21, 0, s21
	s_mul_hi_u32 s25, s20, s23
	s_mul_i32 s23, s20, s23
	s_add_u32 s22, s22, s23
	s_mul_hi_u32 s24, s20, s19
	s_addc_u32 s21, s21, s25
	s_addc_u32 s22, s24, 0
	s_mul_i32 s19, s20, s19
	s_add_u32 s19, s21, s19
	s_addc_u32 s21, 0, s22
	s_add_u32 s22, s18, s19
	s_cselect_b64 s[18:19], -1, 0
	s_cmp_lg_u64 s[18:19], 0
	s_addc_u32 s20, s20, s21
	s_mul_i32 s18, s9, s20
	s_mul_hi_u32 s19, s9, s22
	s_add_i32 s18, s19, s18
	s_mul_i32 s13, s13, s22
	s_add_i32 s18, s18, s13
	s_mul_i32 s9, s9, s22
	s_mul_hi_u32 s19, s20, s9
	s_mul_i32 s21, s20, s9
	s_mul_i32 s24, s22, s18
	s_mul_hi_u32 s9, s22, s9
	s_mul_hi_u32 s23, s22, s18
	s_add_u32 s9, s9, s24
	s_addc_u32 s23, 0, s23
	s_add_u32 s9, s9, s21
	s_mul_hi_u32 s13, s20, s18
	s_addc_u32 s9, s23, s19
	s_addc_u32 s13, s13, 0
	s_mul_i32 s18, s20, s18
	s_add_u32 s9, s9, s18
	s_addc_u32 s13, 0, s13
	s_add_u32 s9, s22, s9
	s_cselect_b64 s[18:19], -1, 0
	s_cmp_lg_u64 s[18:19], 0
	s_addc_u32 s13, s20, s13
	s_mul_i32 s19, s4, s13
	s_mul_hi_u32 s20, s4, s9
	s_mul_hi_u32 s18, s4, s13
	s_add_u32 s19, s20, s19
	s_addc_u32 s18, 0, s18
	s_mul_hi_u32 s21, s5, s9
	s_mul_i32 s9, s5, s9
	s_add_u32 s9, s19, s9
	s_mul_hi_u32 s20, s5, s13
	s_addc_u32 s9, s18, s21
	s_addc_u32 s18, s20, 0
	s_mul_i32 s13, s5, s13
	s_add_u32 s9, s9, s13
	s_addc_u32 s13, 0, s18
	s_mul_i32 s18, s16, s13
	s_mul_hi_u32 s19, s16, s9
	s_add_i32 s18, s19, s18
	s_mul_i32 s19, s17, s9
	s_add_i32 s22, s18, s19
	s_sub_i32 s20, s5, s22
	s_mul_i32 s18, s16, s9
	s_sub_u32 s23, s4, s18
	s_cselect_b64 s[18:19], -1, 0
	s_cmp_lg_u64 s[18:19], 0
	s_subb_u32 s24, s20, s17
	s_sub_u32 s25, s23, s16
	s_cselect_b64 s[20:21], -1, 0
	s_cmp_lg_u64 s[20:21], 0
	s_subb_u32 s20, s24, 0
	s_cmp_ge_u32 s20, s17
	s_cselect_b32 s21, -1, 0
	s_cmp_ge_u32 s25, s16
	s_cselect_b32 s24, -1, 0
	s_cmp_eq_u32 s20, s17
	s_cselect_b32 s20, s24, s21
	s_add_u32 s21, s9, 1
	s_addc_u32 s24, s13, 0
	s_add_u32 s25, s9, 2
	s_addc_u32 s26, s13, 0
	s_cmp_lg_u32 s20, 0
	s_cselect_b32 s20, s25, s21
	s_cselect_b32 s21, s26, s24
	s_cmp_lg_u64 s[18:19], 0
	s_subb_u32 s18, s5, s22
	s_cmp_ge_u32 s18, s17
	s_cselect_b32 s19, -1, 0
	s_cmp_ge_u32 s23, s16
	s_cselect_b32 s22, -1, 0
	s_cmp_eq_u32 s18, s17
	s_cselect_b32 s18, s22, s19
	s_cmp_lg_u32 s18, 0
	s_cselect_b32 s19, s21, s13
	s_cselect_b32 s18, s20, s9
	s_cbranch_execnz .LBB103_22
.LBB103_21:                             ;   in Loop: Header=BB103_19 Depth=1
	v_cvt_f32_u32_e32 v1, s16
	s_sub_i32 s9, 0, s16
	v_rcp_iflag_f32_e32 v1, v1
	s_nop 0
	v_mul_f32_e32 v1, 0x4f7ffffe, v1
	v_cvt_u32_f32_e32 v1, v1
	s_nop 0
	v_readfirstlane_b32 s13, v1
	s_mul_i32 s9, s9, s13
	s_mul_hi_u32 s9, s13, s9
	s_add_i32 s13, s13, s9
	s_mul_hi_u32 s9, s4, s13
	s_mul_i32 s18, s9, s16
	s_sub_i32 s18, s4, s18
	s_add_i32 s13, s9, 1
	s_sub_i32 s19, s18, s16
	s_cmp_ge_u32 s18, s16
	s_cselect_b32 s9, s13, s9
	s_cselect_b32 s18, s19, s18
	s_add_i32 s13, s9, 1
	s_cmp_ge_u32 s18, s16
	s_cselect_b32 s18, s13, s9
	s_mov_b32 s19, s8
.LBB103_22:                             ;   in Loop: Header=BB103_19 Depth=1
	s_mul_i32 s9, s18, s17
	s_mul_hi_u32 s13, s18, s16
	s_load_dwordx2 s[20:21], s[10:11], 0xc8
	s_add_i32 s9, s13, s9
	s_mul_i32 s13, s19, s16
	s_add_i32 s9, s9, s13
	s_mul_i32 s13, s18, s16
	s_sub_u32 s4, s4, s13
	s_subb_u32 s5, s5, s9
	s_waitcnt lgkmcnt(0)
	s_mul_i32 s5, s20, s5
	s_mul_hi_u32 s9, s20, s4
	s_add_i32 s5, s9, s5
	s_mul_i32 s9, s21, s4
	s_add_i32 s5, s5, s9
	s_mul_i32 s4, s20, s4
	s_add_u32 s6, s4, s6
	s_addc_u32 s7, s5, s7
	s_add_i32 s3, s3, -1
	s_add_u32 s10, s10, -8
	s_addc_u32 s11, s11, -1
	s_cmp_gt_u32 s3, 2
	s_cbranch_scc0 .LBB103_26
; %bb.23:                               ;   in Loop: Header=BB103_19 Depth=1
	s_mov_b64 s[4:5], s[18:19]
	s_branch .LBB103_19
.LBB103_24:                             ;   in Loop: Header=BB103_19 Depth=1
                                        ; implicit-def: $sgpr18_sgpr19
	s_branch .LBB103_21
.LBB103_25:
	s_mov_b64 s[18:19], s[4:5]
.LBB103_26:
	s_load_dwordx2 s[4:5], s[0:1], 0x410
	s_load_dwordx2 s[8:9], s[0:1], 0x340
	v_cmp_eq_u32_e64 s[16:17], 0, v0
	s_mov_b64 s[10:11], exec
	s_nop 0
	v_writelane_b32 v74, s16, 6
	s_nop 1
	v_writelane_b32 v74, s17, 7
	s_and_b64 s[16:17], s[10:11], s[16:17]
	s_mov_b64 exec, s[16:17]
; %bb.27:
	v_mov_b32_e32 v2, 0
	v_mov_b32_e32 v3, v2
	ds_write_b64 v2, v[2:3] offset:5136
; %bb.28:
	s_or_b64 exec, exec, s[10:11]
	s_load_dwordx2 s[10:11], s[0:1], 0x0
	v_mov_b32_e32 v3, 0
	s_waitcnt lgkmcnt(0)
	s_barrier
	v_writelane_b32 v74, s10, 8
	s_barrier
	s_nop 0
	v_writelane_b32 v74, s11, 9
	s_load_dwordx2 s[10:11], s[0:1], 0x1a0
	s_waitcnt lgkmcnt(0)
	ds_read_b64 v[4:5], v3 offset:5136
	v_writelane_b32 v74, s10, 10
	s_nop 1
	v_writelane_b32 v74, s11, 11
	s_waitcnt lgkmcnt(0)
	v_readfirstlane_b32 s10, v4
	v_readfirstlane_b32 s11, v5
	s_mov_b64 s[16:17], exec
	v_readlane_b32 s20, v74, 6
	v_readlane_b32 s21, v74, 7
	s_and_b64 s[20:21], s[16:17], s[20:21]
	s_mov_b64 exec, s[20:21]
	s_cbranch_execz .LBB103_30
; %bb.29:
	v_mov_b32_e32 v4, s52
	v_mov_b32_e32 v5, s53
	;; [unrolled: 1-line block ×3, first 2 shown]
	ds_write_b32 v3, v3 offset:5144
	ds_write_b128 v3, v[2:5] offset:5120
.LBB103_30:
	s_or_b64 exec, exec, s[16:17]
	s_load_dword s3, s[0:1], 0x4f8
	v_cmp_lt_i64_e64 s[0:1], s[10:11], 1
	s_mul_i32 s13, s4, s19
	v_mov_b32_e32 v1, v3
	v_mbcnt_lo_u32_b32 v2, -1, 0
	s_waitcnt lgkmcnt(0)
	s_bitcmp1_b32 s3, 0
	s_cselect_b64 s[16:17], -1, 0
	s_not_b64 s[10:11], s[10:11]
	s_or_b64 s[0:1], s[16:17], s[0:1]
	s_add_u32 s10, s52, s10
	s_addc_u32 s11, s53, s11
	s_lshr_b64 s[10:11], s[10:11], 1
	s_add_u32 s3, s10, 1
	s_addc_u32 s10, s11, 0
	s_and_b64 s[0:1], s[0:1], exec
	s_mul_hi_u32 s0, s4, s18
	s_cselect_b32 s11, s10, s53
	s_cselect_b32 s10, s3, s52
	s_add_i32 s0, s0, s13
	s_mul_i32 s1, s5, s18
	s_add_i32 s1, s0, s1
	s_mul_i32 s0, s4, s18
	s_lshl_b64 s[16:17], s[0:1], 3
	s_add_u32 s18, s8, s16
	v_cmp_gt_u64_e64 s[0:1], s[52:53], v[0:1]
	s_addc_u32 s19, s9, s17
	s_lshl_b64 s[74:75], s[6:7], 3
	v_writelane_b32 v74, s0, 12
	v_mbcnt_hi_u32_b32 v54, -1, v2
	s_add_u32 s76, s18, s74
	v_writelane_b32 v74, s1, 13
	v_cmp_gt_u32_e32 vcc, 64, v0
	v_cmp_gt_i32_e64 s[0:1], 4, v54
	s_addc_u32 s77, s19, s75
	s_and_b64 s[80:81], vcc, s[0:1]
	v_cmp_gt_u32_e64 s[0:1], 2, v0
	v_mov_b64_e32 v[4:5], 0x180
	s_nop 0
	v_writelane_b32 v74, s0, 14
	s_barrier
	s_nop 0
	v_writelane_b32 v74, s1, 15
	v_cmp_gt_u64_e64 s[0:1], s[52:53], v[4:5]
	v_lshlrev_b64 v[8:9], v54, -1
	v_lshlrev_b32_e32 v59, 5, v0
	v_writelane_b32 v74, s0, 16
	v_not_b32_e32 v25, v9
	v_not_b32_e32 v24, v8
	v_writelane_b32 v74, s1, 17
	v_mad_u64_u32 v[4:5], s[0:1], s56, v0, 0
	v_mov_b32_e32 v2, v5
	v_mad_u64_u32 v[6:7], s[0:1], s57, v0, v[2:3]
	s_load_dword s0, s[14:15], 0xc
	v_lshlrev_b32_e32 v2, 2, v54
	v_and_b32_e32 v57, 0x100, v2
	v_lshrrev_b32_e32 v2, 1, v0
	v_or_b32_e32 v10, 24, v59
	s_waitcnt lgkmcnt(0)
	s_and_b32 s72, s0, 0xffff
	s_bfe_u32 s0, s0, 0xa0006
	s_cmp_gt_u32 s72, 63
	s_cselect_b64 s[6:7], -1, 0
	v_writelane_b32 v74, s6, 18
	s_add_u32 s1, s72, -1
	s_addc_u32 s3, 0, -1
	v_writelane_b32 v74, s7, 19
	v_writelane_b32 v74, s1, 20
	s_add_u32 s1, s1, s52
	s_addc_u32 s85, s3, s53
	s_cmp_lt_u32 s2, s12
	v_writelane_b32 v74, s1, 21
	s_cselect_b32 s1, 12, 18
	s_add_u32 s82, s14, s1
	s_addc_u32 s83, s15, 0
	s_add_i32 s1, s0, -1
	s_bfe_u32 s2, s72, 0x30006
	s_and_b32 s1, s1, 0xffff
	s_cmp_gt_u32 s1, 6
	v_writelane_b32 v74, s3, 22
	s_cselect_b64 s[6:7], -1, 0
	v_writelane_b32 v74, s6, 23
	s_and_b32 s33, s0, 0x3f8
	s_cmp_lg_u32 s2, 0
	v_writelane_b32 v74, s7, 24
	v_writelane_b32 v74, s2, 25
	s_cselect_b64 s[0:1], -1, 0
	v_writelane_b32 v74, s0, 26
	v_mov_b64_e32 v[8:9], s[18:19]
	v_and_b32_e32 v2, 0x1e0, v2
	v_writelane_b32 v74, s1, 27
	s_add_u32 s0, s16, s74
	s_addc_u32 s1, s17, s75
	s_add_u32 s0, s8, s0
	s_addc_u32 s1, s9, s1
	v_writelane_b32 v74, s0, 28
	v_or_b32_e32 v58, 0xc00, v2
	s_lshl_b32 s86, s72, 3
	v_writelane_b32 v74, s1, 29
	s_lshl_b64 s[0:1], s[56:57], 3
	v_writelane_b32 v74, s0, 30
	v_cmp_eq_u32_e64 s[4:5], 0, v54
	v_mov_b32_e32 v5, v6
	v_writelane_b32 v74, s1, 31
	v_mad_u64_u32 v[26:27], s[0:1], s56, v10, v[8:9]
	v_mov_b32_e32 v2, v27
	v_mad_u64_u32 v[10:11], s[0:1], s57, v10, v[2:3]
	s_lshl_b64 s[0:1], s[56:57], 5
	v_mov_b32_e32 v27, v10
	v_writelane_b32 v74, s0, 32
	v_or_b32_e32 v10, 16, v59
	v_lshlrev_b64 v[6:7], 3, v[4:5]
	v_writelane_b32 v74, s1, 33
	v_mad_u64_u32 v[28:29], s[0:1], s56, v10, v[8:9]
	v_mov_b32_e32 v2, v29
	v_mad_u64_u32 v[10:11], s[0:1], s57, v10, v[2:3]
	v_mov_b32_e32 v29, v10
	v_or_b32_e32 v10, 8, v59
	v_mad_u64_u32 v[30:31], s[0:1], s56, v10, v[8:9]
	v_mov_b32_e32 v2, v31
	v_mad_u64_u32 v[8:9], s[0:1], s57, v10, v[2:3]
	s_add_u32 s0, s8, s74
	s_addc_u32 s1, s9, s75
	s_add_u32 s0, s0, s16
	v_writelane_b32 v74, s4, 34
	s_addc_u32 s1, s1, s17
	v_lshl_add_u64 v[18:19], s[0:1], 0, v[6:7]
	v_writelane_b32 v74, s5, 35
	s_mul_i32 s0, s57, s72
	s_mul_hi_u32 s1, s56, s72
	v_writelane_b32 v74, s80, 36
	s_mov_b32 s79, 0
	v_lshlrev_b32_e32 v55, 3, v0
	v_lshlrev_b64 v[4:5], 5, v[4:5]
	v_mov_b32_e32 v2, 0xc00
	s_add_i32 s1, s1, s0
	s_mul_i32 s0, s56, s72
	v_writelane_b32 v74, s81, 37
	v_add_u32_e32 v56, 0xc00, v55
	v_lshl_add_u64 v[20:21], s[76:77], 0, v[6:7]
	v_lshlrev_b32_e32 v22, 2, v0
	v_mov_b32_e32 v23, v3
	s_mov_b32 s73, s79
	v_mov_b32_e32 v31, v8
	v_lshl_add_u64 v[34:35], s[18:19], 0, v[4:5]
	v_lshl_or_b32 v60, v54, 3, v2
	s_lshl_b64 s[98:99], s[0:1], 3
	s_mov_b32 s87, 62
	s_mov_b64 s[68:69], 0
	v_mov_b64_e32 v[8:9], 0
	v_mov_b64_e32 v[38:39], s[10:11]
	;; [unrolled: 1-line block ×5, first 2 shown]
	v_mov_b32_e32 v4, 1
	v_mov_b32_e32 v61, 0x4f800000
	;; [unrolled: 1-line block ×4, first 2 shown]
	s_mov_b32 s88, 0
	v_writelane_b32 v74, s82, 38
                                        ; implicit-def: $sgpr66_sgpr67
                                        ; implicit-def: $sgpr62_sgpr63
                                        ; implicit-def: $sgpr70_sgpr71
                                        ; implicit-def: $sgpr90_sgpr91
                                        ; implicit-def: $sgpr92_sgpr93
                                        ; implicit-def: $sgpr94_sgpr95
	s_nop 1
	v_writelane_b32 v74, s83, 39
	s_branch .LBB103_34
.LBB103_31:                             ;   in Loop: Header=BB103_34 Depth=1
	s_or_b64 exec, exec, s[10:11]
	s_and_b64 s[8:9], s[8:9], exec
	s_andn2_b64 s[24:25], s[24:25], exec
	s_andn2_b64 s[0:1], s[0:1], exec
	s_orn2_b64 s[16:17], s[6:7], exec
.LBB103_32:                             ;   in Loop: Header=BB103_34 Depth=1
	s_or_b64 exec, exec, s[2:3]
	s_andn2_b64 s[2:3], s[94:95], exec
	s_and_b64 s[6:7], s[8:9], exec
	s_or_b64 s[94:95], s[2:3], s[6:7]
	s_andn2_b64 s[2:3], s[92:93], exec
	s_and_b64 s[6:7], s[24:25], exec
	s_or_b64 s[92:93], s[2:3], s[6:7]
	;; [unrolled: 3-line block ×3, first 2 shown]
	s_orn2_b64 s[0:1], s[16:17], exec
.LBB103_33:                             ;   in Loop: Header=BB103_34 Depth=1
	s_or_b64 exec, exec, s[14:15]
	s_and_b64 s[0:1], exec, s[0:1]
	s_or_b64 s[68:69], s[0:1], s[68:69]
	s_andn2_b64 s[0:1], s[70:71], exec
	s_and_b64 s[2:3], s[94:95], exec
	s_or_b64 s[70:71], s[0:1], s[2:3]
	s_andn2_b64 s[0:1], s[62:63], exec
	s_and_b64 s[2:3], s[92:93], exec
	;; [unrolled: 3-line block ×3, first 2 shown]
	s_or_b64 s[66:67], s[0:1], s[2:3]
	v_mov_b64_e32 v[38:39], v[14:15]
	s_andn2_b64 exec, exec, s[68:69]
	s_cbranch_execz .LBB103_292
.LBB103_34:                             ; =>This Loop Header: Depth=1
                                        ;     Child Loop BB103_40 Depth 2
                                        ;     Child Loop BB103_53 Depth 2
	;; [unrolled: 1-line block ×16, first 2 shown]
	ds_read_b128 v[10:13], v3 offset:5120
	s_waitcnt lgkmcnt(0)
	v_readfirstlane_b32 s27, v11
	v_readfirstlane_b32 s26, v10
	s_cmp_lg_u64 s[26:27], 0
	s_cbranch_scc1 .LBB103_61
; %bb.35:                               ;   in Loop: Header=BB103_34 Depth=1
	v_readlane_b32 s0, v74, 16
	v_readlane_b32 s1, v74, 17
	s_and_b64 vcc, exec, s[0:1]
	s_cbranch_vccz .LBB103_48
; %bb.36:                               ;   in Loop: Header=BB103_34 Depth=1
	s_mov_b64 s[0:1], 0x181
	v_cmp_gt_u64_e32 vcc, s[0:1], v[12:13]
	s_mov_b64 s[6:7], 0
	s_mov_b64 s[0:1], 0
	s_cbranch_vccz .LBB103_49
; %bb.37:                               ;   in Loop: Header=BB103_34 Depth=1
	s_mov_b64 s[8:9], exec
	v_readlane_b32 s0, v74, 12
	v_readlane_b32 s1, v74, 13
	s_and_b64 s[0:1], s[8:9], s[0:1]
	s_mov_b64 exec, s[0:1]
	s_cbranch_execz .LBB103_159
; %bb.38:                               ;   in Loop: Header=BB103_34 Depth=1
	global_load_ushort v5, v3, s[82:83]
	global_load_dwordx2 v[6:7], v[20:21], off
	v_readlane_b32 s0, v74, 28
	v_readlane_b32 s1, v74, 29
	;; [unrolled: 1-line block ×4, first 2 shown]
	v_mov_b64_e32 v[10:11], s[0:1]
	s_mov_b64 s[10:11], 0
	s_waitcnt vmcnt(1)
	v_readfirstlane_b32 s0, v5
	s_and_b32 s0, 0xffff, s0
	v_and_b32_e32 v2, 0xffff, v5
	v_add_u32_e32 v5, s0, v0
	s_mul_i32 s2, s15, s0
	s_mul_hi_u32 s3, s14, s0
	s_mul_i32 s12, s14, s0
	v_mad_u64_u32 v[10:11], s[0:1], s14, v5, v[10:11]
	v_mov_b32_e32 v12, v11
	v_mad_u64_u32 v[12:13], s[0:1], s15, v5, v[12:13]
	s_add_i32 s13, s3, s2
	v_mov_b32_e32 v11, v12
	v_mov_b64_e32 v[12:13], v[0:1]
	s_branch .LBB103_40
.LBB103_39:                             ;   in Loop: Header=BB103_40 Depth=2
	s_or_b64 exec, exec, s[2:3]
	v_lshl_add_u64 v[10:11], v[10:11], 0, s[12:13]
	v_mov_b64_e32 v[6:7], v[14:15]
	s_andn2_b64 exec, exec, s[10:11]
	s_cbranch_execz .LBB103_159
.LBB103_40:                             ;   Parent Loop BB103_34 Depth=1
                                        ; =>  This Inner Loop Header: Depth=2
	v_lshl_add_u64 v[12:13], v[12:13], 0, v[2:3]
	v_cmp_gt_u64_e64 s[0:1], s[52:53], v[12:13]
	v_cmp_le_u64_e32 vcc, s[52:53], v[12:13]
	v_mov_b64_e32 v[14:15], 0
	s_and_saveexec_b64 s[2:3], s[0:1]
	s_cbranch_execz .LBB103_42
; %bb.41:                               ;   in Loop: Header=BB103_40 Depth=2
	global_load_dwordx2 v[14:15], v[10:11], off
.LBB103_42:                             ;   in Loop: Header=BB103_40 Depth=2
	s_or_b64 exec, exec, s[2:3]
	s_waitcnt vmcnt(0) lgkmcnt(0)
	v_xor_b32_e32 v5, 0x80000000, v7
	v_and_b32_e32 v17, v5, v37
	v_and_b32_e32 v16, v6, v36
	v_cmp_eq_u64_e64 s[0:1], v[16:17], v[32:33]
	s_cmp_lg_u64 s[0:1], 0
	s_cselect_b64 s[2:3], -1, 0
	s_and_b64 s[2:3], s[4:5], s[2:3]
	v_mov_b32_e32 v5, 0
	s_and_saveexec_b64 s[14:15], s[2:3]
	s_cbranch_execz .LBB103_46
; %bb.43:                               ;   in Loop: Header=BB103_40 Depth=2
	s_mov_b64 s[18:19], exec
	v_mbcnt_lo_u32_b32 v5, s18, 0
	v_mbcnt_hi_u32_b32 v5, s19, v5
	s_bcnt1_i32_b64 s20, s[0:1]
	v_cmp_eq_u32_e64 s[2:3], 0, v5
                                        ; implicit-def: $vgpr16
	s_and_saveexec_b64 s[16:17], s[2:3]
; %bb.44:                               ;   in Loop: Header=BB103_40 Depth=2
	s_bcnt1_i32_b64 s2, s[18:19]
	s_mul_i32 s2, s20, s2
	v_mov_b32_e32 v16, s2
	ds_add_rtn_u32 v16, v3, v16 offset:5144
; %bb.45:                               ;   in Loop: Header=BB103_40 Depth=2
	s_or_b64 exec, exec, s[16:17]
	s_waitcnt lgkmcnt(0)
	v_readfirstlane_b32 s2, v16
	s_nop 1
	v_mov_b32_e32 v16, s2
	v_mad_u32_u24 v5, s20, v5, v16
.LBB103_46:                             ;   in Loop: Header=BB103_40 Depth=2
	s_or_b64 exec, exec, s[14:15]
	ds_bpermute_b32 v5, v57, v5
	s_and_b64 s[2:3], exec, vcc
	s_or_b64 s[10:11], s[2:3], s[10:11]
	s_and_saveexec_b64 s[2:3], s[0:1]
	s_cbranch_execz .LBB103_39
; %bb.47:                               ;   in Loop: Header=BB103_40 Depth=2
	v_and_b32_e32 v17, s0, v24
	v_and_b32_e32 v16, s1, v25
	v_bcnt_u32_b32 v17, v17, 0
	v_bcnt_u32_b32 v16, v16, v17
	v_lshlrev_b32_e32 v16, 3, v16
	s_waitcnt lgkmcnt(0)
	v_lshl_add_u32 v5, v5, 3, v16
	ds_write_b64 v5, v[6:7]
	s_branch .LBB103_39
.LBB103_48:                             ;   in Loop: Header=BB103_34 Depth=1
	s_mov_b64 s[6:7], -1
	s_mov_b64 s[0:1], 0
.LBB103_49:                             ;   in Loop: Header=BB103_34 Depth=1
	s_and_b64 vcc, exec, s[6:7]
	s_cbranch_vccz .LBB103_59
.LBB103_50:                             ;   in Loop: Header=BB103_34 Depth=1
	s_mov_b64 s[0:1], exec
	v_readlane_b32 s2, v74, 12
	v_readlane_b32 s3, v74, 13
	s_and_b64 s[2:3], s[0:1], s[2:3]
	s_mov_b64 exec, s[2:3]
	s_cbranch_execz .LBB103_56
; %bb.51:                               ;   in Loop: Header=BB103_34 Depth=1
	global_load_ushort v2, v3, s[82:83]
	global_load_dwordx2 v[6:7], v[20:21], off
	v_mov_b32_e32 v5, v0
	s_waitcnt vmcnt(1)
	v_readfirstlane_b32 s6, v2
	v_add_u32_sdwa v2, v2, v0 dst_sel:DWORD dst_unused:UNUSED_PAD src0_sel:WORD_0 src1_sel:DWORD
	v_cmp_gt_u64_e32 vcc, s[52:53], v[2:3]
	s_and_saveexec_b64 s[2:3], vcc
	s_cbranch_execz .LBB103_55
; %bb.52:                               ;   in Loop: Header=BB103_34 Depth=1
	s_and_b32 s78, s6, 0xffff
	v_readlane_b32 s6, v74, 28
	v_readlane_b32 s7, v74, 29
	;; [unrolled: 1-line block ×4, first 2 shown]
	v_mov_b64_e32 v[10:11], s[6:7]
	v_mad_u64_u32 v[10:11], s[6:7], s8, v2, v[10:11]
	v_mov_b32_e32 v12, v11
	v_mad_u64_u32 v[12:13], s[6:7], s9, v2, v[12:13]
	s_mul_i32 s6, s9, s78
	s_mul_hi_u32 s7, s8, s78
	v_mov_b32_e32 v11, v12
	s_add_i32 s7, s7, s6
	s_mul_i32 s6, s8, s78
	s_mov_b64 s[8:9], 0
	v_mov_b64_e32 v[14:15], v[2:3]
	v_mov_b64_e32 v[16:17], v[0:1]
.LBB103_53:                             ;   Parent Loop BB103_34 Depth=1
                                        ; =>  This Inner Loop Header: Depth=2
	global_load_dwordx2 v[12:13], v[10:11], off
	v_mov_b64_e32 v[40:41], v[14:15]
	v_lshl_add_u64 v[14:15], v[40:41], 0, s[78:79]
	v_lshlrev_b32_e32 v2, 3, v16
	v_cmp_le_u64_e32 vcc, s[52:53], v[14:15]
	v_lshl_add_u64 v[10:11], v[10:11], 0, s[6:7]
	s_waitcnt vmcnt(1)
	ds_write_b64 v2, v[6:7]
	v_mov_b64_e32 v[16:17], v[40:41]
	s_or_b64 s[8:9], vcc, s[8:9]
	s_waitcnt vmcnt(0)
	v_mov_b64_e32 v[6:7], v[12:13]
	s_andn2_b64 exec, exec, s[8:9]
	s_cbranch_execnz .LBB103_53
; %bb.54:                               ;   in Loop: Header=BB103_34 Depth=1
	s_or_b64 exec, exec, s[8:9]
	v_subrev_u32_e32 v5, s78, v14
	v_mov_b64_e32 v[6:7], v[12:13]
.LBB103_55:                             ;   in Loop: Header=BB103_34 Depth=1
	s_or_b64 exec, exec, s[2:3]
	v_lshlrev_b32_e32 v2, 3, v5
	s_waitcnt vmcnt(0)
	ds_write_b64 v2, v[6:7]
.LBB103_56:                             ;   in Loop: Header=BB103_34 Depth=1
	s_or_b64 exec, exec, s[0:1]
	s_waitcnt lgkmcnt(0)
	s_barrier
	s_mov_b64 s[0:1], exec
	v_readlane_b32 s2, v74, 6
	v_readlane_b32 s3, v74, 7
	s_and_b64 s[2:3], s[0:1], s[2:3]
	s_mov_b64 exec, s[2:3]
; %bb.57:                               ;   in Loop: Header=BB103_34 Depth=1
	ds_write_b64 v3, v[62:63] offset:5120
; %bb.58:                               ;   in Loop: Header=BB103_34 Depth=1
	s_or_b64 exec, exec, s[0:1]
	s_waitcnt lgkmcnt(0)
	s_barrier
	s_mov_b64 s[0:1], -1
.LBB103_59:                             ;   in Loop: Header=BB103_34 Depth=1
	s_mov_b64 s[26:27], 0
	s_and_b64 vcc, exec, s[0:1]
	s_cbranch_vccz .LBB103_61
; %bb.60:                               ;   in Loop: Header=BB103_34 Depth=1
	ds_read_b64 v[6:7], v3 offset:5120
	s_waitcnt lgkmcnt(0)
	v_readfirstlane_b32 s26, v6
.LBB103_61:                             ;   in Loop: Header=BB103_34 Depth=1
	s_cmp_lt_i32 s26, 1
	s_mov_b64 s[0:1], -1
                                        ; implicit-def: $vgpr16_vgpr17
                                        ; implicit-def: $vgpr12_vgpr13
	s_cbranch_scc1 .LBB103_71
; %bb.62:                               ;   in Loop: Header=BB103_34 Depth=1
	s_and_b64 vcc, exec, s[0:1]
	s_cbranch_vccnz .LBB103_85
.LBB103_63:                             ;   in Loop: Header=BB103_34 Depth=1
	s_lshl_b32 s2, s88, 6
	s_and_saveexec_b64 s[0:1], s[4:5]
	s_cbranch_execz .LBB103_65
.LBB103_64:                             ;   in Loop: Header=BB103_34 Depth=1
	v_lshl_add_u32 v2, s2, 3, v58
	ds_write_b128 v2, v[10:13]
	ds_write_b128 v2, v[14:17] offset:16
.LBB103_65:                             ;   in Loop: Header=BB103_34 Depth=1
	s_or_b64 exec, exec, s[0:1]
	s_waitcnt lgkmcnt(0)
	s_barrier
	s_and_saveexec_b64 s[0:1], s[80:81]
	s_cbranch_execz .LBB103_100
; %bb.66:                               ;   in Loop: Header=BB103_34 Depth=1
	v_readlane_b32 s6, v74, 18
	v_readlane_b32 s7, v74, 19
	s_andn2_b64 vcc, exec, s[6:7]
	v_mov_b64_e32 v[6:7], 0
	s_cbranch_vccnz .LBB103_99
; %bb.67:                               ;   in Loop: Header=BB103_34 Depth=1
	v_readlane_b32 s6, v74, 23
	v_readlane_b32 s7, v74, 24
	s_andn2_b64 vcc, exec, s[6:7]
	s_cbranch_vccnz .LBB103_95
; %bb.68:                               ;   in Loop: Header=BB103_34 Depth=1
	v_lshl_add_u32 v2, s88, 9, v60
	v_mov_b64_e32 v[6:7], 0
	s_mov_b32 s3, 0
.LBB103_69:                             ;   Parent Loop BB103_34 Depth=1
                                        ; =>  This Inner Loop Header: Depth=2
	ds_read2_b64 v[10:13], v2 offset1:4
	ds_read2_b64 v[14:17], v2 offset0:8 offset1:12
	ds_read2_b64 v[40:43], v2 offset0:16 offset1:20
	;; [unrolled: 1-line block ×3, first 2 shown]
	s_add_i32 s3, s3, 8
	s_waitcnt lgkmcnt(3)
	v_lshl_add_u64 v[6:7], v[10:11], 0, v[6:7]
	v_lshl_add_u64 v[6:7], v[12:13], 0, v[6:7]
	s_waitcnt lgkmcnt(2)
	v_lshl_add_u64 v[6:7], v[14:15], 0, v[6:7]
	v_lshl_add_u64 v[6:7], v[16:17], 0, v[6:7]
	;; [unrolled: 3-line block ×3, first 2 shown]
	s_waitcnt lgkmcnt(0)
	v_lshl_add_u64 v[6:7], v[44:45], 0, v[6:7]
	v_add_u32_e32 v2, 0x100, v2
	s_cmp_eq_u32 s33, s3
	v_lshl_add_u64 v[6:7], v[46:47], 0, v[6:7]
	s_cbranch_scc0 .LBB103_69
; %bb.70:                               ;   in Loop: Header=BB103_34 Depth=1
	s_mov_b32 s3, s33
	s_branch .LBB103_96
.LBB103_71:                             ;   in Loop: Header=BB103_34 Depth=1
	global_load_ushort v2, v3, s[82:83]
	s_mov_b32 s0, s79
	s_waitcnt vmcnt(0)
	v_readfirstlane_b32 s1, v2
	s_and_b32 s8, s1, 0xffff
	s_lshl_b32 s78, s8, 2
	s_mov_b32 s1, s53
	s_cmp_lg_u64 s[0:1], 0
	s_cbranch_scc0 .LBB103_94
; %bb.72:                               ;   in Loop: Header=BB103_34 Depth=1
	v_cvt_f32_u32_e32 v2, s78
	s_sub_u32 s2, 0, s78
	s_subb_u32 s3, 0, 0
	v_fmac_f32_e32 v2, 0, v61
	v_rcp_f32_e32 v2, v2
	s_nop 0
	v_mul_f32_e32 v2, 0x5f7ffffc, v2
	v_mul_f32_e32 v5, 0x2f800000, v2
	v_trunc_f32_e32 v5, v5
	v_fmac_f32_e32 v2, 0xcf800000, v5
	v_cvt_u32_f32_e32 v5, v5
	v_cvt_u32_f32_e32 v2, v2
	v_readfirstlane_b32 s6, v5
	v_readfirstlane_b32 s0, v2
	s_mul_i32 s1, s2, s6
	s_mul_hi_u32 s9, s2, s0
	s_mul_i32 s7, s3, s0
	s_add_i32 s1, s9, s1
	s_mul_i32 s10, s2, s0
	s_add_i32 s1, s1, s7
	s_mul_hi_u32 s9, s0, s10
	s_mul_i32 s11, s0, s1
	s_mul_hi_u32 s7, s0, s1
	s_add_u32 s9, s9, s11
	s_addc_u32 s7, 0, s7
	s_mul_hi_u32 s12, s6, s10
	s_mul_i32 s10, s6, s10
	s_add_u32 s9, s9, s10
	s_mul_hi_u32 s11, s6, s1
	s_addc_u32 s7, s7, s12
	s_addc_u32 s9, s11, 0
	s_mul_i32 s1, s6, s1
	s_add_u32 s1, s7, s1
	s_addc_u32 s7, 0, s9
	s_add_u32 s9, s0, s1
	s_cselect_b64 s[0:1], -1, 0
	s_cmp_lg_u64 s[0:1], 0
	s_addc_u32 s6, s6, s7
	s_mul_i32 s0, s2, s6
	s_mul_hi_u32 s1, s2, s9
	s_add_i32 s0, s1, s0
	s_mul_i32 s3, s3, s9
	s_add_i32 s0, s0, s3
	s_mul_i32 s2, s2, s9
	s_mul_hi_u32 s3, s6, s2
	s_mul_i32 s7, s6, s2
	s_mul_i32 s11, s9, s0
	s_mul_hi_u32 s2, s9, s2
	s_mul_hi_u32 s10, s9, s0
	s_add_u32 s2, s2, s11
	s_addc_u32 s10, 0, s10
	s_add_u32 s2, s2, s7
	s_mul_hi_u32 s1, s6, s0
	s_addc_u32 s2, s10, s3
	s_addc_u32 s1, s1, 0
	s_mul_i32 s0, s6, s0
	s_add_u32 s0, s2, s0
	s_addc_u32 s2, 0, s1
	s_add_u32 s3, s9, s0
	s_cselect_b64 s[0:1], -1, 0
	s_cmp_lg_u64 s[0:1], 0
	s_addc_u32 s0, s6, s2
	s_mul_i32 s2, s52, s0
	s_mul_hi_u32 s6, s52, s3
	s_mul_hi_u32 s1, s52, s0
	s_add_u32 s2, s6, s2
	s_addc_u32 s1, 0, s1
	s_mul_hi_u32 s7, s53, s3
	s_mul_i32 s3, s53, s3
	s_add_u32 s2, s2, s3
	s_mul_hi_u32 s6, s53, s0
	s_addc_u32 s1, s1, s7
	s_addc_u32 s2, s6, 0
	s_mul_i32 s0, s53, s0
	s_add_u32 s0, s1, s0
	s_addc_u32 s1, 0, s2
	s_mul_i32 s1, s78, s1
	s_mul_hi_u32 s2, s78, s0
	s_add_i32 s2, s2, s1
	s_mul_i32 s0, s78, s0
	s_sub_u32 s3, s52, s0
	s_cselect_b64 s[0:1], -1, 0
	s_cmp_lg_u64 s[0:1], 0
	s_subb_u32 s2, s53, s2
	s_sub_u32 s6, s3, s78
	s_cselect_b64 s[0:1], -1, 0
	s_cmp_lg_u64 s[0:1], 0
	s_subb_u32 s7, s2, 0
	;; [unrolled: 4-line block ×3, first 2 shown]
	s_cmp_ge_u32 s6, s78
	s_cselect_b32 s1, -1, 0
	s_cmp_eq_u32 s7, 0
	s_cselect_b32 s1, s1, -1
	s_cmp_lg_u32 s1, 0
	s_cselect_b32 s0, s0, s7
	s_cselect_b32 s6, s9, s6
	s_cmp_ge_u32 s3, s78
	s_cselect_b32 s1, -1, 0
	s_cmp_eq_u32 s2, 0
	s_cselect_b32 s1, s1, -1
	s_cmp_lg_u32 s1, 0
	s_cselect_b32 s1, s0, s2
	s_cselect_b32 s0, s6, s3
	s_cbranch_execnz .LBB103_74
.LBB103_73:                             ;   in Loop: Header=BB103_34 Depth=1
	v_cvt_f32_u32_e32 v2, s78
	s_sub_i32 s0, 0, s78
	v_rcp_iflag_f32_e32 v2, v2
	s_nop 0
	v_mul_f32_e32 v2, 0x4f7ffffe, v2
	v_cvt_u32_f32_e32 v2, v2
	s_nop 0
	v_readfirstlane_b32 s1, v2
	s_mul_i32 s0, s0, s1
	s_mul_hi_u32 s0, s1, s0
	s_add_i32 s1, s1, s0
	s_mul_hi_u32 s0, s52, s1
	s_mul_i32 s0, s0, s78
	s_sub_i32 s0, s52, s0
	s_sub_i32 s1, s0, s78
	s_cmp_ge_u32 s0, s78
	s_cselect_b32 s0, s1, s0
	s_sub_i32 s1, s0, s78
	s_cmp_ge_u32 s0, s78
	s_cselect_b32 s0, s1, s0
	s_mov_b32 s1, s79
.LBB103_74:                             ;   in Loop: Header=BB103_34 Depth=1
	s_sub_u32 s10, s52, s0
	s_subb_u32 s11, s53, s1
	s_mov_b32 s9, s79
	v_cmp_gt_u64_e32 vcc, s[10:11], v[22:23]
	v_mov_b64_e32 v[10:11], 0
	v_mov_b64_e32 v[12:13], 0
	;; [unrolled: 1-line block ×4, first 2 shown]
	s_and_saveexec_b64 s[96:97], vcc
	s_cbranch_execz .LBB103_78
; %bb.75:                               ;   in Loop: Header=BB103_34 Depth=1
	v_readlane_b32 s2, v74, 32
	v_readlane_b32 s3, v74, 33
	s_mul_i32 s0, s3, s8
	s_mul_hi_u32 s1, s2, s8
	s_mov_b32 s60, s88
	s_mov_b32 s61, s85
	s_mov_b64 s[4:5], s[98:99]
	s_add_i32 s85, s1, s0
	s_mul_i32 s84, s2, s8
	s_mov_b64 s[6:7], 0
	v_mov_b64_e32 v[6:7], v[34:35]
	v_mov_b64_e32 v[40:41], v[30:31]
	;; [unrolled: 1-line block ×4, first 2 shown]
	s_mov_b64 s[98:99], 0
	s_mov_b64 s[82:83], 0
	;; [unrolled: 1-line block ×4, first 2 shown]
	v_mov_b64_e32 v[46:47], v[22:23]
.LBB103_76:                             ;   Parent Loop BB103_34 Depth=1
                                        ; =>  This Inner Loop Header: Depth=2
	v_lshl_add_u64 v[10:11], v[6:7], 0, s[74:75]
	v_lshl_add_u64 v[12:13], v[40:41], 0, s[74:75]
	;; [unrolled: 1-line block ×4, first 2 shown]
	global_load_dwordx2 v[10:11], v[10:11], off
	s_nop 0
	global_load_dwordx2 v[12:13], v[12:13], off
	s_nop 0
	;; [unrolled: 2-line block ×3, first 2 shown]
	global_load_dwordx2 v[16:17], v[16:17], off
	v_mov_b32_e32 v49, v3
	v_mov_b32_e32 v51, v3
	;; [unrolled: 1-line block ×3, first 2 shown]
	v_lshl_add_u64 v[46:47], v[46:47], 0, s[78:79]
	v_cmp_le_u64_e32 vcc, s[10:11], v[46:47]
	v_lshl_add_u64 v[44:45], v[44:45], 0, s[84:85]
	v_lshl_add_u64 v[42:43], v[42:43], 0, s[84:85]
	;; [unrolled: 1-line block ×4, first 2 shown]
	s_waitcnt vmcnt(3)
	v_xor_b32_e32 v11, 0x80000000, v11
	s_waitcnt vmcnt(2)
	v_xor_b32_e32 v13, 0x80000000, v13
	v_and_b32_e32 v66, v10, v36
	v_and_b32_e32 v67, v11, v37
	v_lshrrev_b64 v[10:11], s87, v[10:11]
	s_waitcnt vmcnt(1)
	v_xor_b32_e32 v15, 0x80000000, v15
	v_and_b32_e32 v68, v12, v36
	v_and_b32_e32 v69, v13, v37
	v_lshrrev_b64 v[12:13], s87, v[12:13]
	v_and_b32_e32 v2, 3, v10
	s_waitcnt vmcnt(0)
	v_xor_b32_e32 v17, 0x80000000, v17
	v_and_b32_e32 v70, v14, v36
	v_and_b32_e32 v71, v15, v37
	v_lshrrev_b64 v[14:15], s87, v[14:15]
	v_cmp_eq_u64_e64 s[16:17], v[66:67], v[32:33]
	v_and_b32_e32 v48, 3, v12
	v_cmp_eq_u64_e64 s[2:3], 0, v[2:3]
	v_and_b32_e32 v72, v16, v36
	v_and_b32_e32 v73, v17, v37
	v_lshrrev_b64 v[16:17], s87, v[16:17]
	v_cmp_eq_u64_e64 s[14:15], v[68:69], v[32:33]
	v_and_b32_e32 v50, 3, v14
	v_cmp_eq_u64_e64 s[28:29], 0, v[48:49]
	s_and_b64 s[2:3], s[16:17], s[2:3]
	v_cmp_eq_u64_e64 s[12:13], v[70:71], v[32:33]
	v_and_b32_e32 v52, 3, v16
	v_cmp_eq_u64_e64 s[30:31], 0, v[50:51]
	v_cmp_eq_u64_e64 s[36:37], 1, v[2:3]
	;; [unrolled: 1-line block ×4, first 2 shown]
	v_cndmask_b32_e64 v2, 0, 1, s[2:3]
	s_and_b64 s[2:3], s[14:15], s[28:29]
	v_cmp_eq_u64_e64 s[0:1], v[72:73], v[32:33]
	v_cmp_eq_u64_e64 s[34:35], 0, v[52:53]
	v_cndmask_b32_e64 v5, 0, 1, s[2:3]
	s_and_b64 s[2:3], s[12:13], s[30:31]
	v_cndmask_b32_e64 v10, 0, 1, s[2:3]
	s_and_b64 s[2:3], s[0:1], s[34:35]
	v_cndmask_b32_e64 v11, 0, 1, s[2:3]
	v_cmp_ne_u32_e64 s[2:3], 0, v2
	v_cmp_ne_u32_e64 s[28:29], 0, v5
	;; [unrolled: 1-line block ×4, first 2 shown]
	s_bcnt1_i32_b64 s2, s[2:3]
	s_bcnt1_i32_b64 s3, s[28:29]
	;; [unrolled: 1-line block ×4, first 2 shown]
	s_add_u32 s2, s2, s80
	s_addc_u32 s29, 0, s81
	s_add_u32 s2, s2, s3
	s_addc_u32 s3, s29, 0
	s_add_u32 s2, s2, s27
	s_addc_u32 s3, s3, 0
	s_add_u32 s80, s2, s28
	v_cmp_eq_u64_e64 s[38:39], 1, v[48:49]
	s_addc_u32 s81, s3, 0
	s_and_b64 s[2:3], s[16:17], s[36:37]
	v_cmp_eq_u64_e64 s[40:41], 1, v[50:51]
	v_cndmask_b32_e64 v2, 0, 1, s[2:3]
	s_and_b64 s[2:3], s[14:15], s[38:39]
	v_cmp_eq_u64_e64 s[42:43], 1, v[52:53]
	v_cndmask_b32_e64 v5, 0, 1, s[2:3]
	s_and_b64 s[2:3], s[12:13], s[40:41]
	v_cndmask_b32_e64 v12, 0, 1, s[2:3]
	s_and_b64 s[2:3], s[0:1], s[42:43]
	v_cndmask_b32_e64 v13, 0, 1, s[2:3]
	v_cmp_ne_u32_e64 s[2:3], 0, v2
	v_cmp_ne_u32_e64 s[28:29], 0, v5
	v_cmp_ne_u32_e64 s[30:31], 0, v12
	v_cmp_ne_u32_e64 s[34:35], 0, v13
	s_bcnt1_i32_b64 s2, s[2:3]
	s_bcnt1_i32_b64 s3, s[28:29]
	;; [unrolled: 1-line block ×4, first 2 shown]
	s_add_u32 s2, s2, s88
	s_addc_u32 s29, 0, s89
	s_add_u32 s2, s2, s3
	s_addc_u32 s3, s29, 0
	;; [unrolled: 2-line block ×3, first 2 shown]
	s_add_u32 s88, s2, s28
	v_cmp_eq_u64_e64 s[46:47], 2, v[48:49]
	s_addc_u32 s89, s3, 0
	s_and_b64 s[2:3], s[16:17], s[44:45]
	v_cmp_eq_u64_e64 s[48:49], 2, v[50:51]
	v_cndmask_b32_e64 v2, 0, 1, s[2:3]
	s_and_b64 s[2:3], s[14:15], s[46:47]
	v_cmp_eq_u64_e64 s[50:51], 2, v[52:53]
	v_cndmask_b32_e64 v5, 0, 1, s[2:3]
	s_and_b64 s[2:3], s[12:13], s[48:49]
	v_cndmask_b32_e64 v14, 0, 1, s[2:3]
	s_and_b64 s[2:3], s[0:1], s[50:51]
	v_cndmask_b32_e64 v15, 0, 1, s[2:3]
	v_cmp_ne_u32_e64 s[2:3], 0, v2
	v_cmp_ne_u32_e64 s[28:29], 0, v5
	;; [unrolled: 1-line block ×4, first 2 shown]
	s_bcnt1_i32_b64 s2, s[2:3]
	s_bcnt1_i32_b64 s3, s[28:29]
	;; [unrolled: 1-line block ×4, first 2 shown]
	s_add_u32 s2, s2, s82
	s_addc_u32 s29, 0, s83
	s_add_u32 s2, s2, s3
	s_addc_u32 s3, s29, 0
	;; [unrolled: 2-line block ×3, first 2 shown]
	s_add_u32 s82, s2, s28
	v_cmp_eq_u64_e64 s[22:23], 3, v[48:49]
	s_addc_u32 s83, s3, 0
	s_and_b64 s[2:3], s[16:17], s[24:25]
	v_cmp_eq_u64_e64 s[20:21], 3, v[50:51]
	v_cmp_eq_u64_e64 s[18:19], 3, v[52:53]
	v_cndmask_b32_e64 v2, 0, 1, s[2:3]
	s_and_b64 s[2:3], s[14:15], s[22:23]
	v_cndmask_b32_e64 v5, 0, 1, s[2:3]
	s_and_b64 s[2:3], s[12:13], s[20:21]
	s_and_b64 s[0:1], s[0:1], s[18:19]
	v_cndmask_b32_e64 v16, 0, 1, s[2:3]
	v_cndmask_b32_e64 v17, 0, 1, s[0:1]
	v_cmp_ne_u32_e64 s[0:1], 0, v2
	v_cmp_ne_u32_e64 s[2:3], 0, v5
	;; [unrolled: 1-line block ×4, first 2 shown]
	s_bcnt1_i32_b64 s0, s[0:1]
	s_bcnt1_i32_b64 s1, s[2:3]
	;; [unrolled: 1-line block ×4, first 2 shown]
	s_add_u32 s0, s0, s98
	s_addc_u32 s12, 0, s99
	s_add_u32 s0, s0, s1
	s_addc_u32 s1, s12, 0
	;; [unrolled: 2-line block ×4, first 2 shown]
	v_mov_b64_e32 v[10:11], s[80:81]
	v_mov_b64_e32 v[12:13], s[88:89]
	;; [unrolled: 1-line block ×3, first 2 shown]
	s_or_b64 s[6:7], vcc, s[6:7]
	v_mov_b64_e32 v[16:17], s[98:99]
	s_andn2_b64 exec, exec, s[6:7]
	s_cbranch_execnz .LBB103_76
; %bb.77:                               ;   in Loop: Header=BB103_34 Depth=1
	s_or_b64 exec, exec, s[6:7]
	s_mov_b64 s[98:99], s[4:5]
	v_readlane_b32 s4, v74, 34
	v_readlane_b32 s80, v74, 36
	;; [unrolled: 1-line block ×5, first 2 shown]
	s_mov_b32 s85, s61
	v_readlane_b32 s83, v74, 39
	s_mov_b32 s88, s60
.LBB103_78:                             ;   in Loop: Header=BB103_34 Depth=1
	s_or_b64 exec, exec, s[96:97]
	v_lshl_add_u64 v[6:7], s[10:11], 0, v[0:1]
	v_cmp_gt_u64_e32 vcc, s[52:53], v[6:7]
	s_and_saveexec_b64 s[2:3], vcc
	s_cbranch_execz .LBB103_84
; %bb.79:                               ;   in Loop: Header=BB103_34 Depth=1
	v_mul_lo_u32 v2, v7, s56
	v_mul_lo_u32 v5, v6, s57
	v_mad_u64_u32 v[40:41], s[0:1], v6, s56, 0
	v_add3_u32 v41, v41, v5, v2
	v_lshl_add_u64 v[40:41], v[40:41], 3, s[76:77]
	global_load_dwordx2 v[42:43], v[40:41], off
	s_mov_b64 s[6:7], 0
	s_branch .LBB103_81
.LBB103_80:                             ;   in Loop: Header=BB103_81 Depth=2
	s_or_b64 exec, exec, s[10:11]
	s_waitcnt vmcnt(0)
	v_xor_b32_e32 v43, 0x80000000, v43
	v_and_b32_e32 v45, v43, v37
	v_and_b32_e32 v44, v42, v36
	v_lshrrev_b64 v[42:43], s87, v[42:43]
	s_and_b64 s[0:1], exec, vcc
	v_and_b32_e32 v2, 3, v42
	s_or_b64 s[6:7], s[0:1], s[6:7]
	v_cmp_eq_u64_e32 vcc, v[44:45], v[32:33]
	v_cmp_eq_u64_e64 s[0:1], 0, v[2:3]
	s_and_b64 s[0:1], vcc, s[0:1]
	v_mov_b64_e32 v[42:43], v[40:41]
	v_cndmask_b32_e64 v5, 0, 1, s[0:1]
	v_cmp_ne_u32_e64 s[0:1], 0, v5
	s_bcnt1_i32_b64 s78, s[0:1]
	v_cmp_eq_u64_e64 s[0:1], 1, v[2:3]
	s_and_b64 s[0:1], vcc, s[0:1]
	v_lshl_add_u64 v[10:11], s[78:79], 0, v[10:11]
	v_cndmask_b32_e64 v5, 0, 1, s[0:1]
	v_cmp_ne_u32_e64 s[0:1], 0, v5
	s_bcnt1_i32_b64 s78, s[0:1]
	v_cmp_eq_u64_e64 s[0:1], 2, v[2:3]
	s_and_b64 s[0:1], vcc, s[0:1]
	v_lshl_add_u64 v[12:13], s[78:79], 0, v[12:13]
	;; [unrolled: 6-line block ×3, first 2 shown]
	v_cndmask_b32_e64 v2, 0, 1, s[0:1]
	v_cmp_ne_u32_e32 vcc, 0, v2
	s_bcnt1_i32_b64 s78, vcc
	v_lshl_add_u64 v[16:17], s[78:79], 0, v[16:17]
	s_andn2_b64 exec, exec, s[6:7]
	s_cbranch_execz .LBB103_83
.LBB103_81:                             ;   Parent Loop BB103_34 Depth=1
                                        ; =>  This Inner Loop Header: Depth=2
	v_lshl_add_u64 v[6:7], v[6:7], 0, s[8:9]
	v_cmp_gt_u64_e64 s[0:1], s[52:53], v[6:7]
	v_cmp_le_u64_e32 vcc, s[52:53], v[6:7]
	v_mov_b64_e32 v[40:41], 0
	s_and_saveexec_b64 s[10:11], s[0:1]
	s_cbranch_execz .LBB103_80
; %bb.82:                               ;   in Loop: Header=BB103_81 Depth=2
	v_mul_lo_u32 v2, v7, s56
	v_mul_lo_u32 v5, v6, s57
	v_mad_u64_u32 v[40:41], s[0:1], v6, s56, 0
	v_add3_u32 v41, v41, v5, v2
	v_lshl_add_u64 v[40:41], v[40:41], 3, s[76:77]
	global_load_dwordx2 v[40:41], v[40:41], off
	s_branch .LBB103_80
.LBB103_83:                             ;   in Loop: Header=BB103_34 Depth=1
	s_or_b64 exec, exec, s[6:7]
.LBB103_84:                             ;   in Loop: Header=BB103_34 Depth=1
	s_or_b64 exec, exec, s[2:3]
	s_branch .LBB103_63
.LBB103_85:                             ;   in Loop: Header=BB103_34 Depth=1
	global_load_ushort v5, v3, s[82:83]
	v_mov_b64_e32 v[10:11], 0
	v_mov_b64_e32 v[12:13], 0
	;; [unrolled: 1-line block ×4, first 2 shown]
	s_waitcnt vmcnt(0)
	v_readfirstlane_b32 s0, v5
	s_and_b32 s27, 0xffff, s0
	s_lshl_b32 s78, s27, 2
	v_cvt_f32_u32_e32 v2, s78
	s_sub_i32 s0, 0, s78
	v_rcp_iflag_f32_e32 v2, v2
	s_nop 0
	v_mul_f32_e32 v2, 0x4f7ffffe, v2
	v_cvt_u32_f32_e32 v2, v2
	s_nop 0
	v_readfirstlane_b32 s1, v2
	s_mul_i32 s0, s0, s1
	s_mul_hi_u32 s0, s1, s0
	s_add_i32 s1, s1, s0
	s_mul_hi_u32 s0, s26, s1
	s_mul_i32 s1, s0, s78
	s_sub_i32 s1, s26, s1
	s_add_i32 s2, s0, 1
	s_sub_i32 s3, s1, s78
	s_cmp_ge_u32 s1, s78
	s_cselect_b32 s0, s2, s0
	s_cselect_b32 s1, s3, s1
	s_add_i32 s2, s0, 1
	s_cmp_ge_u32 s1, s78
	s_cselect_b32 s0, s2, s0
	s_mul_hi_u32 s9, s27, s0
	s_mul_i32 s8, s27, s0
	s_lshl_b64 s[10:11], s[8:9], 2
	v_cmp_gt_u64_e32 vcc, s[10:11], v[22:23]
	s_and_saveexec_b64 s[6:7], vcc
	s_cbranch_execz .LBB103_89
; %bb.86:                               ;   in Loop: Header=BB103_34 Depth=1
	s_mov_b32 s60, s88
	s_mov_b32 s61, s85
	s_lshl_b32 s9, s27, 5
	s_mov_b64 s[80:81], 0
	v_mov_b32_e32 v46, v59
	s_mov_b64 s[82:83], 0
	s_mov_b64 s[84:85], 0
	s_mov_b64 s[88:89], 0
	s_mov_b64 s[96:97], 0
	v_mov_b64_e32 v[6:7], v[22:23]
.LBB103_87:                             ;   Parent Loop BB103_34 Depth=1
                                        ; =>  This Inner Loop Header: Depth=2
	ds_read_b128 v[14:17], v46
	ds_read_b128 v[10:13], v46 offset:16
	v_mov_b32_e32 v41, v3
	v_mov_b32_e32 v43, v3
	;; [unrolled: 1-line block ×3, first 2 shown]
	s_waitcnt lgkmcnt(1)
	v_xor_b32_e32 v15, 0x80000000, v15
	v_xor_b32_e32 v17, 0x80000000, v17
	v_and_b32_e32 v48, v14, v36
	v_and_b32_e32 v49, v15, v37
	v_lshrrev_b64 v[14:15], s87, v[14:15]
	s_waitcnt lgkmcnt(0)
	v_xor_b32_e32 v11, 0x80000000, v11
	v_and_b32_e32 v50, v16, v36
	v_and_b32_e32 v51, v17, v37
	v_lshrrev_b64 v[16:17], s87, v[16:17]
	v_and_b32_e32 v2, 3, v14
	v_xor_b32_e32 v13, 0x80000000, v13
	v_and_b32_e32 v52, v10, v36
	v_and_b32_e32 v53, v11, v37
	v_lshrrev_b64 v[10:11], s87, v[10:11]
	v_cmp_eq_u64_e64 s[16:17], v[48:49], v[32:33]
	v_and_b32_e32 v40, 3, v16
	v_cmp_eq_u64_e64 s[2:3], 0, v[2:3]
	v_and_b32_e32 v66, v12, v36
	v_and_b32_e32 v67, v13, v37
	v_lshrrev_b64 v[12:13], s87, v[12:13]
	v_cmp_eq_u64_e64 s[14:15], v[50:51], v[32:33]
	v_and_b32_e32 v42, 3, v10
	v_cmp_eq_u64_e64 s[28:29], 0, v[40:41]
	s_and_b64 s[2:3], s[16:17], s[2:3]
	v_cmp_eq_u64_e64 s[12:13], v[52:53], v[32:33]
	v_and_b32_e32 v44, 3, v12
	v_cmp_eq_u64_e64 s[30:31], 0, v[42:43]
	v_cmp_eq_u64_e64 s[36:37], 1, v[2:3]
	;; [unrolled: 1-line block ×4, first 2 shown]
	v_cndmask_b32_e64 v2, 0, 1, s[2:3]
	s_and_b64 s[2:3], s[14:15], s[28:29]
	v_cmp_eq_u64_e64 s[0:1], v[66:67], v[32:33]
	v_cmp_eq_u64_e64 s[34:35], 0, v[44:45]
	v_cndmask_b32_e64 v10, 0, 1, s[2:3]
	s_and_b64 s[2:3], s[12:13], s[30:31]
	v_cndmask_b32_e64 v11, 0, 1, s[2:3]
	s_and_b64 s[2:3], s[0:1], s[34:35]
	v_cndmask_b32_e64 v12, 0, 1, s[2:3]
	v_cmp_ne_u32_e64 s[2:3], 0, v2
	v_cmp_ne_u32_e64 s[28:29], 0, v10
	;; [unrolled: 1-line block ×4, first 2 shown]
	s_bcnt1_i32_b64 s2, s[2:3]
	s_bcnt1_i32_b64 s3, s[28:29]
	;; [unrolled: 1-line block ×4, first 2 shown]
	s_add_u32 s2, s2, s96
	s_addc_u32 s30, 0, s97
	s_add_u32 s2, s2, s3
	s_addc_u32 s3, s30, 0
	;; [unrolled: 2-line block ×3, first 2 shown]
	s_add_u32 s96, s2, s29
	v_cmp_eq_u64_e64 s[38:39], 1, v[40:41]
	s_addc_u32 s97, s3, 0
	s_and_b64 s[2:3], s[16:17], s[36:37]
	v_cmp_eq_u64_e64 s[40:41], 1, v[42:43]
	v_cndmask_b32_e64 v2, 0, 1, s[2:3]
	s_and_b64 s[2:3], s[14:15], s[38:39]
	v_cmp_eq_u64_e64 s[42:43], 1, v[44:45]
	v_cndmask_b32_e64 v12, 0, 1, s[2:3]
	s_and_b64 s[2:3], s[12:13], s[40:41]
	v_cndmask_b32_e64 v13, 0, 1, s[2:3]
	s_and_b64 s[2:3], s[0:1], s[42:43]
	v_cndmask_b32_e64 v14, 0, 1, s[2:3]
	v_cmp_ne_u32_e64 s[2:3], 0, v2
	v_cmp_ne_u32_e64 s[28:29], 0, v12
	;; [unrolled: 1-line block ×4, first 2 shown]
	s_bcnt1_i32_b64 s2, s[2:3]
	s_bcnt1_i32_b64 s3, s[28:29]
	;; [unrolled: 1-line block ×4, first 2 shown]
	s_add_u32 s2, s2, s88
	s_addc_u32 s30, 0, s89
	s_add_u32 s2, s2, s3
	s_addc_u32 s3, s30, 0
	s_add_u32 s2, s2, s28
	s_addc_u32 s3, s3, 0
	s_add_u32 s88, s2, s29
	v_cmp_eq_u64_e64 s[46:47], 2, v[40:41]
	s_addc_u32 s89, s3, 0
	s_and_b64 s[2:3], s[16:17], s[44:45]
	v_cmp_eq_u64_e64 s[48:49], 2, v[42:43]
	v_cndmask_b32_e64 v2, 0, 1, s[2:3]
	s_and_b64 s[2:3], s[14:15], s[46:47]
	v_cmp_eq_u64_e64 s[50:51], 2, v[44:45]
	v_cndmask_b32_e64 v14, 0, 1, s[2:3]
	s_and_b64 s[2:3], s[12:13], s[48:49]
	v_cndmask_b32_e64 v15, 0, 1, s[2:3]
	s_and_b64 s[2:3], s[0:1], s[50:51]
	v_cndmask_b32_e64 v16, 0, 1, s[2:3]
	v_cmp_ne_u32_e64 s[2:3], 0, v2
	v_cmp_ne_u32_e64 s[28:29], 0, v14
	;; [unrolled: 1-line block ×4, first 2 shown]
	s_bcnt1_i32_b64 s2, s[2:3]
	s_bcnt1_i32_b64 s3, s[28:29]
	;; [unrolled: 1-line block ×4, first 2 shown]
	s_add_u32 s2, s2, s84
	s_addc_u32 s30, 0, s85
	s_add_u32 s2, s2, s3
	s_addc_u32 s3, s30, 0
	;; [unrolled: 2-line block ×3, first 2 shown]
	s_add_u32 s84, s2, s29
	v_cmp_eq_u64_e64 s[22:23], 3, v[40:41]
	s_addc_u32 s85, s3, 0
	s_and_b64 s[2:3], s[16:17], s[24:25]
	v_cmp_eq_u64_e64 s[20:21], 3, v[42:43]
	v_cmp_eq_u64_e64 s[18:19], 3, v[44:45]
	v_cndmask_b32_e64 v2, 0, 1, s[2:3]
	s_and_b64 s[2:3], s[14:15], s[22:23]
	v_cndmask_b32_e64 v16, 0, 1, s[2:3]
	s_and_b64 s[2:3], s[12:13], s[20:21]
	s_and_b64 s[0:1], s[0:1], s[18:19]
	v_cndmask_b32_e64 v17, 0, 1, s[2:3]
	v_cndmask_b32_e64 v40, 0, 1, s[0:1]
	v_cmp_ne_u32_e64 s[0:1], 0, v2
	v_cmp_ne_u32_e64 s[2:3], 0, v16
	;; [unrolled: 1-line block ×4, first 2 shown]
	s_bcnt1_i32_b64 s0, s[0:1]
	s_bcnt1_i32_b64 s1, s[2:3]
	;; [unrolled: 1-line block ×4, first 2 shown]
	s_add_u32 s0, s0, s82
	s_addc_u32 s12, 0, s83
	s_add_u32 s0, s0, s1
	s_addc_u32 s1, s12, 0
	;; [unrolled: 2-line block ×3, first 2 shown]
	v_lshl_add_u64 v[6:7], v[6:7], 0, s[78:79]
	s_add_u32 s82, s0, s3
	v_cmp_le_u64_e32 vcc, s[10:11], v[6:7]
	s_addc_u32 s83, s1, 0
	v_add_u32_e32 v46, s9, v46
	v_mov_b64_e32 v[10:11], s[96:97]
	v_mov_b64_e32 v[12:13], s[88:89]
	;; [unrolled: 1-line block ×3, first 2 shown]
	s_or_b64 s[80:81], vcc, s[80:81]
	v_mov_b64_e32 v[16:17], s[82:83]
	s_andn2_b64 exec, exec, s[80:81]
	s_cbranch_execnz .LBB103_87
; %bb.88:                               ;   in Loop: Header=BB103_34 Depth=1
	s_or_b64 exec, exec, s[80:81]
	v_readlane_b32 s4, v74, 34
	v_readlane_b32 s80, v74, 36
	;; [unrolled: 1-line block ×5, first 2 shown]
	s_mov_b32 s85, s61
	v_readlane_b32 s83, v74, 39
	s_mov_b32 s88, s60
.LBB103_89:                             ;   in Loop: Header=BB103_34 Depth=1
	s_or_b64 exec, exec, s[6:7]
	s_and_b32 s6, s26, 0x7fffffff
	s_mov_b32 s7, s79
	v_lshl_add_u64 v[40:41], s[10:11], 0, v[0:1]
	v_and_b32_e32 v6, 0xffff, v5
	v_mov_b32_e32 v7, v3
	v_cmp_gt_u64_e32 vcc, s[6:7], v[40:41]
	s_and_saveexec_b64 s[10:11], vcc
	s_cbranch_execz .LBB103_93
; %bb.90:                               ;   in Loop: Header=BB103_34 Depth=1
	v_lshl_add_u32 v5, s8, 5, v55
	s_lshl_b32 s18, s27, 3
	s_mov_b64 s[8:9], 0
.LBB103_91:                             ;   Parent Loop BB103_34 Depth=1
                                        ; =>  This Inner Loop Header: Depth=2
	ds_read_b64 v[42:43], v5
	v_lshl_add_u64 v[40:41], v[40:41], 0, v[6:7]
	v_cmp_le_u64_e32 vcc, s[6:7], v[40:41]
	v_add_u32_e32 v5, s18, v5
	s_waitcnt lgkmcnt(0)
	v_xor_b32_e32 v43, 0x80000000, v43
	v_and_b32_e32 v44, v42, v36
	v_and_b32_e32 v45, v43, v37
	v_lshrrev_b64 v[42:43], s87, v[42:43]
	v_and_b32_e32 v2, 3, v42
	v_cmp_eq_u64_e64 s[0:1], v[44:45], v[32:33]
	v_cmp_eq_u64_e64 s[2:3], 0, v[2:3]
	;; [unrolled: 1-line block ×3, first 2 shown]
	s_and_b64 s[2:3], s[0:1], s[2:3]
	v_cmp_eq_u64_e64 s[14:15], 2, v[2:3]
	v_cmp_eq_u64_e64 s[16:17], 3, v[2:3]
	v_cndmask_b32_e64 v2, 0, 1, s[2:3]
	s_and_b64 s[2:3], s[0:1], s[12:13]
	v_cndmask_b32_e64 v42, 0, 1, s[2:3]
	s_and_b64 s[2:3], s[0:1], s[14:15]
	s_and_b64 s[0:1], s[0:1], s[16:17]
	v_cndmask_b32_e64 v44, 0, 1, s[0:1]
	v_cmp_ne_u32_e64 s[0:1], 0, v2
	v_cndmask_b32_e64 v43, 0, 1, s[2:3]
	v_cmp_ne_u32_e64 s[2:3], 0, v42
	s_bcnt1_i32_b64 s78, s[0:1]
	v_cmp_ne_u32_e64 s[12:13], 0, v43
	v_lshl_add_u64 v[10:11], s[78:79], 0, v[10:11]
	s_bcnt1_i32_b64 s78, s[2:3]
	v_cmp_ne_u32_e64 s[14:15], 0, v44
	v_lshl_add_u64 v[12:13], s[78:79], 0, v[12:13]
	s_bcnt1_i32_b64 s78, s[12:13]
	v_lshl_add_u64 v[14:15], s[78:79], 0, v[14:15]
	s_bcnt1_i32_b64 s78, s[14:15]
	s_or_b64 s[8:9], vcc, s[8:9]
	v_lshl_add_u64 v[16:17], s[78:79], 0, v[16:17]
	s_andn2_b64 exec, exec, s[8:9]
	s_cbranch_execnz .LBB103_91
; %bb.92:                               ;   in Loop: Header=BB103_34 Depth=1
	s_or_b64 exec, exec, s[8:9]
.LBB103_93:                             ;   in Loop: Header=BB103_34 Depth=1
	s_or_b64 exec, exec, s[10:11]
	s_lshl_b32 s2, s88, 6
	s_and_saveexec_b64 s[0:1], s[4:5]
	s_cbranch_execnz .LBB103_64
	s_branch .LBB103_65
.LBB103_94:                             ;   in Loop: Header=BB103_34 Depth=1
                                        ; implicit-def: $sgpr0_sgpr1
	s_branch .LBB103_73
.LBB103_95:                             ;   in Loop: Header=BB103_34 Depth=1
	s_mov_b32 s3, 0
	v_mov_b64_e32 v[6:7], 0
.LBB103_96:                             ;   in Loop: Header=BB103_34 Depth=1
	v_readlane_b32 s6, v74, 26
	v_readlane_b32 s7, v74, 27
	s_andn2_b64 vcc, exec, s[6:7]
	s_cbranch_vccnz .LBB103_99
; %bb.97:                               ;   in Loop: Header=BB103_34 Depth=1
	s_lshl_b32 s6, s88, 9
	s_lshl_b32 s3, s3, 5
	s_add_i32 s6, s6, s3
	v_add_u32_e32 v2, s6, v60
	v_readlane_b32 s3, v74, 25
.LBB103_98:                             ;   Parent Loop BB103_34 Depth=1
                                        ; =>  This Inner Loop Header: Depth=2
	ds_read_b64 v[10:11], v2
	s_add_i32 s3, s3, -1
	v_add_u32_e32 v2, 32, v2
	s_cmp_lg_u32 s3, 0
	s_waitcnt lgkmcnt(0)
	v_lshl_add_u64 v[6:7], v[10:11], 0, v[6:7]
	s_cbranch_scc1 .LBB103_98
.LBB103_99:                             ;   in Loop: Header=BB103_34 Depth=1
	v_add_lshl_u32 v2, s2, v54, 3
	ds_write_b64 v2, v[6:7] offset:3072
.LBB103_100:                            ;   in Loop: Header=BB103_34 Depth=1
	s_or_b64 exec, exec, s[0:1]
	s_lshl_b32 s0, s2, 3
	v_mov_b32_e32 v2, s0
	s_waitcnt lgkmcnt(0)
	s_barrier
	ds_read_b128 v[14:17], v2 offset:3088
	ds_read_b128 v[10:13], v2 offset:3072
	s_lshl_b64 s[12:13], 3, s87
	v_cmp_eq_u64_e64 s[0:1], 1, v[38:39]
	s_not_b64 s[22:23], s[12:13]
	s_waitcnt lgkmcnt(1)
	v_readfirstlane_b32 s20, v14
	s_waitcnt lgkmcnt(0)
	v_cmp_eq_u64_e32 vcc, 1, v[10:11]
	v_readfirstlane_b32 s21, v15
	v_readfirstlane_b32 s2, v16
	;; [unrolled: 1-line block ×3, first 2 shown]
	s_and_b64 s[8:9], vcc, s[0:1]
	s_mov_b64 s[0:1], -1
	s_mov_b64 s[16:17], -1
                                        ; implicit-def: $sgpr10_sgpr11
                                        ; implicit-def: $sgpr6_sgpr7
	s_and_saveexec_b64 s[14:15], s[8:9]
	s_cbranch_execz .LBB103_132
; %bb.101:                              ;   in Loop: Header=BB103_34 Depth=1
	ds_read_b64 v[6:7], v3 offset:5120
	s_waitcnt lgkmcnt(0)
	s_barrier
	v_readfirstlane_b32 s18, v6
	v_readfirstlane_b32 s19, v7
	s_mov_b64 s[6:7], exec
	v_readlane_b32 s10, v74, 14
	v_readlane_b32 s11, v74, 15
	s_and_b64 s[10:11], s[6:7], s[10:11]
	s_mov_b64 exec, s[10:11]
; %bb.102:                              ;   in Loop: Header=BB103_34 Depth=1
	ds_write_b64 v56, v[64:65]
; %bb.103:                              ;   in Loop: Header=BB103_34 Depth=1
	s_or_b64 exec, exec, s[6:7]
	v_and_b32_e32 v33, s23, v33
	v_and_b32_e32 v32, s22, v32
	v_or_b32_e32 v37, s13, v37
	v_or_b32_e32 v36, s12, v36
	s_mov_b64 s[6:7], -1
	s_mov_b64 s[10:11], 0
	s_cmp_eq_u64 s[18:19], 0
	s_mov_b64 s[16:17], 0
	s_mov_b64 s[24:25], -1
	s_waitcnt lgkmcnt(0)
	s_barrier
                                        ; implicit-def: $vgpr8_vgpr9
	s_cbranch_scc1 .LBB103_117
; %bb.104:                              ;   in Loop: Header=BB103_34 Depth=1
	v_readlane_b32 s16, v74, 20
	s_add_u32 s28, s18, s16
	v_readlane_b32 s16, v74, 22
	s_addc_u32 s17, s19, s16
	s_mov_b32 s16, s79
	s_cmp_lg_u64 s[16:17], 0
	s_cbranch_scc0 .LBB103_158
; %bb.105:                              ;   in Loop: Header=BB103_34 Depth=1
	v_cvt_f32_u32_e32 v2, s72
	s_sub_u32 s16, 0, s72
	s_subb_u32 s26, 0, 0
	v_fmac_f32_e32 v2, 0, v61
	v_rcp_f32_e32 v2, v2
	s_nop 0
	v_mul_f32_e32 v2, 0x5f7ffffc, v2
	v_mul_f32_e32 v5, 0x2f800000, v2
	v_trunc_f32_e32 v5, v5
	v_fmac_f32_e32 v2, 0xcf800000, v5
	v_cvt_u32_f32_e32 v5, v5
	v_cvt_u32_f32_e32 v2, v2
	v_readfirstlane_b32 s27, v5
	v_readfirstlane_b32 s24, v2
	s_mul_i32 s25, s16, s27
	s_mul_hi_u32 s30, s16, s24
	s_mul_i32 s29, s26, s24
	s_add_i32 s25, s30, s25
	s_mul_i32 s31, s16, s24
	s_add_i32 s25, s25, s29
	s_mul_hi_u32 s30, s24, s31
	s_mul_i32 s34, s24, s25
	s_mul_hi_u32 s29, s24, s25
	s_add_u32 s30, s30, s34
	s_addc_u32 s29, 0, s29
	s_mul_hi_u32 s35, s27, s31
	s_mul_i32 s31, s27, s31
	s_add_u32 s30, s30, s31
	s_mul_hi_u32 s34, s27, s25
	s_addc_u32 s29, s29, s35
	s_addc_u32 s30, s34, 0
	s_mul_i32 s25, s27, s25
	s_add_u32 s25, s29, s25
	s_addc_u32 s29, 0, s30
	s_add_u32 s30, s24, s25
	s_cselect_b64 s[24:25], -1, 0
	s_cmp_lg_u64 s[24:25], 0
	s_addc_u32 s27, s27, s29
	s_mul_i32 s24, s16, s27
	s_mul_hi_u32 s25, s16, s30
	s_add_i32 s24, s25, s24
	s_mul_i32 s26, s26, s30
	s_add_i32 s24, s24, s26
	s_mul_i32 s16, s16, s30
	s_mul_hi_u32 s26, s27, s16
	s_mul_i32 s29, s27, s16
	s_mul_i32 s34, s30, s24
	s_mul_hi_u32 s16, s30, s16
	s_mul_hi_u32 s31, s30, s24
	s_add_u32 s16, s16, s34
	s_addc_u32 s31, 0, s31
	s_add_u32 s16, s16, s29
	s_mul_hi_u32 s25, s27, s24
	s_addc_u32 s16, s31, s26
	s_addc_u32 s25, s25, 0
	s_mul_i32 s24, s27, s24
	s_add_u32 s16, s16, s24
	s_addc_u32 s26, 0, s25
	s_add_u32 s16, s30, s16
	s_cselect_b64 s[24:25], -1, 0
	s_cmp_lg_u64 s[24:25], 0
	s_addc_u32 s24, s27, s26
	s_mul_i32 s26, s28, s24
	s_mul_hi_u32 s27, s28, s16
	s_mul_hi_u32 s25, s28, s24
	s_add_u32 s26, s27, s26
	s_addc_u32 s25, 0, s25
	s_mul_hi_u32 s29, s17, s16
	s_mul_i32 s16, s17, s16
	s_add_u32 s16, s26, s16
	s_mul_hi_u32 s27, s17, s24
	s_addc_u32 s16, s25, s29
	s_addc_u32 s25, s27, 0
	s_mul_i32 s24, s17, s24
	s_add_u32 s16, s16, s24
	s_addc_u32 s24, 0, s25
	s_mul_i32 s24, s72, s24
	s_mul_hi_u32 s25, s72, s16
	s_add_i32 s26, s25, s24
	s_mul_i32 s16, s72, s16
	s_sub_u32 s16, s28, s16
	s_cselect_b64 s[24:25], -1, 0
	s_cmp_lg_u64 s[24:25], 0
	s_subb_u32 s26, s17, s26
	s_sub_u32 s27, s16, s72
	s_cselect_b64 s[24:25], -1, 0
	s_cmp_lg_u64 s[24:25], 0
	s_subb_u32 s29, s26, 0
	;; [unrolled: 4-line block ×3, first 2 shown]
	s_cmp_ge_u32 s27, s72
	s_cselect_b32 s25, -1, 0
	s_cmp_eq_u32 s29, 0
	s_cselect_b32 s25, s25, -1
	s_cmp_lg_u32 s25, 0
	s_cselect_b32 s24, s24, s29
	s_cselect_b32 s27, s30, s27
	s_cmp_ge_u32 s16, s72
	s_cselect_b32 s25, -1, 0
	s_cmp_eq_u32 s26, 0
	s_cselect_b32 s25, s25, -1
	s_cmp_lg_u32 s25, 0
	s_cselect_b32 s25, s24, s26
	s_cselect_b32 s24, s27, s16
	s_cbranch_execnz .LBB103_107
.LBB103_106:                            ;   in Loop: Header=BB103_34 Depth=1
	v_cvt_f32_u32_e32 v2, s72
	s_sub_i32 s16, 0, s72
	v_rcp_iflag_f32_e32 v2, v2
	s_nop 0
	v_mul_f32_e32 v2, 0x4f7ffffe, v2
	v_cvt_u32_f32_e32 v2, v2
	s_nop 0
	v_readfirstlane_b32 s24, v2
	s_mul_i32 s16, s16, s24
	s_mul_hi_u32 s16, s24, s16
	s_add_i32 s24, s24, s16
	s_mul_hi_u32 s16, s28, s24
	s_mul_i32 s16, s16, s72
	s_sub_i32 s16, s28, s16
	s_sub_i32 s24, s16, s72
	s_cmp_ge_u32 s16, s72
	s_cselect_b32 s16, s24, s16
	s_sub_i32 s24, s16, s72
	s_cmp_ge_u32 s16, s72
	s_cselect_b32 s78, s24, s16
	s_mov_b64 s[24:25], s[78:79]
.LBB103_107:                            ;   in Loop: Header=BB103_34 Depth=1
	s_sub_u32 s28, s28, s24
	s_subb_u32 s29, s17, s25
	v_cmp_gt_u64_e32 vcc, s[28:29], v[0:1]
	s_mov_b64 s[24:25], 0
	s_mov_b64 s[16:17], 0
                                        ; implicit-def: $vgpr8_vgpr9
	s_and_saveexec_b64 s[26:27], vcc
	s_cbranch_execz .LBB103_116
; %bb.108:                              ;   in Loop: Header=BB103_34 Depth=1
	v_mov_b32_e32 v2, v55
	v_mov_b64_e32 v[14:15], v[0:1]
                                        ; implicit-def: $sgpr30_sgpr31
	s_branch .LBB103_111
.LBB103_109:                            ;   in Loop: Header=BB103_111 Depth=2
	s_or_b64 exec, exec, s[34:35]
	s_waitcnt lgkmcnt(0)
	s_barrier
	ds_read_b128 v[6:9], v3 offset:3072
	s_mov_b64 s[34:35], -1
	s_mov_b64 s[36:37], -1
	s_waitcnt lgkmcnt(0)
	s_barrier
	v_cmp_ne_u64_e32 vcc, 0, v[6:7]
	s_cbranch_vccz .LBB103_114
.LBB103_110:                            ;   in Loop: Header=BB103_111 Depth=2
	s_and_b64 s[34:35], exec, s[34:35]
	s_or_b64 s[16:17], s[34:35], s[16:17]
	s_andn2_b64 s[30:31], s[30:31], exec
	s_and_b64 s[34:35], s[36:37], exec
	s_or_b64 s[30:31], s[30:31], s[34:35]
	s_andn2_b64 exec, exec, s[16:17]
	s_cbranch_execz .LBB103_115
.LBB103_111:                            ;   Parent Loop BB103_34 Depth=1
                                        ; =>  This Inner Loop Header: Depth=2
	v_cmp_gt_u64_e32 vcc, s[18:19], v[14:15]
	s_and_saveexec_b64 s[34:35], vcc
	s_cbranch_execz .LBB103_109
; %bb.112:                              ;   in Loop: Header=BB103_111 Depth=2
	ds_read_b64 v[6:7], v2
	s_waitcnt lgkmcnt(0)
	v_xor_b32_e32 v5, 0x80000000, v7
	v_and_b32_e32 v9, v5, v37
	v_and_b32_e32 v8, v6, v36
	v_cmp_eq_u64_e32 vcc, v[8:9], v[32:33]
	s_and_b64 exec, exec, vcc
	s_cbranch_execz .LBB103_109
; %bb.113:                              ;   in Loop: Header=BB103_111 Depth=2
	v_mov_b32_e32 v5, v3
	ds_write_b128 v3, v[4:7] offset:3072
	s_branch .LBB103_109
.LBB103_114:                            ;   in Loop: Header=BB103_111 Depth=2
	v_lshl_add_u64 v[14:15], v[14:15], 0, s[72:73]
	v_cmp_le_u64_e32 vcc, s[28:29], v[14:15]
	v_add_u32_e32 v2, s86, v2
	s_mov_b64 s[36:37], 0
	s_orn2_b64 s[34:35], vcc, exec
	s_branch .LBB103_110
.LBB103_115:                            ;   in Loop: Header=BB103_34 Depth=1
	s_or_b64 exec, exec, s[16:17]
	s_and_b64 s[16:17], s[30:31], exec
.LBB103_116:                            ;   in Loop: Header=BB103_34 Depth=1
	s_or_b64 exec, exec, s[26:27]
.LBB103_117:                            ;   in Loop: Header=BB103_34 Depth=1
	s_and_b64 vcc, exec, s[24:25]
	s_cbranch_vccz .LBB103_131
; %bb.118:                              ;   in Loop: Header=BB103_34 Depth=1
	s_mov_b32 s84, s79
	s_cmp_lg_u64 s[84:85], 0
	s_cbranch_scc0 .LBB103_162
; %bb.119:                              ;   in Loop: Header=BB103_34 Depth=1
	v_cvt_f32_u32_e32 v2, s72
	s_sub_u32 s10, 0, s72
	s_subb_u32 s11, 0, 0
	v_fmac_f32_e32 v2, 0, v61
	v_rcp_f32_e32 v2, v2
	s_nop 0
	v_mul_f32_e32 v2, 0x5f7ffffc, v2
	v_mul_f32_e32 v5, 0x2f800000, v2
	v_trunc_f32_e32 v5, v5
	v_fmac_f32_e32 v2, 0xcf800000, v5
	v_cvt_u32_f32_e32 v5, v5
	v_cvt_u32_f32_e32 v2, v2
	v_readfirstlane_b32 s18, v5
	v_readfirstlane_b32 s6, v2
	s_mul_i32 s7, s10, s18
	s_mul_hi_u32 s24, s10, s6
	s_mul_i32 s19, s11, s6
	s_add_i32 s7, s24, s7
	s_mul_i32 s25, s10, s6
	s_add_i32 s7, s7, s19
	s_mul_hi_u32 s24, s6, s25
	s_mul_i32 s26, s6, s7
	s_mul_hi_u32 s19, s6, s7
	s_add_u32 s24, s24, s26
	s_addc_u32 s19, 0, s19
	s_mul_hi_u32 s27, s18, s25
	s_mul_i32 s25, s18, s25
	s_add_u32 s24, s24, s25
	s_mul_hi_u32 s26, s18, s7
	s_addc_u32 s19, s19, s27
	s_addc_u32 s24, s26, 0
	s_mul_i32 s7, s18, s7
	s_add_u32 s7, s19, s7
	s_addc_u32 s19, 0, s24
	s_add_u32 s24, s6, s7
	s_cselect_b64 s[6:7], -1, 0
	s_cmp_lg_u64 s[6:7], 0
	s_addc_u32 s18, s18, s19
	s_mul_i32 s6, s10, s18
	s_mul_hi_u32 s7, s10, s24
	s_add_i32 s6, s7, s6
	s_mul_i32 s11, s11, s24
	s_add_i32 s6, s6, s11
	s_mul_i32 s10, s10, s24
	s_mul_hi_u32 s11, s18, s10
	s_mul_i32 s19, s18, s10
	s_mul_i32 s26, s24, s6
	s_mul_hi_u32 s10, s24, s10
	s_mul_hi_u32 s25, s24, s6
	s_add_u32 s10, s10, s26
	s_addc_u32 s25, 0, s25
	s_add_u32 s10, s10, s19
	s_mul_hi_u32 s7, s18, s6
	s_addc_u32 s10, s25, s11
	s_addc_u32 s7, s7, 0
	s_mul_i32 s6, s18, s6
	s_add_u32 s6, s10, s6
	s_addc_u32 s10, 0, s7
	s_add_u32 s11, s24, s6
	s_cselect_b64 s[6:7], -1, 0
	s_cmp_lg_u64 s[6:7], 0
	s_addc_u32 s6, s18, s10
	v_readlane_b32 s24, v74, 21
	s_mul_i32 s10, s24, s6
	s_mul_hi_u32 s18, s24, s11
	s_mul_hi_u32 s7, s24, s6
	s_add_u32 s10, s18, s10
	s_addc_u32 s7, 0, s7
	s_mul_hi_u32 s19, s85, s11
	s_mul_i32 s11, s85, s11
	s_add_u32 s10, s10, s11
	s_mul_hi_u32 s18, s85, s6
	s_addc_u32 s7, s7, s19
	s_addc_u32 s10, s18, 0
	s_mul_i32 s6, s85, s6
	s_add_u32 s6, s7, s6
	s_addc_u32 s7, 0, s10
	s_mul_i32 s7, s72, s7
	s_mul_hi_u32 s10, s72, s6
	s_add_i32 s10, s10, s7
	s_mul_i32 s6, s72, s6
	s_sub_u32 s11, s24, s6
	s_cselect_b64 s[6:7], -1, 0
	s_cmp_lg_u64 s[6:7], 0
	s_subb_u32 s10, s85, s10
	s_sub_u32 s18, s11, s72
	s_cselect_b64 s[6:7], -1, 0
	s_cmp_lg_u64 s[6:7], 0
	s_subb_u32 s19, s10, 0
	s_sub_u32 s24, s18, s72
	s_cselect_b64 s[6:7], -1, 0
	s_cmp_lg_u64 s[6:7], 0
	s_subb_u32 s6, s19, 0
	s_cmp_ge_u32 s18, s72
	s_cselect_b32 s7, -1, 0
	s_cmp_eq_u32 s19, 0
	s_cselect_b32 s7, s7, -1
	s_cmp_lg_u32 s7, 0
	s_cselect_b32 s6, s6, s19
	s_cselect_b32 s18, s24, s18
	s_cmp_ge_u32 s11, s72
	s_cselect_b32 s7, -1, 0
	s_cmp_eq_u32 s10, 0
	s_cselect_b32 s7, s7, -1
	s_cmp_lg_u32 s7, 0
	s_cselect_b32 s7, s6, s10
	s_cselect_b32 s6, s18, s11
	s_cbranch_execnz .LBB103_121
.LBB103_120:                            ;   in Loop: Header=BB103_34 Depth=1
	v_cvt_f32_u32_e32 v2, s72
	s_sub_i32 s6, 0, s72
	v_readlane_b32 s10, v74, 21
	v_rcp_iflag_f32_e32 v2, v2
	s_nop 0
	v_mul_f32_e32 v2, 0x4f7ffffe, v2
	v_cvt_u32_f32_e32 v2, v2
	s_nop 0
	v_readfirstlane_b32 s7, v2
	s_mul_i32 s6, s6, s7
	s_mul_hi_u32 s6, s7, s6
	s_add_i32 s7, s7, s6
	s_mul_hi_u32 s6, s10, s7
	s_mul_i32 s6, s6, s72
	s_sub_i32 s6, s10, s6
	s_sub_i32 s7, s6, s72
	s_cmp_ge_u32 s6, s72
	s_cselect_b32 s6, s7, s6
	s_sub_i32 s7, s6, s72
	s_cmp_ge_u32 s6, s72
	s_cselect_b32 s78, s7, s6
	s_mov_b64 s[6:7], s[78:79]
.LBB103_121:                            ;   in Loop: Header=BB103_34 Depth=1
	v_readlane_b32 s10, v74, 21
	s_sub_u32 s10, s10, s6
	s_subb_u32 s11, s85, s7
	v_cmp_gt_u64_e32 vcc, s[10:11], v[0:1]
                                        ; implicit-def: $vgpr8_vgpr9
	s_and_saveexec_b64 s[6:7], vcc
	s_cbranch_execz .LBB103_130
; %bb.122:                              ;   in Loop: Header=BB103_34 Depth=1
	s_mov_b64 s[24:25], 0
	v_mov_b64_e32 v[14:15], v[18:19]
	v_mov_b64_e32 v[16:17], v[0:1]
                                        ; implicit-def: $sgpr18_sgpr19
	s_branch .LBB103_125
.LBB103_123:                            ;   in Loop: Header=BB103_125 Depth=2
	s_or_b64 exec, exec, s[26:27]
	s_waitcnt lgkmcnt(0)
	s_barrier
	ds_read_b128 v[6:9], v3 offset:3072
	s_mov_b64 s[26:27], -1
	s_mov_b64 s[28:29], -1
	s_waitcnt lgkmcnt(0)
	s_barrier
	v_cmp_ne_u64_e32 vcc, 0, v[6:7]
	s_cbranch_vccz .LBB103_128
.LBB103_124:                            ;   in Loop: Header=BB103_125 Depth=2
	s_and_b64 s[26:27], exec, s[26:27]
	s_or_b64 s[24:25], s[26:27], s[24:25]
	s_andn2_b64 s[18:19], s[18:19], exec
	s_and_b64 s[26:27], s[28:29], exec
	s_or_b64 s[18:19], s[18:19], s[26:27]
	s_andn2_b64 exec, exec, s[24:25]
	s_cbranch_execz .LBB103_129
.LBB103_125:                            ;   Parent Loop BB103_34 Depth=1
                                        ; =>  This Inner Loop Header: Depth=2
	v_cmp_gt_u64_e32 vcc, s[52:53], v[16:17]
	s_and_saveexec_b64 s[26:27], vcc
	s_cbranch_execz .LBB103_123
; %bb.126:                              ;   in Loop: Header=BB103_125 Depth=2
	global_load_dwordx2 v[6:7], v[14:15], off
	s_waitcnt vmcnt(0)
	v_xor_b32_e32 v2, 0x80000000, v7
	v_and_b32_e32 v9, v2, v37
	v_and_b32_e32 v8, v6, v36
	v_cmp_eq_u64_e32 vcc, v[8:9], v[32:33]
	s_and_b64 exec, exec, vcc
	s_cbranch_execz .LBB103_123
; %bb.127:                              ;   in Loop: Header=BB103_125 Depth=2
	v_mov_b32_e32 v5, v3
	ds_write_b128 v3, v[4:7] offset:3072
	s_branch .LBB103_123
.LBB103_128:                            ;   in Loop: Header=BB103_125 Depth=2
	v_lshl_add_u64 v[16:17], v[16:17], 0, s[72:73]
	v_cmp_le_u64_e32 vcc, s[10:11], v[16:17]
	v_lshl_add_u64 v[14:15], v[14:15], 0, s[98:99]
	s_mov_b64 s[28:29], 0
	s_orn2_b64 s[26:27], vcc, exec
	s_branch .LBB103_124
.LBB103_129:                            ;   in Loop: Header=BB103_34 Depth=1
	s_or_b64 exec, exec, s[24:25]
	s_andn2_b64 s[10:11], s[16:17], exec
	s_and_b64 s[16:17], s[18:19], exec
	s_or_b64 s[16:17], s[10:11], s[16:17]
.LBB103_130:                            ;   in Loop: Header=BB103_34 Depth=1
	s_or_b64 exec, exec, s[6:7]
	s_mov_b64 s[6:7], 0
	s_mov_b64 s[10:11], -1
.LBB103_131:                            ;   in Loop: Header=BB103_34 Depth=1
	s_orn2_b64 s[16:17], s[16:17], exec
.LBB103_132:                            ;   in Loop: Header=BB103_34 Depth=1
	s_or_b64 exec, exec, s[14:15]
	s_andn2_b64 s[14:15], s[92:93], exec
	s_and_b64 s[10:11], s[10:11], exec
	s_or_b64 s[92:93], s[14:15], s[10:11]
	s_andn2_b64 s[10:11], s[90:91], exec
	s_and_b64 s[6:7], s[6:7], exec
	s_andn2_b64 s[94:95], s[94:95], exec
	s_or_b64 s[90:91], s[10:11], s[6:7]
                                        ; implicit-def: $vgpr14_vgpr15
	s_and_saveexec_b64 s[14:15], s[16:17]
	s_cbranch_execz .LBB103_33
; %bb.133:                              ;   in Loop: Header=BB103_34 Depth=1
	s_xor_b64 s[6:7], s[8:9], -1
	v_mov_b32_e32 v2, 1
	s_mov_b64 s[8:9], 0
	v_mov_b64_e32 v[14:15], 1
	s_and_saveexec_b64 s[0:1], s[6:7]
	s_cbranch_execz .LBB103_142
; %bb.134:                              ;   in Loop: Header=BB103_34 Depth=1
	v_cmp_le_u64_e32 vcc, v[38:39], v[10:11]
	s_and_saveexec_b64 s[6:7], vcc
	s_xor_b64 s[6:7], exec, s[6:7]
	s_cbranch_execz .LBB103_139
; %bb.135:                              ;   in Loop: Header=BB103_34 Depth=1
	ds_read_b64 v[6:7], v3 offset:5120
	v_and_b32_e32 v33, s23, v33
	v_and_b32_e32 v32, s22, v32
	v_or_b32_e32 v37, s13, v37
	v_or_b32_e32 v36, s12, v36
	s_waitcnt lgkmcnt(0)
	v_cmp_ne_u64_e32 vcc, 0, v[6:7]
	s_cbranch_vccnz .LBB103_139
; %bb.136:                              ;   in Loop: Header=BB103_34 Depth=1
	s_mov_b64 s[8:9], exec
	v_readlane_b32 s10, v74, 6
	v_readlane_b32 s11, v74, 7
	s_and_b64 s[10:11], s[8:9], s[10:11]
	s_mov_b64 exec, s[10:11]
; %bb.137:                              ;   in Loop: Header=BB103_34 Depth=1
	ds_write_b64 v3, v[10:11] offset:5128
; %bb.138:                              ;   in Loop: Header=BB103_34 Depth=1
	s_or_b64 exec, exec, s[8:9]
	s_waitcnt lgkmcnt(0)
	s_barrier
.LBB103_139:                            ;   in Loop: Header=BB103_34 Depth=1
	s_or_saveexec_b64 s[6:7], s[6:7]
	s_mov_b64 s[8:9], 0
	v_mov_b32_e32 v2, 8
	s_xor_b64 exec, exec, s[6:7]
; %bb.140:                              ;   in Loop: Header=BB103_34 Depth=1
	v_sub_co_u32_e32 v38, vcc, v38, v10
	s_mov_b64 s[8:9], exec
	s_nop 0
	v_subb_co_u32_e32 v39, vcc, v39, v11, vcc
	v_mov_b32_e32 v2, 0
; %bb.141:                              ;   in Loop: Header=BB103_34 Depth=1
	s_or_b64 exec, exec, s[6:7]
	s_and_b64 s[8:9], s[8:9], exec
	v_mov_b64_e32 v[14:15], v[38:39]
.LBB103_142:                            ;   in Loop: Header=BB103_34 Depth=1
	s_or_b64 exec, exec, s[0:1]
	s_mov_b64 s[16:17], -1
	s_mov_b64 s[6:7], -1
                                        ; implicit-def: $sgpr0_sgpr1
                                        ; implicit-def: $sgpr24_sgpr25
	s_and_saveexec_b64 s[10:11], s[8:9]
	s_xor_b64 s[18:19], exec, s[10:11]
	s_cbranch_execz .LBB103_287
; %bb.143:                              ;   in Loop: Header=BB103_34 Depth=1
	v_cmp_eq_u64_e32 vcc, 1, v[12:13]
	v_cmp_eq_u64_e64 s[0:1], 1, v[14:15]
	s_and_b64 s[8:9], vcc, s[0:1]
                                        ; implicit-def: $sgpr24_sgpr25
                                        ; implicit-def: $sgpr0_sgpr1
	s_and_saveexec_b64 s[26:27], s[8:9]
	s_cbranch_execz .LBB103_180
; %bb.144:                              ;   in Loop: Header=BB103_34 Depth=1
	ds_read_b64 v[6:7], v3 offset:5120
	s_waitcnt lgkmcnt(0)
	s_barrier
	v_readfirstlane_b32 s10, v6
	v_readfirstlane_b32 s11, v7
	s_mov_b64 s[0:1], exec
	v_readlane_b32 s6, v74, 14
	v_readlane_b32 s7, v74, 15
	s_and_b64 s[6:7], s[0:1], s[6:7]
	s_mov_b64 exec, s[6:7]
; %bb.145:                              ;   in Loop: Header=BB103_34 Depth=1
	ds_write_b64 v56, v[64:65]
; %bb.146:                              ;   in Loop: Header=BB103_34 Depth=1
	s_or_b64 exec, exec, s[0:1]
	s_lshl_b64 s[0:1], 1, s87
	v_and_b32_e32 v5, s23, v33
	v_and_b32_e32 v6, s22, v32
	v_or_b32_e32 v33, s1, v5
	v_or_b32_e32 v32, s0, v6
	;; [unrolled: 1-line block ×4, first 2 shown]
	s_mov_b64 s[0:1], -1
	s_mov_b64 s[24:25], 0
	s_cmp_eq_u64 s[10:11], 0
	s_mov_b64 s[6:7], 0
	s_mov_b64 s[28:29], -1
	s_waitcnt lgkmcnt(0)
	s_barrier
                                        ; implicit-def: $vgpr8_vgpr9
	s_cbranch_scc1 .LBB103_165
; %bb.147:                              ;   in Loop: Header=BB103_34 Depth=1
	v_readlane_b32 s6, v74, 20
	s_add_u32 s34, s10, s6
	v_readlane_b32 s6, v74, 22
	s_addc_u32 s7, s11, s6
	s_mov_b32 s6, s79
	s_cmp_lg_u64 s[6:7], 0
	s_cbranch_scc0 .LBB103_207
; %bb.148:                              ;   in Loop: Header=BB103_34 Depth=1
	v_cvt_f32_u32_e32 v5, s72
	s_sub_u32 s6, 0, s72
	s_subb_u32 s30, 0, 0
	v_fmac_f32_e32 v5, 0, v61
	v_rcp_f32_e32 v5, v5
	s_nop 0
	v_mul_f32_e32 v5, 0x5f7ffffc, v5
	v_mul_f32_e32 v6, 0x2f800000, v5
	v_trunc_f32_e32 v6, v6
	v_fmac_f32_e32 v5, 0xcf800000, v6
	v_cvt_u32_f32_e32 v6, v6
	v_cvt_u32_f32_e32 v5, v5
	v_readfirstlane_b32 s31, v6
	v_readfirstlane_b32 s28, v5
	s_mul_i32 s29, s6, s31
	s_mul_hi_u32 s36, s6, s28
	s_mul_i32 s35, s30, s28
	s_add_i32 s29, s36, s29
	s_mul_i32 s37, s6, s28
	s_add_i32 s29, s29, s35
	s_mul_hi_u32 s36, s28, s37
	s_mul_i32 s38, s28, s29
	s_mul_hi_u32 s35, s28, s29
	s_add_u32 s36, s36, s38
	s_addc_u32 s35, 0, s35
	s_mul_hi_u32 s39, s31, s37
	s_mul_i32 s37, s31, s37
	s_add_u32 s36, s36, s37
	s_mul_hi_u32 s38, s31, s29
	s_addc_u32 s35, s35, s39
	s_addc_u32 s36, s38, 0
	s_mul_i32 s29, s31, s29
	s_add_u32 s29, s35, s29
	s_addc_u32 s35, 0, s36
	s_add_u32 s36, s28, s29
	s_cselect_b64 s[28:29], -1, 0
	s_cmp_lg_u64 s[28:29], 0
	s_addc_u32 s31, s31, s35
	s_mul_i32 s28, s6, s31
	s_mul_hi_u32 s29, s6, s36
	s_add_i32 s28, s29, s28
	s_mul_i32 s30, s30, s36
	s_add_i32 s28, s28, s30
	s_mul_i32 s6, s6, s36
	s_mul_hi_u32 s30, s31, s6
	s_mul_i32 s35, s31, s6
	s_mul_i32 s38, s36, s28
	s_mul_hi_u32 s6, s36, s6
	s_mul_hi_u32 s37, s36, s28
	s_add_u32 s6, s6, s38
	s_addc_u32 s37, 0, s37
	s_add_u32 s6, s6, s35
	s_mul_hi_u32 s29, s31, s28
	s_addc_u32 s6, s37, s30
	s_addc_u32 s29, s29, 0
	s_mul_i32 s28, s31, s28
	s_add_u32 s6, s6, s28
	s_addc_u32 s30, 0, s29
	s_add_u32 s6, s36, s6
	s_cselect_b64 s[28:29], -1, 0
	s_cmp_lg_u64 s[28:29], 0
	s_addc_u32 s28, s31, s30
	s_mul_i32 s30, s34, s28
	s_mul_hi_u32 s31, s34, s6
	s_mul_hi_u32 s29, s34, s28
	s_add_u32 s30, s31, s30
	s_addc_u32 s29, 0, s29
	s_mul_hi_u32 s35, s7, s6
	s_mul_i32 s6, s7, s6
	s_add_u32 s6, s30, s6
	s_mul_hi_u32 s31, s7, s28
	s_addc_u32 s6, s29, s35
	s_addc_u32 s29, s31, 0
	s_mul_i32 s28, s7, s28
	s_add_u32 s6, s6, s28
	s_addc_u32 s28, 0, s29
	s_mul_i32 s28, s72, s28
	s_mul_hi_u32 s29, s72, s6
	s_add_i32 s30, s29, s28
	s_mul_i32 s6, s72, s6
	s_sub_u32 s6, s34, s6
	s_cselect_b64 s[28:29], -1, 0
	s_cmp_lg_u64 s[28:29], 0
	s_subb_u32 s30, s7, s30
	s_sub_u32 s31, s6, s72
	s_cselect_b64 s[28:29], -1, 0
	s_cmp_lg_u64 s[28:29], 0
	s_subb_u32 s35, s30, 0
	;; [unrolled: 4-line block ×3, first 2 shown]
	s_cmp_ge_u32 s31, s72
	s_cselect_b32 s29, -1, 0
	s_cmp_eq_u32 s35, 0
	s_cselect_b32 s29, s29, -1
	s_cmp_lg_u32 s29, 0
	s_cselect_b32 s28, s28, s35
	s_cselect_b32 s31, s36, s31
	s_cmp_ge_u32 s6, s72
	s_cselect_b32 s29, -1, 0
	s_cmp_eq_u32 s30, 0
	s_cselect_b32 s29, s29, -1
	s_cmp_lg_u32 s29, 0
	s_cselect_b32 s29, s28, s30
	s_cselect_b32 s28, s31, s6
	s_cbranch_execnz .LBB103_150
.LBB103_149:                            ;   in Loop: Header=BB103_34 Depth=1
	v_cvt_f32_u32_e32 v5, s72
	s_sub_i32 s6, 0, s72
	v_rcp_iflag_f32_e32 v5, v5
	s_nop 0
	v_mul_f32_e32 v5, 0x4f7ffffe, v5
	v_cvt_u32_f32_e32 v5, v5
	s_nop 0
	v_readfirstlane_b32 s28, v5
	s_mul_i32 s6, s6, s28
	s_mul_hi_u32 s6, s28, s6
	s_add_i32 s28, s28, s6
	s_mul_hi_u32 s6, s34, s28
	s_mul_i32 s6, s6, s72
	s_sub_i32 s6, s34, s6
	s_sub_i32 s28, s6, s72
	s_cmp_ge_u32 s6, s72
	s_cselect_b32 s6, s28, s6
	s_sub_i32 s28, s6, s72
	s_cmp_ge_u32 s6, s72
	s_cselect_b32 s78, s28, s6
	s_mov_b64 s[28:29], s[78:79]
.LBB103_150:                            ;   in Loop: Header=BB103_34 Depth=1
	s_sub_u32 s34, s34, s28
	s_subb_u32 s35, s7, s29
	v_cmp_gt_u64_e32 vcc, s[34:35], v[0:1]
	s_mov_b64 s[28:29], 0
	s_mov_b64 s[6:7], 0
                                        ; implicit-def: $vgpr8_vgpr9
	s_and_saveexec_b64 s[30:31], vcc
	s_cbranch_execz .LBB103_164
; %bb.151:                              ;   in Loop: Header=BB103_34 Depth=1
	v_mov_b32_e32 v16, v55
	v_mov_b64_e32 v[10:11], v[0:1]
                                        ; implicit-def: $sgpr36_sgpr37
	s_branch .LBB103_154
.LBB103_152:                            ;   in Loop: Header=BB103_154 Depth=2
	s_or_b64 exec, exec, s[38:39]
	s_waitcnt lgkmcnt(0)
	s_barrier
	ds_read_b128 v[6:9], v3 offset:3072
	s_mov_b64 s[38:39], -1
	s_mov_b64 s[40:41], -1
	s_waitcnt lgkmcnt(0)
	s_barrier
	v_cmp_ne_u64_e32 vcc, 0, v[6:7]
	s_cbranch_vccz .LBB103_157
.LBB103_153:                            ;   in Loop: Header=BB103_154 Depth=2
	s_and_b64 s[38:39], exec, s[38:39]
	s_or_b64 s[6:7], s[38:39], s[6:7]
	s_andn2_b64 s[36:37], s[36:37], exec
	s_and_b64 s[38:39], s[40:41], exec
	s_or_b64 s[36:37], s[36:37], s[38:39]
	s_andn2_b64 exec, exec, s[6:7]
	s_cbranch_execz .LBB103_163
.LBB103_154:                            ;   Parent Loop BB103_34 Depth=1
                                        ; =>  This Inner Loop Header: Depth=2
	v_cmp_gt_u64_e32 vcc, s[10:11], v[10:11]
	s_and_saveexec_b64 s[38:39], vcc
	s_cbranch_execz .LBB103_152
; %bb.155:                              ;   in Loop: Header=BB103_154 Depth=2
	ds_read_b64 v[6:7], v16
	s_waitcnt lgkmcnt(0)
	v_xor_b32_e32 v5, 0x80000000, v7
	v_and_b32_e32 v9, v5, v37
	v_and_b32_e32 v8, v6, v36
	v_cmp_eq_u64_e32 vcc, v[8:9], v[32:33]
	s_and_b64 exec, exec, vcc
	s_cbranch_execz .LBB103_152
; %bb.156:                              ;   in Loop: Header=BB103_154 Depth=2
	v_mov_b32_e32 v5, v3
	ds_write_b128 v3, v[4:7] offset:3072
	s_branch .LBB103_152
.LBB103_157:                            ;   in Loop: Header=BB103_154 Depth=2
	v_lshl_add_u64 v[10:11], v[10:11], 0, s[72:73]
	v_cmp_le_u64_e32 vcc, s[34:35], v[10:11]
	v_add_u32_e32 v16, s86, v16
	s_mov_b64 s[40:41], 0
	s_orn2_b64 s[38:39], vcc, exec
	s_branch .LBB103_153
.LBB103_158:                            ;   in Loop: Header=BB103_34 Depth=1
                                        ; implicit-def: $sgpr24_sgpr25
	s_branch .LBB103_106
.LBB103_159:                            ;   in Loop: Header=BB103_34 Depth=1
	s_or_b64 exec, exec, s[8:9]
	s_waitcnt lgkmcnt(0)
	s_barrier
	s_mov_b64 s[0:1], exec
	v_readlane_b32 s2, v74, 6
	v_readlane_b32 s3, v74, 7
	s_and_b64 s[2:3], s[0:1], s[2:3]
	s_mov_b64 exec, s[2:3]
	s_cbranch_execz .LBB103_161
; %bb.160:                              ;   in Loop: Header=BB103_34 Depth=1
	ds_read_b32 v6, v3 offset:5144
	s_waitcnt lgkmcnt(0)
	v_ashrrev_i32_e32 v7, 31, v6
	ds_write_b64 v3, v[6:7] offset:5120
.LBB103_161:                            ;   in Loop: Header=BB103_34 Depth=1
	s_or_b64 exec, exec, s[0:1]
	s_waitcnt lgkmcnt(0)
	s_barrier
	s_mov_b64 s[0:1], -1
	s_and_b64 vcc, exec, s[6:7]
	s_cbranch_vccnz .LBB103_50
	s_branch .LBB103_59
.LBB103_162:                            ;   in Loop: Header=BB103_34 Depth=1
                                        ; implicit-def: $sgpr6_sgpr7
	s_branch .LBB103_120
.LBB103_163:                            ;   in Loop: Header=BB103_34 Depth=1
	s_or_b64 exec, exec, s[6:7]
	s_and_b64 s[6:7], s[36:37], exec
.LBB103_164:                            ;   in Loop: Header=BB103_34 Depth=1
	s_or_b64 exec, exec, s[30:31]
.LBB103_165:                            ;   in Loop: Header=BB103_34 Depth=1
	s_and_b64 vcc, exec, s[28:29]
	s_cbranch_vccz .LBB103_179
; %bb.166:                              ;   in Loop: Header=BB103_34 Depth=1
	s_mov_b32 s84, s79
	s_cmp_lg_u64 s[84:85], 0
	s_cbranch_scc0 .LBB103_208
; %bb.167:                              ;   in Loop: Header=BB103_34 Depth=1
	v_cvt_f32_u32_e32 v5, s72
	s_sub_u32 s10, 0, s72
	s_subb_u32 s11, 0, 0
	v_fmac_f32_e32 v5, 0, v61
	v_rcp_f32_e32 v5, v5
	s_nop 0
	v_mul_f32_e32 v5, 0x5f7ffffc, v5
	v_mul_f32_e32 v6, 0x2f800000, v5
	v_trunc_f32_e32 v6, v6
	v_fmac_f32_e32 v5, 0xcf800000, v6
	v_cvt_u32_f32_e32 v6, v6
	v_cvt_u32_f32_e32 v5, v5
	v_readfirstlane_b32 s24, v6
	v_readfirstlane_b32 s0, v5
	s_mul_i32 s1, s10, s24
	s_mul_hi_u32 s28, s10, s0
	s_mul_i32 s25, s11, s0
	s_add_i32 s1, s28, s1
	s_mul_i32 s29, s10, s0
	s_add_i32 s1, s1, s25
	s_mul_hi_u32 s28, s0, s29
	s_mul_i32 s30, s0, s1
	s_mul_hi_u32 s25, s0, s1
	s_add_u32 s28, s28, s30
	s_addc_u32 s25, 0, s25
	s_mul_hi_u32 s31, s24, s29
	s_mul_i32 s29, s24, s29
	s_add_u32 s28, s28, s29
	s_mul_hi_u32 s30, s24, s1
	s_addc_u32 s25, s25, s31
	s_addc_u32 s28, s30, 0
	s_mul_i32 s1, s24, s1
	s_add_u32 s1, s25, s1
	s_addc_u32 s25, 0, s28
	s_add_u32 s28, s0, s1
	s_cselect_b64 s[0:1], -1, 0
	s_cmp_lg_u64 s[0:1], 0
	s_addc_u32 s24, s24, s25
	s_mul_i32 s0, s10, s24
	s_mul_hi_u32 s1, s10, s28
	s_add_i32 s0, s1, s0
	s_mul_i32 s11, s11, s28
	s_add_i32 s0, s0, s11
	s_mul_i32 s10, s10, s28
	s_mul_hi_u32 s11, s24, s10
	s_mul_i32 s25, s24, s10
	s_mul_i32 s30, s28, s0
	s_mul_hi_u32 s10, s28, s10
	s_mul_hi_u32 s29, s28, s0
	s_add_u32 s10, s10, s30
	s_addc_u32 s29, 0, s29
	s_add_u32 s10, s10, s25
	s_mul_hi_u32 s1, s24, s0
	s_addc_u32 s10, s29, s11
	s_addc_u32 s1, s1, 0
	s_mul_i32 s0, s24, s0
	s_add_u32 s0, s10, s0
	s_addc_u32 s10, 0, s1
	s_add_u32 s11, s28, s0
	s_cselect_b64 s[0:1], -1, 0
	s_cmp_lg_u64 s[0:1], 0
	s_addc_u32 s0, s24, s10
	v_readlane_b32 s28, v74, 21
	s_mul_i32 s10, s28, s0
	s_mul_hi_u32 s24, s28, s11
	s_mul_hi_u32 s1, s28, s0
	s_add_u32 s10, s24, s10
	s_addc_u32 s1, 0, s1
	s_mul_hi_u32 s25, s85, s11
	s_mul_i32 s11, s85, s11
	s_add_u32 s10, s10, s11
	s_mul_hi_u32 s24, s85, s0
	s_addc_u32 s1, s1, s25
	s_addc_u32 s10, s24, 0
	s_mul_i32 s0, s85, s0
	s_add_u32 s0, s1, s0
	s_addc_u32 s1, 0, s10
	s_mul_i32 s1, s72, s1
	s_mul_hi_u32 s10, s72, s0
	s_add_i32 s10, s10, s1
	s_mul_i32 s0, s72, s0
	s_sub_u32 s11, s28, s0
	s_cselect_b64 s[0:1], -1, 0
	s_cmp_lg_u64 s[0:1], 0
	s_subb_u32 s10, s85, s10
	s_sub_u32 s24, s11, s72
	s_cselect_b64 s[0:1], -1, 0
	s_cmp_lg_u64 s[0:1], 0
	s_subb_u32 s25, s10, 0
	;; [unrolled: 4-line block ×3, first 2 shown]
	s_cmp_ge_u32 s24, s72
	s_cselect_b32 s1, -1, 0
	s_cmp_eq_u32 s25, 0
	s_cselect_b32 s1, s1, -1
	s_cmp_lg_u32 s1, 0
	s_cselect_b32 s0, s0, s25
	s_cselect_b32 s24, s28, s24
	s_cmp_ge_u32 s11, s72
	s_cselect_b32 s1, -1, 0
	s_cmp_eq_u32 s10, 0
	s_cselect_b32 s1, s1, -1
	s_cmp_lg_u32 s1, 0
	s_cselect_b32 s1, s0, s10
	s_cselect_b32 s0, s24, s11
	s_cbranch_execnz .LBB103_169
.LBB103_168:                            ;   in Loop: Header=BB103_34 Depth=1
	v_cvt_f32_u32_e32 v5, s72
	s_sub_i32 s0, 0, s72
	v_readlane_b32 s10, v74, 21
	v_rcp_iflag_f32_e32 v5, v5
	s_nop 0
	v_mul_f32_e32 v5, 0x4f7ffffe, v5
	v_cvt_u32_f32_e32 v5, v5
	s_nop 0
	v_readfirstlane_b32 s1, v5
	s_mul_i32 s0, s0, s1
	s_mul_hi_u32 s0, s1, s0
	s_add_i32 s1, s1, s0
	s_mul_hi_u32 s0, s10, s1
	s_mul_i32 s0, s0, s72
	s_sub_i32 s0, s10, s0
	s_sub_i32 s1, s0, s72
	s_cmp_ge_u32 s0, s72
	s_cselect_b32 s0, s1, s0
	s_sub_i32 s1, s0, s72
	s_cmp_ge_u32 s0, s72
	s_cselect_b32 s78, s1, s0
	s_mov_b64 s[0:1], s[78:79]
.LBB103_169:                            ;   in Loop: Header=BB103_34 Depth=1
	v_readlane_b32 s10, v74, 21
	s_sub_u32 s10, s10, s0
	s_subb_u32 s11, s85, s1
	v_cmp_gt_u64_e32 vcc, s[10:11], v[0:1]
                                        ; implicit-def: $vgpr8_vgpr9
	s_and_saveexec_b64 s[0:1], vcc
	s_cbranch_execz .LBB103_178
; %bb.170:                              ;   in Loop: Header=BB103_34 Depth=1
	s_mov_b64 s[24:25], 0
	v_mov_b64_e32 v[10:11], v[18:19]
	v_mov_b64_e32 v[16:17], v[0:1]
                                        ; implicit-def: $sgpr28_sgpr29
	s_branch .LBB103_173
.LBB103_171:                            ;   in Loop: Header=BB103_173 Depth=2
	s_or_b64 exec, exec, s[30:31]
	s_waitcnt lgkmcnt(0)
	s_barrier
	ds_read_b128 v[6:9], v3 offset:3072
	s_mov_b64 s[30:31], -1
	s_mov_b64 s[34:35], -1
	s_waitcnt lgkmcnt(0)
	s_barrier
	v_cmp_eq_u64_e32 vcc, 0, v[6:7]
	s_cbranch_vccnz .LBB103_176
.LBB103_172:                            ;   in Loop: Header=BB103_173 Depth=2
	s_and_b64 s[30:31], exec, s[30:31]
	s_or_b64 s[24:25], s[30:31], s[24:25]
	s_andn2_b64 s[28:29], s[28:29], exec
	s_and_b64 s[30:31], s[34:35], exec
	s_or_b64 s[28:29], s[28:29], s[30:31]
	s_andn2_b64 exec, exec, s[24:25]
	s_cbranch_execz .LBB103_177
.LBB103_173:                            ;   Parent Loop BB103_34 Depth=1
                                        ; =>  This Inner Loop Header: Depth=2
	v_cmp_gt_u64_e32 vcc, s[52:53], v[16:17]
	s_and_saveexec_b64 s[30:31], vcc
	s_cbranch_execz .LBB103_171
; %bb.174:                              ;   in Loop: Header=BB103_173 Depth=2
	global_load_dwordx2 v[6:7], v[10:11], off
	s_waitcnt vmcnt(0)
	v_xor_b32_e32 v5, 0x80000000, v7
	v_and_b32_e32 v9, v5, v37
	v_and_b32_e32 v8, v6, v36
	v_cmp_eq_u64_e32 vcc, v[8:9], v[32:33]
	s_and_b64 exec, exec, vcc
	s_cbranch_execz .LBB103_171
; %bb.175:                              ;   in Loop: Header=BB103_173 Depth=2
	v_mov_b32_e32 v5, v3
	ds_write_b128 v3, v[4:7] offset:3072
	s_branch .LBB103_171
.LBB103_176:                            ;   in Loop: Header=BB103_173 Depth=2
	v_lshl_add_u64 v[16:17], v[16:17], 0, s[72:73]
	v_cmp_le_u64_e32 vcc, s[10:11], v[16:17]
	v_lshl_add_u64 v[10:11], v[10:11], 0, s[98:99]
	s_mov_b64 s[34:35], 0
	s_orn2_b64 s[30:31], vcc, exec
	s_branch .LBB103_172
.LBB103_177:                            ;   in Loop: Header=BB103_34 Depth=1
	s_or_b64 exec, exec, s[24:25]
	s_andn2_b64 s[6:7], s[6:7], exec
	s_and_b64 s[10:11], s[28:29], exec
	s_or_b64 s[6:7], s[6:7], s[10:11]
.LBB103_178:                            ;   in Loop: Header=BB103_34 Depth=1
	s_or_b64 exec, exec, s[0:1]
	s_mov_b64 s[0:1], 0
	s_mov_b64 s[24:25], -1
.LBB103_179:                            ;   in Loop: Header=BB103_34 Depth=1
	s_orn2_b64 s[6:7], s[6:7], exec
.LBB103_180:                            ;   in Loop: Header=BB103_34 Depth=1
	s_or_b64 exec, exec, s[26:27]
	s_mov_b64 s[10:11], 0
	s_and_saveexec_b64 s[28:29], s[6:7]
	s_cbranch_execz .LBB103_286
; %bb.181:                              ;   in Loop: Header=BB103_34 Depth=1
	s_xor_b64 s[10:11], s[8:9], -1
	v_mov_b32_e32 v2, 1
	s_mov_b64 s[8:9], 0
	v_mov_b64_e32 v[10:11], 1
	s_and_saveexec_b64 s[6:7], s[10:11]
	s_cbranch_execz .LBB103_191
; %bb.182:                              ;   in Loop: Header=BB103_34 Depth=1
	v_cmp_le_u64_e32 vcc, v[14:15], v[12:13]
	s_and_saveexec_b64 s[8:9], vcc
	s_xor_b64 s[8:9], exec, s[8:9]
	s_cbranch_execz .LBB103_188
; %bb.183:                              ;   in Loop: Header=BB103_34 Depth=1
	ds_read_b64 v[6:7], v3 offset:5120
	s_lshl_b64 s[10:11], 1, s87
	v_and_b32_e32 v2, s23, v33
	v_and_b32_e32 v5, s22, v32
	v_or_b32_e32 v33, s11, v2
	s_waitcnt lgkmcnt(0)
	v_cmp_ne_u64_e32 vcc, 0, v[6:7]
	v_or_b32_e32 v32, s10, v5
	v_or_b32_e32 v37, s13, v37
	;; [unrolled: 1-line block ×3, first 2 shown]
	s_cbranch_vccnz .LBB103_187
; %bb.184:                              ;   in Loop: Header=BB103_34 Depth=1
	s_mov_b64 s[10:11], exec
	v_readlane_b32 s26, v74, 6
	v_readlane_b32 s27, v74, 7
	s_and_b64 s[26:27], s[10:11], s[26:27]
	s_mov_b64 exec, s[26:27]
; %bb.185:                              ;   in Loop: Header=BB103_34 Depth=1
	ds_write_b64 v3, v[12:13] offset:5128
; %bb.186:                              ;   in Loop: Header=BB103_34 Depth=1
	s_or_b64 exec, exec, s[10:11]
	s_waitcnt lgkmcnt(0)
	s_barrier
.LBB103_187:                            ;   in Loop: Header=BB103_34 Depth=1
                                        ; implicit-def: $vgpr10_vgpr11_vgpr12_vgpr13
.LBB103_188:                            ;   in Loop: Header=BB103_34 Depth=1
	s_or_saveexec_b64 s[8:9], s[8:9]
	s_mov_b64 s[10:11], 0
	v_mov_b32_e32 v2, 8
	s_xor_b64 exec, exec, s[8:9]
; %bb.189:                              ;   in Loop: Header=BB103_34 Depth=1
	v_sub_co_u32_e32 v14, vcc, v14, v12
	s_mov_b64 s[10:11], exec
	s_nop 0
	v_subb_co_u32_e32 v15, vcc, v15, v13, vcc
	v_mov_b32_e32 v2, 0
; %bb.190:                              ;   in Loop: Header=BB103_34 Depth=1
	s_or_b64 exec, exec, s[8:9]
	s_and_b64 s[8:9], s[10:11], exec
	v_mov_b64_e32 v[10:11], v[14:15]
.LBB103_191:                            ;   in Loop: Header=BB103_34 Depth=1
	s_or_b64 exec, exec, s[6:7]
	s_mov_b64 s[6:7], -1
                                        ; implicit-def: $sgpr34_sgpr35
                                        ; implicit-def: $sgpr36_sgpr37
	s_and_saveexec_b64 s[30:31], s[8:9]
	s_cbranch_execz .LBB103_285
; %bb.192:                              ;   in Loop: Header=BB103_34 Depth=1
	s_cmp_eq_u64 s[20:21], 1
	s_cselect_b64 s[6:7], -1, 0
	v_cmp_eq_u64_e32 vcc, 1, v[10:11]
	s_and_b64 s[8:9], s[6:7], vcc
	s_mov_b64 s[6:7], -1
                                        ; implicit-def: $sgpr36_sgpr37
                                        ; implicit-def: $sgpr34_sgpr35
	s_and_saveexec_b64 s[26:27], s[8:9]
	s_cbranch_execz .LBB103_226
; %bb.193:                              ;   in Loop: Header=BB103_34 Depth=1
	ds_read_b64 v[6:7], v3 offset:5120
	s_waitcnt lgkmcnt(0)
	s_barrier
	v_readfirstlane_b32 s10, v6
	v_readfirstlane_b32 s11, v7
	s_mov_b64 s[6:7], exec
	v_readlane_b32 s34, v74, 14
	v_readlane_b32 s35, v74, 15
	s_and_b64 s[34:35], s[6:7], s[34:35]
	s_mov_b64 exec, s[34:35]
; %bb.194:                              ;   in Loop: Header=BB103_34 Depth=1
	ds_write_b64 v56, v[64:65]
; %bb.195:                              ;   in Loop: Header=BB103_34 Depth=1
	s_or_b64 exec, exec, s[6:7]
	s_lshl_b64 s[6:7], 2, s87
	v_and_b32_e32 v5, s23, v33
	v_and_b32_e32 v6, s22, v32
	v_or_b32_e32 v33, s7, v5
	v_or_b32_e32 v32, s6, v6
	;; [unrolled: 1-line block ×4, first 2 shown]
	s_mov_b64 s[34:35], -1
	s_mov_b64 s[36:37], 0
	s_cmp_eq_u64 s[10:11], 0
	s_mov_b64 s[6:7], 0
	s_mov_b64 s[38:39], -1
	s_waitcnt lgkmcnt(0)
	s_barrier
                                        ; implicit-def: $vgpr8_vgpr9
	s_cbranch_scc1 .LBB103_211
; %bb.196:                              ;   in Loop: Header=BB103_34 Depth=1
	v_readlane_b32 s6, v74, 20
	s_add_u32 s42, s10, s6
	v_readlane_b32 s6, v74, 22
	s_addc_u32 s7, s11, s6
	s_mov_b32 s6, s79
	s_cmp_lg_u64 s[6:7], 0
	s_cbranch_scc0 .LBB103_252
; %bb.197:                              ;   in Loop: Header=BB103_34 Depth=1
	v_cvt_f32_u32_e32 v5, s72
	s_sub_u32 s6, 0, s72
	s_subb_u32 s40, 0, 0
	v_fmac_f32_e32 v5, 0, v61
	v_rcp_f32_e32 v5, v5
	s_nop 0
	v_mul_f32_e32 v5, 0x5f7ffffc, v5
	v_mul_f32_e32 v6, 0x2f800000, v5
	v_trunc_f32_e32 v6, v6
	v_fmac_f32_e32 v5, 0xcf800000, v6
	v_cvt_u32_f32_e32 v6, v6
	v_cvt_u32_f32_e32 v5, v5
	v_readfirstlane_b32 s41, v6
	v_readfirstlane_b32 s38, v5
	s_mul_i32 s39, s6, s41
	s_mul_hi_u32 s44, s6, s38
	s_mul_i32 s43, s40, s38
	s_add_i32 s39, s44, s39
	s_mul_i32 s45, s6, s38
	s_add_i32 s39, s39, s43
	s_mul_hi_u32 s44, s38, s45
	s_mul_i32 s46, s38, s39
	s_mul_hi_u32 s43, s38, s39
	s_add_u32 s44, s44, s46
	s_addc_u32 s43, 0, s43
	s_mul_hi_u32 s47, s41, s45
	s_mul_i32 s45, s41, s45
	s_add_u32 s44, s44, s45
	s_mul_hi_u32 s46, s41, s39
	s_addc_u32 s43, s43, s47
	s_addc_u32 s44, s46, 0
	s_mul_i32 s39, s41, s39
	s_add_u32 s39, s43, s39
	s_addc_u32 s43, 0, s44
	s_add_u32 s44, s38, s39
	s_cselect_b64 s[38:39], -1, 0
	s_cmp_lg_u64 s[38:39], 0
	s_addc_u32 s41, s41, s43
	s_mul_i32 s38, s6, s41
	s_mul_hi_u32 s39, s6, s44
	s_add_i32 s38, s39, s38
	s_mul_i32 s40, s40, s44
	s_add_i32 s38, s38, s40
	s_mul_i32 s6, s6, s44
	s_mul_hi_u32 s40, s41, s6
	s_mul_i32 s43, s41, s6
	s_mul_i32 s46, s44, s38
	s_mul_hi_u32 s6, s44, s6
	s_mul_hi_u32 s45, s44, s38
	s_add_u32 s6, s6, s46
	s_addc_u32 s45, 0, s45
	s_add_u32 s6, s6, s43
	s_mul_hi_u32 s39, s41, s38
	s_addc_u32 s6, s45, s40
	s_addc_u32 s39, s39, 0
	s_mul_i32 s38, s41, s38
	s_add_u32 s6, s6, s38
	s_addc_u32 s40, 0, s39
	s_add_u32 s6, s44, s6
	s_cselect_b64 s[38:39], -1, 0
	s_cmp_lg_u64 s[38:39], 0
	s_addc_u32 s38, s41, s40
	s_mul_i32 s40, s42, s38
	s_mul_hi_u32 s41, s42, s6
	s_mul_hi_u32 s39, s42, s38
	s_add_u32 s40, s41, s40
	s_addc_u32 s39, 0, s39
	s_mul_hi_u32 s43, s7, s6
	s_mul_i32 s6, s7, s6
	s_add_u32 s6, s40, s6
	s_mul_hi_u32 s41, s7, s38
	s_addc_u32 s6, s39, s43
	s_addc_u32 s39, s41, 0
	s_mul_i32 s38, s7, s38
	s_add_u32 s6, s6, s38
	s_addc_u32 s38, 0, s39
	s_mul_i32 s38, s72, s38
	s_mul_hi_u32 s39, s72, s6
	s_add_i32 s40, s39, s38
	s_mul_i32 s6, s72, s6
	s_sub_u32 s6, s42, s6
	s_cselect_b64 s[38:39], -1, 0
	s_cmp_lg_u64 s[38:39], 0
	s_subb_u32 s40, s7, s40
	s_sub_u32 s41, s6, s72
	s_cselect_b64 s[38:39], -1, 0
	s_cmp_lg_u64 s[38:39], 0
	s_subb_u32 s43, s40, 0
	;; [unrolled: 4-line block ×3, first 2 shown]
	s_cmp_ge_u32 s41, s72
	s_cselect_b32 s39, -1, 0
	s_cmp_eq_u32 s43, 0
	s_cselect_b32 s39, s39, -1
	s_cmp_lg_u32 s39, 0
	s_cselect_b32 s38, s38, s43
	s_cselect_b32 s41, s44, s41
	s_cmp_ge_u32 s6, s72
	s_cselect_b32 s39, -1, 0
	s_cmp_eq_u32 s40, 0
	s_cselect_b32 s39, s39, -1
	s_cmp_lg_u32 s39, 0
	s_cselect_b32 s39, s38, s40
	s_cselect_b32 s38, s41, s6
	s_cbranch_execnz .LBB103_199
.LBB103_198:                            ;   in Loop: Header=BB103_34 Depth=1
	v_cvt_f32_u32_e32 v5, s72
	s_sub_i32 s6, 0, s72
	v_rcp_iflag_f32_e32 v5, v5
	s_nop 0
	v_mul_f32_e32 v5, 0x4f7ffffe, v5
	v_cvt_u32_f32_e32 v5, v5
	s_nop 0
	v_readfirstlane_b32 s38, v5
	s_mul_i32 s6, s6, s38
	s_mul_hi_u32 s6, s38, s6
	s_add_i32 s38, s38, s6
	s_mul_hi_u32 s6, s42, s38
	s_mul_i32 s6, s6, s72
	s_sub_i32 s6, s42, s6
	s_sub_i32 s38, s6, s72
	s_cmp_ge_u32 s6, s72
	s_cselect_b32 s6, s38, s6
	s_sub_i32 s38, s6, s72
	s_cmp_ge_u32 s6, s72
	s_cselect_b32 s78, s38, s6
	s_mov_b64 s[38:39], s[78:79]
.LBB103_199:                            ;   in Loop: Header=BB103_34 Depth=1
	s_sub_u32 s42, s42, s38
	s_subb_u32 s43, s7, s39
	v_cmp_gt_u64_e32 vcc, s[42:43], v[0:1]
	s_mov_b64 s[38:39], 0
	s_mov_b64 s[6:7], 0
                                        ; implicit-def: $vgpr8_vgpr9
	s_and_saveexec_b64 s[40:41], vcc
	s_cbranch_execz .LBB103_210
; %bb.200:                              ;   in Loop: Header=BB103_34 Depth=1
	v_mov_b32_e32 v14, v55
	v_mov_b64_e32 v[12:13], v[0:1]
                                        ; implicit-def: $sgpr44_sgpr45
	s_branch .LBB103_203
.LBB103_201:                            ;   in Loop: Header=BB103_203 Depth=2
	s_or_b64 exec, exec, s[46:47]
	s_waitcnt lgkmcnt(0)
	s_barrier
	ds_read_b128 v[6:9], v3 offset:3072
	s_mov_b64 s[46:47], -1
	s_mov_b64 s[48:49], -1
	s_waitcnt lgkmcnt(0)
	s_barrier
	v_cmp_ne_u64_e32 vcc, 0, v[6:7]
	s_cbranch_vccz .LBB103_206
.LBB103_202:                            ;   in Loop: Header=BB103_203 Depth=2
	s_and_b64 s[46:47], exec, s[46:47]
	s_or_b64 s[6:7], s[46:47], s[6:7]
	s_andn2_b64 s[44:45], s[44:45], exec
	s_and_b64 s[46:47], s[48:49], exec
	s_or_b64 s[44:45], s[44:45], s[46:47]
	s_andn2_b64 exec, exec, s[6:7]
	s_cbranch_execz .LBB103_209
.LBB103_203:                            ;   Parent Loop BB103_34 Depth=1
                                        ; =>  This Inner Loop Header: Depth=2
	v_cmp_gt_u64_e32 vcc, s[10:11], v[12:13]
	s_and_saveexec_b64 s[46:47], vcc
	s_cbranch_execz .LBB103_201
; %bb.204:                              ;   in Loop: Header=BB103_203 Depth=2
	ds_read_b64 v[6:7], v14
	s_waitcnt lgkmcnt(0)
	v_xor_b32_e32 v5, 0x80000000, v7
	v_and_b32_e32 v9, v5, v37
	v_and_b32_e32 v8, v6, v36
	v_cmp_eq_u64_e32 vcc, v[8:9], v[32:33]
	s_and_b64 exec, exec, vcc
	s_cbranch_execz .LBB103_201
; %bb.205:                              ;   in Loop: Header=BB103_203 Depth=2
	v_mov_b32_e32 v5, v3
	ds_write_b128 v3, v[4:7] offset:3072
	s_branch .LBB103_201
.LBB103_206:                            ;   in Loop: Header=BB103_203 Depth=2
	v_lshl_add_u64 v[12:13], v[12:13], 0, s[72:73]
	v_cmp_le_u64_e32 vcc, s[42:43], v[12:13]
	v_add_u32_e32 v14, s86, v14
	s_mov_b64 s[48:49], 0
	s_orn2_b64 s[46:47], vcc, exec
	s_branch .LBB103_202
.LBB103_207:                            ;   in Loop: Header=BB103_34 Depth=1
                                        ; implicit-def: $sgpr28_sgpr29
	s_branch .LBB103_149
.LBB103_208:                            ;   in Loop: Header=BB103_34 Depth=1
                                        ; implicit-def: $sgpr0_sgpr1
	s_branch .LBB103_168
.LBB103_209:                            ;   in Loop: Header=BB103_34 Depth=1
	s_or_b64 exec, exec, s[6:7]
	s_and_b64 s[6:7], s[44:45], exec
.LBB103_210:                            ;   in Loop: Header=BB103_34 Depth=1
	s_or_b64 exec, exec, s[40:41]
.LBB103_211:                            ;   in Loop: Header=BB103_34 Depth=1
	s_and_b64 vcc, exec, s[38:39]
	s_cbranch_vccz .LBB103_225
; %bb.212:                              ;   in Loop: Header=BB103_34 Depth=1
	s_mov_b32 s84, s79
	s_cmp_lg_u64 s[84:85], 0
	s_cbranch_scc0 .LBB103_253
; %bb.213:                              ;   in Loop: Header=BB103_34 Depth=1
	v_cvt_f32_u32_e32 v5, s72
	s_sub_u32 s34, 0, s72
	s_subb_u32 s35, 0, 0
	v_fmac_f32_e32 v5, 0, v61
	v_rcp_f32_e32 v5, v5
	s_nop 0
	v_mul_f32_e32 v5, 0x5f7ffffc, v5
	v_mul_f32_e32 v6, 0x2f800000, v5
	v_trunc_f32_e32 v6, v6
	v_fmac_f32_e32 v5, 0xcf800000, v6
	v_cvt_u32_f32_e32 v6, v6
	v_cvt_u32_f32_e32 v5, v5
	v_readfirstlane_b32 s36, v6
	v_readfirstlane_b32 s10, v5
	s_mul_i32 s11, s34, s36
	s_mul_hi_u32 s38, s34, s10
	s_mul_i32 s37, s35, s10
	s_add_i32 s11, s38, s11
	s_mul_i32 s39, s34, s10
	s_add_i32 s11, s11, s37
	s_mul_hi_u32 s38, s10, s39
	s_mul_i32 s40, s10, s11
	s_mul_hi_u32 s37, s10, s11
	s_add_u32 s38, s38, s40
	s_addc_u32 s37, 0, s37
	s_mul_hi_u32 s41, s36, s39
	s_mul_i32 s39, s36, s39
	s_add_u32 s38, s38, s39
	s_mul_hi_u32 s40, s36, s11
	s_addc_u32 s37, s37, s41
	s_addc_u32 s38, s40, 0
	s_mul_i32 s11, s36, s11
	s_add_u32 s11, s37, s11
	s_addc_u32 s37, 0, s38
	s_add_u32 s38, s10, s11
	s_cselect_b64 s[10:11], -1, 0
	s_cmp_lg_u64 s[10:11], 0
	s_addc_u32 s36, s36, s37
	s_mul_i32 s10, s34, s36
	s_mul_hi_u32 s11, s34, s38
	s_add_i32 s10, s11, s10
	s_mul_i32 s35, s35, s38
	s_add_i32 s10, s10, s35
	s_mul_i32 s34, s34, s38
	s_mul_hi_u32 s35, s36, s34
	s_mul_i32 s37, s36, s34
	s_mul_i32 s40, s38, s10
	s_mul_hi_u32 s34, s38, s34
	s_mul_hi_u32 s39, s38, s10
	s_add_u32 s34, s34, s40
	s_addc_u32 s39, 0, s39
	s_add_u32 s34, s34, s37
	s_mul_hi_u32 s11, s36, s10
	s_addc_u32 s34, s39, s35
	s_addc_u32 s11, s11, 0
	s_mul_i32 s10, s36, s10
	s_add_u32 s10, s34, s10
	s_addc_u32 s34, 0, s11
	s_add_u32 s35, s38, s10
	s_cselect_b64 s[10:11], -1, 0
	s_cmp_lg_u64 s[10:11], 0
	s_addc_u32 s10, s36, s34
	v_readlane_b32 s38, v74, 21
	s_mul_i32 s34, s38, s10
	s_mul_hi_u32 s36, s38, s35
	s_mul_hi_u32 s11, s38, s10
	s_add_u32 s34, s36, s34
	s_addc_u32 s11, 0, s11
	s_mul_hi_u32 s37, s85, s35
	s_mul_i32 s35, s85, s35
	s_add_u32 s34, s34, s35
	s_mul_hi_u32 s36, s85, s10
	s_addc_u32 s11, s11, s37
	s_addc_u32 s34, s36, 0
	s_mul_i32 s10, s85, s10
	s_add_u32 s10, s11, s10
	s_addc_u32 s11, 0, s34
	s_mul_i32 s11, s72, s11
	s_mul_hi_u32 s34, s72, s10
	s_add_i32 s34, s34, s11
	s_mul_i32 s10, s72, s10
	s_sub_u32 s35, s38, s10
	s_cselect_b64 s[10:11], -1, 0
	s_cmp_lg_u64 s[10:11], 0
	s_subb_u32 s34, s85, s34
	s_sub_u32 s36, s35, s72
	s_cselect_b64 s[10:11], -1, 0
	s_cmp_lg_u64 s[10:11], 0
	s_subb_u32 s37, s34, 0
	;; [unrolled: 4-line block ×3, first 2 shown]
	s_cmp_ge_u32 s36, s72
	s_cselect_b32 s11, -1, 0
	s_cmp_eq_u32 s37, 0
	s_cselect_b32 s11, s11, -1
	s_cmp_lg_u32 s11, 0
	s_cselect_b32 s10, s10, s37
	s_cselect_b32 s36, s38, s36
	s_cmp_ge_u32 s35, s72
	s_cselect_b32 s11, -1, 0
	s_cmp_eq_u32 s34, 0
	s_cselect_b32 s11, s11, -1
	s_cmp_lg_u32 s11, 0
	s_cselect_b32 s11, s10, s34
	s_cselect_b32 s10, s36, s35
	s_cbranch_execnz .LBB103_215
.LBB103_214:                            ;   in Loop: Header=BB103_34 Depth=1
	v_cvt_f32_u32_e32 v5, s72
	s_sub_i32 s10, 0, s72
	v_readlane_b32 s34, v74, 21
	v_rcp_iflag_f32_e32 v5, v5
	s_nop 0
	v_mul_f32_e32 v5, 0x4f7ffffe, v5
	v_cvt_u32_f32_e32 v5, v5
	s_nop 0
	v_readfirstlane_b32 s11, v5
	s_mul_i32 s10, s10, s11
	s_mul_hi_u32 s10, s11, s10
	s_add_i32 s11, s11, s10
	s_mul_hi_u32 s10, s34, s11
	s_mul_i32 s10, s10, s72
	s_sub_i32 s10, s34, s10
	s_sub_i32 s11, s10, s72
	s_cmp_ge_u32 s10, s72
	s_cselect_b32 s10, s11, s10
	s_sub_i32 s11, s10, s72
	s_cmp_ge_u32 s10, s72
	s_cselect_b32 s78, s11, s10
	s_mov_b64 s[10:11], s[78:79]
.LBB103_215:                            ;   in Loop: Header=BB103_34 Depth=1
	v_readlane_b32 s34, v74, 21
	s_sub_u32 s34, s34, s10
	s_subb_u32 s35, s85, s11
	v_cmp_gt_u64_e32 vcc, s[34:35], v[0:1]
                                        ; implicit-def: $vgpr8_vgpr9
	s_and_saveexec_b64 s[10:11], vcc
	s_cbranch_execz .LBB103_224
; %bb.216:                              ;   in Loop: Header=BB103_34 Depth=1
	s_mov_b64 s[36:37], 0
	v_mov_b64_e32 v[12:13], v[18:19]
	v_mov_b64_e32 v[14:15], v[0:1]
                                        ; implicit-def: $sgpr38_sgpr39
	s_branch .LBB103_219
.LBB103_217:                            ;   in Loop: Header=BB103_219 Depth=2
	s_or_b64 exec, exec, s[40:41]
	s_waitcnt lgkmcnt(0)
	s_barrier
	ds_read_b128 v[6:9], v3 offset:3072
	s_mov_b64 s[40:41], -1
	s_mov_b64 s[42:43], -1
	s_waitcnt lgkmcnt(0)
	s_barrier
	v_cmp_eq_u64_e32 vcc, 0, v[6:7]
	s_cbranch_vccnz .LBB103_222
.LBB103_218:                            ;   in Loop: Header=BB103_219 Depth=2
	s_and_b64 s[40:41], exec, s[40:41]
	s_or_b64 s[36:37], s[40:41], s[36:37]
	s_andn2_b64 s[38:39], s[38:39], exec
	s_and_b64 s[40:41], s[42:43], exec
	s_or_b64 s[38:39], s[38:39], s[40:41]
	s_andn2_b64 exec, exec, s[36:37]
	s_cbranch_execz .LBB103_223
.LBB103_219:                            ;   Parent Loop BB103_34 Depth=1
                                        ; =>  This Inner Loop Header: Depth=2
	v_cmp_gt_u64_e32 vcc, s[52:53], v[14:15]
	s_and_saveexec_b64 s[40:41], vcc
	s_cbranch_execz .LBB103_217
; %bb.220:                              ;   in Loop: Header=BB103_219 Depth=2
	global_load_dwordx2 v[6:7], v[12:13], off
	s_waitcnt vmcnt(0)
	v_xor_b32_e32 v5, 0x80000000, v7
	v_and_b32_e32 v9, v5, v37
	v_and_b32_e32 v8, v6, v36
	v_cmp_eq_u64_e32 vcc, v[8:9], v[32:33]
	s_and_b64 exec, exec, vcc
	s_cbranch_execz .LBB103_217
; %bb.221:                              ;   in Loop: Header=BB103_219 Depth=2
	v_mov_b32_e32 v5, v3
	ds_write_b128 v3, v[4:7] offset:3072
	s_branch .LBB103_217
.LBB103_222:                            ;   in Loop: Header=BB103_219 Depth=2
	v_lshl_add_u64 v[14:15], v[14:15], 0, s[72:73]
	v_cmp_le_u64_e32 vcc, s[34:35], v[14:15]
	v_lshl_add_u64 v[12:13], v[12:13], 0, s[98:99]
	s_mov_b64 s[42:43], 0
	s_orn2_b64 s[40:41], vcc, exec
	s_branch .LBB103_218
.LBB103_223:                            ;   in Loop: Header=BB103_34 Depth=1
	s_or_b64 exec, exec, s[36:37]
	s_andn2_b64 s[6:7], s[6:7], exec
	s_and_b64 s[34:35], s[38:39], exec
	s_or_b64 s[6:7], s[6:7], s[34:35]
.LBB103_224:                            ;   in Loop: Header=BB103_34 Depth=1
	s_or_b64 exec, exec, s[10:11]
	s_mov_b64 s[34:35], 0
	s_mov_b64 s[36:37], -1
.LBB103_225:                            ;   in Loop: Header=BB103_34 Depth=1
	s_orn2_b64 s[6:7], s[6:7], exec
.LBB103_226:                            ;   in Loop: Header=BB103_34 Depth=1
	s_or_b64 exec, exec, s[26:27]
	s_mov_b64 s[10:11], 0
	s_and_saveexec_b64 s[26:27], s[6:7]
	s_cbranch_execz .LBB103_284
; %bb.227:                              ;   in Loop: Header=BB103_34 Depth=1
	s_xor_b64 s[10:11], s[8:9], -1
	v_mov_b32_e32 v2, 1
	s_mov_b64 s[8:9], 0
	v_mov_b64_e32 v[12:13], 1
	s_and_saveexec_b64 s[6:7], s[10:11]
	s_cbranch_execz .LBB103_236
; %bb.228:                              ;   in Loop: Header=BB103_34 Depth=1
	v_cmp_ge_u64_e32 vcc, s[20:21], v[10:11]
	s_and_saveexec_b64 s[8:9], vcc
	s_xor_b64 s[8:9], exec, s[8:9]
	s_cbranch_execz .LBB103_233
; %bb.229:                              ;   in Loop: Header=BB103_34 Depth=1
	ds_read_b64 v[6:7], v3 offset:5120
	s_lshl_b64 s[10:11], 2, s87
	v_and_b32_e32 v2, s23, v33
	v_and_b32_e32 v5, s22, v32
	v_or_b32_e32 v33, s11, v2
	s_waitcnt lgkmcnt(0)
	v_cmp_ne_u64_e32 vcc, 0, v[6:7]
	v_or_b32_e32 v32, s10, v5
	v_or_b32_e32 v37, s13, v37
	;; [unrolled: 1-line block ×3, first 2 shown]
	s_cbranch_vccnz .LBB103_233
; %bb.230:                              ;   in Loop: Header=BB103_34 Depth=1
	s_mov_b64 s[10:11], exec
	v_readlane_b32 s22, v74, 6
	v_readlane_b32 s23, v74, 7
	s_and_b64 s[22:23], s[10:11], s[22:23]
	s_mov_b64 exec, s[22:23]
; %bb.231:                              ;   in Loop: Header=BB103_34 Depth=1
	v_mov_b64_e32 v[6:7], s[20:21]
	ds_write_b64 v3, v[6:7] offset:5128
; %bb.232:                              ;   in Loop: Header=BB103_34 Depth=1
	s_or_b64 exec, exec, s[10:11]
	s_waitcnt lgkmcnt(0)
	s_barrier
.LBB103_233:                            ;   in Loop: Header=BB103_34 Depth=1
	s_or_saveexec_b64 s[8:9], s[8:9]
	s_mov_b64 s[10:11], 0
	v_mov_b32_e32 v2, 8
	s_xor_b64 exec, exec, s[8:9]
; %bb.234:                              ;   in Loop: Header=BB103_34 Depth=1
	v_mov_b32_e32 v2, s21
	v_subrev_co_u32_e32 v10, vcc, s20, v10
	s_mov_b64 s[10:11], exec
	s_nop 0
	v_subb_co_u32_e32 v11, vcc, v11, v2, vcc
	v_mov_b32_e32 v2, 0
; %bb.235:                              ;   in Loop: Header=BB103_34 Depth=1
	s_or_b64 exec, exec, s[8:9]
	s_and_b64 s[8:9], s[10:11], exec
	v_mov_b64_e32 v[12:13], v[10:11]
.LBB103_236:                            ;   in Loop: Header=BB103_34 Depth=1
	s_or_b64 exec, exec, s[6:7]
	s_mov_b64 s[6:7], -1
                                        ; implicit-def: $sgpr40_sgpr41
                                        ; implicit-def: $sgpr38_sgpr39
	s_and_saveexec_b64 s[20:21], s[8:9]
	s_cbranch_execz .LBB103_283
; %bb.237:                              ;   in Loop: Header=BB103_34 Depth=1
	s_cmp_eq_u64 s[2:3], 1
	s_cselect_b64 s[6:7], -1, 0
	v_cmp_eq_u64_e32 vcc, 1, v[12:13]
	s_and_b64 s[8:9], s[6:7], vcc
	s_mov_b64 s[10:11], -1
                                        ; implicit-def: $sgpr40_sgpr41
                                        ; implicit-def: $sgpr38_sgpr39
	s_and_saveexec_b64 s[22:23], s[8:9]
	s_cbranch_execz .LBB103_271
; %bb.238:                              ;   in Loop: Header=BB103_34 Depth=1
	ds_read_b64 v[6:7], v3 offset:5120
	s_waitcnt lgkmcnt(0)
	s_barrier
	v_readfirstlane_b32 s10, v6
	v_readfirstlane_b32 s11, v7
	s_mov_b64 s[6:7], exec
	v_readlane_b32 s38, v74, 14
	v_readlane_b32 s39, v74, 15
	s_and_b64 s[38:39], s[6:7], s[38:39]
	s_mov_b64 exec, s[38:39]
; %bb.239:                              ;   in Loop: Header=BB103_34 Depth=1
	ds_write_b64 v56, v[64:65]
; %bb.240:                              ;   in Loop: Header=BB103_34 Depth=1
	s_or_b64 exec, exec, s[6:7]
	v_or_b32_e32 v33, s13, v33
	v_or_b32_e32 v32, s12, v32
	;; [unrolled: 1-line block ×4, first 2 shown]
	s_mov_b64 s[38:39], -1
	s_mov_b64 s[40:41], 0
	s_cmp_eq_u64 s[10:11], 0
	s_mov_b64 s[6:7], 0
	s_mov_b64 s[42:43], -1
	s_waitcnt lgkmcnt(0)
	s_barrier
                                        ; implicit-def: $vgpr8_vgpr9
	s_cbranch_scc1 .LBB103_256
; %bb.241:                              ;   in Loop: Header=BB103_34 Depth=1
	v_readlane_b32 s6, v74, 20
	s_add_u32 s46, s10, s6
	v_readlane_b32 s6, v74, 22
	s_addc_u32 s7, s11, s6
	s_mov_b32 s6, s79
	s_cmp_lg_u64 s[6:7], 0
	s_cbranch_scc0 .LBB103_290
; %bb.242:                              ;   in Loop: Header=BB103_34 Depth=1
	v_cvt_f32_u32_e32 v5, s72
	s_sub_u32 s6, 0, s72
	s_subb_u32 s44, 0, 0
	v_fmac_f32_e32 v5, 0, v61
	v_rcp_f32_e32 v5, v5
	s_nop 0
	v_mul_f32_e32 v5, 0x5f7ffffc, v5
	v_mul_f32_e32 v6, 0x2f800000, v5
	v_trunc_f32_e32 v6, v6
	v_fmac_f32_e32 v5, 0xcf800000, v6
	v_cvt_u32_f32_e32 v6, v6
	v_cvt_u32_f32_e32 v5, v5
	v_readfirstlane_b32 s45, v6
	v_readfirstlane_b32 s42, v5
	s_mul_i32 s43, s6, s45
	s_mul_hi_u32 s48, s6, s42
	s_mul_i32 s47, s44, s42
	s_add_i32 s43, s48, s43
	s_mul_i32 s49, s6, s42
	s_add_i32 s43, s43, s47
	s_mul_hi_u32 s48, s42, s49
	s_mul_i32 s50, s42, s43
	s_mul_hi_u32 s47, s42, s43
	s_add_u32 s48, s48, s50
	s_addc_u32 s47, 0, s47
	s_mul_hi_u32 s51, s45, s49
	s_mul_i32 s49, s45, s49
	s_add_u32 s48, s48, s49
	s_mul_hi_u32 s50, s45, s43
	s_addc_u32 s47, s47, s51
	s_addc_u32 s48, s50, 0
	s_mul_i32 s43, s45, s43
	s_add_u32 s43, s47, s43
	s_addc_u32 s47, 0, s48
	s_add_u32 s48, s42, s43
	s_cselect_b64 s[42:43], -1, 0
	s_cmp_lg_u64 s[42:43], 0
	s_addc_u32 s45, s45, s47
	s_mul_i32 s42, s6, s45
	s_mul_hi_u32 s43, s6, s48
	s_add_i32 s42, s43, s42
	s_mul_i32 s44, s44, s48
	s_add_i32 s42, s42, s44
	s_mul_i32 s6, s6, s48
	s_mul_hi_u32 s44, s45, s6
	s_mul_i32 s47, s45, s6
	s_mul_i32 s50, s48, s42
	s_mul_hi_u32 s6, s48, s6
	s_mul_hi_u32 s49, s48, s42
	s_add_u32 s6, s6, s50
	s_addc_u32 s49, 0, s49
	s_add_u32 s6, s6, s47
	s_mul_hi_u32 s43, s45, s42
	s_addc_u32 s6, s49, s44
	s_addc_u32 s43, s43, 0
	s_mul_i32 s42, s45, s42
	s_add_u32 s6, s6, s42
	s_addc_u32 s44, 0, s43
	s_add_u32 s6, s48, s6
	s_cselect_b64 s[42:43], -1, 0
	s_cmp_lg_u64 s[42:43], 0
	s_addc_u32 s42, s45, s44
	s_mul_i32 s44, s46, s42
	s_mul_hi_u32 s45, s46, s6
	s_mul_hi_u32 s43, s46, s42
	s_add_u32 s44, s45, s44
	s_addc_u32 s43, 0, s43
	s_mul_hi_u32 s47, s7, s6
	s_mul_i32 s6, s7, s6
	s_add_u32 s6, s44, s6
	s_mul_hi_u32 s45, s7, s42
	s_addc_u32 s6, s43, s47
	s_addc_u32 s43, s45, 0
	s_mul_i32 s42, s7, s42
	s_add_u32 s6, s6, s42
	s_addc_u32 s42, 0, s43
	s_mul_i32 s42, s72, s42
	s_mul_hi_u32 s43, s72, s6
	s_add_i32 s44, s43, s42
	s_mul_i32 s6, s72, s6
	s_sub_u32 s6, s46, s6
	s_cselect_b64 s[42:43], -1, 0
	s_cmp_lg_u64 s[42:43], 0
	s_subb_u32 s44, s7, s44
	s_sub_u32 s45, s6, s72
	s_cselect_b64 s[42:43], -1, 0
	s_cmp_lg_u64 s[42:43], 0
	s_subb_u32 s47, s44, 0
	;; [unrolled: 4-line block ×3, first 2 shown]
	s_cmp_ge_u32 s45, s72
	s_cselect_b32 s43, -1, 0
	s_cmp_eq_u32 s47, 0
	s_cselect_b32 s43, s43, -1
	s_cmp_lg_u32 s43, 0
	s_cselect_b32 s42, s42, s47
	s_cselect_b32 s45, s48, s45
	s_cmp_ge_u32 s6, s72
	s_cselect_b32 s43, -1, 0
	s_cmp_eq_u32 s44, 0
	s_cselect_b32 s43, s43, -1
	s_cmp_lg_u32 s43, 0
	s_cselect_b32 s43, s42, s44
	s_cselect_b32 s42, s45, s6
	s_cbranch_execnz .LBB103_244
.LBB103_243:                            ;   in Loop: Header=BB103_34 Depth=1
	v_cvt_f32_u32_e32 v5, s72
	s_sub_i32 s6, 0, s72
	v_rcp_iflag_f32_e32 v5, v5
	s_nop 0
	v_mul_f32_e32 v5, 0x4f7ffffe, v5
	v_cvt_u32_f32_e32 v5, v5
	s_nop 0
	v_readfirstlane_b32 s42, v5
	s_mul_i32 s6, s6, s42
	s_mul_hi_u32 s6, s42, s6
	s_add_i32 s42, s42, s6
	s_mul_hi_u32 s6, s46, s42
	s_mul_i32 s6, s6, s72
	s_sub_i32 s6, s46, s6
	s_sub_i32 s42, s6, s72
	s_cmp_ge_u32 s6, s72
	s_cselect_b32 s6, s42, s6
	s_sub_i32 s42, s6, s72
	s_cmp_ge_u32 s6, s72
	s_cselect_b32 s78, s42, s6
	s_mov_b64 s[42:43], s[78:79]
.LBB103_244:                            ;   in Loop: Header=BB103_34 Depth=1
	s_sub_u32 s46, s46, s42
	s_subb_u32 s47, s7, s43
	v_cmp_gt_u64_e32 vcc, s[46:47], v[0:1]
	s_mov_b64 s[42:43], 0
	s_mov_b64 s[6:7], 0
                                        ; implicit-def: $vgpr8_vgpr9
	s_and_saveexec_b64 s[44:45], vcc
	s_cbranch_execz .LBB103_255
; %bb.245:                              ;   in Loop: Header=BB103_34 Depth=1
	s_mov_b64 s[60:61], s[80:81]
	v_mov_b32_e32 v14, v55
	v_mov_b64_e32 v[10:11], v[0:1]
                                        ; implicit-def: $sgpr48_sgpr49
	s_branch .LBB103_248
.LBB103_246:                            ;   in Loop: Header=BB103_248 Depth=2
	s_or_b64 exec, exec, s[50:51]
	s_waitcnt lgkmcnt(0)
	s_barrier
	ds_read_b128 v[6:9], v3 offset:3072
	s_mov_b64 s[50:51], -1
	s_mov_b64 s[80:81], -1
	s_waitcnt lgkmcnt(0)
	s_barrier
	v_cmp_ne_u64_e32 vcc, 0, v[6:7]
	s_cbranch_vccz .LBB103_251
.LBB103_247:                            ;   in Loop: Header=BB103_248 Depth=2
	s_and_b64 s[50:51], exec, s[50:51]
	s_or_b64 s[6:7], s[50:51], s[6:7]
	s_andn2_b64 s[48:49], s[48:49], exec
	s_and_b64 s[50:51], s[80:81], exec
	s_or_b64 s[48:49], s[48:49], s[50:51]
	s_andn2_b64 exec, exec, s[6:7]
	s_cbranch_execz .LBB103_254
.LBB103_248:                            ;   Parent Loop BB103_34 Depth=1
                                        ; =>  This Inner Loop Header: Depth=2
	v_cmp_gt_u64_e32 vcc, s[10:11], v[10:11]
	s_and_saveexec_b64 s[50:51], vcc
	s_cbranch_execz .LBB103_246
; %bb.249:                              ;   in Loop: Header=BB103_248 Depth=2
	ds_read_b64 v[6:7], v14
	s_waitcnt lgkmcnt(0)
	v_xor_b32_e32 v5, 0x80000000, v7
	v_and_b32_e32 v9, v5, v37
	v_and_b32_e32 v8, v6, v36
	v_cmp_eq_u64_e32 vcc, v[8:9], v[32:33]
	s_and_b64 exec, exec, vcc
	s_cbranch_execz .LBB103_246
; %bb.250:                              ;   in Loop: Header=BB103_248 Depth=2
	v_mov_b32_e32 v5, v3
	ds_write_b128 v3, v[4:7] offset:3072
	s_branch .LBB103_246
.LBB103_251:                            ;   in Loop: Header=BB103_248 Depth=2
	v_lshl_add_u64 v[10:11], v[10:11], 0, s[72:73]
	v_cmp_le_u64_e32 vcc, s[46:47], v[10:11]
	v_add_u32_e32 v14, s86, v14
	s_mov_b64 s[80:81], 0
	s_orn2_b64 s[50:51], vcc, exec
	s_branch .LBB103_247
.LBB103_252:                            ;   in Loop: Header=BB103_34 Depth=1
                                        ; implicit-def: $sgpr38_sgpr39
	s_branch .LBB103_198
.LBB103_253:                            ;   in Loop: Header=BB103_34 Depth=1
                                        ; implicit-def: $sgpr10_sgpr11
	s_branch .LBB103_214
.LBB103_254:                            ;   in Loop: Header=BB103_34 Depth=1
	s_or_b64 exec, exec, s[6:7]
	s_and_b64 s[6:7], s[48:49], exec
	s_mov_b64 s[80:81], s[60:61]
.LBB103_255:                            ;   in Loop: Header=BB103_34 Depth=1
	s_or_b64 exec, exec, s[44:45]
.LBB103_256:                            ;   in Loop: Header=BB103_34 Depth=1
	s_and_b64 vcc, exec, s[42:43]
	s_cbranch_vccz .LBB103_270
; %bb.257:                              ;   in Loop: Header=BB103_34 Depth=1
	s_mov_b32 s84, s79
	s_cmp_lg_u64 s[84:85], 0
	s_cbranch_scc0 .LBB103_291
; %bb.258:                              ;   in Loop: Header=BB103_34 Depth=1
	v_cvt_f32_u32_e32 v5, s72
	s_sub_u32 s38, 0, s72
	s_subb_u32 s39, 0, 0
	v_fmac_f32_e32 v5, 0, v61
	v_rcp_f32_e32 v5, v5
	s_nop 0
	v_mul_f32_e32 v5, 0x5f7ffffc, v5
	v_mul_f32_e32 v6, 0x2f800000, v5
	v_trunc_f32_e32 v6, v6
	v_fmac_f32_e32 v5, 0xcf800000, v6
	v_cvt_u32_f32_e32 v6, v6
	v_cvt_u32_f32_e32 v5, v5
	v_readfirstlane_b32 s40, v6
	v_readfirstlane_b32 s10, v5
	s_mul_i32 s11, s38, s40
	s_mul_hi_u32 s42, s38, s10
	s_mul_i32 s41, s39, s10
	s_add_i32 s11, s42, s11
	s_mul_i32 s43, s38, s10
	s_add_i32 s11, s11, s41
	s_mul_hi_u32 s42, s10, s43
	s_mul_i32 s44, s10, s11
	s_mul_hi_u32 s41, s10, s11
	s_add_u32 s42, s42, s44
	s_addc_u32 s41, 0, s41
	s_mul_hi_u32 s45, s40, s43
	s_mul_i32 s43, s40, s43
	s_add_u32 s42, s42, s43
	s_mul_hi_u32 s44, s40, s11
	s_addc_u32 s41, s41, s45
	s_addc_u32 s42, s44, 0
	s_mul_i32 s11, s40, s11
	s_add_u32 s11, s41, s11
	s_addc_u32 s41, 0, s42
	s_add_u32 s42, s10, s11
	s_cselect_b64 s[10:11], -1, 0
	s_cmp_lg_u64 s[10:11], 0
	s_addc_u32 s40, s40, s41
	s_mul_i32 s10, s38, s40
	s_mul_hi_u32 s11, s38, s42
	s_add_i32 s10, s11, s10
	s_mul_i32 s39, s39, s42
	s_add_i32 s10, s10, s39
	s_mul_i32 s38, s38, s42
	s_mul_hi_u32 s39, s40, s38
	s_mul_i32 s41, s40, s38
	s_mul_i32 s44, s42, s10
	s_mul_hi_u32 s38, s42, s38
	s_mul_hi_u32 s43, s42, s10
	s_add_u32 s38, s38, s44
	s_addc_u32 s43, 0, s43
	s_add_u32 s38, s38, s41
	s_mul_hi_u32 s11, s40, s10
	s_addc_u32 s38, s43, s39
	s_addc_u32 s11, s11, 0
	s_mul_i32 s10, s40, s10
	s_add_u32 s10, s38, s10
	s_addc_u32 s38, 0, s11
	s_add_u32 s39, s42, s10
	s_cselect_b64 s[10:11], -1, 0
	s_cmp_lg_u64 s[10:11], 0
	s_addc_u32 s10, s40, s38
	v_readlane_b32 s42, v74, 21
	s_mul_i32 s38, s42, s10
	s_mul_hi_u32 s40, s42, s39
	s_mul_hi_u32 s11, s42, s10
	s_add_u32 s38, s40, s38
	s_addc_u32 s11, 0, s11
	s_mul_hi_u32 s41, s85, s39
	s_mul_i32 s39, s85, s39
	s_add_u32 s38, s38, s39
	s_mul_hi_u32 s40, s85, s10
	s_addc_u32 s11, s11, s41
	s_addc_u32 s38, s40, 0
	s_mul_i32 s10, s85, s10
	s_add_u32 s10, s11, s10
	s_addc_u32 s11, 0, s38
	s_mul_i32 s11, s72, s11
	s_mul_hi_u32 s38, s72, s10
	s_add_i32 s38, s38, s11
	s_mul_i32 s10, s72, s10
	s_sub_u32 s39, s42, s10
	s_cselect_b64 s[10:11], -1, 0
	s_cmp_lg_u64 s[10:11], 0
	s_subb_u32 s38, s85, s38
	s_sub_u32 s40, s39, s72
	s_cselect_b64 s[10:11], -1, 0
	s_cmp_lg_u64 s[10:11], 0
	s_subb_u32 s41, s38, 0
	s_sub_u32 s42, s40, s72
	s_cselect_b64 s[10:11], -1, 0
	s_cmp_lg_u64 s[10:11], 0
	s_subb_u32 s10, s41, 0
	s_cmp_ge_u32 s40, s72
	s_cselect_b32 s11, -1, 0
	s_cmp_eq_u32 s41, 0
	s_cselect_b32 s11, s11, -1
	s_cmp_lg_u32 s11, 0
	s_cselect_b32 s10, s10, s41
	s_cselect_b32 s40, s42, s40
	s_cmp_ge_u32 s39, s72
	s_cselect_b32 s11, -1, 0
	s_cmp_eq_u32 s38, 0
	s_cselect_b32 s11, s11, -1
	s_cmp_lg_u32 s11, 0
	s_cselect_b32 s11, s10, s38
	s_cselect_b32 s10, s40, s39
	s_cbranch_execnz .LBB103_260
.LBB103_259:                            ;   in Loop: Header=BB103_34 Depth=1
	v_cvt_f32_u32_e32 v5, s72
	s_sub_i32 s10, 0, s72
	v_readlane_b32 s38, v74, 21
	v_rcp_iflag_f32_e32 v5, v5
	s_nop 0
	v_mul_f32_e32 v5, 0x4f7ffffe, v5
	v_cvt_u32_f32_e32 v5, v5
	s_nop 0
	v_readfirstlane_b32 s11, v5
	s_mul_i32 s10, s10, s11
	s_mul_hi_u32 s10, s11, s10
	s_add_i32 s11, s11, s10
	s_mul_hi_u32 s10, s38, s11
	s_mul_i32 s10, s10, s72
	s_sub_i32 s10, s38, s10
	s_sub_i32 s11, s10, s72
	s_cmp_ge_u32 s10, s72
	s_cselect_b32 s10, s11, s10
	s_sub_i32 s11, s10, s72
	s_cmp_ge_u32 s10, s72
	s_cselect_b32 s78, s11, s10
	s_mov_b64 s[10:11], s[78:79]
.LBB103_260:                            ;   in Loop: Header=BB103_34 Depth=1
	v_readlane_b32 s38, v74, 21
	s_sub_u32 s38, s38, s10
	s_subb_u32 s39, s85, s11
	v_cmp_gt_u64_e32 vcc, s[38:39], v[0:1]
                                        ; implicit-def: $vgpr8_vgpr9
	s_and_saveexec_b64 s[10:11], vcc
	s_cbranch_execz .LBB103_269
; %bb.261:                              ;   in Loop: Header=BB103_34 Depth=1
	s_mov_b64 s[40:41], 0
	v_mov_b64_e32 v[10:11], v[18:19]
	v_mov_b64_e32 v[14:15], v[0:1]
                                        ; implicit-def: $sgpr42_sgpr43
	s_branch .LBB103_264
.LBB103_262:                            ;   in Loop: Header=BB103_264 Depth=2
	s_or_b64 exec, exec, s[44:45]
	s_waitcnt lgkmcnt(0)
	s_barrier
	ds_read_b128 v[6:9], v3 offset:3072
	s_mov_b64 s[44:45], -1
	s_mov_b64 s[46:47], -1
	s_waitcnt lgkmcnt(0)
	s_barrier
	v_cmp_eq_u64_e32 vcc, 0, v[6:7]
	s_cbranch_vccnz .LBB103_267
.LBB103_263:                            ;   in Loop: Header=BB103_264 Depth=2
	s_and_b64 s[44:45], exec, s[44:45]
	s_or_b64 s[40:41], s[44:45], s[40:41]
	s_andn2_b64 s[42:43], s[42:43], exec
	s_and_b64 s[44:45], s[46:47], exec
	s_or_b64 s[42:43], s[42:43], s[44:45]
	s_andn2_b64 exec, exec, s[40:41]
	s_cbranch_execz .LBB103_268
.LBB103_264:                            ;   Parent Loop BB103_34 Depth=1
                                        ; =>  This Inner Loop Header: Depth=2
	v_cmp_gt_u64_e32 vcc, s[52:53], v[14:15]
	s_and_saveexec_b64 s[44:45], vcc
	s_cbranch_execz .LBB103_262
; %bb.265:                              ;   in Loop: Header=BB103_264 Depth=2
	global_load_dwordx2 v[6:7], v[10:11], off
	s_waitcnt vmcnt(0)
	v_xor_b32_e32 v5, 0x80000000, v7
	v_and_b32_e32 v9, v5, v37
	v_and_b32_e32 v8, v6, v36
	v_cmp_eq_u64_e32 vcc, v[8:9], v[32:33]
	s_and_b64 exec, exec, vcc
	s_cbranch_execz .LBB103_262
; %bb.266:                              ;   in Loop: Header=BB103_264 Depth=2
	v_mov_b32_e32 v5, v3
	ds_write_b128 v3, v[4:7] offset:3072
	s_branch .LBB103_262
.LBB103_267:                            ;   in Loop: Header=BB103_264 Depth=2
	v_lshl_add_u64 v[14:15], v[14:15], 0, s[72:73]
	v_cmp_le_u64_e32 vcc, s[38:39], v[14:15]
	v_lshl_add_u64 v[10:11], v[10:11], 0, s[98:99]
	s_mov_b64 s[46:47], 0
	s_orn2_b64 s[44:45], vcc, exec
	s_branch .LBB103_263
.LBB103_268:                            ;   in Loop: Header=BB103_34 Depth=1
	s_or_b64 exec, exec, s[40:41]
	s_andn2_b64 s[6:7], s[6:7], exec
	s_and_b64 s[38:39], s[42:43], exec
	s_or_b64 s[6:7], s[6:7], s[38:39]
.LBB103_269:                            ;   in Loop: Header=BB103_34 Depth=1
	s_or_b64 exec, exec, s[10:11]
	s_mov_b64 s[38:39], 0
	s_mov_b64 s[40:41], -1
.LBB103_270:                            ;   in Loop: Header=BB103_34 Depth=1
	s_orn2_b64 s[10:11], s[6:7], exec
.LBB103_271:                            ;   in Loop: Header=BB103_34 Depth=1
	s_or_b64 exec, exec, s[22:23]
	s_mov_b64 s[22:23], 0
	s_and_saveexec_b64 s[6:7], s[10:11]
	s_cbranch_execz .LBB103_282
; %bb.272:                              ;   in Loop: Header=BB103_34 Depth=1
	s_xor_b64 s[10:11], s[8:9], -1
	v_mov_b64_e32 v[6:7], 1
	v_mov_b32_e32 v2, 1
	s_and_saveexec_b64 s[8:9], s[10:11]
	s_cbranch_execz .LBB103_281
; %bb.273:                              ;   in Loop: Header=BB103_34 Depth=1
	v_cmp_ge_u64_e32 vcc, s[2:3], v[12:13]
	s_and_saveexec_b64 s[10:11], vcc
	s_xor_b64 s[10:11], exec, s[10:11]
	s_cbranch_execz .LBB103_278
; %bb.274:                              ;   in Loop: Header=BB103_34 Depth=1
	ds_read_b64 v[6:7], v3 offset:5120
	v_or_b32_e32 v33, s13, v33
	v_or_b32_e32 v32, s12, v32
	;; [unrolled: 1-line block ×4, first 2 shown]
	s_waitcnt lgkmcnt(0)
	v_cmp_ne_u64_e32 vcc, 0, v[6:7]
	s_cbranch_vccnz .LBB103_278
; %bb.275:                              ;   in Loop: Header=BB103_34 Depth=1
	s_mov_b64 s[12:13], exec
	v_readlane_b32 s22, v74, 6
	v_readlane_b32 s23, v74, 7
	s_and_b64 s[22:23], s[12:13], s[22:23]
	s_mov_b64 exec, s[22:23]
; %bb.276:                              ;   in Loop: Header=BB103_34 Depth=1
	v_mov_b64_e32 v[6:7], s[2:3]
	ds_write_b64 v3, v[6:7] offset:5128
; %bb.277:                              ;   in Loop: Header=BB103_34 Depth=1
	s_or_b64 exec, exec, s[12:13]
	s_waitcnt lgkmcnt(0)
	s_barrier
.LBB103_278:                            ;   in Loop: Header=BB103_34 Depth=1
	s_andn2_saveexec_b64 s[10:11], s[10:11]
; %bb.279:                              ;   in Loop: Header=BB103_34 Depth=1
	v_mov_b32_e32 v2, s3
	v_subrev_co_u32_e32 v12, vcc, s2, v12
	s_nop 1
	v_subb_co_u32_e32 v13, vcc, v13, v2, vcc
; %bb.280:                              ;   in Loop: Header=BB103_34 Depth=1
	s_or_b64 exec, exec, s[10:11]
	v_mov_b32_e32 v2, 8
	v_mov_b64_e32 v[6:7], v[12:13]
.LBB103_281:                            ;   in Loop: Header=BB103_34 Depth=1
	s_or_b64 exec, exec, s[8:9]
	s_mov_b64 s[22:23], exec
	v_mov_b64_e32 v[12:13], v[6:7]
.LBB103_282:                            ;   in Loop: Header=BB103_34 Depth=1
	s_or_b64 exec, exec, s[6:7]
	s_orn2_b64 s[6:7], s[22:23], exec
.LBB103_283:                            ;   in Loop: Header=BB103_34 Depth=1
	s_or_b64 exec, exec, s[20:21]
	s_andn2_b64 s[2:3], s[36:37], exec
	s_and_b64 s[8:9], s[40:41], exec
	s_or_b64 s[36:37], s[2:3], s[8:9]
	s_andn2_b64 s[2:3], s[34:35], exec
	s_and_b64 s[8:9], s[38:39], exec
	s_or_b64 s[34:35], s[2:3], s[8:9]
	s_and_b64 s[10:11], s[6:7], exec
	v_mov_b64_e32 v[10:11], v[12:13]
.LBB103_284:                            ;   in Loop: Header=BB103_34 Depth=1
	s_or_b64 exec, exec, s[26:27]
	s_orn2_b64 s[6:7], s[10:11], exec
.LBB103_285:                            ;   in Loop: Header=BB103_34 Depth=1
	s_or_b64 exec, exec, s[30:31]
	s_andn2_b64 s[2:3], s[24:25], exec
	s_and_b64 s[8:9], s[36:37], exec
	s_or_b64 s[24:25], s[2:3], s[8:9]
	s_andn2_b64 s[0:1], s[0:1], exec
	s_and_b64 s[2:3], s[34:35], exec
	s_or_b64 s[0:1], s[0:1], s[2:3]
	s_and_b64 s[10:11], s[6:7], exec
	v_mov_b64_e32 v[14:15], v[10:11]
.LBB103_286:                            ;   in Loop: Header=BB103_34 Depth=1
	s_or_b64 exec, exec, s[28:29]
	s_orn2_b64 s[6:7], s[10:11], exec
.LBB103_287:                            ;   in Loop: Header=BB103_34 Depth=1
	s_or_b64 exec, exec, s[18:19]
	s_mov_b64 s[8:9], 0
	s_and_saveexec_b64 s[2:3], s[6:7]
	s_xor_b64 s[2:3], exec, s[2:3]
	s_cbranch_execz .LBB103_32
; %bb.288:                              ;   in Loop: Header=BB103_34 Depth=1
	v_and_b32_e32 v2, 7, v2
	v_cmp_eq_u32_e32 vcc, 0, v2
	s_mov_b64 s[6:7], -1
	s_mov_b64 s[8:9], -1
	s_and_saveexec_b64 s[10:11], vcc
	s_cbranch_execz .LBB103_31
; %bb.289:                              ;   in Loop: Header=BB103_34 Depth=1
	s_xor_b32 s88, s88, 1
	s_add_i32 s12, s87, -2
	s_cmp_eq_u32 s87, 0
	s_cselect_b64 s[6:7], -1, 0
	s_xor_b64 s[8:9], exec, -1
	s_orn2_b64 s[6:7], s[6:7], exec
	s_mov_b32 s87, s12
	s_branch .LBB103_31
.LBB103_290:                            ;   in Loop: Header=BB103_34 Depth=1
                                        ; implicit-def: $sgpr42_sgpr43
	s_branch .LBB103_243
.LBB103_291:                            ;   in Loop: Header=BB103_34 Depth=1
                                        ; implicit-def: $sgpr10_sgpr11
	s_branch .LBB103_259
.LBB103_292:
	s_or_b64 exec, exec, s[68:69]
	s_xor_b64 s[6:7], s[62:63], -1
	s_xor_b64 s[0:1], s[66:67], -1
	;; [unrolled: 1-line block ×3, first 2 shown]
	s_mov_b64 s[2:3], 0
	s_and_saveexec_b64 s[8:9], s[0:1]
	s_xor_b64 s[0:1], exec, s[8:9]
	s_cbranch_execnz .LBB103_297
; %bb.293:
	s_andn2_saveexec_b64 s[0:1], s[0:1]
	s_cbranch_execnz .LBB103_310
.LBB103_294:
	s_or_b64 exec, exec, s[0:1]
	s_and_saveexec_b64 s[0:1], s[2:3]
.LBB103_295:
	; divergent unreachable
.LBB103_296:
	s_endpgm
.LBB103_297:
	s_and_saveexec_b64 s[2:3], s[6:7]
	s_xor_b64 s[2:3], exec, s[2:3]
	s_cbranch_execz .LBB103_308
; %bb.298:
	s_and_saveexec_b64 s[6:7], s[4:5]
	s_xor_b64 s[4:5], exec, s[6:7]
; %bb.299:
	v_xor_b32_e32 v33, 0x80000000, v33
	v_mov_b64_e32 v[8:9], v[32:33]
; %bb.300:
	s_or_b64 exec, exec, s[4:5]
	v_readlane_b32 s8, v74, 0
	v_readlane_b32 s6, v74, 2
	;; [unrolled: 1-line block ×4, first 2 shown]
	s_mul_i32 s4, s6, s9
	s_mul_hi_u32 s5, s6, s8
	s_add_i32 s4, s5, s4
	s_mul_i32 s5, s7, s8
	s_add_i32 s5, s4, s5
	s_mul_i32 s4, s6, s8
	s_lshl_b64 s[4:5], s[4:5], 3
	v_readlane_b32 s6, v74, 8
	v_readlane_b32 s7, v74, 9
	s_add_u32 s6, s6, s4
	s_addc_u32 s7, s7, s5
	s_lshl_b64 s[4:5], s[54:55], 3
	s_add_u32 s4, s6, s4
	s_addc_u32 s5, s7, s5
	v_mov_b32_e32 v2, 0
	global_store_dwordx2 v2, v[8:9], s[4:5]
	s_mov_b64 s[4:5], exec
	v_readlane_b32 s6, v74, 12
	v_readlane_b32 s7, v74, 13
	s_and_b64 s[6:7], s[4:5], s[6:7]
	s_mov_b64 exec, s[6:7]
	s_cbranch_execz .LBB103_307
; %bb.301:
	s_mov_b64 s[6:7], 0
                                        ; implicit-def: $sgpr8_sgpr9
                                        ; implicit-def: $sgpr12_sgpr13
                                        ; implicit-def: $sgpr10_sgpr11
	s_branch .LBB103_303
.LBB103_302:                            ;   in Loop: Header=BB103_303 Depth=1
	s_or_b64 exec, exec, s[14:15]
	s_and_b64 s[14:15], exec, s[12:13]
	s_or_b64 s[6:7], s[14:15], s[6:7]
	s_andn2_b64 s[8:9], s[8:9], exec
	s_and_b64 s[14:15], s[10:11], exec
	s_or_b64 s[8:9], s[8:9], s[14:15]
	s_andn2_b64 exec, exec, s[6:7]
	s_cbranch_execz .LBB103_305
.LBB103_303:                            ; =>This Inner Loop Header: Depth=1
	global_load_dwordx2 v[4:5], v[18:19], off
	v_mov_b64_e32 v[2:3], v[0:1]
	s_or_b64 s[10:11], s[10:11], exec
	s_or_b64 s[12:13], s[12:13], exec
                                        ; implicit-def: $vgpr0_vgpr1
	s_waitcnt vmcnt(0)
	v_cmp_ne_u64_e32 vcc, v[4:5], v[8:9]
	s_and_saveexec_b64 s[14:15], vcc
	s_cbranch_execz .LBB103_302
; %bb.304:                              ;   in Loop: Header=BB103_303 Depth=1
	v_lshl_add_u64 v[0:1], v[2:3], 0, s[72:73]
	v_cmp_le_u64_e32 vcc, s[52:53], v[0:1]
	s_andn2_b64 s[12:13], s[12:13], exec
	s_and_b64 s[16:17], vcc, exec
	v_lshl_add_u64 v[18:19], v[18:19], 0, s[98:99]
	s_andn2_b64 s[10:11], s[10:11], exec
	s_or_b64 s[12:13], s[12:13], s[16:17]
	s_branch .LBB103_302
.LBB103_305:
	s_or_b64 exec, exec, s[6:7]
	s_and_saveexec_b64 s[6:7], s[8:9]
	s_xor_b64 s[6:7], exec, s[6:7]
	s_cbranch_execz .LBB103_307
; %bb.306:
	v_readlane_b32 s8, v74, 4
	v_readlane_b32 s9, v74, 5
	s_mul_i32 s6, s8, s65
	s_mul_hi_u32 s7, s8, s64
	s_add_i32 s6, s7, s6
	s_mul_i32 s7, s9, s64
	s_add_i32 s7, s6, s7
	s_mul_i32 s6, s8, s64
	s_lshl_b64 s[6:7], s[6:7], 3
	v_readlane_b32 s8, v74, 10
	v_readlane_b32 s9, v74, 11
	s_add_u32 s8, s8, s6
	s_addc_u32 s9, s9, s7
	s_lshl_b64 s[6:7], s[58:59], 3
	s_add_u32 s6, s8, s6
	s_addc_u32 s7, s9, s7
	v_mov_b32_e32 v0, 0
	global_store_dwordx2 v0, v[2:3], s[6:7]
.LBB103_307:
	s_or_b64 exec, exec, s[4:5]
.LBB103_308:
	s_or_saveexec_b64 s[2:3], s[2:3]
	s_mov_b64 s[4:5], 0
	s_xor_b64 exec, exec, s[2:3]
	s_cbranch_execnz .LBB103_311
.LBB103_309:
	s_or_b64 exec, exec, s[2:3]
	s_and_b64 s[2:3], s[4:5], exec
	s_andn2_saveexec_b64 s[0:1], s[0:1]
	s_cbranch_execz .LBB103_294
.LBB103_310:
	s_or_b64 s[2:3], s[2:3], exec
	s_trap 2
	s_or_b64 exec, exec, s[0:1]
	s_and_saveexec_b64 s[0:1], s[2:3]
	s_cbranch_execnz .LBB103_295
	s_branch .LBB103_296
.LBB103_311:
	s_mov_b64 s[4:5], exec
	s_trap 2
	s_branch .LBB103_309
	.section	.rodata,"a",@progbits
	.p2align	6, 0x0
	.amdhsa_kernel _ZN2at6native12_GLOBAL__N_112gatherMedianIlmLin1EEEvNS_4cuda6detail10TensorInfoIT_T0_EENS5_IlS7_EENS5_IKS6_S7_EES7_S7_S7_b
		.amdhsa_group_segment_fixed_size 5152
		.amdhsa_private_segment_fixed_size 0
		.amdhsa_kernarg_size 1536
		.amdhsa_user_sgpr_count 2
		.amdhsa_user_sgpr_dispatch_ptr 0
		.amdhsa_user_sgpr_queue_ptr 0
		.amdhsa_user_sgpr_kernarg_segment_ptr 1
		.amdhsa_user_sgpr_dispatch_id 0
		.amdhsa_user_sgpr_kernarg_preload_length 0
		.amdhsa_user_sgpr_kernarg_preload_offset 0
		.amdhsa_user_sgpr_private_segment_size 0
		.amdhsa_uses_dynamic_stack 0
		.amdhsa_enable_private_segment 0
		.amdhsa_system_sgpr_workgroup_id_x 1
		.amdhsa_system_sgpr_workgroup_id_y 1
		.amdhsa_system_sgpr_workgroup_id_z 1
		.amdhsa_system_sgpr_workgroup_info 0
		.amdhsa_system_vgpr_workitem_id 0
		.amdhsa_next_free_vgpr 75
		.amdhsa_next_free_sgpr 100
		.amdhsa_accum_offset 76
		.amdhsa_reserve_vcc 1
		.amdhsa_float_round_mode_32 0
		.amdhsa_float_round_mode_16_64 0
		.amdhsa_float_denorm_mode_32 3
		.amdhsa_float_denorm_mode_16_64 3
		.amdhsa_dx10_clamp 1
		.amdhsa_ieee_mode 1
		.amdhsa_fp16_overflow 0
		.amdhsa_tg_split 0
		.amdhsa_exception_fp_ieee_invalid_op 0
		.amdhsa_exception_fp_denorm_src 0
		.amdhsa_exception_fp_ieee_div_zero 0
		.amdhsa_exception_fp_ieee_overflow 0
		.amdhsa_exception_fp_ieee_underflow 0
		.amdhsa_exception_fp_ieee_inexact 0
		.amdhsa_exception_int_div_zero 0
	.end_amdhsa_kernel
	.section	.text._ZN2at6native12_GLOBAL__N_112gatherMedianIlmLin1EEEvNS_4cuda6detail10TensorInfoIT_T0_EENS5_IlS7_EENS5_IKS6_S7_EES7_S7_S7_b,"axG",@progbits,_ZN2at6native12_GLOBAL__N_112gatherMedianIlmLin1EEEvNS_4cuda6detail10TensorInfoIT_T0_EENS5_IlS7_EENS5_IKS6_S7_EES7_S7_S7_b,comdat
.Lfunc_end103:
	.size	_ZN2at6native12_GLOBAL__N_112gatherMedianIlmLin1EEEvNS_4cuda6detail10TensorInfoIT_T0_EENS5_IlS7_EENS5_IKS6_S7_EES7_S7_S7_b, .Lfunc_end103-_ZN2at6native12_GLOBAL__N_112gatherMedianIlmLin1EEEvNS_4cuda6detail10TensorInfoIT_T0_EENS5_IlS7_EENS5_IKS6_S7_EES7_S7_S7_b
                                        ; -- End function
	.set _ZN2at6native12_GLOBAL__N_112gatherMedianIlmLin1EEEvNS_4cuda6detail10TensorInfoIT_T0_EENS5_IlS7_EENS5_IKS6_S7_EES7_S7_S7_b.num_vgpr, 75
	.set _ZN2at6native12_GLOBAL__N_112gatherMedianIlmLin1EEEvNS_4cuda6detail10TensorInfoIT_T0_EENS5_IlS7_EENS5_IKS6_S7_EES7_S7_S7_b.num_agpr, 0
	.set _ZN2at6native12_GLOBAL__N_112gatherMedianIlmLin1EEEvNS_4cuda6detail10TensorInfoIT_T0_EENS5_IlS7_EENS5_IKS6_S7_EES7_S7_S7_b.numbered_sgpr, 100
	.set _ZN2at6native12_GLOBAL__N_112gatherMedianIlmLin1EEEvNS_4cuda6detail10TensorInfoIT_T0_EENS5_IlS7_EENS5_IKS6_S7_EES7_S7_S7_b.num_named_barrier, 0
	.set _ZN2at6native12_GLOBAL__N_112gatherMedianIlmLin1EEEvNS_4cuda6detail10TensorInfoIT_T0_EENS5_IlS7_EENS5_IKS6_S7_EES7_S7_S7_b.private_seg_size, 0
	.set _ZN2at6native12_GLOBAL__N_112gatherMedianIlmLin1EEEvNS_4cuda6detail10TensorInfoIT_T0_EENS5_IlS7_EENS5_IKS6_S7_EES7_S7_S7_b.uses_vcc, 1
	.set _ZN2at6native12_GLOBAL__N_112gatherMedianIlmLin1EEEvNS_4cuda6detail10TensorInfoIT_T0_EENS5_IlS7_EENS5_IKS6_S7_EES7_S7_S7_b.uses_flat_scratch, 0
	.set _ZN2at6native12_GLOBAL__N_112gatherMedianIlmLin1EEEvNS_4cuda6detail10TensorInfoIT_T0_EENS5_IlS7_EENS5_IKS6_S7_EES7_S7_S7_b.has_dyn_sized_stack, 0
	.set _ZN2at6native12_GLOBAL__N_112gatherMedianIlmLin1EEEvNS_4cuda6detail10TensorInfoIT_T0_EENS5_IlS7_EENS5_IKS6_S7_EES7_S7_S7_b.has_recursion, 0
	.set _ZN2at6native12_GLOBAL__N_112gatherMedianIlmLin1EEEvNS_4cuda6detail10TensorInfoIT_T0_EENS5_IlS7_EENS5_IKS6_S7_EES7_S7_S7_b.has_indirect_call, 0
	.section	.AMDGPU.csdata,"",@progbits
; Kernel info:
; codeLenInByte = 17396
; TotalNumSgprs: 106
; NumVgprs: 75
; NumAgprs: 0
; TotalNumVgprs: 75
; ScratchSize: 0
; MemoryBound: 0
; FloatMode: 240
; IeeeMode: 1
; LDSByteSize: 5152 bytes/workgroup (compile time only)
; SGPRBlocks: 13
; VGPRBlocks: 9
; NumSGPRsForWavesPerEU: 106
; NumVGPRsForWavesPerEU: 75
; AccumOffset: 76
; Occupancy: 6
; WaveLimiterHint : 1
; COMPUTE_PGM_RSRC2:SCRATCH_EN: 0
; COMPUTE_PGM_RSRC2:USER_SGPR: 2
; COMPUTE_PGM_RSRC2:TRAP_HANDLER: 0
; COMPUTE_PGM_RSRC2:TGID_X_EN: 1
; COMPUTE_PGM_RSRC2:TGID_Y_EN: 1
; COMPUTE_PGM_RSRC2:TGID_Z_EN: 1
; COMPUTE_PGM_RSRC2:TIDIG_COMP_CNT: 0
; COMPUTE_PGM_RSRC3_GFX90A:ACCUM_OFFSET: 18
; COMPUTE_PGM_RSRC3_GFX90A:TG_SPLIT: 0
	.section	.text._ZN2at6native12_GLOBAL__N_112gatherMedianIsjLi1EEEvNS_4cuda6detail10TensorInfoIT_T0_EENS5_IlS7_EENS5_IKS6_S7_EES7_S7_S7_b,"axG",@progbits,_ZN2at6native12_GLOBAL__N_112gatherMedianIsjLi1EEEvNS_4cuda6detail10TensorInfoIT_T0_EENS5_IlS7_EENS5_IKS6_S7_EES7_S7_S7_b,comdat
	.globl	_ZN2at6native12_GLOBAL__N_112gatherMedianIsjLi1EEEvNS_4cuda6detail10TensorInfoIT_T0_EENS5_IlS7_EENS5_IKS6_S7_EES7_S7_S7_b ; -- Begin function _ZN2at6native12_GLOBAL__N_112gatherMedianIsjLi1EEEvNS_4cuda6detail10TensorInfoIT_T0_EENS5_IlS7_EENS5_IKS6_S7_EES7_S7_S7_b
	.p2align	8
	.type	_ZN2at6native12_GLOBAL__N_112gatherMedianIsjLi1EEEvNS_4cuda6detail10TensorInfoIT_T0_EENS5_IlS7_EENS5_IKS6_S7_EES7_S7_S7_b,@function
_ZN2at6native12_GLOBAL__N_112gatherMedianIsjLi1EEEvNS_4cuda6detail10TensorInfoIT_T0_EENS5_IlS7_EENS5_IKS6_S7_EES7_S7_S7_b: ; @_ZN2at6native12_GLOBAL__N_112gatherMedianIsjLi1EEEvNS_4cuda6detail10TensorInfoIT_T0_EENS5_IlS7_EENS5_IKS6_S7_EES7_S7_S7_b
; %bb.0:
	s_load_dwordx2 s[10:11], s[0:1], 0x298
	s_load_dwordx4 s[64:67], s[0:1], 0x288
	s_add_u32 s8, s0, 0x298
	s_addc_u32 s9, s1, 0
	s_waitcnt lgkmcnt(0)
	s_mul_i32 s4, s11, s4
	s_add_i32 s3, s4, s3
	s_mul_i32 s3, s3, s10
	s_add_i32 s16, s3, s2
	s_cmp_ge_u32 s16, s65
	s_cbranch_scc1 .LBB104_254
; %bb.1:
	v_cmp_eq_u32_e64 s[6:7], 0, v0
	s_mov_b64 s[4:5], exec
                                        ; implicit-def: $vgpr76 : SGPR spill to VGPR lane
	s_nop 0
	v_writelane_b32 v76, s6, 0
	s_nop 1
	v_writelane_b32 v76, s7, 1
	s_and_b64 s[6:7], s[4:5], s[6:7]
	s_mov_b64 exec, s[6:7]
; %bb.2:
	v_mov_b32_e32 v2, 0
	v_mov_b32_e32 v3, v2
	ds_write_b64 v2, v[2:3] offset:4096
; %bb.3:
	s_or_b64 exec, exec, s[4:5]
	v_mov_b32_e32 v1, 0
	s_waitcnt lgkmcnt(0)
	s_barrier
	s_barrier
	ds_read_b64 v[2:3], v1 offset:4096
	s_load_dwordx2 s[4:5], s[0:1], 0x1b0
	s_bitcmp1_b32 s67, 0
	s_cselect_b64 s[12:13], -1, 0
	s_mov_b32 s3, s64
	s_waitcnt lgkmcnt(0)
	v_readfirstlane_b32 s6, v2
	v_readfirstlane_b32 s7, v3
	s_nop 1
	v_cmp_lt_i64_e64 s[14:15], s[6:7], 1
	s_or_b64 s[12:13], s[12:13], s[14:15]
	s_andn2_b64 vcc, exec, s[12:13]
	s_cbranch_vccnz .LBB104_5
; %bb.4:
	s_not_b64 s[6:7], s[6:7]
	s_add_u32 s3, s6, s64
	s_addc_u32 s7, s7, 0
	s_lshr_b32 s6, s7, 31
	s_add_u32 s6, s3, s6
	s_addc_u32 s7, s7, 0
	s_lshr_b64 s[6:7], s[6:7], 1
	s_add_i32 s3, s6, 1
.LBB104_5:
	s_load_dwordx2 s[6:7], s[0:1], 0xd8
	s_waitcnt lgkmcnt(0)
	v_writelane_b32 v76, s6, 2
	s_nop 1
	v_writelane_b32 v76, s7, 3
	s_load_dword s11, s[0:1], 0x21c
	s_load_dwordx2 s[6:7], s[0:1], 0x0
	s_waitcnt lgkmcnt(0)
	v_writelane_b32 v76, s6, 4
	s_nop 1
	v_writelane_b32 v76, s7, 5
	s_mov_b64 s[6:7], exec
	v_readlane_b32 s12, v76, 0
	v_readlane_b32 s13, v76, 1
	s_and_b64 s[12:13], s[6:7], s[12:13]
	s_mov_b64 exec, s[12:13]
	s_cbranch_execz .LBB104_7
; %bb.6:
	v_mov_b32_e32 v2, 0
	v_mov_b32_e32 v3, s64
	ds_write_b32 v2, v2 offset:4112
	ds_write_b64 v2, v[2:3] offset:4104
.LBB104_7:
	s_or_b64 exec, exec, s[6:7]
	s_load_dword s6, s[0:1], 0x144
                                        ; kill: killed $sgpr0 killed $sgpr1
	s_mov_b32 s12, 0
	s_waitcnt lgkmcnt(0)
	s_barrier
	v_writelane_b32 v76, s6, 6
	s_load_dword s6, s[0:1], 0x6c
	s_mul_i32 s0, s11, s16
	s_load_dword s11, s[8:9], 0xc
	s_mov_b32 s13, 1
	s_mov_b32 s1, s12
	s_lshl_b64 s[0:1], s[0:1], 1
	s_waitcnt lgkmcnt(0)
	v_writelane_b32 v76, s6, 7
	s_add_u32 s70, s4, s0
	v_writelane_b32 v76, s16, 8
	s_addc_u32 s71, s5, s1
	v_cmp_gt_u32_e64 s[0:1], s64, v0
	v_mbcnt_lo_u32_b32 v1, -1, 0
	s_and_b32 s67, s11, 0xffff
	v_writelane_b32 v76, s0, 9
	v_mbcnt_hi_u32_b32 v20, -1, v1
	v_cmp_gt_u32_e32 vcc, 64, v0
	v_writelane_b32 v76, s1, 10
	v_cmp_gt_i32_e64 s[0:1], 4, v20
	s_add_i32 s33, s67, -1
	s_lshl_b32 s65, s67, 2
	s_and_b64 s[76:77], vcc, s[0:1]
	s_add_i32 s0, s33, s64
	s_cmpk_gt_u32 s64, 0x600
	s_cselect_b64 s[14:15], -1, 0
	s_cmp_gt_u32 s67, 63
	v_lshlrev_b64 v[2:3], v20, -1
	s_cselect_b64 s[80:81], -1, 0
	v_not_b32_e32 v16, v2
	v_lshrrev_b32_e32 v2, 2, v0
	s_cmp_lt_u32 s2, s10
	v_and_b32_e32 v2, 0xf0, v2
	s_cselect_b32 s1, 12, 18
	v_writelane_b32 v76, s14, 11
	v_or_b32_e32 v23, 0xc00, v2
	s_add_u32 s8, s8, s1
	v_add_u32_e32 v2, 2, v0
	v_writelane_b32 v76, s15, 12
	s_addc_u32 s9, s9, 0
	v_max_u32_e32 v2, s64, v2
	v_writelane_b32 v76, s8, 13
	v_xad_u32 v2, v0, -1, v2
	v_not_b32_e32 v1, v3
	v_writelane_b32 v76, s9, 14
	v_add_u32_e32 v3, -4, v2
	s_bfe_u32 s8, s11, 0xa0006
	v_cmp_lt_u32_e64 s[10:11], 31, v2
	v_lshrrev_b32_e32 v5, 2, v3
	v_add_u32_e32 v5, 1, v5
	v_writelane_b32 v76, s10, 15
	v_and_b32_e32 v6, 3, v5
	s_add_i32 s1, s8, -2
	v_writelane_b32 v76, s11, 16
	v_cmp_lt_u32_e64 s[10:11], 11, v3
	s_lshr_b32 s2, s1, 1
	v_and_b32_e32 v24, -4, v2
	v_writelane_b32 v76, s10, 17
	s_add_i32 s2, s2, 1
	s_cmpk_gt_u32 s67, 0x7f
	v_writelane_b32 v76, s11, 18
	v_cmp_ne_u32_e64 s[10:11], 0, v6
	v_lshlrev_b32_e32 v17, 2, v0
	v_mov_b32_e32 v13, 0
	v_writelane_b32 v76, s10, 19
	v_lshlrev_b32_e32 v21, 1, v0
	v_mul_lo_u32 v10, s66, v0
	v_writelane_b32 v76, s11, 20
	v_cmp_ne_u32_e64 s[10:11], v2, v24
	v_cvt_f32_u32_e32 v2, s65
	v_mov_b32_e32 v11, v13
	v_writelane_b32 v76, s10, 21
	v_lshlrev_b32_e32 v4, 2, v20
	v_rcp_iflag_f32_e32 v2, v2
	v_writelane_b32 v76, s11, 22
	s_cselect_b64 s[10:11], -1, 0
	v_writelane_b32 v76, s10, 23
	s_and_b32 s9, s8, 0x3fe
	v_mul_f32_e32 v2, 0x4f7ffffe, v2
	v_writelane_b32 v76, s11, 24
	s_and_b32 s10, s2, 7
	s_cmp_gt_u32 s1, 13
	s_cselect_b64 s[14:15], -1, 0
	v_writelane_b32 v76, s14, 25
	s_and_b32 s1, s2, -8
	s_cmp_lg_u32 s10, 0
	v_writelane_b32 v76, s15, 26
	v_writelane_b32 v76, s1, 27
	v_cvt_u32_f32_e32 v2, v2
	v_writelane_b32 v76, s10, 28
	s_cselect_b64 s[10:11], -1, 0
	v_writelane_b32 v76, s10, 29
	s_cmp_lg_u32 s9, s8
	v_readfirstlane_b32 s2, v2
	v_writelane_b32 v76, s11, 30
	v_writelane_b32 v76, s8, 31
	v_cvt_f32_u32_e32 v2, s67
	v_writelane_b32 v76, s9, 32
	s_cselect_b64 s[8:9], -1, 0
	s_sub_i32 s1, 0, s65
	s_mul_i32 s1, s1, s2
	s_mul_hi_u32 s1, s2, s1
	s_add_i32 s24, s2, s1
	v_rcp_iflag_f32_e32 v2, v2
	s_mul_hi_u32 s1, s64, s24
	s_mul_i32 s1, s1, s65
	s_sub_i32 s1, s64, s1
	s_sub_i32 s2, s1, s65
	v_mul_f32_e32 v2, 0x4f7ffffe, v2
	s_cmp_ge_u32 s1, s65
	v_cvt_u32_f32_e32 v2, v2
	s_cselect_b32 s1, s2, s1
	s_sub_i32 s2, s1, s65
	v_writelane_b32 v76, s8, 33
	s_cmp_ge_u32 s1, s65
	s_cselect_b32 s1, s2, s1
	v_writelane_b32 v76, s9, 34
	s_sub_i32 s2, 0, s67
	v_readfirstlane_b32 s8, v2
	s_mul_i32 s2, s2, s8
	s_mul_hi_u32 s2, s8, s2
	s_add_i32 s87, s8, s2
	s_mul_hi_u32 s2, s0, s87
	s_mul_i32 s2, s2, s67
	s_sub_i32 s2, s0, s2
	s_sub_i32 s25, s64, s1
	;; [unrolled: 1-line block ×3, first 2 shown]
	s_cmp_ge_u32 s2, s67
	s_cselect_b32 s2, s8, s2
	s_sub_i32 s8, s2, s67
	s_cmp_ge_u32 s2, s67
	v_mul_lo_u32 v2, s66, v17
	s_cselect_b32 s2, s8, s2
	v_add_u32_e32 v29, s66, v2
	v_or_b32_e32 v2, 2, v17
	s_sub_i32 s82, s0, s2
	v_mul_lo_u32 v30, s66, v2
	v_or_b32_e32 v2, 3, v17
	s_add_i32 s0, s67, s64
	v_add_u32_e32 v27, s25, v0
	v_mul_lo_u32 v31, s66, v2
	v_add_u32_e32 v2, s0, v0
	v_mul_lo_u32 v12, v27, s66
	v_cmp_gt_u32_e64 s[8:9], s82, v0
	s_mul_i32 s86, s66, s67
	v_subrev_u32_e32 v2, s1, v2
	v_cmp_eq_u32_e64 s[4:5], 0, v20
	v_cmp_gt_u32_e64 s[6:7], 2, v0
	v_add_u32_e32 v22, 0xc00, v21
	v_lshl_add_u64 v[14:15], v[10:11], 1, s[70:71]
	v_and_b32_e32 v11, 0x100, v4
	v_add_u32_e32 v25, v0, v24
	s_mov_b32 s88, s66
	s_mov_b32 s89, s66
	;; [unrolled: 1-line block ×4, first 2 shown]
	v_and_b32_e32 v26, 0x7ffffffc, v5
	v_cmp_gt_u32_e64 s[16:17], s25, v17
	v_cmp_gt_u32_e64 s[18:19], s64, v27
	v_lshl_add_u64 v[18:19], v[12:13], 1, s[70:71]
	v_writelane_b32 v76, s8, 35
	v_lshlrev_b32_e32 v28, 3, v6
	s_lshl_b32 s83, s86, 2
	v_lshlrev_b32_e32 v32, 2, v10
	v_mul_lo_u32 v33, s66, v2
	v_lshlrev_b32_e32 v35, 3, v0
	s_lshl_b32 s84, s67, 3
	s_lshl_b32 s85, s67, 1
	v_or_b32_e32 v36, 0xc00, v4
	s_mov_b64 s[92:93], 0
	v_mov_b32_e32 v37, 14
	v_mov_b32_e32 v42, s3
	s_mov_b32 s20, 0x8000
	s_mov_b32 s21, 0x5040100
	v_mov_b32_e32 v47, s64
	v_mov_b32_e32 v38, 0xc00
	;; [unrolled: 1-line block ×4, first 2 shown]
	s_mov_b32 s78, s12
	v_mov_b32_e32 v34, 0
	v_mov_b32_e32 v40, 0
	v_writelane_b32 v76, s9, 36
                                        ; implicit-def: $sgpr94_sgpr95
                                        ; implicit-def: $sgpr96_sgpr97
                                        ; implicit-def: $sgpr98_sgpr99
                                        ; implicit-def: $sgpr10_sgpr11
                                        ; implicit-def: $sgpr12_sgpr13
                                        ; implicit-def: $sgpr68_sgpr69
	s_branch .LBB104_11
.LBB104_8:                              ;   in Loop: Header=BB104_11 Depth=1
	s_or_b64 exec, exec, s[26:27]
	s_and_b64 s[14:15], s[14:15], exec
	s_andn2_b64 s[30:31], s[30:31], exec
	s_andn2_b64 s[28:29], s[28:29], exec
	s_orn2_b64 s[2:3], s[2:3], exec
.LBB104_9:                              ;   in Loop: Header=BB104_11 Depth=1
	s_or_b64 exec, exec, s[8:9]
	s_andn2_b64 s[8:9], s[68:69], exec
	s_and_b64 s[14:15], s[14:15], exec
	s_or_b64 s[68:69], s[8:9], s[14:15]
	s_andn2_b64 s[8:9], s[12:13], exec
	s_and_b64 s[12:13], s[30:31], exec
	s_or_b64 s[12:13], s[8:9], s[12:13]
	;; [unrolled: 3-line block ×3, first 2 shown]
	s_orn2_b64 s[2:3], s[2:3], exec
.LBB104_10:                             ;   in Loop: Header=BB104_11 Depth=1
	s_or_b64 exec, exec, s[0:1]
	s_and_b64 s[0:1], exec, s[2:3]
	s_or_b64 s[92:93], s[0:1], s[92:93]
	s_andn2_b64 s[0:1], s[98:99], exec
	s_and_b64 s[2:3], s[68:69], exec
	s_or_b64 s[98:99], s[0:1], s[2:3]
	s_andn2_b64 s[0:1], s[96:97], exec
	s_and_b64 s[2:3], s[12:13], exec
	s_or_b64 s[96:97], s[0:1], s[2:3]
	s_andn2_b64 s[0:1], s[94:95], exec
	s_and_b64 s[2:3], s[10:11], exec
	s_or_b64 s[94:95], s[0:1], s[2:3]
	s_mov_b32 s78, s22
	v_mov_b32_e32 v42, v5
	s_andn2_b64 exec, exec, s[92:93]
	s_cbranch_execz .LBB104_250
.LBB104_11:                             ; =>This Loop Header: Depth=1
                                        ;     Child Loop BB104_16 Depth 2
                                        ;     Child Loop BB104_37 Depth 2
	;; [unrolled: 1-line block ×19, first 2 shown]
	ds_read_b64 v[2:3], v13 offset:4104
	s_waitcnt lgkmcnt(0)
	v_readfirstlane_b32 s79, v2
	s_cmp_lg_u32 s79, 0
	s_cbranch_scc1 .LBB104_56
; %bb.12:                               ;   in Loop: Header=BB104_11 Depth=1
	v_readlane_b32 s0, v76, 11
	v_readlane_b32 s1, v76, 12
	s_and_b64 vcc, exec, s[0:1]
	s_cbranch_vccz .LBB104_24
; %bb.13:                               ;   in Loop: Header=BB104_11 Depth=1
	s_movk_i32 s0, 0x601
	v_cmp_gt_u32_e32 vcc, s0, v3
	s_mov_b64 s[8:9], 0
	s_mov_b64 s[0:1], 0
	s_cbranch_vccz .LBB104_25
; %bb.14:                               ;   in Loop: Header=BB104_11 Depth=1
	v_readlane_b32 s0, v76, 13
	v_readlane_b32 s1, v76, 14
	s_nop 4
	global_load_ushort v2, v13, s[0:1]
	global_load_ushort v4, v[14:15], off
	s_mov_b64 s[14:15], 0
	s_waitcnt vmcnt(1)
	v_add_u32_e32 v5, v0, v2
	v_mul_lo_u32 v3, s66, v2
	v_mul_lo_u32 v12, s66, v5
	v_mov_b32_e32 v5, v0
	s_branch .LBB104_16
.LBB104_15:                             ;   in Loop: Header=BB104_16 Depth=2
	s_or_b64 exec, exec, s[2:3]
	v_add_u32_e32 v12, v12, v3
	v_mov_b32_e32 v4, v6
	s_andn2_b64 exec, exec, s[14:15]
	s_cbranch_execz .LBB104_31
.LBB104_16:                             ;   Parent Loop BB104_11 Depth=1
                                        ; =>  This Inner Loop Header: Depth=2
	v_add_u32_e32 v5, v5, v2
	v_cmp_gt_u32_e64 s[0:1], s64, v5
	v_cmp_le_u32_e32 vcc, s64, v5
	s_waitcnt lgkmcnt(0)
	v_mov_b32_e32 v7, 0
	v_mov_b32_e32 v6, 0
	s_and_saveexec_b64 s[2:3], s[0:1]
	s_cbranch_execz .LBB104_18
; %bb.17:                               ;   in Loop: Header=BB104_16 Depth=2
	v_lshl_add_u64 v[8:9], v[12:13], 1, s[70:71]
	global_load_ushort v6, v[8:9], off
.LBB104_18:                             ;   in Loop: Header=BB104_16 Depth=2
	s_or_b64 exec, exec, s[2:3]
	s_waitcnt vmcnt(0)
	v_add_u32_sdwa v8, sext(v4), s20 dst_sel:DWORD dst_unused:UNUSED_PAD src0_sel:WORD_0 src1_sel:DWORD
	v_and_b32_e32 v8, v8, v40
	v_cmp_eq_u32_e64 s[0:1], v8, v34
	s_cmp_lg_u64 s[0:1], 0
	s_cselect_b64 s[2:3], -1, 0
	s_and_b64 s[2:3], s[4:5], s[2:3]
	s_and_saveexec_b64 s[26:27], s[2:3]
	s_cbranch_execz .LBB104_22
; %bb.19:                               ;   in Loop: Header=BB104_16 Depth=2
	s_mov_b64 s[30:31], exec
	v_mbcnt_lo_u32_b32 v7, s30, 0
	v_mbcnt_hi_u32_b32 v7, s31, v7
	s_bcnt1_i32_b64 s22, s[0:1]
	v_cmp_eq_u32_e64 s[2:3], 0, v7
                                        ; implicit-def: $vgpr8
	s_and_saveexec_b64 s[28:29], s[2:3]
; %bb.20:                               ;   in Loop: Header=BB104_16 Depth=2
	s_bcnt1_i32_b64 s2, s[30:31]
	s_mul_i32 s2, s22, s2
	v_mov_b32_e32 v8, s2
	ds_add_rtn_u32 v8, v13, v8 offset:4112
; %bb.21:                               ;   in Loop: Header=BB104_16 Depth=2
	s_or_b64 exec, exec, s[28:29]
	s_waitcnt lgkmcnt(0)
	v_readfirstlane_b32 s2, v8
	s_nop 1
	v_mov_b32_e32 v8, s2
	v_mad_u32_u24 v7, s22, v7, v8
.LBB104_22:                             ;   in Loop: Header=BB104_16 Depth=2
	s_or_b64 exec, exec, s[26:27]
	ds_bpermute_b32 v7, v11, v7
	s_and_b64 s[2:3], exec, vcc
	s_or_b64 s[14:15], s[2:3], s[14:15]
	s_and_saveexec_b64 s[2:3], s[0:1]
	s_cbranch_execz .LBB104_15
; %bb.23:                               ;   in Loop: Header=BB104_16 Depth=2
	v_and_b32_e32 v9, s0, v16
	v_and_b32_e32 v8, s1, v1
	v_bcnt_u32_b32 v9, v9, 0
	v_bcnt_u32_b32 v8, v8, v9
	v_lshlrev_b32_e32 v8, 1, v8
	s_waitcnt lgkmcnt(0)
	v_lshl_add_u32 v7, v7, 1, v8
	ds_write_b16 v7, v4
	s_branch .LBB104_15
.LBB104_24:                             ;   in Loop: Header=BB104_11 Depth=1
	s_mov_b64 s[8:9], -1
	s_mov_b64 s[0:1], 0
.LBB104_25:                             ;   in Loop: Header=BB104_11 Depth=1
	s_and_b64 vcc, exec, s[8:9]
	s_cbranch_vccz .LBB104_54
.LBB104_26:                             ;   in Loop: Header=BB104_11 Depth=1
	s_mov_b64 s[2:3], exec
	v_readlane_b32 s0, v76, 9
	v_readlane_b32 s1, v76, 10
	s_and_b64 s[0:1], s[2:3], s[0:1]
	s_mov_b64 exec, s[0:1]
	s_cbranch_execz .LBB104_51
; %bb.27:                               ;   in Loop: Header=BB104_11 Depth=1
	v_readlane_b32 s0, v76, 13
	v_readlane_b32 s1, v76, 14
	s_nop 4
	global_load_ushort v2, v13, s[0:1]
	global_load_ushort v43, v[14:15], off
	v_mov_b32_e32 v3, v0
	s_waitcnt vmcnt(1)
	v_readfirstlane_b32 s30, v2
	v_add_u32_e32 v2, v0, v2
	v_cmp_gt_u32_e32 vcc, s64, v2
	s_and_saveexec_b64 s[26:27], vcc
	s_cbranch_execz .LBB104_50
; %bb.28:                               ;   in Loop: Header=BB104_11 Depth=1
	s_mov_b64 s[0:1], 0
	s_mul_i32 s31, s66, s30
                                        ; implicit-def: $vgpr3
                                        ; implicit-def: $vgpr6
                                        ; implicit-def: $vgpr4
                                        ; implicit-def: $vgpr5
	s_mov_b64 s[8:9], exec
	v_readlane_b32 s14, v76, 15
	v_readlane_b32 s15, v76, 16
	s_and_b64 s[14:15], s[8:9], s[14:15]
	s_xor_b64 s[28:29], s[14:15], s[8:9]
	s_mov_b64 exec, s[14:15]
	s_cbranch_execnz .LBB104_34
; %bb.29:                               ;   in Loop: Header=BB104_11 Depth=1
	s_andn2_saveexec_b64 s[8:9], s[28:29]
	s_cbranch_execnz .LBB104_45
.LBB104_30:                             ;   in Loop: Header=BB104_11 Depth=1
	s_or_b64 exec, exec, s[8:9]
	s_and_saveexec_b64 s[8:9], s[0:1]
	s_cbranch_execnz .LBB104_46
	s_branch .LBB104_49
.LBB104_31:                             ;   in Loop: Header=BB104_11 Depth=1
	s_or_b64 exec, exec, s[14:15]
	s_waitcnt lgkmcnt(0)
	s_barrier
	s_mov_b64 s[0:1], exec
	v_readlane_b32 s2, v76, 0
	v_readlane_b32 s3, v76, 1
	s_and_b64 s[2:3], s[0:1], s[2:3]
	s_mov_b64 exec, s[2:3]
	s_cbranch_execz .LBB104_33
; %bb.32:                               ;   in Loop: Header=BB104_11 Depth=1
	ds_read_b32 v2, v13 offset:4112
	s_waitcnt lgkmcnt(0)
	ds_write_b32 v13, v2 offset:4104
.LBB104_33:                             ;   in Loop: Header=BB104_11 Depth=1
	s_or_b64 exec, exec, s[0:1]
	s_waitcnt lgkmcnt(0)
	s_barrier
	s_mov_b64 s[0:1], -1
	s_and_b64 vcc, exec, s[8:9]
	s_cbranch_vccnz .LBB104_26
	s_branch .LBB104_54
.LBB104_34:                             ;   in Loop: Header=BB104_11 Depth=1
	v_cvt_f32_u32_e32 v3, s30
	v_add_u32_e32 v4, s30, v2
	v_max_u32_e32 v4, s64, v4
	s_lshl_b32 s0, s30, 1
	v_rcp_iflag_f32_e32 v3, v3
	v_sub_u32_e32 v4, v4, v0
	v_cmp_ne_u32_e32 vcc, s0, v4
	s_sub_i32 s1, 0, s30
	v_mul_f32_e32 v3, 0x4f7ffffe, v3
	v_cvt_u32_f32_e32 v3, v3
	v_cndmask_b32_e64 v5, 0, 1, vcc
	v_or_b32_e32 v5, s0, v5
	v_sub_u32_e32 v4, v4, v5
	v_mul_lo_u32 v5, s1, v3
	v_mul_hi_u32 v5, v3, v5
	v_add_u32_e32 v3, v3, v5
	v_mul_hi_u32 v3, v4, v3
	v_mul_lo_u32 v5, v3, s30
	v_sub_u32_e32 v4, v4, v5
	v_add_u32_e32 v5, 1, v3
	v_cmp_le_u32_e64 s[0:1], s30, v4
	s_nop 1
	v_cndmask_b32_e64 v3, v3, v5, s[0:1]
	v_subrev_u32_e32 v5, s30, v4
	v_cndmask_b32_e64 v4, v4, v5, s[0:1]
	v_add_u32_e32 v5, 1, v3
	v_cmp_le_u32_e64 s[0:1], s30, v4
	v_mul_lo_u32 v4, s66, v2
	s_nop 0
	v_cndmask_b32_e64 v3, v3, v5, s[0:1]
	v_addc_co_u32_e32 v3, vcc, 0, v3, vcc
	s_abs_i32 s0, s31
	v_mul_hi_u32 v5, s0, v3
	v_mul_lo_u32 v3, s0, v3
	s_not_b32 s0, s31
	s_ashr_i32 s0, s0, 31
	s_cmp_eq_u32 s30, 1
	v_cmp_eq_u32_e32 vcc, 0, v5
	v_xor_b32_e32 v4, s0, v4
	s_cselect_b64 s[8:9], -1, 0
	v_cmp_le_u32_e64 s[0:1], v3, v4
	s_and_b64 s[8:9], vcc, s[8:9]
	s_and_b64 s[14:15], s[8:9], s[0:1]
	s_mov_b64 s[8:9], -1
	v_mov_b32_e32 v4, v0
                                        ; implicit-def: $vgpr3
	s_and_saveexec_b64 s[0:1], s[14:15]
	s_cbranch_execz .LBB104_44
; %bb.35:                               ;   in Loop: Header=BB104_11 Depth=1
	v_add_u32_e32 v5, 3, v2
	v_add_u32_e32 v4, 2, v2
	;; [unrolled: 1-line block ×3, first 2 shown]
	v_mov_b64_e32 v[8:9], v[4:5]
	s_waitcnt vmcnt(0)
	v_lshlrev_b32_e32 v44, 16, v43
	v_mov_b32_e32 v12, 0
	v_mov_b64_e32 v[6:7], v[2:3]
                                        ; implicit-def: $vgpr43
	s_mov_b64 s[8:9], exec
	v_readlane_b32 s14, v76, 17
	v_readlane_b32 s15, v76, 18
	s_and_b64 s[14:15], s[8:9], s[14:15]
	s_mov_b64 exec, s[14:15]
	s_cbranch_execz .LBB104_39
; %bb.36:                               ;   in Loop: Header=BB104_11 Depth=1
	v_mov_b64_e32 v[8:9], v[4:5]
	s_mov_b32 s22, 0
	s_mov_b64 s[14:15], 0
	v_mov_b32_e32 v45, v26
	v_mov_b32_e32 v46, v21
	v_mov_b64_e32 v[6:7], v[2:3]
.LBB104_37:                             ;   Parent Loop BB104_11 Depth=1
                                        ; =>  This Inner Loop Header: Depth=2
	v_mul_lo_u32 v12, v6, s88
	v_add_u32_e32 v3, 4, v6
	v_add_u32_e32 v43, 4, v7
	;; [unrolled: 1-line block ×4, first 2 shown]
	v_mul_lo_u32 v4, v9, s91
	v_mul_lo_u32 v50, v7, s89
	v_mov_b32_e32 v51, v13
	v_mov_b32_e32 v5, v13
	;; [unrolled: 1-line block ×4, first 2 shown]
	v_add_u32_e32 v74, 8, v6
	v_lshl_add_u64 v[70:71], v[12:13], 1, s[70:71]
	v_mul_lo_u32 v56, v54, s91
	v_mul_lo_u32 v54, v52, s90
	v_mul_lo_u32 v52, v43, s89
	v_mul_lo_u32 v12, v3, s88
	v_mul_lo_u32 v48, v8, s90
	v_mov_b32_e32 v49, v13
	v_mov_b32_e32 v57, v13
	v_add_u32_e32 v58, 8, v7
	v_add_u32_e32 v60, 8, v8
	;; [unrolled: 1-line block ×3, first 2 shown]
	v_lshl_add_u64 v[50:51], v[50:51], 1, s[70:71]
	v_lshl_add_u64 v[4:5], v[4:5], 1, s[70:71]
	;; [unrolled: 1-line block ×5, first 2 shown]
	v_mul_lo_u32 v12, v74, s88
	v_add_u32_e32 v62, 8, v9
	v_mov_b32_e32 v59, v13
	v_mov_b32_e32 v61, v13
	v_add_u32_e32 v64, 12, v7
	v_add_u32_e32 v66, 12, v8
	;; [unrolled: 1-line block ×3, first 2 shown]
	v_lshl_add_u64 v[48:49], v[48:49], 1, s[70:71]
	v_mul_lo_u32 v60, v60, s90
	v_mul_lo_u32 v58, v58, s89
	v_lshl_add_u64 v[56:57], v[56:57], 1, s[70:71]
	global_load_ushort v3, v[70:71], off
	s_nop 0
	global_load_ushort v50, v[50:51], off
	s_nop 0
	global_load_ushort v51, v[48:49], off
	global_load_ushort v70, v[4:5], off
	;; [unrolled: 1-line block ×3, first 2 shown]
	s_nop 0
	global_load_ushort v52, v[52:53], off
	s_nop 0
	global_load_ushort v53, v[54:55], off
	;; [unrolled: 2-line block ×3, first 2 shown]
	v_lshl_add_u64 v[4:5], v[12:13], 1, s[70:71]
	v_mul_lo_u32 v12, v75, s88
	v_mov_b32_e32 v63, v13
	v_mov_b32_e32 v65, v13
	;; [unrolled: 1-line block ×4, first 2 shown]
	v_mul_lo_u32 v62, v62, s91
	v_mul_lo_u32 v68, v68, s91
	;; [unrolled: 1-line block ×4, first 2 shown]
	v_lshl_add_u64 v[58:59], v[58:59], 1, s[70:71]
	v_lshl_add_u64 v[60:61], v[60:61], 1, s[70:71]
	;; [unrolled: 1-line block ×7, first 2 shown]
	global_load_ushort v55, v[58:59], off
	global_load_ushort v56, v[60:61], off
	;; [unrolled: 1-line block ×3, first 2 shown]
	s_nop 0
	global_load_ushort v58, v[64:65], off
	global_load_ushort v59, v[66:67], off
	;; [unrolled: 1-line block ×4, first 2 shown]
	s_nop 0
	global_load_ushort v4, v[4:5], off
	v_add_u32_e32 v45, -4, v45
	s_add_i32 s22, s22, 16
	v_cmp_eq_u32_e32 vcc, 0, v45
	v_add_u32_e32 v9, 16, v9
	v_add_u32_e32 v8, 16, v8
	;; [unrolled: 1-line block ×4, first 2 shown]
	v_mov_b32_e32 v12, s22
	s_or_b64 s[14:15], vcc, s[14:15]
	s_waitcnt vmcnt(15)
	v_alignbit_b32 v48, v3, v44, 16
	s_waitcnt vmcnt(13)
	v_perm_b32 v49, v51, v50, s21
	s_waitcnt vmcnt(11)
	v_perm_b32 v50, v71, v70, s21
	;; [unrolled: 2-line block ×3, first 2 shown]
	ds_write_b128 v46, v[48:51]
	s_waitcnt vmcnt(6)
	v_perm_b32 v53, v56, v55, s21
	s_waitcnt vmcnt(3)
	v_perm_b32 v55, v59, v58, s21
	;; [unrolled: 2-line block ×4, first 2 shown]
	v_perm_b32 v54, v60, v57, s21
	ds_write_b128 v46, v[52:55] offset:16
	v_add_u32_e32 v46, 32, v46
	s_andn2_b64 exec, exec, s[14:15]
	s_cbranch_execnz .LBB104_37
; %bb.38:                               ;   in Loop: Header=BB104_11 Depth=1
	s_or_b64 exec, exec, s[14:15]
.LBB104_39:                             ;   in Loop: Header=BB104_11 Depth=1
	s_or_b64 exec, exec, s[8:9]
	s_mov_b64 s[8:9], exec
	v_readlane_b32 s14, v76, 19
	v_readlane_b32 s15, v76, 20
	s_and_b64 s[14:15], s[8:9], s[14:15]
	s_mov_b64 exec, s[14:15]
	s_cbranch_execz .LBB104_43
; %bb.40:                               ;   in Loop: Header=BB104_11 Depth=1
	v_lshl_add_u32 v3, v12, 1, v21
	s_mov_b64 s[14:15], 0
	v_mov_b32_e32 v4, v28
.LBB104_41:                             ;   Parent Loop BB104_11 Depth=1
                                        ; =>  This Inner Loop Header: Depth=2
	v_mul_lo_u32 v50, v8, s90
	v_mov_b32_e32 v51, v13
	v_mul_lo_u32 v48, v9, s91
	v_mul_lo_u32 v52, v7, s89
	;; [unrolled: 1-line block ×3, first 2 shown]
	v_mov_b32_e32 v53, v13
	v_mov_b32_e32 v49, v13
	v_lshl_add_u64 v[50:51], v[50:51], 1, s[70:71]
	v_lshl_add_u64 v[54:55], v[12:13], 1, s[70:71]
	;; [unrolled: 1-line block ×4, first 2 shown]
	global_load_ushort v5, v[50:51], off
	global_load_ushort v43, v[48:49], off
	;; [unrolled: 1-line block ×4, first 2 shown]
	v_add_u32_e32 v4, -8, v4
	v_cmp_eq_u32_e32 vcc, 0, v4
	v_add_u32_e32 v9, 4, v9
	v_add_u32_e32 v8, 4, v8
	;; [unrolled: 1-line block ×4, first 2 shown]
	s_or_b64 s[14:15], vcc, s[14:15]
	s_waitcnt vmcnt(2)
	v_perm_b32 v48, v43, v5, s21
	s_waitcnt vmcnt(1)
	v_perm_b32 v45, v5, v12, s21
	s_waitcnt vmcnt(0)
	v_alignbit_b32 v44, v46, v44, 16
	ds_write_b64 v3, v[44:45]
	v_add_u32_e32 v3, 8, v3
	v_mov_b32_e32 v44, v48
	s_andn2_b64 exec, exec, s[14:15]
	s_cbranch_execnz .LBB104_41
; %bb.42:                               ;   in Loop: Header=BB104_11 Depth=1
	s_or_b64 exec, exec, s[14:15]
.LBB104_43:                             ;   in Loop: Header=BB104_11 Depth=1
	s_or_b64 exec, exec, s[8:9]
	v_readlane_b32 s8, v76, 21
	v_add_u32_e32 v2, v2, v24
	v_readlane_b32 s9, v76, 22
	v_add_u32_e32 v3, -1, v2
	s_orn2_b64 s[8:9], s[8:9], exec
	v_mov_b32_e32 v4, v25
.LBB104_44:                             ;   in Loop: Header=BB104_11 Depth=1
	s_or_b64 exec, exec, s[0:1]
	v_mov_b32_e32 v5, s31
	s_and_b64 s[0:1], s[8:9], exec
	s_waitcnt vmcnt(0)
	v_mov_b32_e32 v6, v43
	s_andn2_saveexec_b64 s[8:9], s[28:29]
	s_cbranch_execz .LBB104_30
.LBB104_45:                             ;   in Loop: Header=BB104_11 Depth=1
	v_mov_b32_e32 v5, s31
	s_or_b64 s[0:1], s[0:1], exec
	s_waitcnt vmcnt(0)
	v_mov_b32_e32 v6, v43
	v_mov_b32_e32 v4, v0
	s_or_b64 exec, exec, s[8:9]
	s_and_saveexec_b64 s[8:9], s[0:1]
	s_cbranch_execz .LBB104_49
.LBB104_46:                             ;   in Loop: Header=BB104_11 Depth=1
	s_sub_i32 s14, 0, s30
	v_mul_lo_u32 v12, s66, v2
	s_mov_b64 s[0:1], 0
.LBB104_47:                             ;   Parent Loop BB104_11 Depth=1
                                        ; =>  This Inner Loop Header: Depth=2
	v_lshl_add_u64 v[8:9], v[12:13], 1, s[70:71]
	global_load_ushort v43, v[8:9], off
	v_mov_b32_e32 v3, v2
	v_lshlrev_b32_e32 v2, 1, v4
	ds_write_b16 v2, v6
	v_add_u32_e32 v2, s30, v3
	v_cmp_le_u32_e32 vcc, s64, v2
	v_add_u32_e32 v12, v12, v5
	v_mov_b32_e32 v4, v3
	s_or_b64 s[0:1], vcc, s[0:1]
	s_waitcnt vmcnt(0)
	v_mov_b32_e32 v6, v43
	s_andn2_b64 exec, exec, s[0:1]
	s_cbranch_execnz .LBB104_47
; %bb.48:                               ;   in Loop: Header=BB104_11 Depth=1
	s_or_b64 exec, exec, s[0:1]
	v_add_u32_e32 v3, s14, v2
.LBB104_49:                             ;   in Loop: Header=BB104_11 Depth=1
	s_or_b64 exec, exec, s[8:9]
.LBB104_50:                             ;   in Loop: Header=BB104_11 Depth=1
	s_or_b64 exec, exec, s[26:27]
	v_lshlrev_b32_e32 v2, 1, v3
	s_waitcnt vmcnt(0)
	ds_write_b16 v2, v43
.LBB104_51:                             ;   in Loop: Header=BB104_11 Depth=1
	s_or_b64 exec, exec, s[2:3]
	s_waitcnt lgkmcnt(0)
	s_barrier
	s_mov_b64 s[0:1], exec
	v_readlane_b32 s2, v76, 0
	v_readlane_b32 s3, v76, 1
	s_and_b64 s[2:3], s[0:1], s[2:3]
	s_mov_b64 exec, s[2:3]
; %bb.52:                               ;   in Loop: Header=BB104_11 Depth=1
	ds_write_b32 v13, v47 offset:4104
; %bb.53:                               ;   in Loop: Header=BB104_11 Depth=1
	s_or_b64 exec, exec, s[0:1]
	s_mov_b64 s[0:1], -1
	s_waitcnt lgkmcnt(0)
	s_barrier
.LBB104_54:                             ;   in Loop: Header=BB104_11 Depth=1
	s_mov_b32 s79, 0
	s_and_b64 vcc, exec, s[0:1]
	s_cbranch_vccz .LBB104_56
; %bb.55:                               ;   in Loop: Header=BB104_11 Depth=1
	ds_read_b32 v2, v13 offset:4104
	s_waitcnt lgkmcnt(0)
	v_readfirstlane_b32 s79, v2
.LBB104_56:                             ;   in Loop: Header=BB104_11 Depth=1
	s_cmp_lt_i32 s79, 1
	s_mov_b64 s[0:1], -1
                                        ; implicit-def: $vgpr4_vgpr5
	s_cbranch_scc1 .LBB104_66
; %bb.57:                               ;   in Loop: Header=BB104_11 Depth=1
	s_and_b64 vcc, exec, s[0:1]
	s_cbranch_vccnz .LBB104_77
.LBB104_58:                             ;   in Loop: Header=BB104_11 Depth=1
	s_lshl_b32 s8, s78, 6
	s_and_saveexec_b64 s[0:1], s[4:5]
.LBB104_59:                             ;   in Loop: Header=BB104_11 Depth=1
	v_lshl_add_u32 v6, s8, 2, v23
	ds_write_b128 v6, v[2:5]
.LBB104_60:                             ;   in Loop: Header=BB104_11 Depth=1
	s_or_b64 exec, exec, s[0:1]
	s_waitcnt lgkmcnt(0)
	s_barrier
	s_and_saveexec_b64 s[0:1], s[76:77]
	s_cbranch_execz .LBB104_94
; %bb.61:                               ;   in Loop: Header=BB104_11 Depth=1
	v_add_u32_e32 v4, s8, v20
	s_andn2_b64 vcc, exec, s[80:81]
	v_mov_b32_e32 v2, 0
	s_cbranch_vccnz .LBB104_93
; %bb.62:                               ;   in Loop: Header=BB104_11 Depth=1
	v_readlane_b32 s2, v76, 23
	v_readlane_b32 s3, v76, 24
	s_andn2_b64 vcc, exec, s[2:3]
	s_cbranch_vccnz .LBB104_86
; %bb.63:                               ;   in Loop: Header=BB104_11 Depth=1
	v_readlane_b32 s2, v76, 25
	v_readlane_b32 s3, v76, 26
	s_andn2_b64 vcc, exec, s[2:3]
	v_lshl_add_u32 v5, v4, 2, v38
	s_cbranch_vccnz .LBB104_87
; %bb.64:                               ;   in Loop: Header=BB104_11 Depth=1
	s_mov_b32 s3, 1
	s_mov_b32 s2, 0
	v_mov_b32_e32 v2, 0
	v_mov_b32_e32 v3, 0
	v_readlane_b32 s9, v76, 27
.LBB104_65:                             ;   Parent Loop BB104_11 Depth=1
                                        ; =>  This Inner Loop Header: Depth=2
	v_lshl_add_u32 v12, s2, 4, v5
	v_lshl_add_u32 v43, s3, 4, v5
	ds_read2_b32 v[6:7], v12 offset1:8
	ds_read2_b32 v[8:9], v43 offset1:8
	ds_read2_b32 v[44:45], v12 offset0:16 offset1:24
	ds_read2_b32 v[48:49], v43 offset0:16 offset1:24
	;; [unrolled: 1-line block ×6, first 2 shown]
	s_waitcnt lgkmcnt(7)
	v_add3_u32 v2, v6, v2, v7
	s_waitcnt lgkmcnt(6)
	v_add3_u32 v3, v8, v3, v9
	;; [unrolled: 2-line block ×3, first 2 shown]
	v_add3_u32 v2, v44, v2, v45
	s_add_i32 s3, s3, 16
	s_add_i32 s2, s2, 16
	s_add_i32 s9, s9, -8
	s_waitcnt lgkmcnt(3)
	v_add3_u32 v2, v50, v2, v51
	s_waitcnt lgkmcnt(2)
	v_add3_u32 v3, v52, v3, v53
	s_cmp_lg_u32 s9, 0
	s_waitcnt lgkmcnt(0)
	v_add3_u32 v3, v56, v3, v57
	v_add3_u32 v2, v54, v2, v55
	s_cbranch_scc1 .LBB104_65
	s_branch .LBB104_88
.LBB104_66:                             ;   in Loop: Header=BB104_11 Depth=1
	v_mov_b32_e32 v12, v13
	v_mov_b64_e32 v[4:5], v[12:13]
	v_mov_b64_e32 v[2:3], v[12:13]
	s_and_saveexec_b64 s[52:53], s[16:17]
	s_cbranch_execz .LBB104_70
; %bb.67:                               ;   in Loop: Header=BB104_11 Depth=1
	s_mov_b32 s8, 0
	s_mov_b64 s[54:55], 0
	v_mov_b32_e32 v6, v17
	s_mov_b32 s58, 0
	s_mov_b32 s59, s8
	;; [unrolled: 1-line block ×4, first 2 shown]
.LBB104_68:                             ;   Parent Loop BB104_11 Depth=1
                                        ; =>  This Inner Loop Header: Depth=2
	v_add_u32_e32 v12, s8, v32
	v_lshl_add_u64 v[2:3], v[12:13], 1, s[70:71]
	v_add_u32_e32 v12, s8, v29
	v_lshl_add_u64 v[4:5], v[12:13], 1, s[70:71]
	global_load_sshort v7, v[2:3], off
	s_nop 0
	global_load_sshort v4, v[4:5], off
	v_add_u32_e32 v12, s8, v30
	v_lshl_add_u64 v[2:3], v[12:13], 1, s[70:71]
	global_load_sshort v5, v[2:3], off
	v_add_u32_e32 v12, s8, v31
	v_lshl_add_u64 v[2:3], v[12:13], 1, s[70:71]
	global_load_sshort v2, v[2:3], off
	v_add_u32_e32 v6, s65, v6
	v_cmp_le_u32_e32 vcc, s25, v6
	s_add_i32 s8, s8, s83
	s_waitcnt vmcnt(3)
	v_add_u32_e32 v3, 0x8000, v7
	s_waitcnt vmcnt(2)
	v_add_u32_e32 v4, 0x8000, v4
	v_and_b32_e32 v7, v3, v40
	v_bfe_u32 v3, v3, v37, 2
	v_cmp_eq_u32_e64 s[0:1], v7, v34
	v_and_b32_e32 v7, v4, v40
	v_bfe_u32 v4, v4, v37, 2
	v_cmp_eq_u32_e64 s[2:3], 0, v3
	v_cmp_eq_u32_e64 s[26:27], 1, v3
	;; [unrolled: 1-line block ×4, first 2 shown]
	s_and_b64 s[2:3], s[0:1], s[2:3]
	s_waitcnt vmcnt(1)
	v_add_u32_e32 v5, 0x8000, v5
	v_cmp_eq_u32_e64 s[28:29], 2, v3
	v_cmp_eq_u32_e64 s[38:39], 1, v4
	v_cmp_eq_u32_e64 s[40:41], 2, v4
	v_cmp_eq_u32_e64 s[42:43], 3, v4
	v_cndmask_b32_e64 v4, 0, 1, s[2:3]
	s_and_b64 s[2:3], s[0:1], s[26:27]
	s_and_b64 s[14:15], s[34:35], s[36:37]
	v_cmp_eq_u32_e64 s[30:31], 3, v3
	v_and_b32_e32 v3, v5, v40
	v_bfe_u32 v5, v5, v37, 2
	v_cndmask_b32_e64 v7, 0, 1, s[2:3]
	s_and_b64 s[2:3], s[0:1], s[28:29]
	v_cmp_ne_u32_e64 s[44:45], 0, v4
	v_cndmask_b32_e64 v4, 0, 1, s[14:15]
	s_and_b64 s[14:15], s[34:35], s[38:39]
	v_cndmask_b32_e64 v8, 0, 1, s[2:3]
	s_and_b64 s[0:1], s[0:1], s[30:31]
	v_cmp_eq_u32_e64 s[2:3], 0, v5
	v_cmp_eq_u32_e64 s[26:27], 1, v5
	;; [unrolled: 1-line block ×4, first 2 shown]
	v_cndmask_b32_e64 v5, 0, 1, s[14:15]
	s_and_b64 s[14:15], s[34:35], s[40:41]
	s_waitcnt vmcnt(0)
	v_add_u32_e32 v2, 0x8000, v2
	v_cndmask_b32_e64 v9, 0, 1, s[0:1]
	v_cmp_eq_u32_e64 s[0:1], v3, v34
	v_cmp_ne_u32_e64 s[36:37], 0, v7
	v_cndmask_b32_e64 v7, 0, 1, s[14:15]
	s_and_b64 s[14:15], s[34:35], s[42:43]
	v_and_b32_e32 v3, v2, v40
	v_bfe_u32 v2, v2, v37, 2
	v_cmp_ne_u32_e64 s[38:39], 0, v8
	v_cndmask_b32_e64 v8, 0, 1, s[14:15]
	s_and_b64 s[14:15], s[0:1], s[26:27]
	v_cmp_eq_u32_e64 s[34:35], v3, v34
	v_cmp_eq_u32_e64 s[42:43], 0, v2
	s_and_b64 s[2:3], s[0:1], s[2:3]
	v_cndmask_b32_e64 v3, 0, 1, s[14:15]
	s_and_b64 s[14:15], s[0:1], s[28:29]
	v_cmp_eq_u32_e64 s[46:47], 1, v2
	v_cmp_eq_u32_e64 s[48:49], 2, v2
	;; [unrolled: 1-line block ×3, first 2 shown]
	s_bcnt1_i32_b64 s9, s[44:45]
	v_cmp_ne_u32_e64 s[44:45], 0, v4
	v_cndmask_b32_e64 v2, 0, 1, s[2:3]
	v_cndmask_b32_e64 v4, 0, 1, s[14:15]
	s_and_b64 s[0:1], s[0:1], s[30:31]
	s_and_b64 s[14:15], s[34:35], s[42:43]
	v_cmp_ne_u32_e64 s[2:3], 0, v5
	v_cndmask_b32_e64 v5, 0, 1, s[0:1]
	v_cmp_ne_u32_e64 s[0:1], 0, v2
	v_cndmask_b32_e64 v2, 0, 1, s[14:15]
	s_and_b64 s[14:15], s[34:35], s[46:47]
	v_cmp_ne_u32_e64 s[40:41], 0, v9
	v_cmp_ne_u32_e64 s[26:27], 0, v7
	s_bcnt1_i32_b64 s31, s[2:3]
	v_cmp_ne_u32_e64 s[2:3], 0, v3
	v_cndmask_b32_e64 v3, 0, 1, s[14:15]
	s_and_b64 s[14:15], s[34:35], s[48:49]
	s_bcnt1_i32_b64 s22, s[36:37]
	s_bcnt1_i32_b64 s23, s[38:39]
	;; [unrolled: 1-line block ×3, first 2 shown]
	v_cmp_ne_u32_e64 s[28:29], 0, v8
	s_bcnt1_i32_b64 s37, s[26:27]
	v_cmp_ne_u32_e64 s[26:27], 0, v4
	v_cndmask_b32_e64 v4, 0, 1, s[14:15]
	s_and_b64 s[14:15], s[34:35], s[50:51]
	s_bcnt1_i32_b64 s30, s[44:45]
	s_add_i32 s9, s58, s9
	s_add_i32 s22, s59, s22
	s_bcnt1_i32_b64 s38, s[28:29]
	v_cmp_ne_u32_e64 s[28:29], 0, v5
	v_cndmask_b32_e64 v5, 0, 1, s[14:15]
	s_add_i32 s14, s56, s23
	s_add_i32 s15, s57, s36
	s_bcnt1_i32_b64 s23, s[0:1]
	v_cmp_ne_u32_e64 s[0:1], 0, v2
	s_bcnt1_i32_b64 s34, s[2:3]
	v_cmp_ne_u32_e64 s[2:3], 0, v3
	s_add_i32 s22, s22, s31
	s_add_i32 s9, s9, s30
	s_bcnt1_i32_b64 s30, s[26:27]
	v_cmp_ne_u32_e64 s[26:27], 0, v4
	s_bcnt1_i32_b64 s31, s[28:29]
	v_cmp_ne_u32_e64 s[28:29], 0, v5
	s_add_i32 s15, s15, s38
	s_add_i32 s14, s14, s37
	s_bcnt1_i32_b64 s0, s[0:1]
	s_bcnt1_i32_b64 s1, s[2:3]
	s_add_i32 s2, s9, s23
	s_add_i32 s3, s22, s34
	s_bcnt1_i32_b64 s9, s[26:27]
	s_bcnt1_i32_b64 s22, s[28:29]
	s_add_i32 s14, s14, s30
	s_add_i32 s15, s15, s31
	;; [unrolled: 1-line block ×6, first 2 shown]
	s_or_b64 s[54:55], vcc, s[54:55]
	v_mov_b64_e32 v[2:3], s[58:59]
	v_mov_b64_e32 v[4:5], s[56:57]
	s_andn2_b64 exec, exec, s[54:55]
	s_cbranch_execnz .LBB104_68
; %bb.69:                               ;   in Loop: Header=BB104_11 Depth=1
	s_or_b64 exec, exec, s[54:55]
.LBB104_70:                             ;   in Loop: Header=BB104_11 Depth=1
	s_or_b64 exec, exec, s[52:53]
	s_and_saveexec_b64 s[2:3], s[18:19]
	s_cbranch_execz .LBB104_76
; %bb.71:                               ;   in Loop: Header=BB104_11 Depth=1
	global_load_ushort v8, v[18:19], off
	s_mov_b64 s[8:9], 0
	v_mov_b32_e32 v12, v33
	v_mov_b32_e32 v6, v27
	s_branch .LBB104_73
.LBB104_72:                             ;   in Loop: Header=BB104_73 Depth=2
	s_or_b64 exec, exec, s[14:15]
	s_waitcnt vmcnt(0)
	v_add_u32_sdwa v8, sext(v8), s20 dst_sel:DWORD dst_unused:UNUSED_PAD src0_sel:WORD_0 src1_sel:DWORD
	s_and_b64 s[0:1], exec, vcc
	v_and_b32_e32 v9, v8, v40
	v_bfe_u32 v8, v8, v37, 2
	s_or_b64 s[8:9], s[0:1], s[8:9]
	v_cmp_eq_u32_e32 vcc, v9, v34
	v_cmp_eq_u32_e64 s[0:1], 0, v8
	s_and_b64 s[0:1], vcc, s[0:1]
	v_add_u32_e32 v12, s86, v12
	v_cndmask_b32_e64 v9, 0, 1, s[0:1]
	v_cmp_ne_u32_e64 s[0:1], 0, v9
	s_bcnt1_i32_b64 s14, s[0:1]
	v_cmp_eq_u32_e64 s[0:1], 1, v8
	s_and_b64 s[0:1], vcc, s[0:1]
	v_add_u32_e32 v2, s14, v2
	v_cndmask_b32_e64 v9, 0, 1, s[0:1]
	v_cmp_ne_u32_e64 s[0:1], 0, v9
	s_bcnt1_i32_b64 s0, s[0:1]
	s_nop 0
	v_add_u32_e32 v3, s0, v3
	v_cmp_eq_u32_e64 s[0:1], 2, v8
	s_and_b64 s[0:1], vcc, s[0:1]
	s_nop 0
	v_cndmask_b32_e64 v9, 0, 1, s[0:1]
	v_cmp_ne_u32_e64 s[0:1], 0, v9
	s_bcnt1_i32_b64 s14, s[0:1]
	v_cmp_eq_u32_e64 s[0:1], 3, v8
	s_and_b64 s[0:1], vcc, s[0:1]
	v_add_u32_e32 v4, s14, v4
	v_cndmask_b32_e64 v8, 0, 1, s[0:1]
	v_cmp_ne_u32_e32 vcc, 0, v8
	s_bcnt1_i32_b64 s0, vcc
	v_add_u32_e32 v5, s0, v5
	v_mov_b32_e32 v8, v7
	s_andn2_b64 exec, exec, s[8:9]
	s_cbranch_execz .LBB104_75
.LBB104_73:                             ;   Parent Loop BB104_11 Depth=1
                                        ; =>  This Inner Loop Header: Depth=2
	v_add_u32_e32 v6, s67, v6
	v_cmp_gt_u32_e64 s[0:1], s64, v6
	v_cmp_le_u32_e32 vcc, s64, v6
	v_mov_b32_e32 v7, 0
	s_and_saveexec_b64 s[14:15], s[0:1]
	s_cbranch_execz .LBB104_72
; %bb.74:                               ;   in Loop: Header=BB104_73 Depth=2
	v_lshl_add_u64 v[44:45], v[12:13], 1, s[70:71]
	global_load_ushort v7, v[44:45], off
	s_branch .LBB104_72
.LBB104_75:                             ;   in Loop: Header=BB104_11 Depth=1
	s_or_b64 exec, exec, s[8:9]
.LBB104_76:                             ;   in Loop: Header=BB104_11 Depth=1
	s_or_b64 exec, exec, s[2:3]
	s_branch .LBB104_58
.LBB104_77:                             ;   in Loop: Header=BB104_11 Depth=1
	s_mul_hi_u32 s0, s79, s24
	s_mul_i32 s0, s0, s65
	s_sub_i32 s0, s79, s0
	s_sub_i32 s1, s0, s65
	s_cmp_ge_u32 s0, s65
	s_cselect_b32 s0, s1, s0
	s_sub_i32 s1, s0, s65
	s_cmp_ge_u32 s0, s65
	s_cselect_b32 s0, s1, s0
	s_sub_i32 s22, s79, s0
	v_mov_b32_e32 v12, v13
	v_cmp_gt_u32_e32 vcc, s22, v17
	v_mov_b64_e32 v[4:5], v[12:13]
	v_mov_b64_e32 v[2:3], v[12:13]
	s_and_saveexec_b64 s[14:15], vcc
	s_cbranch_execz .LBB104_81
; %bb.78:                               ;   in Loop: Header=BB104_11 Depth=1
	s_mov_b32 s8, 0
	s_mov_b64 s[72:73], 0
	v_mov_b32_e32 v6, v35
	v_mov_b32_e32 v7, v17
	s_mov_b32 s9, s8
	s_mov_b32 s74, s8
	;; [unrolled: 1-line block ×3, first 2 shown]
.LBB104_79:                             ;   Parent Loop BB104_11 Depth=1
                                        ; =>  This Inner Loop Header: Depth=2
	ds_read_b64 v[2:3], v6
	v_add_u32_e32 v7, s65, v7
	v_cmp_le_u32_e32 vcc, s22, v7
	v_add_u32_e32 v6, s84, v6
	s_waitcnt lgkmcnt(0)
	v_add_u32_sdwa v4, sext(v2), s20 dst_sel:DWORD dst_unused:UNUSED_PAD src0_sel:WORD_0 src1_sel:DWORD
	v_add_u32_sdwa v2, sext(v2), s20 dst_sel:DWORD dst_unused:UNUSED_PAD src0_sel:WORD_1 src1_sel:DWORD
	v_and_b32_e32 v8, v4, v40
	v_bfe_u32 v4, v4, v37, 2
	v_add_u32_sdwa v5, sext(v3), s20 dst_sel:DWORD dst_unused:UNUSED_PAD src0_sel:WORD_0 src1_sel:DWORD
	v_and_b32_e32 v9, v2, v40
	v_bfe_u32 v2, v2, v37, 2
	v_cmp_eq_u32_e64 s[0:1], v8, v34
	v_cmp_eq_u32_e64 s[30:31], 0, v4
	v_add_u32_sdwa v3, sext(v3), s20 dst_sel:DWORD dst_unused:UNUSED_PAD src0_sel:WORD_1 src1_sel:DWORD
	v_and_b32_e32 v12, v5, v40
	v_bfe_u32 v5, v5, v37, 2
	v_cmp_eq_u32_e64 s[2:3], v9, v34
	v_cmp_eq_u32_e64 s[34:35], 0, v2
	s_and_b64 s[30:31], s[0:1], s[30:31]
	v_and_b32_e32 v43, v3, v40
	v_bfe_u32 v3, v3, v37, 2
	v_cmp_eq_u32_e64 s[26:27], v12, v34
	v_cmp_eq_u32_e64 s[36:37], 0, v5
	v_cmp_eq_u32_e64 s[42:43], 1, v2
	v_cmp_eq_u32_e64 s[50:51], 2, v2
	v_cmp_eq_u32_e64 s[58:59], 3, v2
	v_cndmask_b32_e64 v2, 0, 1, s[30:31]
	s_and_b64 s[30:31], s[2:3], s[34:35]
	v_cmp_eq_u32_e64 s[28:29], v43, v34
	v_cmp_eq_u32_e64 s[38:39], 0, v3
	;; [unrolled: 1-line block ×5, first 2 shown]
	v_cndmask_b32_e64 v3, 0, 1, s[30:31]
	s_and_b64 s[30:31], s[26:27], s[36:37]
	v_cmp_eq_u32_e64 s[40:41], 1, v4
	v_cmp_eq_u32_e64 s[48:49], 2, v4
	;; [unrolled: 1-line block ×3, first 2 shown]
	v_cndmask_b32_e64 v4, 0, 1, s[30:31]
	s_and_b64 s[30:31], s[28:29], s[38:39]
	v_cmp_eq_u32_e64 s[44:45], 1, v5
	v_cmp_eq_u32_e64 s[52:53], 2, v5
	;; [unrolled: 1-line block ×3, first 2 shown]
	v_cndmask_b32_e64 v5, 0, 1, s[30:31]
	s_and_b64 s[30:31], s[0:1], s[40:41]
	v_cndmask_b32_e64 v8, 0, 1, s[30:31]
	s_and_b64 s[30:31], s[2:3], s[42:43]
	;; [unrolled: 2-line block ×5, first 2 shown]
	s_and_b64 s[0:1], s[0:1], s[56:57]
	v_cndmask_b32_e64 v44, 0, 1, s[30:31]
	s_and_b64 s[30:31], s[2:3], s[50:51]
	v_cndmask_b32_e64 v49, 0, 1, s[0:1]
	;; [unrolled: 2-line block ×7, first 2 shown]
	v_cndmask_b32_e64 v52, 0, 1, s[0:1]
	v_cmp_ne_u32_e64 s[0:1], 0, v2
	v_cmp_ne_u32_e64 s[2:3], 0, v3
	;; [unrolled: 1-line block ×11, first 2 shown]
	s_bcnt1_i32_b64 s0, s[0:1]
	s_bcnt1_i32_b64 s1, s[2:3]
	;; [unrolled: 1-line block ×8, first 2 shown]
	v_cmp_ne_u32_e64 s[44:45], 0, v46
	v_cmp_ne_u32_e64 s[52:53], 0, v51
	s_bcnt1_i32_b64 s27, s[36:37]
	s_bcnt1_i32_b64 s30, s[42:43]
	;; [unrolled: 1-line block ×3, first 2 shown]
	s_add_i32 s0, s8, s0
	s_add_i32 s8, s9, s23
	;; [unrolled: 1-line block ×4, first 2 shown]
	v_cmp_ne_u32_e64 s[38:39], 0, v43
	v_cmp_ne_u32_e64 s[46:47], 0, v48
	;; [unrolled: 1-line block ×3, first 2 shown]
	s_bcnt1_i32_b64 s31, s[44:45]
	s_bcnt1_i32_b64 s37, s[52:53]
	s_add_i32 s8, s8, s26
	s_add_i32 s0, s0, s1
	;; [unrolled: 1-line block ×4, first 2 shown]
	s_bcnt1_i32_b64 s28, s[38:39]
	s_bcnt1_i32_b64 s34, s[46:47]
	;; [unrolled: 1-line block ×3, first 2 shown]
	s_add_i32 s0, s0, s2
	s_add_i32 s2, s8, s27
	;; [unrolled: 1-line block ×8, first 2 shown]
	s_or_b64 s[72:73], vcc, s[72:73]
	v_mov_b64_e32 v[2:3], s[8:9]
	v_mov_b64_e32 v[4:5], s[74:75]
	s_andn2_b64 exec, exec, s[72:73]
	s_cbranch_execnz .LBB104_79
; %bb.80:                               ;   in Loop: Header=BB104_11 Depth=1
	s_or_b64 exec, exec, s[72:73]
.LBB104_81:                             ;   in Loop: Header=BB104_11 Depth=1
	s_or_b64 exec, exec, s[14:15]
	v_add_u32_e32 v6, s22, v0
	v_cmp_gt_u32_e32 vcc, s79, v6
	s_and_saveexec_b64 s[8:9], vcc
	s_cbranch_execz .LBB104_85
; %bb.82:                               ;   in Loop: Header=BB104_11 Depth=1
	v_lshlrev_b32_e32 v7, 1, v6
	s_mov_b64 s[14:15], 0
.LBB104_83:                             ;   Parent Loop BB104_11 Depth=1
                                        ; =>  This Inner Loop Header: Depth=2
	ds_read_i16 v8, v7
	v_add_u32_e32 v6, s67, v6
	v_cmp_le_u32_e32 vcc, s79, v6
	v_add_u32_e32 v7, s85, v7
	s_waitcnt lgkmcnt(0)
	v_add_u32_e32 v8, 0x8000, v8
	v_and_b32_e32 v9, v8, v40
	v_bfe_u32 v8, v8, v37, 2
	v_cmp_eq_u32_e64 s[0:1], v9, v34
	v_cmp_eq_u32_e64 s[2:3], 0, v8
	;; [unrolled: 1-line block ×3, first 2 shown]
	s_and_b64 s[2:3], s[0:1], s[2:3]
	v_cmp_eq_u32_e64 s[28:29], 2, v8
	v_cmp_eq_u32_e64 s[30:31], 3, v8
	v_cndmask_b32_e64 v8, 0, 1, s[2:3]
	s_and_b64 s[2:3], s[0:1], s[26:27]
	v_cndmask_b32_e64 v9, 0, 1, s[2:3]
	s_and_b64 s[2:3], s[0:1], s[28:29]
	s_and_b64 s[0:1], s[0:1], s[30:31]
	v_cndmask_b32_e64 v12, 0, 1, s[2:3]
	v_cndmask_b32_e64 v43, 0, 1, s[0:1]
	v_cmp_ne_u32_e64 s[0:1], 0, v8
	v_cmp_ne_u32_e64 s[2:3], 0, v9
	;; [unrolled: 1-line block ×4, first 2 shown]
	s_bcnt1_i32_b64 s0, s[0:1]
	s_bcnt1_i32_b64 s1, s[2:3]
	;; [unrolled: 1-line block ×4, first 2 shown]
	v_add_u32_e32 v3, s1, v3
	v_add_u32_e32 v2, s0, v2
	v_add_u32_e32 v5, s3, v5
	s_or_b64 s[14:15], vcc, s[14:15]
	v_add_u32_e32 v4, s2, v4
	s_andn2_b64 exec, exec, s[14:15]
	s_cbranch_execnz .LBB104_83
; %bb.84:                               ;   in Loop: Header=BB104_11 Depth=1
	s_or_b64 exec, exec, s[14:15]
.LBB104_85:                             ;   in Loop: Header=BB104_11 Depth=1
	s_or_b64 exec, exec, s[8:9]
	s_lshl_b32 s8, s78, 6
	s_and_saveexec_b64 s[0:1], s[4:5]
	s_cbranch_execnz .LBB104_59
	s_branch .LBB104_60
.LBB104_86:                             ;   in Loop: Header=BB104_11 Depth=1
	v_mov_b32_e32 v2, 0
	s_mov_b32 s9, 0
	s_cbranch_execnz .LBB104_91
	s_branch .LBB104_93
.LBB104_87:                             ;   in Loop: Header=BB104_11 Depth=1
	v_mov_b32_e32 v12, v13
	s_mov_b32 s2, 0
	v_mov_b64_e32 v[2:3], v[12:13]
	s_mov_b32 s3, 1
.LBB104_88:                             ;   in Loop: Header=BB104_11 Depth=1
	v_readlane_b32 s14, v76, 29
	v_readlane_b32 s15, v76, 30
	s_andn2_b64 vcc, exec, s[14:15]
	v_readlane_b32 s9, v76, 28
	s_cbranch_vccnz .LBB104_90
.LBB104_89:                             ;   Parent Loop BB104_11 Depth=1
                                        ; =>  This Inner Loop Header: Depth=2
	v_lshl_add_u32 v6, s2, 4, v5
	v_lshl_add_u32 v7, s3, 4, v5
	ds_read_b32 v7, v7
	ds_read_b32 v6, v6
	s_add_i32 s3, s3, 2
	s_add_i32 s2, s2, 2
	s_add_i32 s9, s9, -1
	s_cmp_lg_u32 s9, 0
	s_waitcnt lgkmcnt(1)
	v_add_u32_e32 v3, v7, v3
	s_waitcnt lgkmcnt(0)
	v_add_u32_e32 v2, v6, v2
	s_cbranch_scc1 .LBB104_89
.LBB104_90:                             ;   in Loop: Header=BB104_11 Depth=1
	v_readlane_b32 s2, v76, 33
	v_add_u32_e32 v2, v2, v3
	v_readlane_b32 s9, v76, 32
	v_readlane_b32 s3, v76, 34
	s_and_b64 vcc, exec, s[2:3]
	s_cbranch_vccz .LBB104_93
.LBB104_91:                             ;   in Loop: Header=BB104_11 Depth=1
	s_lshl_b32 s2, s78, 8
	s_lshl_b32 s3, s9, 4
	s_add_i32 s2, s2, s3
	v_add_u32_e32 v3, s2, v36
	v_readlane_b32 s2, v76, 31
	s_sub_i32 s2, s2, s9
.LBB104_92:                             ;   Parent Loop BB104_11 Depth=1
                                        ; =>  This Inner Loop Header: Depth=2
	ds_read_b32 v5, v3
	s_add_i32 s2, s2, -1
	v_add_u32_e32 v3, 16, v3
	s_cmp_eq_u32 s2, 0
	s_waitcnt lgkmcnt(0)
	v_add_u32_e32 v2, v5, v2
	s_cbranch_scc0 .LBB104_92
.LBB104_93:                             ;   in Loop: Header=BB104_11 Depth=1
	v_lshlrev_b32_e32 v3, 2, v4
	ds_write_b32 v3, v2 offset:3072
.LBB104_94:                             ;   in Loop: Header=BB104_11 Depth=1
	s_or_b64 exec, exec, s[0:1]
	s_lshl_b32 s0, s8, 2
	v_mov_b32_e32 v2, s0
	s_waitcnt lgkmcnt(0)
	s_barrier
	ds_read_b128 v[2:5], v2 offset:3072
	v_cmp_eq_u32_e32 vcc, 1, v42
	s_mov_b64 s[2:3], -1
	s_mov_b64 s[28:29], -1
                                        ; implicit-def: $sgpr14_sgpr15
                                        ; implicit-def: $sgpr8_sgpr9
	s_waitcnt lgkmcnt(0)
	v_readfirstlane_b32 s42, v2
	s_cmp_eq_u32 s42, 1
	v_lshlrev_b32_e64 v2, v37, 3
	s_cselect_b64 s[0:1], -1, 0
	v_readfirstlane_b32 s46, v3
	v_readfirstlane_b32 s54, v4
	;; [unrolled: 1-line block ×3, first 2 shown]
	v_not_b32_e32 v4, v2
	s_and_b64 s[26:27], s[0:1], vcc
	s_and_saveexec_b64 s[0:1], s[26:27]
	s_cbranch_execz .LBB104_120
; %bb.95:                               ;   in Loop: Header=BB104_11 Depth=1
	ds_read_b32 v3, v13 offset:4104
	s_waitcnt lgkmcnt(0)
	s_barrier
	v_readfirstlane_b32 s22, v3
	s_and_saveexec_b64 s[8:9], s[6:7]
; %bb.96:                               ;   in Loop: Header=BB104_11 Depth=1
	ds_write_b16 v22, v13
; %bb.97:                               ;   in Loop: Header=BB104_11 Depth=1
	s_or_b64 exec, exec, s[8:9]
	v_and_b32_e32 v34, v34, v4
	v_or_b32_e32 v40, v40, v2
	s_mov_b64 s[8:9], -1
	s_mov_b64 s[14:15], 0
	s_cmp_eq_u32 s22, 0
	s_mov_b64 s[28:29], 0
	s_mov_b64 s[30:31], -1
	s_waitcnt lgkmcnt(0)
	s_barrier
                                        ; implicit-def: $vgpr41
	s_cbranch_scc1 .LBB104_108
; %bb.98:                               ;   in Loop: Header=BB104_11 Depth=1
	s_add_i32 s23, s22, s33
	s_mul_hi_u32 s28, s23, s87
	s_mul_i32 s28, s28, s67
	s_sub_i32 s28, s23, s28
	s_sub_i32 s29, s28, s67
	s_cmp_ge_u32 s28, s67
	s_cselect_b32 s28, s29, s28
	s_sub_i32 s29, s28, s67
	s_cmp_ge_u32 s28, s67
	s_cselect_b32 s28, s29, s28
	s_sub_i32 s23, s23, s28
	v_cmp_gt_u32_e32 vcc, s23, v0
	s_mov_b64 s[30:31], 0
	s_mov_b64 s[28:29], 0
                                        ; implicit-def: $vgpr41
	s_and_saveexec_b64 s[34:35], vcc
	s_cbranch_execz .LBB104_107
; %bb.99:                               ;   in Loop: Header=BB104_11 Depth=1
	v_mov_b32_e32 v3, v21
	v_mov_b32_e32 v5, v0
                                        ; implicit-def: $sgpr36_sgpr37
	s_branch .LBB104_102
.LBB104_100:                            ;   in Loop: Header=BB104_102 Depth=2
	s_or_b64 exec, exec, s[38:39]
	s_waitcnt lgkmcnt(0)
	s_barrier
	ds_read_b32 v6, v13 offset:3072
	s_mov_b64 s[38:39], -1
	s_waitcnt lgkmcnt(0)
	s_barrier
	v_cmp_ne_u32_sdwa s[40:41], v6, v13 src0_sel:WORD_0 src1_sel:DWORD
	s_and_b64 vcc, exec, s[40:41]
	s_mov_b64 s[40:41], -1
	s_cbranch_vccz .LBB104_105
.LBB104_101:                            ;   in Loop: Header=BB104_102 Depth=2
	s_and_b64 s[38:39], exec, s[38:39]
	s_or_b64 s[28:29], s[38:39], s[28:29]
	s_andn2_b64 s[36:37], s[36:37], exec
	s_and_b64 s[38:39], s[40:41], exec
	s_or_b64 s[36:37], s[36:37], s[38:39]
	s_andn2_b64 exec, exec, s[28:29]
	s_cbranch_execz .LBB104_106
.LBB104_102:                            ;   Parent Loop BB104_11 Depth=1
                                        ; =>  This Inner Loop Header: Depth=2
	v_cmp_gt_u32_e32 vcc, s22, v5
	s_and_saveexec_b64 s[38:39], vcc
	s_cbranch_execz .LBB104_100
; %bb.103:                              ;   in Loop: Header=BB104_102 Depth=2
	ds_read_u16 v6, v3
	s_waitcnt lgkmcnt(0)
	v_add_u32_sdwa v7, sext(v6), s20 dst_sel:DWORD dst_unused:UNUSED_PAD src0_sel:WORD_0 src1_sel:DWORD
	v_and_b32_e32 v7, v7, v40
	v_cmp_eq_u32_e32 vcc, v7, v34
	s_and_b64 exec, exec, vcc
	s_cbranch_execz .LBB104_100
; %bb.104:                              ;   in Loop: Header=BB104_102 Depth=2
	v_perm_b32 v6, v6, 1, v39
	ds_write_b32 v13, v6 offset:3072
	s_branch .LBB104_100
.LBB104_105:                            ;   in Loop: Header=BB104_102 Depth=2
	v_add_u32_e32 v5, s67, v5
	v_cmp_le_u32_e32 vcc, s23, v5
	v_add_u32_e32 v3, s85, v3
	s_mov_b64 s[40:41], 0
	s_orn2_b64 s[38:39], vcc, exec
	s_branch .LBB104_101
.LBB104_106:                            ;   in Loop: Header=BB104_11 Depth=1
	s_or_b64 exec, exec, s[28:29]
	v_lshrrev_b32_e32 v41, 16, v6
	s_and_b64 s[28:29], s[36:37], exec
.LBB104_107:                            ;   in Loop: Header=BB104_11 Depth=1
	s_or_b64 exec, exec, s[34:35]
.LBB104_108:                            ;   in Loop: Header=BB104_11 Depth=1
	s_and_b64 vcc, exec, s[30:31]
	s_cbranch_vccz .LBB104_119
; %bb.109:                              ;   in Loop: Header=BB104_11 Depth=1
                                        ; implicit-def: $vgpr41
	s_mov_b64 s[8:9], exec
	v_readlane_b32 s14, v76, 35
	v_readlane_b32 s15, v76, 36
	s_and_b64 s[14:15], s[8:9], s[14:15]
	s_mov_b64 exec, s[14:15]
	s_cbranch_execz .LBB104_118
; %bb.110:                              ;   in Loop: Header=BB104_11 Depth=1
	s_mov_b64 s[14:15], 0
	v_mov_b32_e32 v12, v10
	v_mov_b32_e32 v3, v0
                                        ; implicit-def: $sgpr30_sgpr31
	s_branch .LBB104_113
.LBB104_111:                            ;   in Loop: Header=BB104_113 Depth=2
	s_or_b64 exec, exec, s[34:35]
	s_waitcnt lgkmcnt(0)
	s_barrier
	ds_read_b32 v5, v13 offset:3072
	s_mov_b64 s[34:35], -1
	s_mov_b64 s[36:37], -1
	s_waitcnt lgkmcnt(0)
	s_barrier
	v_cmp_ne_u32_sdwa s[22:23], v5, v13 src0_sel:WORD_0 src1_sel:DWORD
	s_and_b64 vcc, exec, s[22:23]
	s_cbranch_vccz .LBB104_116
.LBB104_112:                            ;   in Loop: Header=BB104_113 Depth=2
	s_and_b64 s[22:23], exec, s[34:35]
	s_or_b64 s[14:15], s[22:23], s[14:15]
	s_andn2_b64 s[22:23], s[30:31], exec
	s_and_b64 s[30:31], s[36:37], exec
	s_or_b64 s[30:31], s[22:23], s[30:31]
	s_andn2_b64 exec, exec, s[14:15]
	s_cbranch_execz .LBB104_117
.LBB104_113:                            ;   Parent Loop BB104_11 Depth=1
                                        ; =>  This Inner Loop Header: Depth=2
	v_cmp_gt_u32_e32 vcc, s64, v3
	s_and_saveexec_b64 s[34:35], vcc
	s_cbranch_execz .LBB104_111
; %bb.114:                              ;   in Loop: Header=BB104_113 Depth=2
	v_lshl_add_u64 v[6:7], v[12:13], 1, s[70:71]
	global_load_ushort v5, v[6:7], off
	s_waitcnt vmcnt(0)
	v_add_u32_sdwa v6, sext(v5), s20 dst_sel:DWORD dst_unused:UNUSED_PAD src0_sel:WORD_0 src1_sel:DWORD
	v_and_b32_e32 v6, v6, v40
	v_cmp_eq_u32_e32 vcc, v6, v34
	s_and_b64 exec, exec, vcc
	s_cbranch_execz .LBB104_111
; %bb.115:                              ;   in Loop: Header=BB104_113 Depth=2
	v_perm_b32 v5, v5, 1, v39
	ds_write_b32 v13, v5 offset:3072
	s_branch .LBB104_111
.LBB104_116:                            ;   in Loop: Header=BB104_113 Depth=2
	v_add_u32_e32 v3, s67, v3
	v_cmp_le_u32_e32 vcc, s82, v3
	v_add_u32_e32 v12, s86, v12
	s_mov_b64 s[36:37], 0
	s_orn2_b64 s[34:35], vcc, exec
	s_branch .LBB104_112
.LBB104_117:                            ;   in Loop: Header=BB104_11 Depth=1
	s_or_b64 exec, exec, s[14:15]
	s_andn2_b64 s[14:15], s[28:29], exec
	s_and_b64 s[22:23], s[30:31], exec
	v_lshrrev_b32_e32 v41, 16, v5
	s_or_b64 s[28:29], s[14:15], s[22:23]
.LBB104_118:                            ;   in Loop: Header=BB104_11 Depth=1
	s_or_b64 exec, exec, s[8:9]
	s_mov_b64 s[8:9], 0
	s_mov_b64 s[14:15], -1
.LBB104_119:                            ;   in Loop: Header=BB104_11 Depth=1
	s_orn2_b64 s[28:29], s[28:29], exec
.LBB104_120:                            ;   in Loop: Header=BB104_11 Depth=1
	s_or_b64 exec, exec, s[0:1]
	s_andn2_b64 s[0:1], s[12:13], exec
	s_and_b64 s[12:13], s[14:15], exec
	s_or_b64 s[12:13], s[0:1], s[12:13]
	s_andn2_b64 s[0:1], s[10:11], exec
	s_and_b64 s[8:9], s[8:9], exec
	v_readfirstlane_b32 s22, v0
	s_andn2_b64 s[68:69], s[68:69], exec
	s_or_b64 s[10:11], s[0:1], s[8:9]
                                        ; implicit-def: $vgpr5
	s_and_saveexec_b64 s[0:1], s[28:29]
	s_cbranch_execz .LBB104_10
; %bb.121:                              ;   in Loop: Header=BB104_11 Depth=1
	s_xor_b64 s[8:9], s[26:27], -1
	s_mov_b64 s[14:15], 0
	v_mov_b32_e32 v5, 1
	v_mov_b32_e32 v3, 1
	s_and_saveexec_b64 s[2:3], s[8:9]
	s_cbranch_execz .LBB104_130
; %bb.122:                              ;   in Loop: Header=BB104_11 Depth=1
	v_cmp_ge_u32_e32 vcc, s42, v42
	s_and_saveexec_b64 s[8:9], vcc
	s_xor_b64 s[8:9], exec, s[8:9]
	s_cbranch_execz .LBB104_127
; %bb.123:                              ;   in Loop: Header=BB104_11 Depth=1
	ds_read_b32 v3, v13 offset:4104
	v_and_b32_e32 v34, v34, v4
	v_or_b32_e32 v40, v40, v2
	s_waitcnt lgkmcnt(0)
	v_cmp_ne_u32_e32 vcc, 0, v3
	s_cbranch_vccnz .LBB104_127
; %bb.124:                              ;   in Loop: Header=BB104_11 Depth=1
	s_mov_b64 s[14:15], exec
	v_readlane_b32 s22, v76, 0
	v_readlane_b32 s23, v76, 1
	s_and_b64 s[22:23], s[14:15], s[22:23]
	s_mov_b64 exec, s[22:23]
; %bb.125:                              ;   in Loop: Header=BB104_11 Depth=1
	v_mov_b32_e32 v3, s42
	ds_write_b32 v13, v3 offset:4108
; %bb.126:                              ;   in Loop: Header=BB104_11 Depth=1
	s_or_b64 exec, exec, s[14:15]
	s_waitcnt lgkmcnt(0)
	s_barrier
.LBB104_127:                            ;   in Loop: Header=BB104_11 Depth=1
	s_or_saveexec_b64 s[8:9], s[8:9]
	s_mov_b64 s[14:15], 0
	v_mov_b32_e32 v3, 8
	s_xor_b64 exec, exec, s[8:9]
; %bb.128:                              ;   in Loop: Header=BB104_11 Depth=1
	s_mov_b64 s[14:15], exec
	v_subrev_u32_e32 v42, s42, v42
	v_mov_b32_e32 v3, 0
; %bb.129:                              ;   in Loop: Header=BB104_11 Depth=1
	s_or_b64 exec, exec, s[8:9]
	s_and_b64 s[14:15], s[14:15], exec
	v_mov_b32_e32 v5, v42
.LBB104_130:                            ;   in Loop: Header=BB104_11 Depth=1
	s_or_b64 exec, exec, s[2:3]
	s_mov_b64 s[2:3], -1
	s_mov_b64 s[8:9], -1
                                        ; implicit-def: $sgpr28_sgpr29
                                        ; implicit-def: $sgpr30_sgpr31
	s_and_saveexec_b64 s[22:23], s[14:15]
	s_xor_b64 s[26:27], exec, s[22:23]
	s_cbranch_execz .LBB104_247
; %bb.131:                              ;   in Loop: Header=BB104_11 Depth=1
	s_cmp_eq_u32 s46, 1
	s_cselect_b64 s[8:9], -1, 0
	v_cmp_eq_u32_e32 vcc, 1, v5
	s_and_b64 s[36:37], s[8:9], vcc
	s_mov_b64 s[8:9], -1
                                        ; implicit-def: $sgpr30_sgpr31
                                        ; implicit-def: $sgpr28_sgpr29
	s_and_saveexec_b64 s[14:15], s[36:37]
	s_cbranch_execz .LBB104_157
; %bb.132:                              ;   in Loop: Header=BB104_11 Depth=1
	ds_read_b32 v6, v13 offset:4104
	s_waitcnt lgkmcnt(0)
	s_barrier
	v_readfirstlane_b32 s22, v6
	s_and_saveexec_b64 s[8:9], s[6:7]
; %bb.133:                              ;   in Loop: Header=BB104_11 Depth=1
	ds_write_b16 v22, v13
; %bb.134:                              ;   in Loop: Header=BB104_11 Depth=1
	s_or_b64 exec, exec, s[8:9]
	v_and_b32_e32 v6, v34, v4
	v_lshl_or_b32 v34, 1, v37, v6
	v_or_b32_e32 v40, v40, v2
	s_mov_b64 s[28:29], -1
	s_mov_b64 s[30:31], 0
	s_cmp_eq_u32 s22, 0
	s_mov_b64 s[8:9], 0
	s_mov_b64 s[34:35], -1
	s_waitcnt lgkmcnt(0)
	s_barrier
                                        ; implicit-def: $vgpr41
	s_cbranch_scc1 .LBB104_145
; %bb.135:                              ;   in Loop: Header=BB104_11 Depth=1
	s_add_i32 s8, s22, s33
	s_mul_hi_u32 s9, s8, s87
	s_mul_i32 s9, s9, s67
	s_sub_i32 s9, s8, s9
	s_sub_i32 s23, s9, s67
	s_cmp_ge_u32 s9, s67
	s_cselect_b32 s9, s23, s9
	s_sub_i32 s23, s9, s67
	s_cmp_ge_u32 s9, s67
	s_cselect_b32 s9, s23, s9
	s_sub_i32 s23, s8, s9
	v_cmp_gt_u32_e32 vcc, s23, v0
	s_mov_b64 s[34:35], 0
	s_mov_b64 s[8:9], 0
                                        ; implicit-def: $vgpr41
	s_and_saveexec_b64 s[38:39], vcc
	s_cbranch_execz .LBB104_144
; %bb.136:                              ;   in Loop: Header=BB104_11 Depth=1
	v_mov_b32_e32 v6, v21
	v_mov_b32_e32 v7, v0
                                        ; implicit-def: $sgpr40_sgpr41
	s_branch .LBB104_139
.LBB104_137:                            ;   in Loop: Header=BB104_139 Depth=2
	s_or_b64 exec, exec, s[42:43]
	s_waitcnt lgkmcnt(0)
	s_barrier
	ds_read_b32 v8, v13 offset:3072
	s_mov_b64 s[42:43], -1
	s_waitcnt lgkmcnt(0)
	s_barrier
	v_cmp_ne_u32_sdwa s[44:45], v8, v13 src0_sel:WORD_0 src1_sel:DWORD
	s_and_b64 vcc, exec, s[44:45]
	s_mov_b64 s[44:45], -1
	s_cbranch_vccz .LBB104_142
.LBB104_138:                            ;   in Loop: Header=BB104_139 Depth=2
	s_and_b64 s[42:43], exec, s[42:43]
	s_or_b64 s[8:9], s[42:43], s[8:9]
	s_andn2_b64 s[40:41], s[40:41], exec
	s_and_b64 s[42:43], s[44:45], exec
	s_or_b64 s[40:41], s[40:41], s[42:43]
	s_andn2_b64 exec, exec, s[8:9]
	s_cbranch_execz .LBB104_143
.LBB104_139:                            ;   Parent Loop BB104_11 Depth=1
                                        ; =>  This Inner Loop Header: Depth=2
	v_cmp_gt_u32_e32 vcc, s22, v7
	s_and_saveexec_b64 s[42:43], vcc
	s_cbranch_execz .LBB104_137
; %bb.140:                              ;   in Loop: Header=BB104_139 Depth=2
	ds_read_u16 v8, v6
	s_waitcnt lgkmcnt(0)
	v_add_u32_sdwa v9, sext(v8), s20 dst_sel:DWORD dst_unused:UNUSED_PAD src0_sel:WORD_0 src1_sel:DWORD
	v_and_b32_e32 v9, v9, v40
	v_cmp_eq_u32_e32 vcc, v9, v34
	s_and_b64 exec, exec, vcc
	s_cbranch_execz .LBB104_137
; %bb.141:                              ;   in Loop: Header=BB104_139 Depth=2
	v_perm_b32 v8, v8, 1, v39
	ds_write_b32 v13, v8 offset:3072
	s_branch .LBB104_137
.LBB104_142:                            ;   in Loop: Header=BB104_139 Depth=2
	v_add_u32_e32 v7, s67, v7
	v_cmp_le_u32_e32 vcc, s23, v7
	v_add_u32_e32 v6, s85, v6
	s_mov_b64 s[44:45], 0
	s_orn2_b64 s[42:43], vcc, exec
	s_branch .LBB104_138
.LBB104_143:                            ;   in Loop: Header=BB104_11 Depth=1
	s_or_b64 exec, exec, s[8:9]
	v_lshrrev_b32_e32 v41, 16, v8
	s_and_b64 s[8:9], s[40:41], exec
.LBB104_144:                            ;   in Loop: Header=BB104_11 Depth=1
	s_or_b64 exec, exec, s[38:39]
.LBB104_145:                            ;   in Loop: Header=BB104_11 Depth=1
	s_and_b64 vcc, exec, s[34:35]
	s_cbranch_vccz .LBB104_156
; %bb.146:                              ;   in Loop: Header=BB104_11 Depth=1
                                        ; implicit-def: $vgpr41
	s_mov_b64 s[28:29], exec
	v_readlane_b32 s22, v76, 35
	v_readlane_b32 s23, v76, 36
	s_and_b64 s[22:23], s[28:29], s[22:23]
	s_mov_b64 exec, s[22:23]
	s_cbranch_execz .LBB104_155
; %bb.147:                              ;   in Loop: Header=BB104_11 Depth=1
	s_mov_b64 s[30:31], 0
	v_mov_b32_e32 v12, v10
	v_mov_b32_e32 v6, v0
                                        ; implicit-def: $sgpr34_sgpr35
	s_branch .LBB104_150
.LBB104_148:                            ;   in Loop: Header=BB104_150 Depth=2
	s_or_b64 exec, exec, s[38:39]
	s_waitcnt lgkmcnt(0)
	s_barrier
	ds_read_b32 v7, v13 offset:3072
	s_mov_b64 s[38:39], -1
	s_mov_b64 s[40:41], -1
	s_waitcnt lgkmcnt(0)
	s_barrier
	v_cmp_eq_u32_sdwa s[22:23], v7, v13 src0_sel:WORD_0 src1_sel:DWORD
	s_and_b64 vcc, exec, s[22:23]
	s_cbranch_vccnz .LBB104_153
.LBB104_149:                            ;   in Loop: Header=BB104_150 Depth=2
	s_and_b64 s[22:23], exec, s[38:39]
	s_or_b64 s[30:31], s[22:23], s[30:31]
	s_andn2_b64 s[22:23], s[34:35], exec
	s_and_b64 s[34:35], s[40:41], exec
	s_or_b64 s[34:35], s[22:23], s[34:35]
	s_andn2_b64 exec, exec, s[30:31]
	s_cbranch_execz .LBB104_154
.LBB104_150:                            ;   Parent Loop BB104_11 Depth=1
                                        ; =>  This Inner Loop Header: Depth=2
	v_cmp_gt_u32_e32 vcc, s64, v6
	s_and_saveexec_b64 s[38:39], vcc
	s_cbranch_execz .LBB104_148
; %bb.151:                              ;   in Loop: Header=BB104_150 Depth=2
	v_lshl_add_u64 v[8:9], v[12:13], 1, s[70:71]
	global_load_ushort v7, v[8:9], off
	s_waitcnt vmcnt(0)
	v_add_u32_sdwa v8, sext(v7), s20 dst_sel:DWORD dst_unused:UNUSED_PAD src0_sel:WORD_0 src1_sel:DWORD
	v_and_b32_e32 v8, v8, v40
	v_cmp_eq_u32_e32 vcc, v8, v34
	s_and_b64 exec, exec, vcc
	s_cbranch_execz .LBB104_148
; %bb.152:                              ;   in Loop: Header=BB104_150 Depth=2
	v_perm_b32 v7, v7, 1, v39
	ds_write_b32 v13, v7 offset:3072
	s_branch .LBB104_148
.LBB104_153:                            ;   in Loop: Header=BB104_150 Depth=2
	v_add_u32_e32 v6, s67, v6
	v_cmp_le_u32_e32 vcc, s82, v6
	v_add_u32_e32 v12, s86, v12
	s_mov_b64 s[40:41], 0
	s_orn2_b64 s[38:39], vcc, exec
	s_branch .LBB104_149
.LBB104_154:                            ;   in Loop: Header=BB104_11 Depth=1
	s_or_b64 exec, exec, s[30:31]
	s_andn2_b64 s[8:9], s[8:9], exec
	s_and_b64 s[22:23], s[34:35], exec
	v_lshrrev_b32_e32 v41, 16, v7
	s_or_b64 s[8:9], s[8:9], s[22:23]
.LBB104_155:                            ;   in Loop: Header=BB104_11 Depth=1
	s_or_b64 exec, exec, s[28:29]
	s_mov_b64 s[28:29], 0
	s_mov_b64 s[30:31], -1
.LBB104_156:                            ;   in Loop: Header=BB104_11 Depth=1
	s_orn2_b64 s[8:9], s[8:9], exec
.LBB104_157:                            ;   in Loop: Header=BB104_11 Depth=1
	s_or_b64 exec, exec, s[14:15]
	s_mov_b64 s[14:15], 0
	s_and_saveexec_b64 s[34:35], s[8:9]
	s_cbranch_execz .LBB104_246
; %bb.158:                              ;   in Loop: Header=BB104_11 Depth=1
	s_xor_b64 s[22:23], s[36:37], -1
	v_mov_b32_e32 v6, 1
	v_mov_b32_e32 v3, 1
	s_and_saveexec_b64 s[8:9], s[22:23]
	s_cbranch_execz .LBB104_167
; %bb.159:                              ;   in Loop: Header=BB104_11 Depth=1
	v_cmp_ge_u32_e32 vcc, s46, v5
	s_and_saveexec_b64 s[14:15], vcc
	s_xor_b64 s[14:15], exec, s[14:15]
	s_cbranch_execz .LBB104_164
; %bb.160:                              ;   in Loop: Header=BB104_11 Depth=1
	ds_read_b32 v3, v13 offset:4104
	v_and_b32_e32 v6, v34, v4
	v_lshl_or_b32 v34, 1, v37, v6
	v_or_b32_e32 v40, v40, v2
	s_waitcnt lgkmcnt(0)
	v_cmp_ne_u32_e32 vcc, 0, v3
	s_cbranch_vccnz .LBB104_164
; %bb.161:                              ;   in Loop: Header=BB104_11 Depth=1
	s_mov_b64 s[36:37], exec
	v_readlane_b32 s22, v76, 0
	v_readlane_b32 s23, v76, 1
	s_and_b64 s[22:23], s[36:37], s[22:23]
	s_mov_b64 exec, s[22:23]
; %bb.162:                              ;   in Loop: Header=BB104_11 Depth=1
	v_mov_b32_e32 v3, s46
	ds_write_b32 v13, v3 offset:4108
; %bb.163:                              ;   in Loop: Header=BB104_11 Depth=1
	s_or_b64 exec, exec, s[36:37]
	s_waitcnt lgkmcnt(0)
	s_barrier
.LBB104_164:                            ;   in Loop: Header=BB104_11 Depth=1
	s_or_saveexec_b64 s[14:15], s[14:15]
	s_mov_b64 s[36:37], 0
	v_mov_b32_e32 v3, 8
	s_xor_b64 exec, exec, s[14:15]
; %bb.165:                              ;   in Loop: Header=BB104_11 Depth=1
	s_mov_b64 s[36:37], exec
	v_subrev_u32_e32 v5, s46, v5
	v_mov_b32_e32 v3, 0
; %bb.166:                              ;   in Loop: Header=BB104_11 Depth=1
	s_or_b64 exec, exec, s[14:15]
	s_and_b64 s[14:15], s[36:37], exec
	v_mov_b32_e32 v6, v5
.LBB104_167:                            ;   in Loop: Header=BB104_11 Depth=1
	s_or_b64 exec, exec, s[8:9]
	s_mov_b64 s[8:9], -1
                                        ; implicit-def: $sgpr38_sgpr39
                                        ; implicit-def: $sgpr40_sgpr41
	s_and_saveexec_b64 s[36:37], s[14:15]
	s_cbranch_execz .LBB104_245
; %bb.168:                              ;   in Loop: Header=BB104_11 Depth=1
	s_cmp_eq_u32 s54, 1
	s_cselect_b64 s[8:9], -1, 0
	v_cmp_eq_u32_e32 vcc, 1, v6
	s_and_b64 s[44:45], s[8:9], vcc
	s_mov_b64 s[8:9], -1
                                        ; implicit-def: $sgpr40_sgpr41
                                        ; implicit-def: $sgpr38_sgpr39
	s_and_saveexec_b64 s[14:15], s[44:45]
	s_cbranch_execz .LBB104_194
; %bb.169:                              ;   in Loop: Header=BB104_11 Depth=1
	ds_read_b32 v5, v13 offset:4104
	s_waitcnt lgkmcnt(0)
	s_barrier
	v_readfirstlane_b32 s22, v5
	s_and_saveexec_b64 s[8:9], s[6:7]
; %bb.170:                              ;   in Loop: Header=BB104_11 Depth=1
	ds_write_b16 v22, v13
; %bb.171:                              ;   in Loop: Header=BB104_11 Depth=1
	s_or_b64 exec, exec, s[8:9]
	v_and_b32_e32 v5, v34, v4
	v_lshl_or_b32 v34, 2, v37, v5
	v_or_b32_e32 v40, v40, v2
	s_mov_b64 s[38:39], -1
	s_mov_b64 s[40:41], 0
	s_cmp_eq_u32 s22, 0
	s_mov_b64 s[8:9], 0
	s_mov_b64 s[42:43], -1
	s_waitcnt lgkmcnt(0)
	s_barrier
                                        ; implicit-def: $vgpr41
	s_cbranch_scc1 .LBB104_182
; %bb.172:                              ;   in Loop: Header=BB104_11 Depth=1
	s_add_i32 s8, s22, s33
	s_mul_hi_u32 s9, s8, s87
	s_mul_i32 s9, s9, s67
	s_sub_i32 s9, s8, s9
	s_sub_i32 s23, s9, s67
	s_cmp_ge_u32 s9, s67
	s_cselect_b32 s9, s23, s9
	s_sub_i32 s23, s9, s67
	s_cmp_ge_u32 s9, s67
	s_cselect_b32 s9, s23, s9
	s_sub_i32 s23, s8, s9
	v_cmp_gt_u32_e32 vcc, s23, v0
	s_mov_b64 s[42:43], 0
	s_mov_b64 s[8:9], 0
                                        ; implicit-def: $vgpr41
	s_and_saveexec_b64 s[46:47], vcc
	s_cbranch_execz .LBB104_181
; %bb.173:                              ;   in Loop: Header=BB104_11 Depth=1
	v_mov_b32_e32 v5, v21
	v_mov_b32_e32 v7, v0
                                        ; implicit-def: $sgpr48_sgpr49
	s_branch .LBB104_176
.LBB104_174:                            ;   in Loop: Header=BB104_176 Depth=2
	s_or_b64 exec, exec, s[50:51]
	s_waitcnt lgkmcnt(0)
	s_barrier
	ds_read_b32 v8, v13 offset:3072
	s_mov_b64 s[50:51], -1
	s_waitcnt lgkmcnt(0)
	s_barrier
	v_cmp_ne_u32_sdwa s[52:53], v8, v13 src0_sel:WORD_0 src1_sel:DWORD
	s_and_b64 vcc, exec, s[52:53]
	s_mov_b64 s[52:53], -1
	s_cbranch_vccz .LBB104_179
.LBB104_175:                            ;   in Loop: Header=BB104_176 Depth=2
	s_and_b64 s[50:51], exec, s[50:51]
	s_or_b64 s[8:9], s[50:51], s[8:9]
	s_andn2_b64 s[48:49], s[48:49], exec
	s_and_b64 s[50:51], s[52:53], exec
	s_or_b64 s[48:49], s[48:49], s[50:51]
	s_andn2_b64 exec, exec, s[8:9]
	s_cbranch_execz .LBB104_180
.LBB104_176:                            ;   Parent Loop BB104_11 Depth=1
                                        ; =>  This Inner Loop Header: Depth=2
	v_cmp_gt_u32_e32 vcc, s22, v7
	s_and_saveexec_b64 s[50:51], vcc
	s_cbranch_execz .LBB104_174
; %bb.177:                              ;   in Loop: Header=BB104_176 Depth=2
	ds_read_u16 v8, v5
	s_waitcnt lgkmcnt(0)
	v_add_u32_sdwa v9, sext(v8), s20 dst_sel:DWORD dst_unused:UNUSED_PAD src0_sel:WORD_0 src1_sel:DWORD
	v_and_b32_e32 v9, v9, v40
	v_cmp_eq_u32_e32 vcc, v9, v34
	s_and_b64 exec, exec, vcc
	s_cbranch_execz .LBB104_174
; %bb.178:                              ;   in Loop: Header=BB104_176 Depth=2
	v_perm_b32 v8, v8, 1, v39
	ds_write_b32 v13, v8 offset:3072
	s_branch .LBB104_174
.LBB104_179:                            ;   in Loop: Header=BB104_176 Depth=2
	v_add_u32_e32 v7, s67, v7
	v_cmp_le_u32_e32 vcc, s23, v7
	v_add_u32_e32 v5, s85, v5
	s_mov_b64 s[52:53], 0
	s_orn2_b64 s[50:51], vcc, exec
	s_branch .LBB104_175
.LBB104_180:                            ;   in Loop: Header=BB104_11 Depth=1
	s_or_b64 exec, exec, s[8:9]
	v_lshrrev_b32_e32 v41, 16, v8
	s_and_b64 s[8:9], s[48:49], exec
.LBB104_181:                            ;   in Loop: Header=BB104_11 Depth=1
	s_or_b64 exec, exec, s[46:47]
.LBB104_182:                            ;   in Loop: Header=BB104_11 Depth=1
	s_and_b64 vcc, exec, s[42:43]
	s_cbranch_vccz .LBB104_193
; %bb.183:                              ;   in Loop: Header=BB104_11 Depth=1
                                        ; implicit-def: $vgpr41
	s_mov_b64 s[38:39], exec
	v_readlane_b32 s22, v76, 35
	v_readlane_b32 s23, v76, 36
	s_and_b64 s[22:23], s[38:39], s[22:23]
	s_mov_b64 exec, s[22:23]
	s_cbranch_execz .LBB104_192
; %bb.184:                              ;   in Loop: Header=BB104_11 Depth=1
	s_mov_b64 s[40:41], 0
	v_mov_b32_e32 v12, v10
	v_mov_b32_e32 v5, v0
                                        ; implicit-def: $sgpr42_sgpr43
	s_branch .LBB104_187
.LBB104_185:                            ;   in Loop: Header=BB104_187 Depth=2
	s_or_b64 exec, exec, s[46:47]
	s_waitcnt lgkmcnt(0)
	s_barrier
	ds_read_b32 v7, v13 offset:3072
	s_mov_b64 s[46:47], -1
	s_mov_b64 s[48:49], -1
	s_waitcnt lgkmcnt(0)
	s_barrier
	v_cmp_eq_u32_sdwa s[22:23], v7, v13 src0_sel:WORD_0 src1_sel:DWORD
	s_and_b64 vcc, exec, s[22:23]
	s_cbranch_vccnz .LBB104_190
.LBB104_186:                            ;   in Loop: Header=BB104_187 Depth=2
	s_and_b64 s[22:23], exec, s[46:47]
	s_or_b64 s[40:41], s[22:23], s[40:41]
	s_andn2_b64 s[22:23], s[42:43], exec
	s_and_b64 s[42:43], s[48:49], exec
	s_or_b64 s[42:43], s[22:23], s[42:43]
	s_andn2_b64 exec, exec, s[40:41]
	s_cbranch_execz .LBB104_191
.LBB104_187:                            ;   Parent Loop BB104_11 Depth=1
                                        ; =>  This Inner Loop Header: Depth=2
	v_cmp_gt_u32_e32 vcc, s64, v5
	s_and_saveexec_b64 s[46:47], vcc
	s_cbranch_execz .LBB104_185
; %bb.188:                              ;   in Loop: Header=BB104_187 Depth=2
	v_lshl_add_u64 v[8:9], v[12:13], 1, s[70:71]
	global_load_ushort v7, v[8:9], off
	s_waitcnt vmcnt(0)
	v_add_u32_sdwa v8, sext(v7), s20 dst_sel:DWORD dst_unused:UNUSED_PAD src0_sel:WORD_0 src1_sel:DWORD
	v_and_b32_e32 v8, v8, v40
	v_cmp_eq_u32_e32 vcc, v8, v34
	s_and_b64 exec, exec, vcc
	s_cbranch_execz .LBB104_185
; %bb.189:                              ;   in Loop: Header=BB104_187 Depth=2
	v_perm_b32 v7, v7, 1, v39
	ds_write_b32 v13, v7 offset:3072
	s_branch .LBB104_185
.LBB104_190:                            ;   in Loop: Header=BB104_187 Depth=2
	v_add_u32_e32 v5, s67, v5
	v_cmp_le_u32_e32 vcc, s82, v5
	v_add_u32_e32 v12, s86, v12
	s_mov_b64 s[48:49], 0
	s_orn2_b64 s[46:47], vcc, exec
	s_branch .LBB104_186
.LBB104_191:                            ;   in Loop: Header=BB104_11 Depth=1
	s_or_b64 exec, exec, s[40:41]
	s_andn2_b64 s[8:9], s[8:9], exec
	s_and_b64 s[22:23], s[42:43], exec
	v_lshrrev_b32_e32 v41, 16, v7
	s_or_b64 s[8:9], s[8:9], s[22:23]
.LBB104_192:                            ;   in Loop: Header=BB104_11 Depth=1
	s_or_b64 exec, exec, s[38:39]
	s_mov_b64 s[38:39], 0
	s_mov_b64 s[40:41], -1
.LBB104_193:                            ;   in Loop: Header=BB104_11 Depth=1
	s_orn2_b64 s[8:9], s[8:9], exec
.LBB104_194:                            ;   in Loop: Header=BB104_11 Depth=1
	s_or_b64 exec, exec, s[14:15]
	s_mov_b64 s[14:15], 0
	s_and_saveexec_b64 s[42:43], s[8:9]
	s_cbranch_execz .LBB104_244
; %bb.195:                              ;   in Loop: Header=BB104_11 Depth=1
	s_xor_b64 s[22:23], s[44:45], -1
	v_mov_b32_e32 v5, 1
	v_mov_b32_e32 v3, 1
	s_and_saveexec_b64 s[8:9], s[22:23]
	s_cbranch_execz .LBB104_204
; %bb.196:                              ;   in Loop: Header=BB104_11 Depth=1
	v_cmp_ge_u32_e32 vcc, s54, v6
	s_and_saveexec_b64 s[14:15], vcc
	s_xor_b64 s[14:15], exec, s[14:15]
	s_cbranch_execz .LBB104_201
; %bb.197:                              ;   in Loop: Header=BB104_11 Depth=1
	ds_read_b32 v3, v13 offset:4104
	v_and_b32_e32 v4, v34, v4
	v_lshl_or_b32 v34, 2, v37, v4
	v_or_b32_e32 v40, v40, v2
	s_waitcnt lgkmcnt(0)
	v_cmp_ne_u32_e32 vcc, 0, v3
	s_cbranch_vccnz .LBB104_201
; %bb.198:                              ;   in Loop: Header=BB104_11 Depth=1
	s_mov_b64 s[44:45], exec
	v_readlane_b32 s22, v76, 0
	v_readlane_b32 s23, v76, 1
	s_and_b64 s[22:23], s[44:45], s[22:23]
	s_mov_b64 exec, s[22:23]
; %bb.199:                              ;   in Loop: Header=BB104_11 Depth=1
	v_mov_b32_e32 v3, s54
	ds_write_b32 v13, v3 offset:4108
; %bb.200:                              ;   in Loop: Header=BB104_11 Depth=1
	s_or_b64 exec, exec, s[44:45]
	s_waitcnt lgkmcnt(0)
	s_barrier
.LBB104_201:                            ;   in Loop: Header=BB104_11 Depth=1
	s_or_saveexec_b64 s[14:15], s[14:15]
	s_mov_b64 s[44:45], 0
	v_mov_b32_e32 v3, 8
	s_xor_b64 exec, exec, s[14:15]
; %bb.202:                              ;   in Loop: Header=BB104_11 Depth=1
	s_mov_b64 s[44:45], exec
	v_subrev_u32_e32 v6, s54, v6
	v_mov_b32_e32 v3, 0
; %bb.203:                              ;   in Loop: Header=BB104_11 Depth=1
	s_or_b64 exec, exec, s[14:15]
	s_and_b64 s[14:15], s[44:45], exec
	v_mov_b32_e32 v5, v6
.LBB104_204:                            ;   in Loop: Header=BB104_11 Depth=1
	s_or_b64 exec, exec, s[8:9]
	s_mov_b64 s[8:9], -1
                                        ; implicit-def: $sgpr48_sgpr49
                                        ; implicit-def: $sgpr46_sgpr47
	s_and_saveexec_b64 s[44:45], s[14:15]
	s_cbranch_execz .LBB104_243
; %bb.205:                              ;   in Loop: Header=BB104_11 Depth=1
	s_cmp_eq_u32 s62, 1
	s_cselect_b64 s[8:9], -1, 0
	v_cmp_eq_u32_e32 vcc, 1, v5
	s_and_b64 s[50:51], s[8:9], vcc
	s_mov_b64 s[52:53], -1
                                        ; implicit-def: $sgpr48_sgpr49
                                        ; implicit-def: $sgpr46_sgpr47
	s_and_saveexec_b64 s[14:15], s[50:51]
	s_cbranch_execz .LBB104_231
; %bb.206:                              ;   in Loop: Header=BB104_11 Depth=1
	ds_read_b32 v4, v13 offset:4104
	s_waitcnt lgkmcnt(0)
	s_barrier
	v_readfirstlane_b32 s22, v4
	s_and_saveexec_b64 s[8:9], s[6:7]
; %bb.207:                              ;   in Loop: Header=BB104_11 Depth=1
	ds_write_b16 v22, v13
; %bb.208:                              ;   in Loop: Header=BB104_11 Depth=1
	s_or_b64 exec, exec, s[8:9]
	v_or_b32_e32 v34, v34, v2
	v_or_b32_e32 v40, v40, v2
	s_mov_b64 s[46:47], -1
	s_mov_b64 s[48:49], 0
	s_cmp_eq_u32 s22, 0
	s_mov_b64 s[8:9], 0
	s_waitcnt lgkmcnt(0)
	s_barrier
                                        ; implicit-def: $vgpr41
	s_cbranch_scc1 .LBB104_219
; %bb.209:                              ;   in Loop: Header=BB104_11 Depth=1
	s_add_i32 s8, s22, s33
	s_mul_hi_u32 s9, s8, s87
	s_mul_i32 s9, s9, s67
	s_sub_i32 s9, s8, s9
	s_sub_i32 s23, s9, s67
	s_cmp_ge_u32 s9, s67
	s_cselect_b32 s9, s23, s9
	s_sub_i32 s23, s9, s67
	s_cmp_ge_u32 s9, s67
	s_cselect_b32 s9, s23, s9
	s_sub_i32 s23, s8, s9
	v_cmp_gt_u32_e32 vcc, s23, v0
	s_mov_b64 s[52:53], 0
	s_mov_b64 s[8:9], 0
                                        ; implicit-def: $vgpr41
	s_and_saveexec_b64 s[54:55], vcc
	s_cbranch_execz .LBB104_218
; %bb.210:                              ;   in Loop: Header=BB104_11 Depth=1
	v_mov_b32_e32 v4, v21
	v_mov_b32_e32 v6, v0
                                        ; implicit-def: $sgpr56_sgpr57
	s_branch .LBB104_213
.LBB104_211:                            ;   in Loop: Header=BB104_213 Depth=2
	s_or_b64 exec, exec, s[58:59]
	s_waitcnt lgkmcnt(0)
	s_barrier
	ds_read_b32 v7, v13 offset:3072
	s_mov_b64 s[58:59], -1
	s_waitcnt lgkmcnt(0)
	s_barrier
	v_cmp_ne_u32_sdwa s[60:61], v7, v13 src0_sel:WORD_0 src1_sel:DWORD
	s_and_b64 vcc, exec, s[60:61]
	s_mov_b64 s[60:61], -1
	s_cbranch_vccz .LBB104_216
.LBB104_212:                            ;   in Loop: Header=BB104_213 Depth=2
	s_and_b64 s[58:59], exec, s[58:59]
	s_or_b64 s[8:9], s[58:59], s[8:9]
	s_andn2_b64 s[56:57], s[56:57], exec
	s_and_b64 s[58:59], s[60:61], exec
	s_or_b64 s[56:57], s[56:57], s[58:59]
	s_andn2_b64 exec, exec, s[8:9]
	s_cbranch_execz .LBB104_217
.LBB104_213:                            ;   Parent Loop BB104_11 Depth=1
                                        ; =>  This Inner Loop Header: Depth=2
	v_cmp_gt_u32_e32 vcc, s22, v6
	s_and_saveexec_b64 s[58:59], vcc
	s_cbranch_execz .LBB104_211
; %bb.214:                              ;   in Loop: Header=BB104_213 Depth=2
	ds_read_u16 v7, v4
	s_waitcnt lgkmcnt(0)
	v_add_u32_sdwa v8, sext(v7), s20 dst_sel:DWORD dst_unused:UNUSED_PAD src0_sel:WORD_0 src1_sel:DWORD
	v_and_b32_e32 v8, v8, v40
	v_cmp_eq_u32_e32 vcc, v8, v34
	s_and_b64 exec, exec, vcc
	s_cbranch_execz .LBB104_211
; %bb.215:                              ;   in Loop: Header=BB104_213 Depth=2
	v_perm_b32 v7, v7, 1, v39
	ds_write_b32 v13, v7 offset:3072
	s_branch .LBB104_211
.LBB104_216:                            ;   in Loop: Header=BB104_213 Depth=2
	v_add_u32_e32 v6, s67, v6
	v_cmp_le_u32_e32 vcc, s23, v6
	v_add_u32_e32 v4, s85, v4
	s_mov_b64 s[60:61], 0
	s_orn2_b64 s[58:59], vcc, exec
	s_branch .LBB104_212
.LBB104_217:                            ;   in Loop: Header=BB104_11 Depth=1
	s_or_b64 exec, exec, s[8:9]
	v_lshrrev_b32_e32 v41, 16, v7
	s_and_b64 s[8:9], s[56:57], exec
.LBB104_218:                            ;   in Loop: Header=BB104_11 Depth=1
	s_or_b64 exec, exec, s[54:55]
.LBB104_219:                            ;   in Loop: Header=BB104_11 Depth=1
	s_and_b64 vcc, exec, s[52:53]
	s_cbranch_vccz .LBB104_230
; %bb.220:                              ;   in Loop: Header=BB104_11 Depth=1
                                        ; implicit-def: $vgpr41
	s_mov_b64 s[46:47], exec
	v_readlane_b32 s22, v76, 35
	v_readlane_b32 s23, v76, 36
	s_and_b64 s[22:23], s[46:47], s[22:23]
	s_mov_b64 exec, s[22:23]
	s_cbranch_execz .LBB104_229
; %bb.221:                              ;   in Loop: Header=BB104_11 Depth=1
	s_mov_b64 s[48:49], 0
	v_mov_b32_e32 v12, v10
	v_mov_b32_e32 v4, v0
                                        ; implicit-def: $sgpr52_sgpr53
	s_branch .LBB104_224
.LBB104_222:                            ;   in Loop: Header=BB104_224 Depth=2
	s_or_b64 exec, exec, s[54:55]
	s_waitcnt lgkmcnt(0)
	s_barrier
	ds_read_b32 v6, v13 offset:3072
	s_mov_b64 s[54:55], -1
	s_mov_b64 s[56:57], -1
	s_waitcnt lgkmcnt(0)
	s_barrier
	v_cmp_eq_u32_sdwa s[22:23], v6, v13 src0_sel:WORD_0 src1_sel:DWORD
	s_and_b64 vcc, exec, s[22:23]
	s_cbranch_vccnz .LBB104_227
.LBB104_223:                            ;   in Loop: Header=BB104_224 Depth=2
	s_and_b64 s[22:23], exec, s[54:55]
	s_or_b64 s[48:49], s[22:23], s[48:49]
	s_andn2_b64 s[22:23], s[52:53], exec
	s_and_b64 s[52:53], s[56:57], exec
	s_or_b64 s[52:53], s[22:23], s[52:53]
	s_andn2_b64 exec, exec, s[48:49]
	s_cbranch_execz .LBB104_228
.LBB104_224:                            ;   Parent Loop BB104_11 Depth=1
                                        ; =>  This Inner Loop Header: Depth=2
	v_cmp_gt_u32_e32 vcc, s64, v4
	s_and_saveexec_b64 s[54:55], vcc
	s_cbranch_execz .LBB104_222
; %bb.225:                              ;   in Loop: Header=BB104_224 Depth=2
	v_lshl_add_u64 v[6:7], v[12:13], 1, s[70:71]
	global_load_ushort v6, v[6:7], off
	s_waitcnt vmcnt(0)
	v_add_u32_sdwa v7, sext(v6), s20 dst_sel:DWORD dst_unused:UNUSED_PAD src0_sel:WORD_0 src1_sel:DWORD
	v_and_b32_e32 v7, v7, v40
	v_cmp_eq_u32_e32 vcc, v7, v34
	s_and_b64 exec, exec, vcc
	s_cbranch_execz .LBB104_222
; %bb.226:                              ;   in Loop: Header=BB104_224 Depth=2
	v_perm_b32 v6, v6, 1, v39
	ds_write_b32 v13, v6 offset:3072
	s_branch .LBB104_222
.LBB104_227:                            ;   in Loop: Header=BB104_224 Depth=2
	v_add_u32_e32 v4, s67, v4
	v_cmp_le_u32_e32 vcc, s82, v4
	v_add_u32_e32 v12, s86, v12
	s_mov_b64 s[56:57], 0
	s_orn2_b64 s[54:55], vcc, exec
	s_branch .LBB104_223
.LBB104_228:                            ;   in Loop: Header=BB104_11 Depth=1
	s_or_b64 exec, exec, s[48:49]
	s_andn2_b64 s[8:9], s[8:9], exec
	s_and_b64 s[22:23], s[52:53], exec
	v_lshrrev_b32_e32 v41, 16, v6
	s_or_b64 s[8:9], s[8:9], s[22:23]
.LBB104_229:                            ;   in Loop: Header=BB104_11 Depth=1
	s_or_b64 exec, exec, s[46:47]
	s_mov_b64 s[46:47], 0
	s_mov_b64 s[48:49], -1
.LBB104_230:                            ;   in Loop: Header=BB104_11 Depth=1
	s_orn2_b64 s[52:53], s[8:9], exec
.LBB104_231:                            ;   in Loop: Header=BB104_11 Depth=1
	s_or_b64 exec, exec, s[14:15]
	s_mov_b64 s[14:15], 0
	s_and_saveexec_b64 s[8:9], s[52:53]
	s_cbranch_execz .LBB104_242
; %bb.232:                              ;   in Loop: Header=BB104_11 Depth=1
	s_xor_b64 s[22:23], s[50:51], -1
	v_mov_b32_e32 v3, 1
	v_mov_b32_e32 v4, 1
	s_and_saveexec_b64 s[14:15], s[22:23]
	s_cbranch_execz .LBB104_241
; %bb.233:                              ;   in Loop: Header=BB104_11 Depth=1
	v_cmp_ge_u32_e32 vcc, s62, v5
	s_and_saveexec_b64 s[22:23], vcc
	s_xor_b64 s[50:51], exec, s[22:23]
	s_cbranch_execz .LBB104_238
; %bb.234:                              ;   in Loop: Header=BB104_11 Depth=1
	ds_read_b32 v3, v13 offset:4104
	v_or_b32_e32 v34, v34, v2
	v_or_b32_e32 v40, v40, v2
	s_waitcnt lgkmcnt(0)
	v_cmp_ne_u32_e32 vcc, 0, v3
	s_cbranch_vccnz .LBB104_238
; %bb.235:                              ;   in Loop: Header=BB104_11 Depth=1
	s_mov_b64 s[52:53], exec
	v_readlane_b32 s22, v76, 0
	v_readlane_b32 s23, v76, 1
	s_and_b64 s[22:23], s[52:53], s[22:23]
	s_mov_b64 exec, s[22:23]
; %bb.236:                              ;   in Loop: Header=BB104_11 Depth=1
	v_mov_b32_e32 v2, s62
	ds_write_b32 v13, v2 offset:4108
; %bb.237:                              ;   in Loop: Header=BB104_11 Depth=1
	s_or_b64 exec, exec, s[52:53]
	s_waitcnt lgkmcnt(0)
	s_barrier
.LBB104_238:                            ;   in Loop: Header=BB104_11 Depth=1
	s_andn2_saveexec_b64 s[50:51], s[50:51]
; %bb.239:                              ;   in Loop: Header=BB104_11 Depth=1
	v_subrev_u32_e32 v5, s62, v5
; %bb.240:                              ;   in Loop: Header=BB104_11 Depth=1
	s_or_b64 exec, exec, s[50:51]
	v_mov_b32_e32 v3, 8
	v_mov_b32_e32 v4, v5
.LBB104_241:                            ;   in Loop: Header=BB104_11 Depth=1
	s_or_b64 exec, exec, s[14:15]
	s_mov_b64 s[14:15], exec
	v_mov_b32_e32 v5, v4
.LBB104_242:                            ;   in Loop: Header=BB104_11 Depth=1
	s_or_b64 exec, exec, s[8:9]
	s_orn2_b64 s[8:9], s[14:15], exec
.LBB104_243:                            ;   in Loop: Header=BB104_11 Depth=1
	s_or_b64 exec, exec, s[44:45]
	s_andn2_b64 s[14:15], s[40:41], exec
	s_and_b64 s[22:23], s[48:49], exec
	s_or_b64 s[40:41], s[14:15], s[22:23]
	s_andn2_b64 s[14:15], s[38:39], exec
	s_and_b64 s[22:23], s[46:47], exec
	s_or_b64 s[38:39], s[14:15], s[22:23]
	s_and_b64 s[14:15], s[8:9], exec
	v_mov_b32_e32 v6, v5
.LBB104_244:                            ;   in Loop: Header=BB104_11 Depth=1
	s_or_b64 exec, exec, s[42:43]
	s_orn2_b64 s[8:9], s[14:15], exec
.LBB104_245:                            ;   in Loop: Header=BB104_11 Depth=1
	s_or_b64 exec, exec, s[36:37]
	s_andn2_b64 s[14:15], s[30:31], exec
	s_and_b64 s[22:23], s[40:41], exec
	s_or_b64 s[30:31], s[14:15], s[22:23]
	s_andn2_b64 s[14:15], s[28:29], exec
	s_and_b64 s[22:23], s[38:39], exec
	s_or_b64 s[28:29], s[14:15], s[22:23]
	s_and_b64 s[14:15], s[8:9], exec
	v_mov_b32_e32 v5, v6
.LBB104_246:                            ;   in Loop: Header=BB104_11 Depth=1
	s_or_b64 exec, exec, s[34:35]
	s_orn2_b64 s[8:9], s[14:15], exec
.LBB104_247:                            ;   in Loop: Header=BB104_11 Depth=1
	s_or_b64 exec, exec, s[26:27]
	s_mov_b64 s[14:15], 0
                                        ; implicit-def: $sgpr22
	s_and_saveexec_b64 s[26:27], s[8:9]
	s_xor_b64 s[8:9], exec, s[26:27]
	s_cbranch_execz .LBB104_9
; %bb.248:                              ;   in Loop: Header=BB104_11 Depth=1
	v_and_b32_e32 v2, 7, v3
	v_cmp_eq_u32_e32 vcc, 0, v2
	s_mov_b64 s[2:3], -1
	s_mov_b64 s[14:15], -1
                                        ; implicit-def: $sgpr22
	s_and_saveexec_b64 s[26:27], vcc
	s_cbranch_execz .LBB104_8
; %bb.249:                              ;   in Loop: Header=BB104_11 Depth=1
	v_add_u32_e32 v2, -2, v37
	v_cmp_eq_u32_e32 vcc, 0, v37
	s_xor_b32 s22, s78, 1
	s_xor_b64 s[14:15], exec, -1
	s_orn2_b64 s[2:3], vcc, exec
	v_mov_b32_e32 v37, v2
	s_branch .LBB104_8
.LBB104_250:
	s_or_b64 exec, exec, s[92:93]
	s_xor_b64 s[6:7], s[96:97], -1
	s_xor_b64 s[0:1], s[94:95], -1
	;; [unrolled: 1-line block ×3, first 2 shown]
	s_mov_b64 s[2:3], 0
	s_and_saveexec_b64 s[8:9], s[0:1]
	s_xor_b64 s[0:1], exec, s[8:9]
	s_cbranch_execnz .LBB104_255
; %bb.251:
	s_andn2_saveexec_b64 s[0:1], s[0:1]
	s_cbranch_execnz .LBB104_268
.LBB104_252:
	s_or_b64 exec, exec, s[0:1]
	s_and_saveexec_b64 s[0:1], s[2:3]
.LBB104_253:
	; divergent unreachable
.LBB104_254:
	s_endpgm
.LBB104_255:
	s_and_saveexec_b64 s[2:3], s[6:7]
	s_xor_b64 s[2:3], exec, s[2:3]
	s_cbranch_execz .LBB104_266
; %bb.256:
	s_and_saveexec_b64 s[6:7], s[4:5]
	s_xor_b64 s[4:5], exec, s[6:7]
; %bb.257:
	v_xor_b32_e32 v41, 0xffff8000, v34
; %bb.258:
	s_or_b64 exec, exec, s[4:5]
	v_readlane_b32 s18, v76, 8
	v_readlane_b32 s4, v76, 7
	s_mul_i32 s4, s4, s18
	s_mov_b32 s5, 0
	s_lshl_b64 s[4:5], s[4:5], 1
	v_readlane_b32 s6, v76, 4
	v_readlane_b32 s7, v76, 5
	s_add_u32 s4, s6, s4
	s_addc_u32 s5, s7, s5
	v_mov_b32_e32 v11, 0
	global_store_short v11, v41, s[4:5]
	s_mov_b64 s[4:5], exec
	v_readlane_b32 s6, v76, 9
	v_readlane_b32 s7, v76, 10
	s_and_b64 s[6:7], s[4:5], s[6:7]
	s_mov_b64 exec, s[6:7]
	s_cbranch_execz .LBB104_265
; %bb.259:
	s_mov_b64 s[6:7], 0
                                        ; implicit-def: $sgpr8_sgpr9
                                        ; implicit-def: $sgpr12_sgpr13
                                        ; implicit-def: $sgpr10_sgpr11
	s_branch .LBB104_261
.LBB104_260:                            ;   in Loop: Header=BB104_261 Depth=1
	s_or_b64 exec, exec, s[14:15]
	s_and_b64 s[14:15], exec, s[12:13]
	s_or_b64 s[6:7], s[14:15], s[6:7]
	s_andn2_b64 s[8:9], s[8:9], exec
	s_and_b64 s[14:15], s[10:11], exec
	s_or_b64 s[8:9], s[8:9], s[14:15]
	s_andn2_b64 exec, exec, s[6:7]
	s_cbranch_execz .LBB104_263
.LBB104_261:                            ; =>This Inner Loop Header: Depth=1
	v_lshl_add_u64 v[2:3], v[10:11], 1, s[70:71]
	global_load_ushort v1, v[2:3], off
	v_mov_b32_e32 v2, v0
	s_or_b64 s[10:11], s[10:11], exec
	s_or_b64 s[12:13], s[12:13], exec
                                        ; implicit-def: $vgpr0
	s_waitcnt vmcnt(0)
	v_cmp_ne_u16_e32 vcc, v1, v41
	s_and_saveexec_b64 s[14:15], vcc
	s_cbranch_execz .LBB104_260
; %bb.262:                              ;   in Loop: Header=BB104_261 Depth=1
	v_add_u32_e32 v0, s67, v2
	v_cmp_le_u32_e32 vcc, s64, v0
	s_andn2_b64 s[12:13], s[12:13], exec
	s_and_b64 s[16:17], vcc, exec
	v_add_u32_e32 v10, s86, v10
	s_andn2_b64 s[10:11], s[10:11], exec
	s_or_b64 s[12:13], s[12:13], s[16:17]
	s_branch .LBB104_260
.LBB104_263:
	s_or_b64 exec, exec, s[6:7]
	s_and_saveexec_b64 s[6:7], s[8:9]
	s_xor_b64 s[6:7], exec, s[6:7]
	s_cbranch_execz .LBB104_265
; %bb.264:
	v_readlane_b32 s6, v76, 6
	s_mul_i32 s6, s6, s18
	s_mov_b32 s7, 0
	s_lshl_b64 s[6:7], s[6:7], 3
	v_readlane_b32 s8, v76, 2
	v_readlane_b32 s9, v76, 3
	s_add_u32 s6, s8, s6
	s_addc_u32 s7, s9, s7
	v_mov_b32_e32 v3, 0
	global_store_dwordx2 v3, v[2:3], s[6:7]
.LBB104_265:
	s_or_b64 exec, exec, s[4:5]
.LBB104_266:
	s_or_saveexec_b64 s[2:3], s[2:3]
	s_mov_b64 s[4:5], 0
	s_xor_b64 exec, exec, s[2:3]
	s_cbranch_execnz .LBB104_269
.LBB104_267:
	s_or_b64 exec, exec, s[2:3]
	s_and_b64 s[2:3], s[4:5], exec
	s_andn2_saveexec_b64 s[0:1], s[0:1]
	s_cbranch_execz .LBB104_252
.LBB104_268:
	s_or_b64 s[2:3], s[2:3], exec
	s_trap 2
	s_or_b64 exec, exec, s[0:1]
	s_and_saveexec_b64 s[0:1], s[2:3]
	s_cbranch_execnz .LBB104_253
	s_branch .LBB104_254
.LBB104_269:
	s_mov_b64 s[4:5], exec
	s_trap 2
	s_branch .LBB104_267
	.section	.rodata,"a",@progbits
	.p2align	6, 0x0
	.amdhsa_kernel _ZN2at6native12_GLOBAL__N_112gatherMedianIsjLi1EEEvNS_4cuda6detail10TensorInfoIT_T0_EENS5_IlS7_EENS5_IKS6_S7_EES7_S7_S7_b
		.amdhsa_group_segment_fixed_size 4120
		.amdhsa_private_segment_fixed_size 0
		.amdhsa_kernarg_size 920
		.amdhsa_user_sgpr_count 2
		.amdhsa_user_sgpr_dispatch_ptr 0
		.amdhsa_user_sgpr_queue_ptr 0
		.amdhsa_user_sgpr_kernarg_segment_ptr 1
		.amdhsa_user_sgpr_dispatch_id 0
		.amdhsa_user_sgpr_kernarg_preload_length 0
		.amdhsa_user_sgpr_kernarg_preload_offset 0
		.amdhsa_user_sgpr_private_segment_size 0
		.amdhsa_uses_dynamic_stack 0
		.amdhsa_enable_private_segment 0
		.amdhsa_system_sgpr_workgroup_id_x 1
		.amdhsa_system_sgpr_workgroup_id_y 1
		.amdhsa_system_sgpr_workgroup_id_z 1
		.amdhsa_system_sgpr_workgroup_info 0
		.amdhsa_system_vgpr_workitem_id 0
		.amdhsa_next_free_vgpr 77
		.amdhsa_next_free_sgpr 100
		.amdhsa_accum_offset 80
		.amdhsa_reserve_vcc 1
		.amdhsa_float_round_mode_32 0
		.amdhsa_float_round_mode_16_64 0
		.amdhsa_float_denorm_mode_32 3
		.amdhsa_float_denorm_mode_16_64 3
		.amdhsa_dx10_clamp 1
		.amdhsa_ieee_mode 1
		.amdhsa_fp16_overflow 0
		.amdhsa_tg_split 0
		.amdhsa_exception_fp_ieee_invalid_op 0
		.amdhsa_exception_fp_denorm_src 0
		.amdhsa_exception_fp_ieee_div_zero 0
		.amdhsa_exception_fp_ieee_overflow 0
		.amdhsa_exception_fp_ieee_underflow 0
		.amdhsa_exception_fp_ieee_inexact 0
		.amdhsa_exception_int_div_zero 0
	.end_amdhsa_kernel
	.section	.text._ZN2at6native12_GLOBAL__N_112gatherMedianIsjLi1EEEvNS_4cuda6detail10TensorInfoIT_T0_EENS5_IlS7_EENS5_IKS6_S7_EES7_S7_S7_b,"axG",@progbits,_ZN2at6native12_GLOBAL__N_112gatherMedianIsjLi1EEEvNS_4cuda6detail10TensorInfoIT_T0_EENS5_IlS7_EENS5_IKS6_S7_EES7_S7_S7_b,comdat
.Lfunc_end104:
	.size	_ZN2at6native12_GLOBAL__N_112gatherMedianIsjLi1EEEvNS_4cuda6detail10TensorInfoIT_T0_EENS5_IlS7_EENS5_IKS6_S7_EES7_S7_S7_b, .Lfunc_end104-_ZN2at6native12_GLOBAL__N_112gatherMedianIsjLi1EEEvNS_4cuda6detail10TensorInfoIT_T0_EENS5_IlS7_EENS5_IKS6_S7_EES7_S7_S7_b
                                        ; -- End function
	.set _ZN2at6native12_GLOBAL__N_112gatherMedianIsjLi1EEEvNS_4cuda6detail10TensorInfoIT_T0_EENS5_IlS7_EENS5_IKS6_S7_EES7_S7_S7_b.num_vgpr, 77
	.set _ZN2at6native12_GLOBAL__N_112gatherMedianIsjLi1EEEvNS_4cuda6detail10TensorInfoIT_T0_EENS5_IlS7_EENS5_IKS6_S7_EES7_S7_S7_b.num_agpr, 0
	.set _ZN2at6native12_GLOBAL__N_112gatherMedianIsjLi1EEEvNS_4cuda6detail10TensorInfoIT_T0_EENS5_IlS7_EENS5_IKS6_S7_EES7_S7_S7_b.numbered_sgpr, 100
	.set _ZN2at6native12_GLOBAL__N_112gatherMedianIsjLi1EEEvNS_4cuda6detail10TensorInfoIT_T0_EENS5_IlS7_EENS5_IKS6_S7_EES7_S7_S7_b.num_named_barrier, 0
	.set _ZN2at6native12_GLOBAL__N_112gatherMedianIsjLi1EEEvNS_4cuda6detail10TensorInfoIT_T0_EENS5_IlS7_EENS5_IKS6_S7_EES7_S7_S7_b.private_seg_size, 0
	.set _ZN2at6native12_GLOBAL__N_112gatherMedianIsjLi1EEEvNS_4cuda6detail10TensorInfoIT_T0_EENS5_IlS7_EENS5_IKS6_S7_EES7_S7_S7_b.uses_vcc, 1
	.set _ZN2at6native12_GLOBAL__N_112gatherMedianIsjLi1EEEvNS_4cuda6detail10TensorInfoIT_T0_EENS5_IlS7_EENS5_IKS6_S7_EES7_S7_S7_b.uses_flat_scratch, 0
	.set _ZN2at6native12_GLOBAL__N_112gatherMedianIsjLi1EEEvNS_4cuda6detail10TensorInfoIT_T0_EENS5_IlS7_EENS5_IKS6_S7_EES7_S7_S7_b.has_dyn_sized_stack, 0
	.set _ZN2at6native12_GLOBAL__N_112gatherMedianIsjLi1EEEvNS_4cuda6detail10TensorInfoIT_T0_EENS5_IlS7_EENS5_IKS6_S7_EES7_S7_S7_b.has_recursion, 0
	.set _ZN2at6native12_GLOBAL__N_112gatherMedianIsjLi1EEEvNS_4cuda6detail10TensorInfoIT_T0_EENS5_IlS7_EENS5_IKS6_S7_EES7_S7_S7_b.has_indirect_call, 0
	.section	.AMDGPU.csdata,"",@progbits
; Kernel info:
; codeLenInByte = 10676
; TotalNumSgprs: 106
; NumVgprs: 77
; NumAgprs: 0
; TotalNumVgprs: 77
; ScratchSize: 0
; MemoryBound: 0
; FloatMode: 240
; IeeeMode: 1
; LDSByteSize: 4120 bytes/workgroup (compile time only)
; SGPRBlocks: 13
; VGPRBlocks: 9
; NumSGPRsForWavesPerEU: 106
; NumVGPRsForWavesPerEU: 77
; AccumOffset: 80
; Occupancy: 6
; WaveLimiterHint : 1
; COMPUTE_PGM_RSRC2:SCRATCH_EN: 0
; COMPUTE_PGM_RSRC2:USER_SGPR: 2
; COMPUTE_PGM_RSRC2:TRAP_HANDLER: 0
; COMPUTE_PGM_RSRC2:TGID_X_EN: 1
; COMPUTE_PGM_RSRC2:TGID_Y_EN: 1
; COMPUTE_PGM_RSRC2:TGID_Z_EN: 1
; COMPUTE_PGM_RSRC2:TIDIG_COMP_CNT: 0
; COMPUTE_PGM_RSRC3_GFX90A:ACCUM_OFFSET: 19
; COMPUTE_PGM_RSRC3_GFX90A:TG_SPLIT: 0
	.section	.text._ZN2at6native12_GLOBAL__N_112gatherMedianIsjLi2EEEvNS_4cuda6detail10TensorInfoIT_T0_EENS5_IlS7_EENS5_IKS6_S7_EES7_S7_S7_b,"axG",@progbits,_ZN2at6native12_GLOBAL__N_112gatherMedianIsjLi2EEEvNS_4cuda6detail10TensorInfoIT_T0_EENS5_IlS7_EENS5_IKS6_S7_EES7_S7_S7_b,comdat
	.globl	_ZN2at6native12_GLOBAL__N_112gatherMedianIsjLi2EEEvNS_4cuda6detail10TensorInfoIT_T0_EENS5_IlS7_EENS5_IKS6_S7_EES7_S7_S7_b ; -- Begin function _ZN2at6native12_GLOBAL__N_112gatherMedianIsjLi2EEEvNS_4cuda6detail10TensorInfoIT_T0_EENS5_IlS7_EENS5_IKS6_S7_EES7_S7_S7_b
	.p2align	8
	.type	_ZN2at6native12_GLOBAL__N_112gatherMedianIsjLi2EEEvNS_4cuda6detail10TensorInfoIT_T0_EENS5_IlS7_EENS5_IKS6_S7_EES7_S7_S7_b,@function
_ZN2at6native12_GLOBAL__N_112gatherMedianIsjLi2EEEvNS_4cuda6detail10TensorInfoIT_T0_EENS5_IlS7_EENS5_IKS6_S7_EES7_S7_S7_b: ; @_ZN2at6native12_GLOBAL__N_112gatherMedianIsjLi2EEEvNS_4cuda6detail10TensorInfoIT_T0_EENS5_IlS7_EENS5_IKS6_S7_EES7_S7_S7_b
; %bb.0:
	s_load_dwordx2 s[10:11], s[0:1], 0x298
	s_load_dwordx4 s[64:67], s[0:1], 0x288
	s_add_u32 s8, s0, 0x298
	s_addc_u32 s9, s1, 0
	s_waitcnt lgkmcnt(0)
	s_mul_i32 s4, s11, s4
	s_add_i32 s3, s4, s3
	s_mul_i32 s3, s3, s10
	s_add_i32 s81, s3, s2
	s_cmp_ge_u32 s81, s65
	s_cbranch_scc1 .LBB105_254
; %bb.1:
	s_load_dword s3, s[0:1], 0xc
	s_load_dword s4, s[0:1], 0xe4
	;; [unrolled: 1-line block ×3, first 2 shown]
                                        ; implicit-def: $vgpr78 : SGPR spill to VGPR lane
	v_cmp_eq_u32_e64 s[22:23], 0, v0
	s_waitcnt lgkmcnt(0)
	v_cvt_f32_u32_e32 v1, s3
	v_cvt_f32_u32_e32 v2, s4
	;; [unrolled: 1-line block ×3, first 2 shown]
	v_writelane_b32 v78, s3, 0
	v_rcp_iflag_f32_e32 v1, v1
	v_rcp_iflag_f32_e32 v2, v2
	;; [unrolled: 1-line block ×3, first 2 shown]
	v_writelane_b32 v78, s4, 1
	v_mul_f32_e32 v1, 0x4f7ffffe, v1
	v_mul_f32_e32 v2, 0x4f7ffffe, v2
	v_cvt_u32_f32_e32 v2, v2
	v_mul_f32_e32 v3, 0x4f7ffffe, v3
	v_cvt_u32_f32_e32 v1, v1
	v_cvt_u32_f32_e32 v3, v3
	s_sub_i32 s4, 0, s4
	v_readfirstlane_b32 s13, v2
	s_mul_i32 s4, s4, s13
	s_mul_hi_u32 s6, s13, s4
	s_sub_i32 s4, 0, s11
	s_sub_i32 s3, 0, s3
	v_readfirstlane_b32 s12, v1
	v_mul_lo_u32 v1, s4, v3
	s_mul_i32 s3, s3, s12
	v_mul_hi_u32 v1, v3, v1
	s_mul_hi_u32 s3, s12, s3
	v_add_u32_e32 v1, v3, v1
	s_and_saveexec_b64 s[4:5], s[22:23]
; %bb.2:
	v_mov_b32_e32 v2, 0
	v_mov_b32_e32 v3, v2
	ds_write_b64 v2, v[2:3] offset:4096
; %bb.3:
	s_or_b64 exec, exec, s[4:5]
	v_mov_b32_e32 v2, 0
	s_waitcnt lgkmcnt(0)
	s_barrier
	s_barrier
	ds_read_b64 v[2:3], v2 offset:4096
	s_add_i32 s12, s12, s3
	s_add_i32 s13, s13, s6
	s_load_dwordx2 s[4:5], s[0:1], 0x21c
	s_bitcmp1_b32 s67, 0
	s_waitcnt lgkmcnt(0)
	v_readfirstlane_b32 s6, v2
	v_readfirstlane_b32 s7, v3
	s_cselect_b64 s[14:15], -1, 0
	v_mul_hi_u32 v1, s81, v1
	v_cmp_lt_i64_e64 s[16:17], s[6:7], 1
	s_or_b64 s[14:15], s[14:15], s[16:17]
	s_andn2_b64 vcc, exec, s[14:15]
	s_mov_b32 s3, s64
	s_cbranch_vccnz .LBB105_5
; %bb.4:
	s_not_b64 s[6:7], s[6:7]
	s_add_u32 s3, s6, s64
	s_addc_u32 s7, s7, 0
	s_lshr_b32 s6, s7, 31
	s_add_u32 s6, s3, s6
	s_addc_u32 s7, s7, 0
	s_lshr_b64 s[6:7], s[6:7], 1
	s_add_i32 s3, s6, 1
.LBB105_5:
	s_load_dwordx2 s[6:7], s[0:1], 0x144
                                        ; kill: killed $sgpr0 killed $sgpr1
	s_waitcnt lgkmcnt(0)
	v_writelane_b32 v78, s6, 2
	s_nop 1
	v_writelane_b32 v78, s7, 3
	s_load_dwordx2 s[6:7], s[0:1], 0xd8
	s_waitcnt lgkmcnt(0)
	v_writelane_b32 v78, s6, 4
	s_nop 1
	v_writelane_b32 v78, s7, 5
	s_load_dwordx2 s[6:7], s[0:1], 0x6c
	;; [unrolled: 5-line block ×4, first 2 shown]
	s_mul_hi_u32 s0, s81, s12
	v_writelane_b32 v78, s0, 10
	s_mul_hi_u32 s0, s81, s13
	v_writelane_b32 v78, s0, 11
	s_and_saveexec_b64 s[0:1], s[22:23]
	s_cbranch_execz .LBB105_7
; %bb.6:
	v_mov_b32_e32 v2, 0
	v_mov_b32_e32 v3, s64
	ds_write_b32 v2, v2 offset:4112
	ds_write_b64 v2, v[2:3] offset:4104
.LBB105_7:
	s_or_b64 exec, exec, s[0:1]
	v_mul_lo_u32 v2, v1, s11
	v_sub_u32_e32 v2, s81, v2
	v_add_u32_e32 v3, 1, v1
	v_subrev_u32_e32 v4, s11, v2
	v_cmp_le_u32_e32 vcc, s11, v2
	s_waitcnt lgkmcnt(0)
	s_barrier
	v_cndmask_b32_e32 v1, v1, v3, vcc
	v_cndmask_b32_e32 v2, v2, v4, vcc
	v_add_u32_e32 v3, 1, v1
	v_cmp_le_u32_e32 vcc, s11, v2
	v_cmp_gt_u32_e64 s[0:1], s64, v0
	s_nop 0
	v_cndmask_b32_e32 v1, v1, v3, vcc
	v_mul_lo_u32 v2, v1, s11
	s_load_dword s11, s[8:9], 0xc
	v_sub_u32_e32 v2, s81, v2
	v_mul_lo_u32 v2, v2, s5
	v_mul_lo_u32 v1, v1, s4
	v_add_u32_e32 v14, v1, v2
	v_mbcnt_lo_u32_b32 v1, -1, 0
	v_writelane_b32 v78, s0, 12
	s_waitcnt lgkmcnt(0)
	s_and_b32 s67, s11, 0xffff
	v_mbcnt_hi_u32_b32 v22, -1, v1
	v_writelane_b32 v78, s1, 13
	v_cmp_gt_u32_e32 vcc, 64, v0
	v_cmp_gt_i32_e64 s[0:1], 4, v22
	s_add_i32 s89, s67, -1
	v_mov_b32_e32 v15, 0
	s_lshl_b32 s65, s67, 2
	s_and_b64 s[78:79], vcc, s[0:1]
	s_add_i32 s0, s89, s64
	v_lshlrev_b64 v[2:3], 1, v[14:15]
	s_cmpk_gt_u32 s64, 0x600
	v_lshl_add_u64 v[10:11], s[6:7], 0, v[2:3]
	s_cselect_b64 s[14:15], -1, 0
	s_cmp_gt_u32 s67, 63
	v_lshlrev_b64 v[2:3], v22, -1
	s_cselect_b64 s[82:83], -1, 0
	v_not_b32_e32 v18, v2
	v_lshrrev_b32_e32 v2, 2, v0
	s_cmp_lt_u32 s2, s10
	v_and_b32_e32 v2, 0xf0, v2
	s_cselect_b32 s1, 12, 18
	v_writelane_b32 v78, s14, 14
	v_or_b32_e32 v25, 0xc00, v2
	s_add_u32 s8, s8, s1
	v_add_u32_e32 v2, 2, v0
	v_writelane_b32 v78, s15, 15
	s_addc_u32 s9, s9, 0
	v_max_u32_e32 v2, s64, v2
	v_writelane_b32 v78, s8, 16
	v_xad_u32 v2, v0, -1, v2
	v_not_b32_e32 v1, v3
	v_writelane_b32 v78, s9, 17
	v_add_u32_e32 v3, -4, v2
	s_bfe_u32 s8, s11, 0xa0006
	v_cmp_lt_u32_e64 s[10:11], 31, v2
	v_lshrrev_b32_e32 v5, 2, v3
	v_add_u32_e32 v5, 1, v5
	v_writelane_b32 v78, s10, 18
	v_and_b32_e32 v6, 3, v5
	s_add_i32 s1, s8, -2
	v_writelane_b32 v78, s11, 19
	v_cmp_lt_u32_e64 s[10:11], 11, v3
	s_lshr_b32 s2, s1, 1
	v_and_b32_e32 v26, -4, v2
	v_writelane_b32 v78, s10, 20
	s_add_i32 s2, s2, 1
	s_cmpk_gt_u32 s67, 0x7f
	v_writelane_b32 v78, s11, 21
	v_cmp_ne_u32_e64 s[10:11], 0, v6
	v_lshlrev_b32_e32 v19, 2, v0
	s_mov_b32 s12, 0
	v_writelane_b32 v78, s10, 22
	v_lshlrev_b32_e32 v23, 1, v0
	v_mul_lo_u32 v12, s66, v0
	v_writelane_b32 v78, s11, 23
	v_cmp_ne_u32_e64 s[10:11], v2, v26
	v_cvt_f32_u32_e32 v2, s65
	v_mov_b32_e32 v13, v15
	v_writelane_b32 v78, s10, 24
	v_lshlrev_b32_e32 v4, 2, v22
	v_rcp_iflag_f32_e32 v2, v2
	v_writelane_b32 v78, s11, 25
	s_cselect_b64 s[10:11], -1, 0
	v_writelane_b32 v78, s10, 26
	v_mul_f32_e32 v2, 0x4f7ffffe, v2
	v_cvt_u32_f32_e32 v2, v2
	v_writelane_b32 v78, s11, 27
	s_and_b32 s10, s8, 0x3fe
	s_and_b32 s11, s2, 7
	s_cmp_gt_u32 s1, 13
	s_cselect_b64 s[14:15], -1, 0
	v_writelane_b32 v78, s14, 28
	s_and_b32 s1, s2, -8
	s_cmp_lg_u32 s11, 0
	v_writelane_b32 v78, s15, 29
	v_writelane_b32 v78, s1, 30
	;; [unrolled: 1-line block ×3, first 2 shown]
	s_cselect_b64 s[14:15], -1, 0
	v_writelane_b32 v78, s14, 32
	s_cmp_lg_u32 s10, s8
	v_readfirstlane_b32 s2, v2
	v_writelane_b32 v78, s15, 33
	v_writelane_b32 v78, s8, 34
	v_cvt_f32_u32_e32 v2, s67
	v_writelane_b32 v78, s10, 35
	s_cselect_b64 s[10:11], -1, 0
	s_sub_i32 s1, 0, s65
	s_mul_i32 s1, s1, s2
	s_mul_hi_u32 s1, s2, s1
	s_add_i32 s93, s2, s1
	v_rcp_iflag_f32_e32 v2, v2
	s_mul_hi_u32 s1, s64, s93
	s_mul_i32 s1, s1, s65
	s_sub_i32 s1, s64, s1
	s_sub_i32 s2, s1, s65
	v_mul_f32_e32 v2, 0x4f7ffffe, v2
	s_cmp_ge_u32 s1, s65
	v_cvt_u32_f32_e32 v2, v2
	s_cselect_b32 s1, s2, s1
	s_sub_i32 s2, s1, s65
	s_cmp_ge_u32 s1, s65
	s_cselect_b32 s1, s2, s1
	s_sub_i32 s2, 0, s67
	v_readfirstlane_b32 s8, v2
	s_mul_i32 s2, s2, s8
	s_mul_hi_u32 s2, s8, s2
	s_add_i32 s25, s8, s2
	s_mul_hi_u32 s2, s0, s25
	s_mul_i32 s2, s2, s67
	s_sub_i32 s2, s0, s2
	s_sub_i32 s24, s64, s1
	;; [unrolled: 1-line block ×3, first 2 shown]
	s_cmp_ge_u32 s2, s67
	s_cselect_b32 s2, s8, s2
	s_sub_i32 s8, s2, s67
	s_cmp_ge_u32 s2, s67
	v_mul_lo_u32 v2, s66, v19
	s_cselect_b32 s2, s8, s2
	v_add_u32_e32 v31, s66, v2
	v_or_b32_e32 v2, 2, v19
	s_sub_i32 s8, s0, s2
	v_mul_lo_u32 v32, s66, v2
	v_or_b32_e32 v2, 3, v19
	s_add_i32 s0, s67, s64
	v_writelane_b32 v78, s10, 36
	v_add_u32_e32 v29, s24, v0
	v_mul_lo_u32 v33, s66, v2
	v_add_u32_e32 v2, s0, v0
	v_writelane_b32 v78, s11, 37
	v_mul_lo_u32 v14, v29, s66
	v_cmp_gt_u32_e64 s[10:11], s8, v0
	s_mul_i32 s88, s66, s67
	v_subrev_u32_e32 v2, s1, v2
	s_mov_b32 s13, 1
	v_cmp_eq_u32_e64 s[4:5], 0, v22
	v_cmp_gt_u32_e64 s[6:7], 2, v0
	v_add_u32_e32 v24, 0xc00, v23
	v_lshl_add_u64 v[16:17], v[12:13], 1, v[10:11]
	v_and_b32_e32 v13, 0x100, v4
	v_add_u32_e32 v27, v0, v26
	s_mov_b32 s9, s66
	s_mov_b32 s90, s66
	;; [unrolled: 1-line block ×4, first 2 shown]
	v_and_b32_e32 v28, 0x7ffffffc, v5
	v_cmp_gt_u32_e64 s[16:17], s24, v19
	v_cmp_gt_u32_e64 s[18:19], s64, v29
	v_lshl_add_u64 v[20:21], v[14:15], 1, v[10:11]
	v_writelane_b32 v78, s10, 38
	v_lshlrev_b32_e32 v30, 3, v6
	s_lshl_b32 s33, s88, 2
	v_lshlrev_b32_e32 v34, 2, v12
	v_mul_lo_u32 v35, s66, v2
	v_lshlrev_b32_e32 v37, 3, v0
	s_lshl_b32 s84, s67, 3
	s_lshl_b32 s85, s67, 1
	v_or_b32_e32 v38, 0xc00, v4
	s_mov_b64 s[94:95], 0
	v_mov_b32_e32 v39, 14
	v_mov_b32_e32 v44, s3
	s_mov_b32 s86, 0x8000
	s_mov_b32 s87, 0x5040100
	v_mov_b32_e32 v49, s64
	v_mov_b32_e32 v40, 0xc00
	;; [unrolled: 1-line block ×4, first 2 shown]
	s_mov_b32 s20, s12
	v_mov_b32_e32 v36, 0
	v_mov_b32_e32 v42, 0
	v_writelane_b32 v78, s11, 39
                                        ; implicit-def: $sgpr96_sgpr97
                                        ; implicit-def: $sgpr68_sgpr69
                                        ; implicit-def: $sgpr98_sgpr99
                                        ; implicit-def: $sgpr70_sgpr71
                                        ; implicit-def: $sgpr12_sgpr13
                                        ; implicit-def: $sgpr10_sgpr11
	s_branch .LBB105_11
.LBB105_8:                              ;   in Loop: Header=BB105_11 Depth=1
	s_or_b64 exec, exec, s[34:35]
	s_and_b64 s[26:27], s[26:27], exec
	s_andn2_b64 s[30:31], s[30:31], exec
	s_andn2_b64 s[28:29], s[28:29], exec
	s_orn2_b64 s[2:3], s[2:3], exec
.LBB105_9:                              ;   in Loop: Header=BB105_11 Depth=1
	s_or_b64 exec, exec, s[14:15]
	s_andn2_b64 s[10:11], s[10:11], exec
	s_and_b64 s[14:15], s[26:27], exec
	s_or_b64 s[10:11], s[10:11], s[14:15]
	s_andn2_b64 s[12:13], s[12:13], exec
	s_and_b64 s[14:15], s[30:31], exec
	s_or_b64 s[12:13], s[12:13], s[14:15]
	;; [unrolled: 3-line block ×3, first 2 shown]
	s_orn2_b64 s[2:3], s[2:3], exec
.LBB105_10:                             ;   in Loop: Header=BB105_11 Depth=1
	s_or_b64 exec, exec, s[0:1]
	s_and_b64 s[0:1], exec, s[2:3]
	s_or_b64 s[94:95], s[0:1], s[94:95]
	s_andn2_b64 s[0:1], s[98:99], exec
	s_and_b64 s[2:3], s[10:11], exec
	s_or_b64 s[98:99], s[0:1], s[2:3]
	s_andn2_b64 s[0:1], s[68:69], exec
	s_and_b64 s[2:3], s[12:13], exec
	;; [unrolled: 3-line block ×3, first 2 shown]
	s_or_b64 s[96:97], s[0:1], s[2:3]
	s_mov_b32 s20, s36
	v_mov_b32_e32 v44, v5
	s_andn2_b64 exec, exec, s[94:95]
	s_cbranch_execz .LBB105_250
.LBB105_11:                             ; =>This Loop Header: Depth=1
                                        ;     Child Loop BB105_16 Depth 2
                                        ;     Child Loop BB105_37 Depth 2
	;; [unrolled: 1-line block ×19, first 2 shown]
	ds_read_b64 v[2:3], v15 offset:4104
	s_waitcnt lgkmcnt(0)
	v_readfirstlane_b32 s21, v2
	s_cmp_lg_u32 s21, 0
	s_cbranch_scc1 .LBB105_56
; %bb.12:                               ;   in Loop: Header=BB105_11 Depth=1
	v_readlane_b32 s0, v78, 14
	v_readlane_b32 s1, v78, 15
	s_and_b64 vcc, exec, s[0:1]
	s_cbranch_vccz .LBB105_24
; %bb.13:                               ;   in Loop: Header=BB105_11 Depth=1
	s_movk_i32 s0, 0x601
	v_cmp_gt_u32_e32 vcc, s0, v3
	s_mov_b64 s[14:15], 0
	s_mov_b64 s[0:1], 0
	s_cbranch_vccz .LBB105_25
; %bb.14:                               ;   in Loop: Header=BB105_11 Depth=1
	v_readlane_b32 s0, v78, 16
	v_readlane_b32 s1, v78, 17
	s_nop 4
	global_load_ushort v2, v15, s[0:1]
	global_load_ushort v4, v[16:17], off
	s_mov_b64 s[26:27], 0
	s_waitcnt vmcnt(1)
	v_add_u32_e32 v5, v0, v2
	v_mul_lo_u32 v3, s66, v2
	v_mul_lo_u32 v14, s66, v5
	v_mov_b32_e32 v5, v0
	s_branch .LBB105_16
.LBB105_15:                             ;   in Loop: Header=BB105_16 Depth=2
	s_or_b64 exec, exec, s[2:3]
	v_add_u32_e32 v14, v14, v3
	v_mov_b32_e32 v4, v6
	s_andn2_b64 exec, exec, s[26:27]
	s_cbranch_execz .LBB105_31
.LBB105_16:                             ;   Parent Loop BB105_11 Depth=1
                                        ; =>  This Inner Loop Header: Depth=2
	v_add_u32_e32 v5, v5, v2
	v_cmp_gt_u32_e64 s[0:1], s64, v5
	v_cmp_le_u32_e32 vcc, s64, v5
	s_waitcnt lgkmcnt(0)
	v_mov_b32_e32 v7, 0
	v_mov_b32_e32 v6, 0
	s_and_saveexec_b64 s[2:3], s[0:1]
	s_cbranch_execz .LBB105_18
; %bb.17:                               ;   in Loop: Header=BB105_16 Depth=2
	v_lshl_add_u64 v[8:9], v[14:15], 1, v[10:11]
	global_load_ushort v6, v[8:9], off
.LBB105_18:                             ;   in Loop: Header=BB105_16 Depth=2
	s_or_b64 exec, exec, s[2:3]
	s_waitcnt vmcnt(0)
	v_add_u32_sdwa v8, sext(v4), s86 dst_sel:DWORD dst_unused:UNUSED_PAD src0_sel:WORD_0 src1_sel:DWORD
	v_and_b32_e32 v8, v8, v42
	v_cmp_eq_u32_e64 s[0:1], v8, v36
	s_cmp_lg_u64 s[0:1], 0
	s_cselect_b64 s[2:3], -1, 0
	s_and_b64 s[2:3], s[4:5], s[2:3]
	s_and_saveexec_b64 s[28:29], s[2:3]
	s_cbranch_execz .LBB105_22
; %bb.19:                               ;   in Loop: Header=BB105_16 Depth=2
	s_mov_b64 s[34:35], exec
	v_mbcnt_lo_u32_b32 v7, s34, 0
	v_mbcnt_hi_u32_b32 v7, s35, v7
	s_bcnt1_i32_b64 s21, s[0:1]
	v_cmp_eq_u32_e64 s[2:3], 0, v7
                                        ; implicit-def: $vgpr8
	s_and_saveexec_b64 s[30:31], s[2:3]
; %bb.20:                               ;   in Loop: Header=BB105_16 Depth=2
	s_bcnt1_i32_b64 s2, s[34:35]
	s_mul_i32 s2, s21, s2
	v_mov_b32_e32 v8, s2
	ds_add_rtn_u32 v8, v15, v8 offset:4112
; %bb.21:                               ;   in Loop: Header=BB105_16 Depth=2
	s_or_b64 exec, exec, s[30:31]
	s_waitcnt lgkmcnt(0)
	v_readfirstlane_b32 s2, v8
	s_nop 1
	v_mov_b32_e32 v8, s2
	v_mad_u32_u24 v7, s21, v7, v8
.LBB105_22:                             ;   in Loop: Header=BB105_16 Depth=2
	s_or_b64 exec, exec, s[28:29]
	ds_bpermute_b32 v7, v13, v7
	s_and_b64 s[2:3], exec, vcc
	s_or_b64 s[26:27], s[2:3], s[26:27]
	s_and_saveexec_b64 s[2:3], s[0:1]
	s_cbranch_execz .LBB105_15
; %bb.23:                               ;   in Loop: Header=BB105_16 Depth=2
	v_and_b32_e32 v9, s0, v18
	v_and_b32_e32 v8, s1, v1
	v_bcnt_u32_b32 v9, v9, 0
	v_bcnt_u32_b32 v8, v8, v9
	v_lshlrev_b32_e32 v8, 1, v8
	s_waitcnt lgkmcnt(0)
	v_lshl_add_u32 v7, v7, 1, v8
	ds_write_b16 v7, v4
	s_branch .LBB105_15
.LBB105_24:                             ;   in Loop: Header=BB105_11 Depth=1
	s_mov_b64 s[14:15], -1
	s_mov_b64 s[0:1], 0
.LBB105_25:                             ;   in Loop: Header=BB105_11 Depth=1
	s_and_b64 vcc, exec, s[14:15]
	s_cbranch_vccz .LBB105_54
.LBB105_26:                             ;   in Loop: Header=BB105_11 Depth=1
	s_mov_b64 s[2:3], exec
	v_readlane_b32 s0, v78, 12
	v_readlane_b32 s1, v78, 13
	s_and_b64 s[0:1], s[2:3], s[0:1]
	s_mov_b64 exec, s[0:1]
	s_cbranch_execz .LBB105_51
; %bb.27:                               ;   in Loop: Header=BB105_11 Depth=1
	v_readlane_b32 s0, v78, 16
	v_readlane_b32 s1, v78, 17
	s_nop 4
	global_load_ushort v2, v15, s[0:1]
	global_load_ushort v45, v[16:17], off
	v_mov_b32_e32 v3, v0
	s_waitcnt vmcnt(1)
	v_readfirstlane_b32 s21, v2
	v_add_u32_e32 v2, v0, v2
	v_cmp_gt_u32_e32 vcc, s64, v2
	s_and_saveexec_b64 s[26:27], vcc
	s_cbranch_execz .LBB105_50
; %bb.28:                               ;   in Loop: Header=BB105_11 Depth=1
	v_readlane_b32 s28, v78, 18
	s_mov_b64 s[0:1], 0
	s_mul_i32 s34, s66, s21
	v_readlane_b32 s29, v78, 19
                                        ; implicit-def: $vgpr3
                                        ; implicit-def: $vgpr6
                                        ; implicit-def: $vgpr4
                                        ; implicit-def: $vgpr5
	s_and_saveexec_b64 s[14:15], s[28:29]
	s_xor_b64 s[28:29], exec, s[14:15]
	s_cbranch_execnz .LBB105_34
; %bb.29:                               ;   in Loop: Header=BB105_11 Depth=1
	s_andn2_saveexec_b64 s[14:15], s[28:29]
	s_cbranch_execnz .LBB105_45
.LBB105_30:                             ;   in Loop: Header=BB105_11 Depth=1
	s_or_b64 exec, exec, s[14:15]
	s_and_saveexec_b64 s[14:15], s[0:1]
	s_cbranch_execnz .LBB105_46
	s_branch .LBB105_49
.LBB105_31:                             ;   in Loop: Header=BB105_11 Depth=1
	s_or_b64 exec, exec, s[26:27]
	s_waitcnt lgkmcnt(0)
	s_barrier
	s_and_saveexec_b64 s[0:1], s[22:23]
	s_cbranch_execz .LBB105_33
; %bb.32:                               ;   in Loop: Header=BB105_11 Depth=1
	ds_read_b32 v2, v15 offset:4112
	s_waitcnt lgkmcnt(0)
	ds_write_b32 v15, v2 offset:4104
.LBB105_33:                             ;   in Loop: Header=BB105_11 Depth=1
	s_or_b64 exec, exec, s[0:1]
	s_waitcnt lgkmcnt(0)
	s_barrier
	s_mov_b64 s[0:1], -1
	s_and_b64 vcc, exec, s[14:15]
	s_cbranch_vccnz .LBB105_26
	s_branch .LBB105_54
.LBB105_34:                             ;   in Loop: Header=BB105_11 Depth=1
	v_cvt_f32_u32_e32 v3, s21
	v_add_u32_e32 v4, s21, v2
	v_max_u32_e32 v4, s64, v4
	s_lshl_b32 s0, s21, 1
	v_rcp_iflag_f32_e32 v3, v3
	v_sub_u32_e32 v4, v4, v0
	v_cmp_ne_u32_e32 vcc, s0, v4
	s_sub_i32 s1, 0, s21
	v_mul_f32_e32 v3, 0x4f7ffffe, v3
	v_cvt_u32_f32_e32 v3, v3
	v_cndmask_b32_e64 v5, 0, 1, vcc
	v_or_b32_e32 v5, s0, v5
	v_sub_u32_e32 v4, v4, v5
	v_mul_lo_u32 v5, s1, v3
	v_mul_hi_u32 v5, v3, v5
	v_add_u32_e32 v3, v3, v5
	v_mul_hi_u32 v3, v4, v3
	v_mul_lo_u32 v5, v3, s21
	v_sub_u32_e32 v4, v4, v5
	v_add_u32_e32 v5, 1, v3
	v_cmp_le_u32_e64 s[0:1], s21, v4
	s_nop 1
	v_cndmask_b32_e64 v3, v3, v5, s[0:1]
	v_subrev_u32_e32 v5, s21, v4
	v_cndmask_b32_e64 v4, v4, v5, s[0:1]
	v_add_u32_e32 v5, 1, v3
	v_cmp_le_u32_e64 s[0:1], s21, v4
	v_mul_lo_u32 v4, s66, v2
	s_nop 0
	v_cndmask_b32_e64 v3, v3, v5, s[0:1]
	v_addc_co_u32_e32 v3, vcc, 0, v3, vcc
	s_abs_i32 s0, s34
	v_mul_hi_u32 v5, s0, v3
	v_mul_lo_u32 v3, s0, v3
	s_not_b32 s0, s34
	s_ashr_i32 s0, s0, 31
	s_cmp_eq_u32 s21, 1
	v_cmp_eq_u32_e32 vcc, 0, v5
	v_xor_b32_e32 v4, s0, v4
	s_cselect_b64 s[14:15], -1, 0
	v_cmp_le_u32_e64 s[0:1], v3, v4
	s_and_b64 s[14:15], vcc, s[14:15]
	s_and_b64 s[30:31], s[14:15], s[0:1]
	s_mov_b64 s[14:15], -1
	v_mov_b32_e32 v4, v0
                                        ; implicit-def: $vgpr3
	s_and_saveexec_b64 s[0:1], s[30:31]
	s_cbranch_execz .LBB105_44
; %bb.35:                               ;   in Loop: Header=BB105_11 Depth=1
	v_add_u32_e32 v5, 3, v2
	v_add_u32_e32 v4, 2, v2
	;; [unrolled: 1-line block ×3, first 2 shown]
	v_mov_b64_e32 v[8:9], v[4:5]
	s_waitcnt vmcnt(0)
	v_lshlrev_b32_e32 v46, 16, v45
	v_mov_b32_e32 v14, 0
	v_mov_b64_e32 v[6:7], v[2:3]
                                        ; implicit-def: $vgpr45
	s_mov_b64 s[14:15], exec
	v_readlane_b32 s30, v78, 20
	v_readlane_b32 s31, v78, 21
	s_and_b64 s[30:31], s[14:15], s[30:31]
	s_mov_b64 exec, s[30:31]
	s_cbranch_execz .LBB105_39
; %bb.36:                               ;   in Loop: Header=BB105_11 Depth=1
	v_mov_b64_e32 v[8:9], v[4:5]
	s_mov_b32 s35, 0
	s_mov_b64 s[30:31], 0
	v_mov_b32_e32 v47, v28
	v_mov_b32_e32 v48, v23
	v_mov_b64_e32 v[6:7], v[2:3]
.LBB105_37:                             ;   Parent Loop BB105_11 Depth=1
                                        ; =>  This Inner Loop Header: Depth=2
	v_mul_lo_u32 v14, v6, s9
	v_add_u32_e32 v3, 4, v6
	v_add_u32_e32 v45, 4, v7
	;; [unrolled: 1-line block ×4, first 2 shown]
	v_mul_lo_u32 v4, v9, s92
	v_mul_lo_u32 v52, v7, s90
	v_mov_b32_e32 v53, v15
	v_mov_b32_e32 v5, v15
	;; [unrolled: 1-line block ×4, first 2 shown]
	v_add_u32_e32 v76, 8, v6
	v_lshl_add_u64 v[72:73], v[14:15], 1, v[10:11]
	v_mul_lo_u32 v58, v56, s92
	v_mul_lo_u32 v56, v54, s91
	;; [unrolled: 1-line block ×5, first 2 shown]
	v_mov_b32_e32 v51, v15
	v_mov_b32_e32 v59, v15
	v_add_u32_e32 v60, 8, v7
	v_add_u32_e32 v62, 8, v8
	v_add_u32_e32 v77, 12, v6
	v_lshl_add_u64 v[52:53], v[52:53], 1, v[10:11]
	v_lshl_add_u64 v[4:5], v[4:5], 1, v[10:11]
	;; [unrolled: 1-line block ×5, first 2 shown]
	v_mul_lo_u32 v14, v76, s9
	v_add_u32_e32 v64, 8, v9
	v_mov_b32_e32 v61, v15
	v_mov_b32_e32 v63, v15
	v_add_u32_e32 v66, 12, v7
	v_add_u32_e32 v68, 12, v8
	;; [unrolled: 1-line block ×3, first 2 shown]
	v_lshl_add_u64 v[50:51], v[50:51], 1, v[10:11]
	v_mul_lo_u32 v62, v62, s91
	v_mul_lo_u32 v60, v60, s90
	v_lshl_add_u64 v[58:59], v[58:59], 1, v[10:11]
	global_load_ushort v3, v[72:73], off
	s_nop 0
	global_load_ushort v52, v[52:53], off
	s_nop 0
	global_load_ushort v53, v[50:51], off
	global_load_ushort v72, v[4:5], off
	;; [unrolled: 1-line block ×3, first 2 shown]
	s_nop 0
	global_load_ushort v54, v[54:55], off
	s_nop 0
	global_load_ushort v55, v[56:57], off
	;; [unrolled: 2-line block ×3, first 2 shown]
	v_lshl_add_u64 v[4:5], v[14:15], 1, v[10:11]
	v_mul_lo_u32 v14, v77, s9
	v_mov_b32_e32 v65, v15
	v_mov_b32_e32 v67, v15
	;; [unrolled: 1-line block ×4, first 2 shown]
	v_mul_lo_u32 v64, v64, s92
	v_mul_lo_u32 v70, v70, s92
	;; [unrolled: 1-line block ×4, first 2 shown]
	v_lshl_add_u64 v[60:61], v[60:61], 1, v[10:11]
	v_lshl_add_u64 v[62:63], v[62:63], 1, v[10:11]
	;; [unrolled: 1-line block ×7, first 2 shown]
	global_load_ushort v57, v[60:61], off
	global_load_ushort v58, v[62:63], off
	global_load_ushort v59, v[64:65], off
	s_nop 0
	global_load_ushort v60, v[66:67], off
	global_load_ushort v61, v[68:69], off
	;; [unrolled: 1-line block ×4, first 2 shown]
	s_nop 0
	global_load_ushort v4, v[4:5], off
	v_add_u32_e32 v47, -4, v47
	s_add_i32 s35, s35, 16
	v_cmp_eq_u32_e32 vcc, 0, v47
	v_add_u32_e32 v9, 16, v9
	v_add_u32_e32 v8, 16, v8
	;; [unrolled: 1-line block ×4, first 2 shown]
	v_mov_b32_e32 v14, s35
	s_or_b64 s[30:31], vcc, s[30:31]
	s_waitcnt vmcnt(15)
	v_alignbit_b32 v50, v3, v46, 16
	s_waitcnt vmcnt(13)
	v_perm_b32 v51, v53, v52, s87
	s_waitcnt vmcnt(11)
	v_perm_b32 v52, v73, v72, s87
	;; [unrolled: 2-line block ×3, first 2 shown]
	ds_write_b128 v48, v[50:53]
	s_waitcnt vmcnt(6)
	v_perm_b32 v55, v58, v57, s87
	s_waitcnt vmcnt(3)
	v_perm_b32 v57, v61, v60, s87
	;; [unrolled: 2-line block ×4, first 2 shown]
	v_perm_b32 v56, v62, v59, s87
	ds_write_b128 v48, v[54:57] offset:16
	v_add_u32_e32 v48, 32, v48
	s_andn2_b64 exec, exec, s[30:31]
	s_cbranch_execnz .LBB105_37
; %bb.38:                               ;   in Loop: Header=BB105_11 Depth=1
	s_or_b64 exec, exec, s[30:31]
.LBB105_39:                             ;   in Loop: Header=BB105_11 Depth=1
	s_or_b64 exec, exec, s[14:15]
	s_mov_b64 s[14:15], exec
	v_readlane_b32 s30, v78, 22
	v_readlane_b32 s31, v78, 23
	s_and_b64 s[30:31], s[14:15], s[30:31]
	s_mov_b64 exec, s[30:31]
	s_cbranch_execz .LBB105_43
; %bb.40:                               ;   in Loop: Header=BB105_11 Depth=1
	v_lshl_add_u32 v3, v14, 1, v23
	s_mov_b64 s[30:31], 0
	v_mov_b32_e32 v4, v30
.LBB105_41:                             ;   Parent Loop BB105_11 Depth=1
                                        ; =>  This Inner Loop Header: Depth=2
	v_mul_lo_u32 v52, v8, s91
	v_mov_b32_e32 v53, v15
	v_mul_lo_u32 v50, v9, s92
	v_mul_lo_u32 v54, v7, s90
	;; [unrolled: 1-line block ×3, first 2 shown]
	v_mov_b32_e32 v55, v15
	v_mov_b32_e32 v51, v15
	v_lshl_add_u64 v[52:53], v[52:53], 1, v[10:11]
	v_lshl_add_u64 v[56:57], v[14:15], 1, v[10:11]
	;; [unrolled: 1-line block ×4, first 2 shown]
	global_load_ushort v5, v[52:53], off
	global_load_ushort v45, v[50:51], off
	global_load_ushort v14, v[54:55], off
	global_load_ushort v48, v[56:57], off
	v_add_u32_e32 v4, -8, v4
	v_cmp_eq_u32_e32 vcc, 0, v4
	v_add_u32_e32 v9, 4, v9
	v_add_u32_e32 v8, 4, v8
	;; [unrolled: 1-line block ×4, first 2 shown]
	s_or_b64 s[30:31], vcc, s[30:31]
	s_waitcnt vmcnt(2)
	v_perm_b32 v50, v45, v5, s87
	s_waitcnt vmcnt(1)
	v_perm_b32 v47, v5, v14, s87
	s_waitcnt vmcnt(0)
	v_alignbit_b32 v46, v48, v46, 16
	ds_write_b64 v3, v[46:47]
	v_add_u32_e32 v3, 8, v3
	v_mov_b32_e32 v46, v50
	s_andn2_b64 exec, exec, s[30:31]
	s_cbranch_execnz .LBB105_41
; %bb.42:                               ;   in Loop: Header=BB105_11 Depth=1
	s_or_b64 exec, exec, s[30:31]
.LBB105_43:                             ;   in Loop: Header=BB105_11 Depth=1
	s_or_b64 exec, exec, s[14:15]
	v_readlane_b32 s14, v78, 24
	v_add_u32_e32 v2, v2, v26
	v_readlane_b32 s15, v78, 25
	v_add_u32_e32 v3, -1, v2
	s_orn2_b64 s[14:15], s[14:15], exec
	v_mov_b32_e32 v4, v27
.LBB105_44:                             ;   in Loop: Header=BB105_11 Depth=1
	s_or_b64 exec, exec, s[0:1]
	v_mov_b32_e32 v5, s34
	s_and_b64 s[0:1], s[14:15], exec
	s_waitcnt vmcnt(0)
	v_mov_b32_e32 v6, v45
	s_andn2_saveexec_b64 s[14:15], s[28:29]
	s_cbranch_execz .LBB105_30
.LBB105_45:                             ;   in Loop: Header=BB105_11 Depth=1
	v_mov_b32_e32 v5, s34
	s_or_b64 s[0:1], s[0:1], exec
	s_waitcnt vmcnt(0)
	v_mov_b32_e32 v6, v45
	v_mov_b32_e32 v4, v0
	s_or_b64 exec, exec, s[14:15]
	s_and_saveexec_b64 s[14:15], s[0:1]
	s_cbranch_execz .LBB105_49
.LBB105_46:                             ;   in Loop: Header=BB105_11 Depth=1
	s_sub_i32 s28, 0, s21
	v_mul_lo_u32 v14, s66, v2
	s_mov_b64 s[0:1], 0
.LBB105_47:                             ;   Parent Loop BB105_11 Depth=1
                                        ; =>  This Inner Loop Header: Depth=2
	v_lshl_add_u64 v[8:9], v[14:15], 1, v[10:11]
	global_load_ushort v45, v[8:9], off
	v_mov_b32_e32 v3, v2
	v_lshlrev_b32_e32 v2, 1, v4
	ds_write_b16 v2, v6
	v_add_u32_e32 v2, s21, v3
	v_cmp_le_u32_e32 vcc, s64, v2
	v_add_u32_e32 v14, v14, v5
	v_mov_b32_e32 v4, v3
	s_or_b64 s[0:1], vcc, s[0:1]
	s_waitcnt vmcnt(0)
	v_mov_b32_e32 v6, v45
	s_andn2_b64 exec, exec, s[0:1]
	s_cbranch_execnz .LBB105_47
; %bb.48:                               ;   in Loop: Header=BB105_11 Depth=1
	s_or_b64 exec, exec, s[0:1]
	v_add_u32_e32 v3, s28, v2
.LBB105_49:                             ;   in Loop: Header=BB105_11 Depth=1
	s_or_b64 exec, exec, s[14:15]
.LBB105_50:                             ;   in Loop: Header=BB105_11 Depth=1
	s_or_b64 exec, exec, s[26:27]
	v_lshlrev_b32_e32 v2, 1, v3
	s_waitcnt vmcnt(0)
	ds_write_b16 v2, v45
.LBB105_51:                             ;   in Loop: Header=BB105_11 Depth=1
	s_or_b64 exec, exec, s[2:3]
	s_waitcnt lgkmcnt(0)
	s_barrier
	s_and_saveexec_b64 s[0:1], s[22:23]
; %bb.52:                               ;   in Loop: Header=BB105_11 Depth=1
	ds_write_b32 v15, v49 offset:4104
; %bb.53:                               ;   in Loop: Header=BB105_11 Depth=1
	s_or_b64 exec, exec, s[0:1]
	s_mov_b64 s[0:1], -1
	s_waitcnt lgkmcnt(0)
	s_barrier
.LBB105_54:                             ;   in Loop: Header=BB105_11 Depth=1
	s_mov_b32 s21, 0
	s_and_b64 vcc, exec, s[0:1]
	s_cbranch_vccz .LBB105_56
; %bb.55:                               ;   in Loop: Header=BB105_11 Depth=1
	ds_read_b32 v2, v15 offset:4104
	s_waitcnt lgkmcnt(0)
	v_readfirstlane_b32 s21, v2
.LBB105_56:                             ;   in Loop: Header=BB105_11 Depth=1
	s_cmp_lt_i32 s21, 1
	s_mov_b64 s[0:1], -1
                                        ; implicit-def: $vgpr4_vgpr5
	s_cbranch_scc1 .LBB105_66
; %bb.57:                               ;   in Loop: Header=BB105_11 Depth=1
	s_and_b64 vcc, exec, s[0:1]
	s_cbranch_vccnz .LBB105_77
.LBB105_58:                             ;   in Loop: Header=BB105_11 Depth=1
	s_lshl_b32 s14, s20, 6
	s_and_saveexec_b64 s[0:1], s[4:5]
.LBB105_59:                             ;   in Loop: Header=BB105_11 Depth=1
	v_lshl_add_u32 v6, s14, 2, v25
	ds_write_b128 v6, v[2:5]
.LBB105_60:                             ;   in Loop: Header=BB105_11 Depth=1
	s_or_b64 exec, exec, s[0:1]
	s_waitcnt lgkmcnt(0)
	s_barrier
	s_and_saveexec_b64 s[0:1], s[78:79]
	s_cbranch_execz .LBB105_94
; %bb.61:                               ;   in Loop: Header=BB105_11 Depth=1
	v_add_u32_e32 v4, s14, v22
	s_andn2_b64 vcc, exec, s[82:83]
	v_mov_b32_e32 v2, 0
	s_cbranch_vccnz .LBB105_93
; %bb.62:                               ;   in Loop: Header=BB105_11 Depth=1
	v_readlane_b32 s2, v78, 26
	v_readlane_b32 s3, v78, 27
	s_andn2_b64 vcc, exec, s[2:3]
	s_cbranch_vccnz .LBB105_86
; %bb.63:                               ;   in Loop: Header=BB105_11 Depth=1
	v_readlane_b32 s2, v78, 28
	v_readlane_b32 s3, v78, 29
	s_andn2_b64 vcc, exec, s[2:3]
	v_lshl_add_u32 v5, v4, 2, v40
	s_cbranch_vccnz .LBB105_87
; %bb.64:                               ;   in Loop: Header=BB105_11 Depth=1
	s_mov_b32 s3, 1
	s_mov_b32 s2, 0
	v_mov_b32_e32 v2, 0
	v_mov_b32_e32 v3, 0
	v_readlane_b32 s15, v78, 30
.LBB105_65:                             ;   Parent Loop BB105_11 Depth=1
                                        ; =>  This Inner Loop Header: Depth=2
	v_lshl_add_u32 v14, s2, 4, v5
	v_lshl_add_u32 v45, s3, 4, v5
	ds_read2_b32 v[6:7], v14 offset1:8
	ds_read2_b32 v[8:9], v45 offset1:8
	ds_read2_b32 v[46:47], v14 offset0:16 offset1:24
	ds_read2_b32 v[50:51], v45 offset0:16 offset1:24
	;; [unrolled: 1-line block ×6, first 2 shown]
	s_waitcnt lgkmcnt(7)
	v_add3_u32 v2, v6, v2, v7
	s_waitcnt lgkmcnt(6)
	v_add3_u32 v3, v8, v3, v9
	;; [unrolled: 2-line block ×3, first 2 shown]
	v_add3_u32 v2, v46, v2, v47
	s_add_i32 s3, s3, 16
	s_add_i32 s2, s2, 16
	s_add_i32 s15, s15, -8
	s_waitcnt lgkmcnt(3)
	v_add3_u32 v2, v52, v2, v53
	s_waitcnt lgkmcnt(2)
	v_add3_u32 v3, v54, v3, v55
	s_cmp_lg_u32 s15, 0
	s_waitcnt lgkmcnt(0)
	v_add3_u32 v3, v58, v3, v59
	v_add3_u32 v2, v56, v2, v57
	s_cbranch_scc1 .LBB105_65
	s_branch .LBB105_88
.LBB105_66:                             ;   in Loop: Header=BB105_11 Depth=1
	v_mov_b32_e32 v14, v15
	v_mov_b64_e32 v[4:5], v[14:15]
	v_mov_b64_e32 v[2:3], v[14:15]
	s_and_saveexec_b64 s[52:53], s[16:17]
	s_cbranch_execz .LBB105_70
; %bb.67:                               ;   in Loop: Header=BB105_11 Depth=1
	s_mov_b32 s14, 0
	s_mov_b64 s[54:55], 0
	v_mov_b32_e32 v6, v19
	s_mov_b32 s58, 0
	s_mov_b32 s59, s14
	s_mov_b32 s56, 0
	s_mov_b32 s57, s14
.LBB105_68:                             ;   Parent Loop BB105_11 Depth=1
                                        ; =>  This Inner Loop Header: Depth=2
	v_add_u32_e32 v14, s14, v34
	v_lshl_add_u64 v[2:3], v[14:15], 1, v[10:11]
	v_add_u32_e32 v14, s14, v31
	v_lshl_add_u64 v[4:5], v[14:15], 1, v[10:11]
	global_load_sshort v7, v[2:3], off
	s_nop 0
	global_load_sshort v4, v[4:5], off
	v_add_u32_e32 v14, s14, v32
	v_lshl_add_u64 v[2:3], v[14:15], 1, v[10:11]
	v_add_u32_e32 v14, s14, v33
	global_load_sshort v5, v[2:3], off
	v_lshl_add_u64 v[2:3], v[14:15], 1, v[10:11]
	global_load_sshort v2, v[2:3], off
	v_add_u32_e32 v6, s65, v6
	v_cmp_le_u32_e32 vcc, s24, v6
	s_add_i32 s14, s14, s33
	s_waitcnt vmcnt(3)
	v_add_u32_e32 v3, 0x8000, v7
	v_and_b32_e32 v7, v3, v42
	v_bfe_u32 v3, v3, v39, 2
	s_waitcnt vmcnt(2)
	v_add_u32_e32 v4, 0x8000, v4
	v_cmp_eq_u32_e64 s[0:1], v7, v36
	v_cmp_eq_u32_e64 s[2:3], 0, v3
	v_and_b32_e32 v7, v4, v42
	v_bfe_u32 v4, v4, v39, 2
	v_cmp_eq_u32_e64 s[26:27], 1, v3
	s_and_b64 s[2:3], s[0:1], s[2:3]
	s_waitcnt vmcnt(1)
	v_add_u32_e32 v5, 0x8000, v5
	v_cmp_eq_u32_e64 s[28:29], 2, v3
	v_cmp_eq_u32_e64 s[30:31], 3, v3
	;; [unrolled: 1-line block ×6, first 2 shown]
	v_cndmask_b32_e64 v4, 0, 1, s[2:3]
	s_and_b64 s[2:3], s[0:1], s[26:27]
	s_waitcnt vmcnt(0)
	v_add_u32_e32 v2, 0x8000, v2
	v_cmp_eq_u32_e64 s[34:35], v7, v36
	v_and_b32_e32 v3, v5, v42
	v_bfe_u32 v5, v5, v39, 2
	v_cndmask_b32_e64 v7, 0, 1, s[2:3]
	s_and_b64 s[2:3], s[0:1], s[28:29]
	s_and_b64 s[0:1], s[0:1], s[30:31]
	v_cndmask_b32_e64 v8, 0, 1, s[2:3]
	v_cndmask_b32_e64 v9, 0, 1, s[0:1]
	v_cmp_eq_u32_e64 s[0:1], v3, v36
	v_and_b32_e32 v3, v2, v42
	v_bfe_u32 v2, v2, v39, 2
	v_cmp_eq_u32_e64 s[2:3], 0, v5
	s_and_b64 s[36:37], s[34:35], s[36:37]
	s_and_b64 s[38:39], s[34:35], s[38:39]
	;; [unrolled: 1-line block ×4, first 2 shown]
	v_cmp_eq_u32_e64 s[26:27], 1, v5
	v_cmp_eq_u32_e64 s[28:29], 2, v5
	;; [unrolled: 1-line block ×3, first 2 shown]
	v_cndmask_b32_e64 v5, 0, 1, s[38:39]
	v_cmp_ne_u32_e64 s[38:39], 0, v8
	v_cndmask_b32_e64 v8, 0, 1, s[34:35]
	v_cmp_eq_u32_e64 s[34:35], v3, v36
	v_cmp_eq_u32_e64 s[42:43], 0, v2
	s_and_b64 s[2:3], s[0:1], s[2:3]
	v_cmp_eq_u32_e64 s[46:47], 1, v2
	v_cmp_eq_u32_e64 s[48:49], 2, v2
	;; [unrolled: 1-line block ×3, first 2 shown]
	v_cndmask_b32_e64 v2, 0, 1, s[2:3]
	s_and_b64 s[26:27], s[0:1], s[26:27]
	s_and_b64 s[28:29], s[0:1], s[28:29]
	s_and_b64 s[0:1], s[0:1], s[30:31]
	s_and_b64 s[30:31], s[34:35], s[42:43]
	v_cmp_ne_u32_e64 s[44:45], 0, v4
	v_cndmask_b32_e64 v4, 0, 1, s[36:37]
	v_cmp_ne_u32_e64 s[36:37], 0, v7
	v_cndmask_b32_e64 v7, 0, 1, s[40:41]
	v_cmp_ne_u32_e64 s[40:41], 0, v9
	v_cmp_ne_u32_e64 s[2:3], 0, v5
	v_cndmask_b32_e64 v3, 0, 1, s[26:27]
	v_cndmask_b32_e64 v5, 0, 1, s[0:1]
	v_cmp_ne_u32_e64 s[0:1], 0, v2
	v_cndmask_b32_e64 v2, 0, 1, s[30:31]
	s_and_b64 s[30:31], s[34:35], s[46:47]
	s_bcnt1_i32_b64 s15, s[44:45]
	v_cmp_ne_u32_e64 s[44:45], 0, v4
	s_bcnt1_i32_b64 s36, s[36:37]
	s_bcnt1_i32_b64 s37, s[38:39]
	v_cmp_ne_u32_e64 s[26:27], 0, v7
	v_cndmask_b32_e64 v4, 0, 1, s[28:29]
	s_bcnt1_i32_b64 s38, s[40:41]
	s_bcnt1_i32_b64 s40, s[2:3]
	v_cmp_ne_u32_e64 s[2:3], 0, v3
	v_cndmask_b32_e64 v3, 0, 1, s[30:31]
	s_and_b64 s[30:31], s[34:35], s[48:49]
	v_cmp_ne_u32_e64 s[28:29], 0, v8
	s_bcnt1_i32_b64 s41, s[26:27]
	v_cmp_ne_u32_e64 s[26:27], 0, v4
	v_cndmask_b32_e64 v4, 0, 1, s[30:31]
	s_and_b64 s[30:31], s[34:35], s[50:51]
	s_bcnt1_i32_b64 s39, s[44:45]
	s_add_i32 s15, s58, s15
	s_add_i32 s36, s59, s36
	s_bcnt1_i32_b64 s42, s[28:29]
	v_cmp_ne_u32_e64 s[28:29], 0, v5
	v_cndmask_b32_e64 v5, 0, 1, s[30:31]
	s_add_i32 s30, s56, s37
	s_add_i32 s31, s57, s38
	s_bcnt1_i32_b64 s34, s[0:1]
	v_cmp_ne_u32_e64 s[0:1], 0, v2
	s_bcnt1_i32_b64 s35, s[2:3]
	v_cmp_ne_u32_e64 s[2:3], 0, v3
	s_add_i32 s36, s36, s40
	s_add_i32 s15, s15, s39
	s_bcnt1_i32_b64 s37, s[26:27]
	v_cmp_ne_u32_e64 s[26:27], 0, v4
	s_bcnt1_i32_b64 s38, s[28:29]
	v_cmp_ne_u32_e64 s[28:29], 0, v5
	s_add_i32 s31, s31, s42
	s_add_i32 s30, s30, s41
	s_bcnt1_i32_b64 s0, s[0:1]
	s_bcnt1_i32_b64 s1, s[2:3]
	s_add_i32 s2, s15, s34
	s_add_i32 s3, s36, s35
	s_bcnt1_i32_b64 s15, s[26:27]
	s_bcnt1_i32_b64 s26, s[28:29]
	s_add_i32 s27, s30, s37
	s_add_i32 s28, s31, s38
	;; [unrolled: 1-line block ×6, first 2 shown]
	s_or_b64 s[54:55], vcc, s[54:55]
	v_mov_b64_e32 v[2:3], s[58:59]
	v_mov_b64_e32 v[4:5], s[56:57]
	s_andn2_b64 exec, exec, s[54:55]
	s_cbranch_execnz .LBB105_68
; %bb.69:                               ;   in Loop: Header=BB105_11 Depth=1
	s_or_b64 exec, exec, s[54:55]
.LBB105_70:                             ;   in Loop: Header=BB105_11 Depth=1
	s_or_b64 exec, exec, s[52:53]
	s_and_saveexec_b64 s[2:3], s[18:19]
	s_cbranch_execz .LBB105_76
; %bb.71:                               ;   in Loop: Header=BB105_11 Depth=1
	global_load_ushort v8, v[20:21], off
	s_mov_b64 s[14:15], 0
	v_mov_b32_e32 v14, v35
	v_mov_b32_e32 v6, v29
	s_branch .LBB105_73
.LBB105_72:                             ;   in Loop: Header=BB105_73 Depth=2
	s_or_b64 exec, exec, s[26:27]
	s_waitcnt vmcnt(0)
	v_add_u32_sdwa v8, sext(v8), s86 dst_sel:DWORD dst_unused:UNUSED_PAD src0_sel:WORD_0 src1_sel:DWORD
	s_and_b64 s[0:1], exec, vcc
	v_and_b32_e32 v9, v8, v42
	v_bfe_u32 v8, v8, v39, 2
	s_or_b64 s[14:15], s[0:1], s[14:15]
	v_cmp_eq_u32_e32 vcc, v9, v36
	v_cmp_eq_u32_e64 s[0:1], 0, v8
	s_and_b64 s[0:1], vcc, s[0:1]
	v_add_u32_e32 v14, s88, v14
	v_cndmask_b32_e64 v9, 0, 1, s[0:1]
	v_cmp_ne_u32_e64 s[0:1], 0, v9
	s_bcnt1_i32_b64 s26, s[0:1]
	v_cmp_eq_u32_e64 s[0:1], 1, v8
	s_and_b64 s[0:1], vcc, s[0:1]
	v_add_u32_e32 v2, s26, v2
	v_cndmask_b32_e64 v9, 0, 1, s[0:1]
	v_cmp_ne_u32_e64 s[0:1], 0, v9
	s_bcnt1_i32_b64 s0, s[0:1]
	s_nop 0
	v_add_u32_e32 v3, s0, v3
	v_cmp_eq_u32_e64 s[0:1], 2, v8
	s_and_b64 s[0:1], vcc, s[0:1]
	s_nop 0
	v_cndmask_b32_e64 v9, 0, 1, s[0:1]
	v_cmp_ne_u32_e64 s[0:1], 0, v9
	s_bcnt1_i32_b64 s26, s[0:1]
	v_cmp_eq_u32_e64 s[0:1], 3, v8
	s_and_b64 s[0:1], vcc, s[0:1]
	v_add_u32_e32 v4, s26, v4
	v_cndmask_b32_e64 v8, 0, 1, s[0:1]
	v_cmp_ne_u32_e32 vcc, 0, v8
	s_bcnt1_i32_b64 s0, vcc
	v_add_u32_e32 v5, s0, v5
	v_mov_b32_e32 v8, v7
	s_andn2_b64 exec, exec, s[14:15]
	s_cbranch_execz .LBB105_75
.LBB105_73:                             ;   Parent Loop BB105_11 Depth=1
                                        ; =>  This Inner Loop Header: Depth=2
	v_add_u32_e32 v6, s67, v6
	v_cmp_gt_u32_e64 s[0:1], s64, v6
	v_cmp_le_u32_e32 vcc, s64, v6
	v_mov_b32_e32 v7, 0
	s_and_saveexec_b64 s[26:27], s[0:1]
	s_cbranch_execz .LBB105_72
; %bb.74:                               ;   in Loop: Header=BB105_73 Depth=2
	v_lshl_add_u64 v[46:47], v[14:15], 1, v[10:11]
	global_load_ushort v7, v[46:47], off
	s_branch .LBB105_72
.LBB105_75:                             ;   in Loop: Header=BB105_11 Depth=1
	s_or_b64 exec, exec, s[14:15]
.LBB105_76:                             ;   in Loop: Header=BB105_11 Depth=1
	s_or_b64 exec, exec, s[2:3]
	s_branch .LBB105_58
.LBB105_77:                             ;   in Loop: Header=BB105_11 Depth=1
	s_mul_hi_u32 s0, s21, s93
	s_mul_i32 s0, s0, s65
	s_sub_i32 s0, s21, s0
	s_sub_i32 s1, s0, s65
	s_cmp_ge_u32 s0, s65
	s_cselect_b32 s0, s1, s0
	s_sub_i32 s1, s0, s65
	s_cmp_ge_u32 s0, s65
	s_cselect_b32 s0, s1, s0
	s_sub_i32 s80, s21, s0
	v_mov_b32_e32 v14, v15
	v_cmp_gt_u32_e32 vcc, s80, v19
	v_mov_b64_e32 v[4:5], v[14:15]
	v_mov_b64_e32 v[2:3], v[14:15]
	s_and_saveexec_b64 s[14:15], vcc
	s_cbranch_execz .LBB105_81
; %bb.78:                               ;   in Loop: Header=BB105_11 Depth=1
	s_mov_b32 s76, 0
	s_mov_b64 s[72:73], 0
	v_mov_b32_e32 v6, v37
	v_mov_b32_e32 v7, v19
	s_mov_b32 s77, s76
	s_mov_b32 s74, s76
	;; [unrolled: 1-line block ×3, first 2 shown]
.LBB105_79:                             ;   Parent Loop BB105_11 Depth=1
                                        ; =>  This Inner Loop Header: Depth=2
	ds_read_b64 v[2:3], v6
	v_add_u32_e32 v7, s65, v7
	v_cmp_le_u32_e32 vcc, s80, v7
	v_add_u32_e32 v6, s84, v6
	s_waitcnt lgkmcnt(0)
	v_add_u32_sdwa v4, sext(v2), s86 dst_sel:DWORD dst_unused:UNUSED_PAD src0_sel:WORD_0 src1_sel:DWORD
	v_add_u32_sdwa v2, sext(v2), s86 dst_sel:DWORD dst_unused:UNUSED_PAD src0_sel:WORD_1 src1_sel:DWORD
	v_and_b32_e32 v8, v4, v42
	v_bfe_u32 v4, v4, v39, 2
	v_add_u32_sdwa v5, sext(v3), s86 dst_sel:DWORD dst_unused:UNUSED_PAD src0_sel:WORD_0 src1_sel:DWORD
	v_and_b32_e32 v9, v2, v42
	v_bfe_u32 v2, v2, v39, 2
	v_cmp_eq_u32_e64 s[0:1], v8, v36
	v_cmp_eq_u32_e64 s[30:31], 0, v4
	v_add_u32_sdwa v3, sext(v3), s86 dst_sel:DWORD dst_unused:UNUSED_PAD src0_sel:WORD_1 src1_sel:DWORD
	v_and_b32_e32 v14, v5, v42
	v_bfe_u32 v5, v5, v39, 2
	v_cmp_eq_u32_e64 s[2:3], v9, v36
	v_cmp_eq_u32_e64 s[34:35], 0, v2
	s_and_b64 s[30:31], s[0:1], s[30:31]
	v_and_b32_e32 v45, v3, v42
	v_bfe_u32 v3, v3, v39, 2
	v_cmp_eq_u32_e64 s[26:27], v14, v36
	v_cmp_eq_u32_e64 s[36:37], 0, v5
	;; [unrolled: 1-line block ×5, first 2 shown]
	v_cndmask_b32_e64 v2, 0, 1, s[30:31]
	s_and_b64 s[30:31], s[2:3], s[34:35]
	v_cmp_eq_u32_e64 s[28:29], v45, v36
	v_cmp_eq_u32_e64 s[38:39], 0, v3
	;; [unrolled: 1-line block ×5, first 2 shown]
	v_cndmask_b32_e64 v3, 0, 1, s[30:31]
	s_and_b64 s[30:31], s[26:27], s[36:37]
	v_cmp_eq_u32_e64 s[40:41], 1, v4
	v_cmp_eq_u32_e64 s[48:49], 2, v4
	;; [unrolled: 1-line block ×3, first 2 shown]
	v_cndmask_b32_e64 v4, 0, 1, s[30:31]
	s_and_b64 s[30:31], s[28:29], s[38:39]
	v_cmp_eq_u32_e64 s[44:45], 1, v5
	v_cmp_eq_u32_e64 s[52:53], 2, v5
	;; [unrolled: 1-line block ×3, first 2 shown]
	v_cndmask_b32_e64 v5, 0, 1, s[30:31]
	s_and_b64 s[30:31], s[0:1], s[40:41]
	v_cndmask_b32_e64 v8, 0, 1, s[30:31]
	s_and_b64 s[30:31], s[2:3], s[42:43]
	;; [unrolled: 2-line block ×5, first 2 shown]
	s_and_b64 s[0:1], s[0:1], s[56:57]
	v_cndmask_b32_e64 v46, 0, 1, s[30:31]
	s_and_b64 s[30:31], s[2:3], s[50:51]
	v_cndmask_b32_e64 v51, 0, 1, s[0:1]
	;; [unrolled: 2-line block ×7, first 2 shown]
	v_cndmask_b32_e64 v54, 0, 1, s[0:1]
	v_cmp_ne_u32_e64 s[0:1], 0, v2
	v_cmp_ne_u32_e64 s[2:3], 0, v3
	v_cmp_ne_u32_e64 s[26:27], 0, v4
	v_cmp_ne_u32_e64 s[28:29], 0, v5
	v_cmp_ne_u32_e64 s[30:31], 0, v8
	v_cmp_ne_u32_e64 s[36:37], 0, v14
	v_cmp_ne_u32_e64 s[40:41], 0, v46
	v_cmp_ne_u32_e64 s[48:49], 0, v51
	v_cmp_ne_u32_e64 s[34:35], 0, v9
	v_cmp_ne_u32_e64 s[42:43], 0, v47
	v_cmp_ne_u32_e64 s[50:51], 0, v52
	s_bcnt1_i32_b64 s0, s[0:1]
	s_bcnt1_i32_b64 s1, s[2:3]
	;; [unrolled: 1-line block ×8, first 2 shown]
	v_cmp_ne_u32_e64 s[38:39], 0, v45
	v_cmp_ne_u32_e64 s[44:45], 0, v48
	;; [unrolled: 1-line block ×3, first 2 shown]
	s_bcnt1_i32_b64 s27, s[34:35]
	s_bcnt1_i32_b64 s31, s[42:43]
	;; [unrolled: 1-line block ×3, first 2 shown]
	s_add_i32 s0, s76, s0
	s_add_i32 s26, s77, s26
	;; [unrolled: 1-line block ×4, first 2 shown]
	v_cmp_ne_u32_e64 s[46:47], 0, v50
	v_cmp_ne_u32_e64 s[54:55], 0, v54
	s_bcnt1_i32_b64 s29, s[38:39]
	s_bcnt1_i32_b64 s34, s[44:45]
	;; [unrolled: 1-line block ×3, first 2 shown]
	s_add_i32 s26, s26, s27
	s_add_i32 s0, s0, s1
	;; [unrolled: 1-line block ×4, first 2 shown]
	s_bcnt1_i32_b64 s35, s[46:47]
	s_bcnt1_i32_b64 s39, s[54:55]
	s_add_i32 s0, s0, s2
	s_add_i32 s2, s26, s28
	;; [unrolled: 1-line block ×8, first 2 shown]
	s_or_b64 s[72:73], vcc, s[72:73]
	v_mov_b64_e32 v[2:3], s[76:77]
	v_mov_b64_e32 v[4:5], s[74:75]
	s_andn2_b64 exec, exec, s[72:73]
	s_cbranch_execnz .LBB105_79
; %bb.80:                               ;   in Loop: Header=BB105_11 Depth=1
	s_or_b64 exec, exec, s[72:73]
.LBB105_81:                             ;   in Loop: Header=BB105_11 Depth=1
	s_or_b64 exec, exec, s[14:15]
	v_add_u32_e32 v6, s80, v0
	v_cmp_gt_u32_e32 vcc, s21, v6
	s_and_saveexec_b64 s[14:15], vcc
	s_cbranch_execz .LBB105_85
; %bb.82:                               ;   in Loop: Header=BB105_11 Depth=1
	v_lshlrev_b32_e32 v7, 1, v6
	s_mov_b64 s[34:35], 0
.LBB105_83:                             ;   Parent Loop BB105_11 Depth=1
                                        ; =>  This Inner Loop Header: Depth=2
	ds_read_i16 v8, v7
	v_add_u32_e32 v6, s67, v6
	v_cmp_le_u32_e32 vcc, s21, v6
	v_add_u32_e32 v7, s85, v7
	s_waitcnt lgkmcnt(0)
	v_add_u32_e32 v8, 0x8000, v8
	v_and_b32_e32 v9, v8, v42
	v_bfe_u32 v8, v8, v39, 2
	v_cmp_eq_u32_e64 s[0:1], v9, v36
	v_cmp_eq_u32_e64 s[2:3], 0, v8
	;; [unrolled: 1-line block ×3, first 2 shown]
	s_and_b64 s[2:3], s[0:1], s[2:3]
	v_cmp_eq_u32_e64 s[28:29], 2, v8
	v_cmp_eq_u32_e64 s[30:31], 3, v8
	v_cndmask_b32_e64 v8, 0, 1, s[2:3]
	s_and_b64 s[2:3], s[0:1], s[26:27]
	v_cndmask_b32_e64 v9, 0, 1, s[2:3]
	s_and_b64 s[2:3], s[0:1], s[28:29]
	s_and_b64 s[0:1], s[0:1], s[30:31]
	v_cndmask_b32_e64 v14, 0, 1, s[2:3]
	v_cndmask_b32_e64 v45, 0, 1, s[0:1]
	v_cmp_ne_u32_e64 s[0:1], 0, v8
	v_cmp_ne_u32_e64 s[2:3], 0, v9
	v_cmp_ne_u32_e64 s[26:27], 0, v14
	v_cmp_ne_u32_e64 s[28:29], 0, v45
	s_bcnt1_i32_b64 s0, s[0:1]
	s_bcnt1_i32_b64 s1, s[2:3]
	;; [unrolled: 1-line block ×4, first 2 shown]
	v_add_u32_e32 v3, s1, v3
	v_add_u32_e32 v2, s0, v2
	;; [unrolled: 1-line block ×3, first 2 shown]
	s_or_b64 s[34:35], vcc, s[34:35]
	v_add_u32_e32 v4, s2, v4
	s_andn2_b64 exec, exec, s[34:35]
	s_cbranch_execnz .LBB105_83
; %bb.84:                               ;   in Loop: Header=BB105_11 Depth=1
	s_or_b64 exec, exec, s[34:35]
.LBB105_85:                             ;   in Loop: Header=BB105_11 Depth=1
	s_or_b64 exec, exec, s[14:15]
	s_lshl_b32 s14, s20, 6
	s_and_saveexec_b64 s[0:1], s[4:5]
	s_cbranch_execnz .LBB105_59
	s_branch .LBB105_60
.LBB105_86:                             ;   in Loop: Header=BB105_11 Depth=1
	v_mov_b32_e32 v2, 0
	s_mov_b32 s15, 0
	s_cbranch_execnz .LBB105_91
	s_branch .LBB105_93
.LBB105_87:                             ;   in Loop: Header=BB105_11 Depth=1
	v_mov_b32_e32 v14, v15
	s_mov_b32 s2, 0
	v_mov_b64_e32 v[2:3], v[14:15]
	s_mov_b32 s3, 1
.LBB105_88:                             ;   in Loop: Header=BB105_11 Depth=1
	v_readlane_b32 s26, v78, 32
	v_readlane_b32 s27, v78, 33
	s_andn2_b64 vcc, exec, s[26:27]
	v_readlane_b32 s15, v78, 31
	s_cbranch_vccnz .LBB105_90
.LBB105_89:                             ;   Parent Loop BB105_11 Depth=1
                                        ; =>  This Inner Loop Header: Depth=2
	v_lshl_add_u32 v6, s2, 4, v5
	v_lshl_add_u32 v7, s3, 4, v5
	ds_read_b32 v7, v7
	ds_read_b32 v6, v6
	s_add_i32 s3, s3, 2
	s_add_i32 s2, s2, 2
	s_add_i32 s15, s15, -1
	s_cmp_lg_u32 s15, 0
	s_waitcnt lgkmcnt(1)
	v_add_u32_e32 v3, v7, v3
	s_waitcnt lgkmcnt(0)
	v_add_u32_e32 v2, v6, v2
	s_cbranch_scc1 .LBB105_89
.LBB105_90:                             ;   in Loop: Header=BB105_11 Depth=1
	v_readlane_b32 s2, v78, 36
	v_add_u32_e32 v2, v2, v3
	v_readlane_b32 s15, v78, 35
	v_readlane_b32 s3, v78, 37
	s_and_b64 vcc, exec, s[2:3]
	s_cbranch_vccz .LBB105_93
.LBB105_91:                             ;   in Loop: Header=BB105_11 Depth=1
	s_lshl_b32 s2, s20, 8
	s_lshl_b32 s3, s15, 4
	s_add_i32 s2, s2, s3
	v_add_u32_e32 v3, s2, v38
	v_readlane_b32 s2, v78, 34
	s_sub_i32 s2, s2, s15
.LBB105_92:                             ;   Parent Loop BB105_11 Depth=1
                                        ; =>  This Inner Loop Header: Depth=2
	ds_read_b32 v5, v3
	s_add_i32 s2, s2, -1
	v_add_u32_e32 v3, 16, v3
	s_cmp_eq_u32 s2, 0
	s_waitcnt lgkmcnt(0)
	v_add_u32_e32 v2, v5, v2
	s_cbranch_scc0 .LBB105_92
.LBB105_93:                             ;   in Loop: Header=BB105_11 Depth=1
	v_lshlrev_b32_e32 v3, 2, v4
	ds_write_b32 v3, v2 offset:3072
.LBB105_94:                             ;   in Loop: Header=BB105_11 Depth=1
	s_or_b64 exec, exec, s[0:1]
	s_lshl_b32 s0, s14, 2
	v_mov_b32_e32 v2, s0
	s_waitcnt lgkmcnt(0)
	s_barrier
	ds_read_b128 v[2:5], v2 offset:3072
	v_cmp_eq_u32_e32 vcc, 1, v44
	s_mov_b64 s[2:3], -1
	s_mov_b64 s[30:31], -1
                                        ; implicit-def: $sgpr28_sgpr29
                                        ; implicit-def: $sgpr14_sgpr15
	s_waitcnt lgkmcnt(0)
	v_readfirstlane_b32 s44, v2
	s_cmp_eq_u32 s44, 1
	v_lshlrev_b32_e64 v2, v39, 3
	s_cselect_b64 s[0:1], -1, 0
	v_readfirstlane_b32 s48, v3
	v_readfirstlane_b32 s56, v4
	;; [unrolled: 1-line block ×3, first 2 shown]
	v_not_b32_e32 v4, v2
	s_and_b64 s[26:27], s[0:1], vcc
	s_and_saveexec_b64 s[0:1], s[26:27]
	s_cbranch_execz .LBB105_120
; %bb.95:                               ;   in Loop: Header=BB105_11 Depth=1
	ds_read_b32 v3, v15 offset:4104
	s_waitcnt lgkmcnt(0)
	s_barrier
	v_readfirstlane_b32 s45, v3
	s_and_saveexec_b64 s[14:15], s[6:7]
; %bb.96:                               ;   in Loop: Header=BB105_11 Depth=1
	ds_write_b16 v24, v15
; %bb.97:                               ;   in Loop: Header=BB105_11 Depth=1
	s_or_b64 exec, exec, s[14:15]
	v_and_b32_e32 v36, v36, v4
	v_or_b32_e32 v42, v42, v2
	s_mov_b64 s[14:15], -1
	s_mov_b64 s[28:29], 0
	s_cmp_eq_u32 s45, 0
	s_mov_b64 s[30:31], 0
	s_mov_b64 s[34:35], -1
	s_waitcnt lgkmcnt(0)
	s_barrier
                                        ; implicit-def: $vgpr43
	s_cbranch_scc1 .LBB105_108
; %bb.98:                               ;   in Loop: Header=BB105_11 Depth=1
	s_add_i32 s30, s45, s89
	s_mul_hi_u32 s31, s30, s25
	s_mul_i32 s31, s31, s67
	s_sub_i32 s31, s30, s31
	s_sub_i32 s34, s31, s67
	s_cmp_ge_u32 s31, s67
	s_cselect_b32 s31, s34, s31
	s_sub_i32 s34, s31, s67
	s_cmp_ge_u32 s31, s67
	s_cselect_b32 s31, s34, s31
	s_sub_i32 s46, s30, s31
	v_cmp_gt_u32_e32 vcc, s46, v0
	s_mov_b64 s[34:35], 0
	s_mov_b64 s[30:31], 0
                                        ; implicit-def: $vgpr43
	s_and_saveexec_b64 s[36:37], vcc
	s_cbranch_execz .LBB105_107
; %bb.99:                               ;   in Loop: Header=BB105_11 Depth=1
	v_mov_b32_e32 v3, v23
	v_mov_b32_e32 v5, v0
                                        ; implicit-def: $sgpr38_sgpr39
	s_branch .LBB105_102
.LBB105_100:                            ;   in Loop: Header=BB105_102 Depth=2
	s_or_b64 exec, exec, s[40:41]
	s_waitcnt lgkmcnt(0)
	s_barrier
	ds_read_b32 v6, v15 offset:3072
	s_mov_b64 s[40:41], -1
	s_waitcnt lgkmcnt(0)
	s_barrier
	v_cmp_ne_u32_sdwa s[42:43], v6, v15 src0_sel:WORD_0 src1_sel:DWORD
	s_and_b64 vcc, exec, s[42:43]
	s_mov_b64 s[42:43], -1
	s_cbranch_vccz .LBB105_105
.LBB105_101:                            ;   in Loop: Header=BB105_102 Depth=2
	s_and_b64 s[40:41], exec, s[40:41]
	s_or_b64 s[30:31], s[40:41], s[30:31]
	s_andn2_b64 s[38:39], s[38:39], exec
	s_and_b64 s[40:41], s[42:43], exec
	s_or_b64 s[38:39], s[38:39], s[40:41]
	s_andn2_b64 exec, exec, s[30:31]
	s_cbranch_execz .LBB105_106
.LBB105_102:                            ;   Parent Loop BB105_11 Depth=1
                                        ; =>  This Inner Loop Header: Depth=2
	v_cmp_gt_u32_e32 vcc, s45, v5
	s_and_saveexec_b64 s[40:41], vcc
	s_cbranch_execz .LBB105_100
; %bb.103:                              ;   in Loop: Header=BB105_102 Depth=2
	ds_read_u16 v6, v3
	s_waitcnt lgkmcnt(0)
	v_add_u32_sdwa v7, sext(v6), s86 dst_sel:DWORD dst_unused:UNUSED_PAD src0_sel:WORD_0 src1_sel:DWORD
	v_and_b32_e32 v7, v7, v42
	v_cmp_eq_u32_e32 vcc, v7, v36
	s_and_b64 exec, exec, vcc
	s_cbranch_execz .LBB105_100
; %bb.104:                              ;   in Loop: Header=BB105_102 Depth=2
	v_perm_b32 v6, v6, 1, v41
	ds_write_b32 v15, v6 offset:3072
	s_branch .LBB105_100
.LBB105_105:                            ;   in Loop: Header=BB105_102 Depth=2
	v_add_u32_e32 v5, s67, v5
	v_cmp_le_u32_e32 vcc, s46, v5
	v_add_u32_e32 v3, s85, v3
	s_mov_b64 s[42:43], 0
	s_orn2_b64 s[40:41], vcc, exec
	s_branch .LBB105_101
.LBB105_106:                            ;   in Loop: Header=BB105_11 Depth=1
	s_or_b64 exec, exec, s[30:31]
	v_lshrrev_b32_e32 v43, 16, v6
	s_and_b64 s[30:31], s[38:39], exec
.LBB105_107:                            ;   in Loop: Header=BB105_11 Depth=1
	s_or_b64 exec, exec, s[36:37]
.LBB105_108:                            ;   in Loop: Header=BB105_11 Depth=1
	s_and_b64 vcc, exec, s[34:35]
	s_cbranch_vccz .LBB105_119
; %bb.109:                              ;   in Loop: Header=BB105_11 Depth=1
                                        ; implicit-def: $vgpr43
	s_mov_b64 s[14:15], exec
	v_readlane_b32 s28, v78, 38
	v_readlane_b32 s29, v78, 39
	s_and_b64 s[28:29], s[14:15], s[28:29]
	s_mov_b64 exec, s[28:29]
	s_cbranch_execz .LBB105_118
; %bb.110:                              ;   in Loop: Header=BB105_11 Depth=1
	s_mov_b64 s[28:29], 0
	v_mov_b32_e32 v14, v12
	v_mov_b32_e32 v3, v0
                                        ; implicit-def: $sgpr34_sgpr35
	s_branch .LBB105_113
.LBB105_111:                            ;   in Loop: Header=BB105_113 Depth=2
	s_or_b64 exec, exec, s[36:37]
	s_waitcnt lgkmcnt(0)
	s_barrier
	ds_read_b32 v5, v15 offset:3072
	s_mov_b64 s[36:37], -1
	s_waitcnt lgkmcnt(0)
	s_barrier
	v_cmp_ne_u32_sdwa s[38:39], v5, v15 src0_sel:WORD_0 src1_sel:DWORD
	s_and_b64 vcc, exec, s[38:39]
	s_mov_b64 s[38:39], -1
	s_cbranch_vccz .LBB105_116
.LBB105_112:                            ;   in Loop: Header=BB105_113 Depth=2
	s_and_b64 s[36:37], exec, s[36:37]
	s_or_b64 s[28:29], s[36:37], s[28:29]
	s_andn2_b64 s[34:35], s[34:35], exec
	s_and_b64 s[36:37], s[38:39], exec
	s_or_b64 s[34:35], s[34:35], s[36:37]
	s_andn2_b64 exec, exec, s[28:29]
	s_cbranch_execz .LBB105_117
.LBB105_113:                            ;   Parent Loop BB105_11 Depth=1
                                        ; =>  This Inner Loop Header: Depth=2
	v_cmp_gt_u32_e32 vcc, s64, v3
	s_and_saveexec_b64 s[36:37], vcc
	s_cbranch_execz .LBB105_111
; %bb.114:                              ;   in Loop: Header=BB105_113 Depth=2
	v_lshl_add_u64 v[6:7], v[14:15], 1, v[10:11]
	global_load_ushort v5, v[6:7], off
	s_waitcnt vmcnt(0)
	v_add_u32_sdwa v6, sext(v5), s86 dst_sel:DWORD dst_unused:UNUSED_PAD src0_sel:WORD_0 src1_sel:DWORD
	v_and_b32_e32 v6, v6, v42
	v_cmp_eq_u32_e32 vcc, v6, v36
	s_and_b64 exec, exec, vcc
	s_cbranch_execz .LBB105_111
; %bb.115:                              ;   in Loop: Header=BB105_113 Depth=2
	v_perm_b32 v5, v5, 1, v41
	ds_write_b32 v15, v5 offset:3072
	s_branch .LBB105_111
.LBB105_116:                            ;   in Loop: Header=BB105_113 Depth=2
	v_add_u32_e32 v3, s67, v3
	v_cmp_le_u32_e32 vcc, s8, v3
	v_add_u32_e32 v14, s88, v14
	s_mov_b64 s[38:39], 0
	s_orn2_b64 s[36:37], vcc, exec
	s_branch .LBB105_112
.LBB105_117:                            ;   in Loop: Header=BB105_11 Depth=1
	s_or_b64 exec, exec, s[28:29]
	s_andn2_b64 s[28:29], s[30:31], exec
	s_and_b64 s[30:31], s[34:35], exec
	v_lshrrev_b32_e32 v43, 16, v5
	s_or_b64 s[30:31], s[28:29], s[30:31]
.LBB105_118:                            ;   in Loop: Header=BB105_11 Depth=1
	s_or_b64 exec, exec, s[14:15]
	s_mov_b64 s[14:15], 0
	s_mov_b64 s[28:29], -1
.LBB105_119:                            ;   in Loop: Header=BB105_11 Depth=1
	s_orn2_b64 s[30:31], s[30:31], exec
.LBB105_120:                            ;   in Loop: Header=BB105_11 Depth=1
	s_or_b64 exec, exec, s[0:1]
	s_andn2_b64 s[0:1], s[12:13], exec
	s_and_b64 s[12:13], s[28:29], exec
	s_or_b64 s[12:13], s[0:1], s[12:13]
	s_andn2_b64 s[0:1], s[70:71], exec
	s_and_b64 s[14:15], s[14:15], exec
	v_readfirstlane_b32 s36, v0
	s_andn2_b64 s[10:11], s[10:11], exec
	s_or_b64 s[70:71], s[0:1], s[14:15]
                                        ; implicit-def: $vgpr5
	s_and_saveexec_b64 s[0:1], s[30:31]
	s_cbranch_execz .LBB105_10
; %bb.121:                              ;   in Loop: Header=BB105_11 Depth=1
	s_xor_b64 s[14:15], s[26:27], -1
	s_mov_b64 s[26:27], 0
	v_mov_b32_e32 v5, 1
	v_mov_b32_e32 v3, 1
	s_and_saveexec_b64 s[2:3], s[14:15]
	s_cbranch_execz .LBB105_130
; %bb.122:                              ;   in Loop: Header=BB105_11 Depth=1
	v_cmp_ge_u32_e32 vcc, s44, v44
	s_and_saveexec_b64 s[14:15], vcc
	s_xor_b64 s[14:15], exec, s[14:15]
	s_cbranch_execz .LBB105_127
; %bb.123:                              ;   in Loop: Header=BB105_11 Depth=1
	ds_read_b32 v3, v15 offset:4104
	v_and_b32_e32 v36, v36, v4
	v_or_b32_e32 v42, v42, v2
	s_waitcnt lgkmcnt(0)
	v_cmp_ne_u32_e32 vcc, 0, v3
	s_cbranch_vccnz .LBB105_127
; %bb.124:                              ;   in Loop: Header=BB105_11 Depth=1
	s_and_saveexec_b64 s[26:27], s[22:23]
; %bb.125:                              ;   in Loop: Header=BB105_11 Depth=1
	v_mov_b32_e32 v3, s44
	ds_write_b32 v15, v3 offset:4108
; %bb.126:                              ;   in Loop: Header=BB105_11 Depth=1
	s_or_b64 exec, exec, s[26:27]
	s_waitcnt lgkmcnt(0)
	s_barrier
.LBB105_127:                            ;   in Loop: Header=BB105_11 Depth=1
	s_or_saveexec_b64 s[14:15], s[14:15]
	s_mov_b64 s[26:27], 0
	v_mov_b32_e32 v3, 8
	s_xor_b64 exec, exec, s[14:15]
; %bb.128:                              ;   in Loop: Header=BB105_11 Depth=1
	s_mov_b64 s[26:27], exec
	v_subrev_u32_e32 v44, s44, v44
	v_mov_b32_e32 v3, 0
; %bb.129:                              ;   in Loop: Header=BB105_11 Depth=1
	s_or_b64 exec, exec, s[14:15]
	s_and_b64 s[26:27], s[26:27], exec
	v_mov_b32_e32 v5, v44
.LBB105_130:                            ;   in Loop: Header=BB105_11 Depth=1
	s_or_b64 exec, exec, s[2:3]
	s_mov_b64 s[2:3], -1
	s_mov_b64 s[14:15], -1
                                        ; implicit-def: $sgpr28_sgpr29
                                        ; implicit-def: $sgpr30_sgpr31
	s_and_saveexec_b64 s[34:35], s[26:27]
	s_xor_b64 s[26:27], exec, s[34:35]
	s_cbranch_execz .LBB105_247
; %bb.131:                              ;   in Loop: Header=BB105_11 Depth=1
	s_cmp_eq_u32 s48, 1
	s_cselect_b64 s[14:15], -1, 0
	v_cmp_eq_u32_e32 vcc, 1, v5
	s_and_b64 s[36:37], s[14:15], vcc
	s_mov_b64 s[38:39], -1
                                        ; implicit-def: $sgpr30_sgpr31
                                        ; implicit-def: $sgpr28_sgpr29
	s_and_saveexec_b64 s[14:15], s[36:37]
	s_cbranch_execz .LBB105_157
; %bb.132:                              ;   in Loop: Header=BB105_11 Depth=1
	ds_read_b32 v6, v15 offset:4104
	s_waitcnt lgkmcnt(0)
	s_barrier
	v_readfirstlane_b32 s49, v6
	s_and_saveexec_b64 s[28:29], s[6:7]
; %bb.133:                              ;   in Loop: Header=BB105_11 Depth=1
	ds_write_b16 v24, v15
; %bb.134:                              ;   in Loop: Header=BB105_11 Depth=1
	s_or_b64 exec, exec, s[28:29]
	v_and_b32_e32 v6, v36, v4
	v_lshl_or_b32 v36, 1, v39, v6
	v_or_b32_e32 v42, v42, v2
	s_mov_b64 s[28:29], -1
	s_mov_b64 s[30:31], 0
	s_cmp_eq_u32 s49, 0
	s_mov_b64 s[34:35], 0
	s_waitcnt lgkmcnt(0)
	s_barrier
                                        ; implicit-def: $vgpr43
	s_cbranch_scc1 .LBB105_145
; %bb.135:                              ;   in Loop: Header=BB105_11 Depth=1
	s_add_i32 s34, s49, s89
	s_mul_hi_u32 s35, s34, s25
	s_mul_i32 s35, s35, s67
	s_sub_i32 s35, s34, s35
	s_sub_i32 s38, s35, s67
	s_cmp_ge_u32 s35, s67
	s_cselect_b32 s35, s38, s35
	s_sub_i32 s38, s35, s67
	s_cmp_ge_u32 s35, s67
	s_cselect_b32 s35, s38, s35
	s_sub_i32 s50, s34, s35
	v_cmp_gt_u32_e32 vcc, s50, v0
	s_mov_b64 s[38:39], 0
	s_mov_b64 s[34:35], 0
                                        ; implicit-def: $vgpr43
	s_and_saveexec_b64 s[40:41], vcc
	s_cbranch_execz .LBB105_144
; %bb.136:                              ;   in Loop: Header=BB105_11 Depth=1
	v_mov_b32_e32 v6, v23
	v_mov_b32_e32 v7, v0
                                        ; implicit-def: $sgpr42_sgpr43
	s_branch .LBB105_139
.LBB105_137:                            ;   in Loop: Header=BB105_139 Depth=2
	s_or_b64 exec, exec, s[44:45]
	s_waitcnt lgkmcnt(0)
	s_barrier
	ds_read_b32 v8, v15 offset:3072
	s_mov_b64 s[44:45], -1
	s_waitcnt lgkmcnt(0)
	s_barrier
	v_cmp_ne_u32_sdwa s[46:47], v8, v15 src0_sel:WORD_0 src1_sel:DWORD
	s_and_b64 vcc, exec, s[46:47]
	s_mov_b64 s[46:47], -1
	s_cbranch_vccz .LBB105_142
.LBB105_138:                            ;   in Loop: Header=BB105_139 Depth=2
	s_and_b64 s[44:45], exec, s[44:45]
	s_or_b64 s[34:35], s[44:45], s[34:35]
	s_andn2_b64 s[42:43], s[42:43], exec
	s_and_b64 s[44:45], s[46:47], exec
	s_or_b64 s[42:43], s[42:43], s[44:45]
	s_andn2_b64 exec, exec, s[34:35]
	s_cbranch_execz .LBB105_143
.LBB105_139:                            ;   Parent Loop BB105_11 Depth=1
                                        ; =>  This Inner Loop Header: Depth=2
	v_cmp_gt_u32_e32 vcc, s49, v7
	s_and_saveexec_b64 s[44:45], vcc
	s_cbranch_execz .LBB105_137
; %bb.140:                              ;   in Loop: Header=BB105_139 Depth=2
	ds_read_u16 v8, v6
	s_waitcnt lgkmcnt(0)
	v_add_u32_sdwa v9, sext(v8), s86 dst_sel:DWORD dst_unused:UNUSED_PAD src0_sel:WORD_0 src1_sel:DWORD
	v_and_b32_e32 v9, v9, v42
	v_cmp_eq_u32_e32 vcc, v9, v36
	s_and_b64 exec, exec, vcc
	s_cbranch_execz .LBB105_137
; %bb.141:                              ;   in Loop: Header=BB105_139 Depth=2
	v_perm_b32 v8, v8, 1, v41
	ds_write_b32 v15, v8 offset:3072
	s_branch .LBB105_137
.LBB105_142:                            ;   in Loop: Header=BB105_139 Depth=2
	v_add_u32_e32 v7, s67, v7
	v_cmp_le_u32_e32 vcc, s50, v7
	v_add_u32_e32 v6, s85, v6
	s_mov_b64 s[46:47], 0
	s_orn2_b64 s[44:45], vcc, exec
	s_branch .LBB105_138
.LBB105_143:                            ;   in Loop: Header=BB105_11 Depth=1
	s_or_b64 exec, exec, s[34:35]
	v_lshrrev_b32_e32 v43, 16, v8
	s_and_b64 s[34:35], s[42:43], exec
.LBB105_144:                            ;   in Loop: Header=BB105_11 Depth=1
	s_or_b64 exec, exec, s[40:41]
.LBB105_145:                            ;   in Loop: Header=BB105_11 Depth=1
	s_and_b64 vcc, exec, s[38:39]
	s_cbranch_vccz .LBB105_156
; %bb.146:                              ;   in Loop: Header=BB105_11 Depth=1
                                        ; implicit-def: $vgpr43
	s_mov_b64 s[28:29], exec
	v_readlane_b32 s30, v78, 38
	v_readlane_b32 s31, v78, 39
	s_and_b64 s[30:31], s[28:29], s[30:31]
	s_mov_b64 exec, s[30:31]
	s_cbranch_execz .LBB105_155
; %bb.147:                              ;   in Loop: Header=BB105_11 Depth=1
	s_mov_b64 s[30:31], 0
	v_mov_b32_e32 v14, v12
	v_mov_b32_e32 v6, v0
                                        ; implicit-def: $sgpr38_sgpr39
	s_branch .LBB105_150
.LBB105_148:                            ;   in Loop: Header=BB105_150 Depth=2
	s_or_b64 exec, exec, s[40:41]
	s_waitcnt lgkmcnt(0)
	s_barrier
	ds_read_b32 v7, v15 offset:3072
	s_mov_b64 s[40:41], -1
	s_waitcnt lgkmcnt(0)
	s_barrier
	v_cmp_eq_u32_sdwa s[42:43], v7, v15 src0_sel:WORD_0 src1_sel:DWORD
	s_and_b64 vcc, exec, s[42:43]
	s_mov_b64 s[42:43], -1
	s_cbranch_vccnz .LBB105_153
.LBB105_149:                            ;   in Loop: Header=BB105_150 Depth=2
	s_and_b64 s[40:41], exec, s[40:41]
	s_or_b64 s[30:31], s[40:41], s[30:31]
	s_andn2_b64 s[38:39], s[38:39], exec
	s_and_b64 s[40:41], s[42:43], exec
	s_or_b64 s[38:39], s[38:39], s[40:41]
	s_andn2_b64 exec, exec, s[30:31]
	s_cbranch_execz .LBB105_154
.LBB105_150:                            ;   Parent Loop BB105_11 Depth=1
                                        ; =>  This Inner Loop Header: Depth=2
	v_cmp_gt_u32_e32 vcc, s64, v6
	s_and_saveexec_b64 s[40:41], vcc
	s_cbranch_execz .LBB105_148
; %bb.151:                              ;   in Loop: Header=BB105_150 Depth=2
	v_lshl_add_u64 v[8:9], v[14:15], 1, v[10:11]
	global_load_ushort v7, v[8:9], off
	s_waitcnt vmcnt(0)
	v_add_u32_sdwa v8, sext(v7), s86 dst_sel:DWORD dst_unused:UNUSED_PAD src0_sel:WORD_0 src1_sel:DWORD
	v_and_b32_e32 v8, v8, v42
	v_cmp_eq_u32_e32 vcc, v8, v36
	s_and_b64 exec, exec, vcc
	s_cbranch_execz .LBB105_148
; %bb.152:                              ;   in Loop: Header=BB105_150 Depth=2
	v_perm_b32 v7, v7, 1, v41
	ds_write_b32 v15, v7 offset:3072
	s_branch .LBB105_148
.LBB105_153:                            ;   in Loop: Header=BB105_150 Depth=2
	v_add_u32_e32 v6, s67, v6
	v_cmp_le_u32_e32 vcc, s8, v6
	v_add_u32_e32 v14, s88, v14
	s_mov_b64 s[42:43], 0
	s_orn2_b64 s[40:41], vcc, exec
	s_branch .LBB105_149
.LBB105_154:                            ;   in Loop: Header=BB105_11 Depth=1
	s_or_b64 exec, exec, s[30:31]
	s_andn2_b64 s[30:31], s[34:35], exec
	s_and_b64 s[34:35], s[38:39], exec
	v_lshrrev_b32_e32 v43, 16, v7
	s_or_b64 s[34:35], s[30:31], s[34:35]
.LBB105_155:                            ;   in Loop: Header=BB105_11 Depth=1
	s_or_b64 exec, exec, s[28:29]
	s_mov_b64 s[28:29], 0
	s_mov_b64 s[30:31], -1
.LBB105_156:                            ;   in Loop: Header=BB105_11 Depth=1
	s_orn2_b64 s[38:39], s[34:35], exec
.LBB105_157:                            ;   in Loop: Header=BB105_11 Depth=1
	s_or_b64 exec, exec, s[14:15]
	s_mov_b64 s[14:15], 0
	s_and_saveexec_b64 s[34:35], s[38:39]
	s_cbranch_execz .LBB105_246
; %bb.158:                              ;   in Loop: Header=BB105_11 Depth=1
	s_xor_b64 s[36:37], s[36:37], -1
	s_mov_b64 s[42:43], 0
	v_mov_b32_e32 v6, 1
	v_mov_b32_e32 v3, 1
	s_and_saveexec_b64 s[14:15], s[36:37]
	s_cbranch_execz .LBB105_167
; %bb.159:                              ;   in Loop: Header=BB105_11 Depth=1
	v_cmp_ge_u32_e32 vcc, s48, v5
	s_and_saveexec_b64 s[36:37], vcc
	s_xor_b64 s[36:37], exec, s[36:37]
	s_cbranch_execz .LBB105_164
; %bb.160:                              ;   in Loop: Header=BB105_11 Depth=1
	ds_read_b32 v3, v15 offset:4104
	v_and_b32_e32 v6, v36, v4
	v_lshl_or_b32 v36, 1, v39, v6
	v_or_b32_e32 v42, v42, v2
	s_waitcnt lgkmcnt(0)
	v_cmp_ne_u32_e32 vcc, 0, v3
	s_cbranch_vccnz .LBB105_164
; %bb.161:                              ;   in Loop: Header=BB105_11 Depth=1
	s_and_saveexec_b64 s[38:39], s[22:23]
; %bb.162:                              ;   in Loop: Header=BB105_11 Depth=1
	v_mov_b32_e32 v3, s48
	ds_write_b32 v15, v3 offset:4108
; %bb.163:                              ;   in Loop: Header=BB105_11 Depth=1
	s_or_b64 exec, exec, s[38:39]
	s_waitcnt lgkmcnt(0)
	s_barrier
.LBB105_164:                            ;   in Loop: Header=BB105_11 Depth=1
	s_or_saveexec_b64 s[36:37], s[36:37]
	s_mov_b64 s[38:39], 0
	v_mov_b32_e32 v3, 8
	s_xor_b64 exec, exec, s[36:37]
; %bb.165:                              ;   in Loop: Header=BB105_11 Depth=1
	s_mov_b64 s[38:39], exec
	v_subrev_u32_e32 v5, s48, v5
	v_mov_b32_e32 v3, 0
; %bb.166:                              ;   in Loop: Header=BB105_11 Depth=1
	s_or_b64 exec, exec, s[36:37]
	s_and_b64 s[42:43], s[38:39], exec
	v_mov_b32_e32 v6, v5
.LBB105_167:                            ;   in Loop: Header=BB105_11 Depth=1
	s_or_b64 exec, exec, s[14:15]
	s_mov_b64 s[14:15], -1
                                        ; implicit-def: $sgpr38_sgpr39
                                        ; implicit-def: $sgpr40_sgpr41
	s_and_saveexec_b64 s[36:37], s[42:43]
	s_cbranch_execz .LBB105_245
; %bb.168:                              ;   in Loop: Header=BB105_11 Depth=1
	s_cmp_eq_u32 s56, 1
	s_cselect_b64 s[14:15], -1, 0
	v_cmp_eq_u32_e32 vcc, 1, v6
	s_and_b64 s[44:45], s[14:15], vcc
	s_mov_b64 s[46:47], -1
                                        ; implicit-def: $sgpr40_sgpr41
                                        ; implicit-def: $sgpr38_sgpr39
	s_and_saveexec_b64 s[14:15], s[44:45]
	s_cbranch_execz .LBB105_194
; %bb.169:                              ;   in Loop: Header=BB105_11 Depth=1
	ds_read_b32 v5, v15 offset:4104
	s_waitcnt lgkmcnt(0)
	s_barrier
	v_readfirstlane_b32 s57, v5
	s_and_saveexec_b64 s[38:39], s[6:7]
; %bb.170:                              ;   in Loop: Header=BB105_11 Depth=1
	ds_write_b16 v24, v15
; %bb.171:                              ;   in Loop: Header=BB105_11 Depth=1
	s_or_b64 exec, exec, s[38:39]
	v_and_b32_e32 v5, v36, v4
	v_lshl_or_b32 v36, 2, v39, v5
	v_or_b32_e32 v42, v42, v2
	s_mov_b64 s[38:39], -1
	s_mov_b64 s[40:41], 0
	s_cmp_eq_u32 s57, 0
	s_mov_b64 s[42:43], 0
	s_waitcnt lgkmcnt(0)
	s_barrier
                                        ; implicit-def: $vgpr43
	s_cbranch_scc1 .LBB105_182
; %bb.172:                              ;   in Loop: Header=BB105_11 Depth=1
	s_add_i32 s42, s57, s89
	s_mul_hi_u32 s43, s42, s25
	s_mul_i32 s43, s43, s67
	s_sub_i32 s43, s42, s43
	s_sub_i32 s46, s43, s67
	s_cmp_ge_u32 s43, s67
	s_cselect_b32 s43, s46, s43
	s_sub_i32 s46, s43, s67
	s_cmp_ge_u32 s43, s67
	s_cselect_b32 s43, s46, s43
	s_sub_i32 s58, s42, s43
	v_cmp_gt_u32_e32 vcc, s58, v0
	s_mov_b64 s[46:47], 0
	s_mov_b64 s[42:43], 0
                                        ; implicit-def: $vgpr43
	s_and_saveexec_b64 s[48:49], vcc
	s_cbranch_execz .LBB105_181
; %bb.173:                              ;   in Loop: Header=BB105_11 Depth=1
	v_mov_b32_e32 v5, v23
	v_mov_b32_e32 v7, v0
                                        ; implicit-def: $sgpr50_sgpr51
	s_branch .LBB105_176
.LBB105_174:                            ;   in Loop: Header=BB105_176 Depth=2
	s_or_b64 exec, exec, s[52:53]
	s_waitcnt lgkmcnt(0)
	s_barrier
	ds_read_b32 v8, v15 offset:3072
	s_mov_b64 s[52:53], -1
	s_waitcnt lgkmcnt(0)
	s_barrier
	v_cmp_ne_u32_sdwa s[54:55], v8, v15 src0_sel:WORD_0 src1_sel:DWORD
	s_and_b64 vcc, exec, s[54:55]
	s_mov_b64 s[54:55], -1
	s_cbranch_vccz .LBB105_179
.LBB105_175:                            ;   in Loop: Header=BB105_176 Depth=2
	s_and_b64 s[52:53], exec, s[52:53]
	s_or_b64 s[42:43], s[52:53], s[42:43]
	s_andn2_b64 s[50:51], s[50:51], exec
	s_and_b64 s[52:53], s[54:55], exec
	s_or_b64 s[50:51], s[50:51], s[52:53]
	s_andn2_b64 exec, exec, s[42:43]
	s_cbranch_execz .LBB105_180
.LBB105_176:                            ;   Parent Loop BB105_11 Depth=1
                                        ; =>  This Inner Loop Header: Depth=2
	v_cmp_gt_u32_e32 vcc, s57, v7
	s_and_saveexec_b64 s[52:53], vcc
	s_cbranch_execz .LBB105_174
; %bb.177:                              ;   in Loop: Header=BB105_176 Depth=2
	ds_read_u16 v8, v5
	s_waitcnt lgkmcnt(0)
	v_add_u32_sdwa v9, sext(v8), s86 dst_sel:DWORD dst_unused:UNUSED_PAD src0_sel:WORD_0 src1_sel:DWORD
	v_and_b32_e32 v9, v9, v42
	v_cmp_eq_u32_e32 vcc, v9, v36
	s_and_b64 exec, exec, vcc
	s_cbranch_execz .LBB105_174
; %bb.178:                              ;   in Loop: Header=BB105_176 Depth=2
	v_perm_b32 v8, v8, 1, v41
	ds_write_b32 v15, v8 offset:3072
	s_branch .LBB105_174
.LBB105_179:                            ;   in Loop: Header=BB105_176 Depth=2
	v_add_u32_e32 v7, s67, v7
	v_cmp_le_u32_e32 vcc, s58, v7
	v_add_u32_e32 v5, s85, v5
	s_mov_b64 s[54:55], 0
	s_orn2_b64 s[52:53], vcc, exec
	s_branch .LBB105_175
.LBB105_180:                            ;   in Loop: Header=BB105_11 Depth=1
	s_or_b64 exec, exec, s[42:43]
	v_lshrrev_b32_e32 v43, 16, v8
	s_and_b64 s[42:43], s[50:51], exec
.LBB105_181:                            ;   in Loop: Header=BB105_11 Depth=1
	s_or_b64 exec, exec, s[48:49]
.LBB105_182:                            ;   in Loop: Header=BB105_11 Depth=1
	s_and_b64 vcc, exec, s[46:47]
	s_cbranch_vccz .LBB105_193
; %bb.183:                              ;   in Loop: Header=BB105_11 Depth=1
                                        ; implicit-def: $vgpr43
	s_mov_b64 s[38:39], exec
	v_readlane_b32 s40, v78, 38
	v_readlane_b32 s41, v78, 39
	s_and_b64 s[40:41], s[38:39], s[40:41]
	s_mov_b64 exec, s[40:41]
	s_cbranch_execz .LBB105_192
; %bb.184:                              ;   in Loop: Header=BB105_11 Depth=1
	s_mov_b64 s[40:41], 0
	v_mov_b32_e32 v14, v12
	v_mov_b32_e32 v5, v0
                                        ; implicit-def: $sgpr46_sgpr47
	s_branch .LBB105_187
.LBB105_185:                            ;   in Loop: Header=BB105_187 Depth=2
	s_or_b64 exec, exec, s[48:49]
	s_waitcnt lgkmcnt(0)
	s_barrier
	ds_read_b32 v7, v15 offset:3072
	s_mov_b64 s[48:49], -1
	s_waitcnt lgkmcnt(0)
	s_barrier
	v_cmp_eq_u32_sdwa s[50:51], v7, v15 src0_sel:WORD_0 src1_sel:DWORD
	s_and_b64 vcc, exec, s[50:51]
	s_mov_b64 s[50:51], -1
	s_cbranch_vccnz .LBB105_190
.LBB105_186:                            ;   in Loop: Header=BB105_187 Depth=2
	s_and_b64 s[48:49], exec, s[48:49]
	s_or_b64 s[40:41], s[48:49], s[40:41]
	s_andn2_b64 s[46:47], s[46:47], exec
	s_and_b64 s[48:49], s[50:51], exec
	s_or_b64 s[46:47], s[46:47], s[48:49]
	s_andn2_b64 exec, exec, s[40:41]
	s_cbranch_execz .LBB105_191
.LBB105_187:                            ;   Parent Loop BB105_11 Depth=1
                                        ; =>  This Inner Loop Header: Depth=2
	v_cmp_gt_u32_e32 vcc, s64, v5
	s_and_saveexec_b64 s[48:49], vcc
	s_cbranch_execz .LBB105_185
; %bb.188:                              ;   in Loop: Header=BB105_187 Depth=2
	v_lshl_add_u64 v[8:9], v[14:15], 1, v[10:11]
	global_load_ushort v7, v[8:9], off
	s_waitcnt vmcnt(0)
	v_add_u32_sdwa v8, sext(v7), s86 dst_sel:DWORD dst_unused:UNUSED_PAD src0_sel:WORD_0 src1_sel:DWORD
	v_and_b32_e32 v8, v8, v42
	v_cmp_eq_u32_e32 vcc, v8, v36
	s_and_b64 exec, exec, vcc
	s_cbranch_execz .LBB105_185
; %bb.189:                              ;   in Loop: Header=BB105_187 Depth=2
	v_perm_b32 v7, v7, 1, v41
	ds_write_b32 v15, v7 offset:3072
	s_branch .LBB105_185
.LBB105_190:                            ;   in Loop: Header=BB105_187 Depth=2
	v_add_u32_e32 v5, s67, v5
	v_cmp_le_u32_e32 vcc, s8, v5
	v_add_u32_e32 v14, s88, v14
	s_mov_b64 s[50:51], 0
	s_orn2_b64 s[48:49], vcc, exec
	s_branch .LBB105_186
.LBB105_191:                            ;   in Loop: Header=BB105_11 Depth=1
	s_or_b64 exec, exec, s[40:41]
	s_andn2_b64 s[40:41], s[42:43], exec
	s_and_b64 s[42:43], s[46:47], exec
	v_lshrrev_b32_e32 v43, 16, v7
	s_or_b64 s[42:43], s[40:41], s[42:43]
.LBB105_192:                            ;   in Loop: Header=BB105_11 Depth=1
	s_or_b64 exec, exec, s[38:39]
	s_mov_b64 s[38:39], 0
	s_mov_b64 s[40:41], -1
.LBB105_193:                            ;   in Loop: Header=BB105_11 Depth=1
	s_orn2_b64 s[46:47], s[42:43], exec
.LBB105_194:                            ;   in Loop: Header=BB105_11 Depth=1
	s_or_b64 exec, exec, s[14:15]
	s_mov_b64 s[14:15], 0
	s_and_saveexec_b64 s[42:43], s[46:47]
	s_cbranch_execz .LBB105_244
; %bb.195:                              ;   in Loop: Header=BB105_11 Depth=1
	s_xor_b64 s[44:45], s[44:45], -1
	s_mov_b64 s[50:51], 0
	v_mov_b32_e32 v5, 1
	v_mov_b32_e32 v3, 1
	s_and_saveexec_b64 s[14:15], s[44:45]
	s_cbranch_execz .LBB105_204
; %bb.196:                              ;   in Loop: Header=BB105_11 Depth=1
	v_cmp_ge_u32_e32 vcc, s56, v6
	s_and_saveexec_b64 s[44:45], vcc
	s_xor_b64 s[44:45], exec, s[44:45]
	s_cbranch_execz .LBB105_201
; %bb.197:                              ;   in Loop: Header=BB105_11 Depth=1
	ds_read_b32 v3, v15 offset:4104
	v_and_b32_e32 v4, v36, v4
	v_lshl_or_b32 v36, 2, v39, v4
	v_or_b32_e32 v42, v42, v2
	s_waitcnt lgkmcnt(0)
	v_cmp_ne_u32_e32 vcc, 0, v3
	s_cbranch_vccnz .LBB105_201
; %bb.198:                              ;   in Loop: Header=BB105_11 Depth=1
	s_and_saveexec_b64 s[46:47], s[22:23]
; %bb.199:                              ;   in Loop: Header=BB105_11 Depth=1
	v_mov_b32_e32 v3, s56
	ds_write_b32 v15, v3 offset:4108
; %bb.200:                              ;   in Loop: Header=BB105_11 Depth=1
	s_or_b64 exec, exec, s[46:47]
	s_waitcnt lgkmcnt(0)
	s_barrier
.LBB105_201:                            ;   in Loop: Header=BB105_11 Depth=1
	s_or_saveexec_b64 s[44:45], s[44:45]
	s_mov_b64 s[46:47], 0
	v_mov_b32_e32 v3, 8
	s_xor_b64 exec, exec, s[44:45]
; %bb.202:                              ;   in Loop: Header=BB105_11 Depth=1
	s_mov_b64 s[46:47], exec
	v_subrev_u32_e32 v6, s56, v6
	v_mov_b32_e32 v3, 0
; %bb.203:                              ;   in Loop: Header=BB105_11 Depth=1
	s_or_b64 exec, exec, s[44:45]
	s_and_b64 s[50:51], s[46:47], exec
	v_mov_b32_e32 v5, v6
.LBB105_204:                            ;   in Loop: Header=BB105_11 Depth=1
	s_or_b64 exec, exec, s[14:15]
	s_mov_b64 s[14:15], -1
                                        ; implicit-def: $sgpr48_sgpr49
                                        ; implicit-def: $sgpr46_sgpr47
	s_and_saveexec_b64 s[44:45], s[50:51]
	s_cbranch_execz .LBB105_243
; %bb.205:                              ;   in Loop: Header=BB105_11 Depth=1
	s_cmp_eq_u32 s21, 1
	s_cselect_b64 s[14:15], -1, 0
	v_cmp_eq_u32_e32 vcc, 1, v5
	s_and_b64 s[50:51], s[14:15], vcc
	s_mov_b64 s[52:53], -1
                                        ; implicit-def: $sgpr48_sgpr49
                                        ; implicit-def: $sgpr46_sgpr47
	s_and_saveexec_b64 s[14:15], s[50:51]
	s_cbranch_execz .LBB105_231
; %bb.206:                              ;   in Loop: Header=BB105_11 Depth=1
	ds_read_b32 v4, v15 offset:4104
	s_waitcnt lgkmcnt(0)
	s_barrier
	v_readfirstlane_b32 s72, v4
	s_and_saveexec_b64 s[46:47], s[6:7]
; %bb.207:                              ;   in Loop: Header=BB105_11 Depth=1
	ds_write_b16 v24, v15
; %bb.208:                              ;   in Loop: Header=BB105_11 Depth=1
	s_or_b64 exec, exec, s[46:47]
	v_or_b32_e32 v36, v36, v2
	v_or_b32_e32 v42, v42, v2
	s_mov_b64 s[46:47], -1
	s_mov_b64 s[48:49], 0
	s_cmp_eq_u32 s72, 0
	s_mov_b64 s[52:53], 0
	s_mov_b64 s[54:55], -1
	s_waitcnt lgkmcnt(0)
	s_barrier
                                        ; implicit-def: $vgpr43
	s_cbranch_scc1 .LBB105_219
; %bb.209:                              ;   in Loop: Header=BB105_11 Depth=1
	s_add_i32 s52, s72, s89
	s_mul_hi_u32 s53, s52, s25
	s_mul_i32 s53, s53, s67
	s_sub_i32 s53, s52, s53
	s_sub_i32 s54, s53, s67
	s_cmp_ge_u32 s53, s67
	s_cselect_b32 s53, s54, s53
	s_sub_i32 s54, s53, s67
	s_cmp_ge_u32 s53, s67
	s_cselect_b32 s53, s54, s53
	s_sub_i32 s73, s52, s53
	v_cmp_gt_u32_e32 vcc, s73, v0
	s_mov_b64 s[54:55], 0
	s_mov_b64 s[52:53], 0
                                        ; implicit-def: $vgpr43
	s_and_saveexec_b64 s[56:57], vcc
	s_cbranch_execz .LBB105_218
; %bb.210:                              ;   in Loop: Header=BB105_11 Depth=1
	v_mov_b32_e32 v4, v23
	v_mov_b32_e32 v6, v0
                                        ; implicit-def: $sgpr58_sgpr59
	s_branch .LBB105_213
.LBB105_211:                            ;   in Loop: Header=BB105_213 Depth=2
	s_or_b64 exec, exec, s[60:61]
	s_waitcnt lgkmcnt(0)
	s_barrier
	ds_read_b32 v7, v15 offset:3072
	s_mov_b64 s[60:61], -1
	s_waitcnt lgkmcnt(0)
	s_barrier
	v_cmp_ne_u32_sdwa s[62:63], v7, v15 src0_sel:WORD_0 src1_sel:DWORD
	s_and_b64 vcc, exec, s[62:63]
	s_mov_b64 s[62:63], -1
	s_cbranch_vccz .LBB105_216
.LBB105_212:                            ;   in Loop: Header=BB105_213 Depth=2
	s_and_b64 s[60:61], exec, s[60:61]
	s_or_b64 s[52:53], s[60:61], s[52:53]
	s_andn2_b64 s[58:59], s[58:59], exec
	s_and_b64 s[60:61], s[62:63], exec
	s_or_b64 s[58:59], s[58:59], s[60:61]
	s_andn2_b64 exec, exec, s[52:53]
	s_cbranch_execz .LBB105_217
.LBB105_213:                            ;   Parent Loop BB105_11 Depth=1
                                        ; =>  This Inner Loop Header: Depth=2
	v_cmp_gt_u32_e32 vcc, s72, v6
	s_and_saveexec_b64 s[60:61], vcc
	s_cbranch_execz .LBB105_211
; %bb.214:                              ;   in Loop: Header=BB105_213 Depth=2
	ds_read_u16 v7, v4
	s_waitcnt lgkmcnt(0)
	v_add_u32_sdwa v8, sext(v7), s86 dst_sel:DWORD dst_unused:UNUSED_PAD src0_sel:WORD_0 src1_sel:DWORD
	v_and_b32_e32 v8, v8, v42
	v_cmp_eq_u32_e32 vcc, v8, v36
	s_and_b64 exec, exec, vcc
	s_cbranch_execz .LBB105_211
; %bb.215:                              ;   in Loop: Header=BB105_213 Depth=2
	v_perm_b32 v7, v7, 1, v41
	ds_write_b32 v15, v7 offset:3072
	s_branch .LBB105_211
.LBB105_216:                            ;   in Loop: Header=BB105_213 Depth=2
	v_add_u32_e32 v6, s67, v6
	v_cmp_le_u32_e32 vcc, s73, v6
	v_add_u32_e32 v4, s85, v4
	s_mov_b64 s[62:63], 0
	s_orn2_b64 s[60:61], vcc, exec
	s_branch .LBB105_212
.LBB105_217:                            ;   in Loop: Header=BB105_11 Depth=1
	s_or_b64 exec, exec, s[52:53]
	v_lshrrev_b32_e32 v43, 16, v7
	s_and_b64 s[52:53], s[58:59], exec
.LBB105_218:                            ;   in Loop: Header=BB105_11 Depth=1
	s_or_b64 exec, exec, s[56:57]
.LBB105_219:                            ;   in Loop: Header=BB105_11 Depth=1
	s_and_b64 vcc, exec, s[54:55]
	s_cbranch_vccz .LBB105_230
; %bb.220:                              ;   in Loop: Header=BB105_11 Depth=1
                                        ; implicit-def: $vgpr43
	s_mov_b64 s[46:47], exec
	v_readlane_b32 s48, v78, 38
	v_readlane_b32 s49, v78, 39
	s_and_b64 s[48:49], s[46:47], s[48:49]
	s_mov_b64 exec, s[48:49]
	s_cbranch_execz .LBB105_229
; %bb.221:                              ;   in Loop: Header=BB105_11 Depth=1
	s_mov_b64 s[48:49], 0
	v_mov_b32_e32 v14, v12
	v_mov_b32_e32 v4, v0
                                        ; implicit-def: $sgpr54_sgpr55
	s_branch .LBB105_224
.LBB105_222:                            ;   in Loop: Header=BB105_224 Depth=2
	s_or_b64 exec, exec, s[56:57]
	s_waitcnt lgkmcnt(0)
	s_barrier
	ds_read_b32 v6, v15 offset:3072
	s_mov_b64 s[56:57], -1
	s_waitcnt lgkmcnt(0)
	s_barrier
	v_cmp_eq_u32_sdwa s[58:59], v6, v15 src0_sel:WORD_0 src1_sel:DWORD
	s_and_b64 vcc, exec, s[58:59]
	s_mov_b64 s[58:59], -1
	s_cbranch_vccnz .LBB105_227
.LBB105_223:                            ;   in Loop: Header=BB105_224 Depth=2
	s_and_b64 s[56:57], exec, s[56:57]
	s_or_b64 s[48:49], s[56:57], s[48:49]
	s_andn2_b64 s[54:55], s[54:55], exec
	s_and_b64 s[56:57], s[58:59], exec
	s_or_b64 s[54:55], s[54:55], s[56:57]
	s_andn2_b64 exec, exec, s[48:49]
	s_cbranch_execz .LBB105_228
.LBB105_224:                            ;   Parent Loop BB105_11 Depth=1
                                        ; =>  This Inner Loop Header: Depth=2
	v_cmp_gt_u32_e32 vcc, s64, v4
	s_and_saveexec_b64 s[56:57], vcc
	s_cbranch_execz .LBB105_222
; %bb.225:                              ;   in Loop: Header=BB105_224 Depth=2
	v_lshl_add_u64 v[6:7], v[14:15], 1, v[10:11]
	global_load_ushort v6, v[6:7], off
	s_waitcnt vmcnt(0)
	v_add_u32_sdwa v7, sext(v6), s86 dst_sel:DWORD dst_unused:UNUSED_PAD src0_sel:WORD_0 src1_sel:DWORD
	v_and_b32_e32 v7, v7, v42
	v_cmp_eq_u32_e32 vcc, v7, v36
	s_and_b64 exec, exec, vcc
	s_cbranch_execz .LBB105_222
; %bb.226:                              ;   in Loop: Header=BB105_224 Depth=2
	v_perm_b32 v6, v6, 1, v41
	ds_write_b32 v15, v6 offset:3072
	s_branch .LBB105_222
.LBB105_227:                            ;   in Loop: Header=BB105_224 Depth=2
	v_add_u32_e32 v4, s67, v4
	v_cmp_le_u32_e32 vcc, s8, v4
	v_add_u32_e32 v14, s88, v14
	s_mov_b64 s[58:59], 0
	s_orn2_b64 s[56:57], vcc, exec
	s_branch .LBB105_223
.LBB105_228:                            ;   in Loop: Header=BB105_11 Depth=1
	s_or_b64 exec, exec, s[48:49]
	s_andn2_b64 s[48:49], s[52:53], exec
	s_and_b64 s[52:53], s[54:55], exec
	v_lshrrev_b32_e32 v43, 16, v6
	s_or_b64 s[52:53], s[48:49], s[52:53]
.LBB105_229:                            ;   in Loop: Header=BB105_11 Depth=1
	s_or_b64 exec, exec, s[46:47]
	s_mov_b64 s[46:47], 0
	s_mov_b64 s[48:49], -1
.LBB105_230:                            ;   in Loop: Header=BB105_11 Depth=1
	s_orn2_b64 s[52:53], s[52:53], exec
.LBB105_231:                            ;   in Loop: Header=BB105_11 Depth=1
	s_or_b64 exec, exec, s[14:15]
	s_mov_b64 s[54:55], 0
	s_and_saveexec_b64 s[14:15], s[52:53]
	s_cbranch_execz .LBB105_242
; %bb.232:                              ;   in Loop: Header=BB105_11 Depth=1
	s_xor_b64 s[52:53], s[50:51], -1
	v_mov_b32_e32 v3, 1
	v_mov_b32_e32 v4, 1
	s_and_saveexec_b64 s[50:51], s[52:53]
	s_cbranch_execz .LBB105_241
; %bb.233:                              ;   in Loop: Header=BB105_11 Depth=1
	v_cmp_ge_u32_e32 vcc, s21, v5
	s_and_saveexec_b64 s[52:53], vcc
	s_xor_b64 s[52:53], exec, s[52:53]
	s_cbranch_execz .LBB105_238
; %bb.234:                              ;   in Loop: Header=BB105_11 Depth=1
	ds_read_b32 v3, v15 offset:4104
	v_or_b32_e32 v36, v36, v2
	v_or_b32_e32 v42, v42, v2
	s_waitcnt lgkmcnt(0)
	v_cmp_ne_u32_e32 vcc, 0, v3
	s_cbranch_vccnz .LBB105_238
; %bb.235:                              ;   in Loop: Header=BB105_11 Depth=1
	s_and_saveexec_b64 s[54:55], s[22:23]
; %bb.236:                              ;   in Loop: Header=BB105_11 Depth=1
	v_mov_b32_e32 v2, s21
	ds_write_b32 v15, v2 offset:4108
; %bb.237:                              ;   in Loop: Header=BB105_11 Depth=1
	s_or_b64 exec, exec, s[54:55]
	s_waitcnt lgkmcnt(0)
	s_barrier
.LBB105_238:                            ;   in Loop: Header=BB105_11 Depth=1
	s_andn2_saveexec_b64 s[52:53], s[52:53]
; %bb.239:                              ;   in Loop: Header=BB105_11 Depth=1
	v_subrev_u32_e32 v5, s21, v5
; %bb.240:                              ;   in Loop: Header=BB105_11 Depth=1
	s_or_b64 exec, exec, s[52:53]
	v_mov_b32_e32 v3, 8
	v_mov_b32_e32 v4, v5
.LBB105_241:                            ;   in Loop: Header=BB105_11 Depth=1
	s_or_b64 exec, exec, s[50:51]
	s_mov_b64 s[54:55], exec
	v_mov_b32_e32 v5, v4
.LBB105_242:                            ;   in Loop: Header=BB105_11 Depth=1
	s_or_b64 exec, exec, s[14:15]
	s_orn2_b64 s[14:15], s[54:55], exec
.LBB105_243:                            ;   in Loop: Header=BB105_11 Depth=1
	s_or_b64 exec, exec, s[44:45]
	s_andn2_b64 s[40:41], s[40:41], exec
	s_and_b64 s[44:45], s[48:49], exec
	s_or_b64 s[40:41], s[40:41], s[44:45]
	s_andn2_b64 s[38:39], s[38:39], exec
	s_and_b64 s[44:45], s[46:47], exec
	s_or_b64 s[38:39], s[38:39], s[44:45]
	s_and_b64 s[14:15], s[14:15], exec
	v_mov_b32_e32 v6, v5
.LBB105_244:                            ;   in Loop: Header=BB105_11 Depth=1
	s_or_b64 exec, exec, s[42:43]
	s_orn2_b64 s[14:15], s[14:15], exec
.LBB105_245:                            ;   in Loop: Header=BB105_11 Depth=1
	s_or_b64 exec, exec, s[36:37]
	s_andn2_b64 s[30:31], s[30:31], exec
	s_and_b64 s[36:37], s[40:41], exec
	s_or_b64 s[30:31], s[30:31], s[36:37]
	s_andn2_b64 s[28:29], s[28:29], exec
	s_and_b64 s[36:37], s[38:39], exec
	s_or_b64 s[28:29], s[28:29], s[36:37]
	s_and_b64 s[14:15], s[14:15], exec
	v_mov_b32_e32 v5, v6
.LBB105_246:                            ;   in Loop: Header=BB105_11 Depth=1
	s_or_b64 exec, exec, s[34:35]
	s_orn2_b64 s[14:15], s[14:15], exec
.LBB105_247:                            ;   in Loop: Header=BB105_11 Depth=1
	s_or_b64 exec, exec, s[26:27]
	s_mov_b64 s[26:27], 0
                                        ; implicit-def: $sgpr36
	s_and_saveexec_b64 s[34:35], s[14:15]
	s_xor_b64 s[14:15], exec, s[34:35]
	s_cbranch_execz .LBB105_9
; %bb.248:                              ;   in Loop: Header=BB105_11 Depth=1
	v_and_b32_e32 v2, 7, v3
	v_cmp_eq_u32_e32 vcc, 0, v2
	s_mov_b64 s[2:3], -1
	s_mov_b64 s[26:27], -1
                                        ; implicit-def: $sgpr36
	s_and_saveexec_b64 s[34:35], vcc
	s_cbranch_execz .LBB105_8
; %bb.249:                              ;   in Loop: Header=BB105_11 Depth=1
	v_add_u32_e32 v2, -2, v39
	v_cmp_eq_u32_e32 vcc, 0, v39
	s_xor_b32 s36, s20, 1
	s_xor_b64 s[26:27], exec, -1
	s_orn2_b64 s[2:3], vcc, exec
	v_mov_b32_e32 v39, v2
	s_branch .LBB105_8
.LBB105_250:
	s_or_b64 exec, exec, s[94:95]
	s_xor_b64 s[6:7], s[68:69], -1
	s_xor_b64 s[0:1], s[96:97], -1
	;; [unrolled: 1-line block ×3, first 2 shown]
	s_mov_b64 s[2:3], 0
	s_and_saveexec_b64 s[8:9], s[0:1]
	s_xor_b64 s[0:1], exec, s[8:9]
	s_cbranch_execnz .LBB105_255
; %bb.251:
	s_andn2_saveexec_b64 s[0:1], s[0:1]
	s_cbranch_execnz .LBB105_268
.LBB105_252:
	s_or_b64 exec, exec, s[0:1]
	s_and_saveexec_b64 s[0:1], s[2:3]
.LBB105_253:
	; divergent unreachable
.LBB105_254:
	s_endpgm
.LBB105_255:
	s_and_saveexec_b64 s[2:3], s[6:7]
	s_xor_b64 s[2:3], exec, s[2:3]
	s_cbranch_execz .LBB105_266
; %bb.256:
	s_and_saveexec_b64 s[6:7], s[4:5]
	s_xor_b64 s[4:5], exec, s[6:7]
; %bb.257:
	v_xor_b32_e32 v43, 0xffff8000, v36
; %bb.258:
	s_or_b64 exec, exec, s[4:5]
	v_readlane_b32 s7, v78, 0
	v_readlane_b32 s8, v78, 10
	s_mul_i32 s4, s8, s7
	s_sub_i32 s4, s81, s4
	s_add_i32 s5, s8, 1
	s_sub_i32 s6, s4, s7
	s_cmp_ge_u32 s4, s7
	s_cselect_b32 s5, s5, s8
	s_cselect_b32 s4, s6, s4
	s_add_i32 s6, s5, 1
	s_cmp_ge_u32 s4, s7
	s_cselect_b32 s4, s6, s5
	s_mul_i32 s5, s4, s7
	v_readlane_b32 s6, v78, 6
	s_sub_i32 s5, s81, s5
	v_readlane_b32 s7, v78, 7
	s_mul_i32 s5, s5, s7
	s_mul_i32 s4, s4, s6
	s_add_i32 s4, s4, s5
	s_mov_b32 s5, 0
	s_lshl_b64 s[4:5], s[4:5], 1
	v_readlane_b32 s6, v78, 8
	v_readlane_b32 s7, v78, 9
	s_add_u32 s4, s6, s4
	s_addc_u32 s5, s7, s5
	v_mov_b32_e32 v13, 0
	global_store_short v13, v43, s[4:5]
	s_mov_b64 s[4:5], exec
	v_readlane_b32 s6, v78, 12
	v_readlane_b32 s7, v78, 13
	s_and_b64 s[6:7], s[4:5], s[6:7]
	s_mov_b64 exec, s[6:7]
	s_cbranch_execz .LBB105_265
; %bb.259:
	s_mov_b64 s[6:7], 0
                                        ; implicit-def: $sgpr8_sgpr9
                                        ; implicit-def: $sgpr12_sgpr13
                                        ; implicit-def: $sgpr10_sgpr11
	s_branch .LBB105_261
.LBB105_260:                            ;   in Loop: Header=BB105_261 Depth=1
	s_or_b64 exec, exec, s[14:15]
	s_and_b64 s[14:15], exec, s[12:13]
	s_or_b64 s[6:7], s[14:15], s[6:7]
	s_andn2_b64 s[8:9], s[8:9], exec
	s_and_b64 s[14:15], s[10:11], exec
	s_or_b64 s[8:9], s[8:9], s[14:15]
	s_andn2_b64 exec, exec, s[6:7]
	s_cbranch_execz .LBB105_263
.LBB105_261:                            ; =>This Inner Loop Header: Depth=1
	v_lshl_add_u64 v[2:3], v[12:13], 1, v[10:11]
	global_load_ushort v1, v[2:3], off
	v_mov_b32_e32 v2, v0
	s_or_b64 s[10:11], s[10:11], exec
	s_or_b64 s[12:13], s[12:13], exec
                                        ; implicit-def: $vgpr0
	s_waitcnt vmcnt(0)
	v_cmp_ne_u16_e32 vcc, v1, v43
	s_and_saveexec_b64 s[14:15], vcc
	s_cbranch_execz .LBB105_260
; %bb.262:                              ;   in Loop: Header=BB105_261 Depth=1
	v_add_u32_e32 v0, s67, v2
	v_cmp_le_u32_e32 vcc, s64, v0
	s_andn2_b64 s[12:13], s[12:13], exec
	s_and_b64 s[16:17], vcc, exec
	v_add_u32_e32 v12, s88, v12
	s_andn2_b64 s[10:11], s[10:11], exec
	s_or_b64 s[12:13], s[12:13], s[16:17]
	s_branch .LBB105_260
.LBB105_263:
	s_or_b64 exec, exec, s[6:7]
	s_and_saveexec_b64 s[6:7], s[8:9]
	s_xor_b64 s[6:7], exec, s[6:7]
	s_cbranch_execz .LBB105_265
; %bb.264:
	v_readlane_b32 s9, v78, 1
	v_readlane_b32 s10, v78, 11
	s_mul_i32 s6, s10, s9
	s_sub_i32 s6, s81, s6
	s_add_i32 s7, s10, 1
	s_sub_i32 s8, s6, s9
	s_cmp_ge_u32 s6, s9
	s_cselect_b32 s7, s7, s10
	s_cselect_b32 s6, s8, s6
	s_add_i32 s8, s7, 1
	s_cmp_ge_u32 s6, s9
	s_cselect_b32 s6, s8, s7
	s_mul_i32 s7, s6, s9
	v_readlane_b32 s8, v78, 2
	s_sub_i32 s7, s81, s7
	v_readlane_b32 s9, v78, 3
	s_mul_i32 s7, s7, s9
	s_mul_i32 s6, s6, s8
	s_add_i32 s6, s6, s7
	s_mov_b32 s7, 0
	s_lshl_b64 s[6:7], s[6:7], 3
	v_readlane_b32 s8, v78, 4
	v_readlane_b32 s9, v78, 5
	s_add_u32 s6, s8, s6
	s_addc_u32 s7, s9, s7
	v_mov_b32_e32 v3, 0
	global_store_dwordx2 v3, v[2:3], s[6:7]
.LBB105_265:
	s_or_b64 exec, exec, s[4:5]
.LBB105_266:
	s_or_saveexec_b64 s[2:3], s[2:3]
	s_mov_b64 s[4:5], 0
	s_xor_b64 exec, exec, s[2:3]
	s_cbranch_execnz .LBB105_269
.LBB105_267:
	s_or_b64 exec, exec, s[2:3]
	s_and_b64 s[2:3], s[4:5], exec
	s_andn2_saveexec_b64 s[0:1], s[0:1]
	s_cbranch_execz .LBB105_252
.LBB105_268:
	s_or_b64 s[2:3], s[2:3], exec
	s_trap 2
	s_or_b64 exec, exec, s[0:1]
	s_and_saveexec_b64 s[0:1], s[2:3]
	s_cbranch_execnz .LBB105_253
	s_branch .LBB105_254
.LBB105_269:
	s_mov_b64 s[4:5], exec
	s_trap 2
	s_branch .LBB105_267
	.section	.rodata,"a",@progbits
	.p2align	6, 0x0
	.amdhsa_kernel _ZN2at6native12_GLOBAL__N_112gatherMedianIsjLi2EEEvNS_4cuda6detail10TensorInfoIT_T0_EENS5_IlS7_EENS5_IKS6_S7_EES7_S7_S7_b
		.amdhsa_group_segment_fixed_size 4120
		.amdhsa_private_segment_fixed_size 0
		.amdhsa_kernarg_size 920
		.amdhsa_user_sgpr_count 2
		.amdhsa_user_sgpr_dispatch_ptr 0
		.amdhsa_user_sgpr_queue_ptr 0
		.amdhsa_user_sgpr_kernarg_segment_ptr 1
		.amdhsa_user_sgpr_dispatch_id 0
		.amdhsa_user_sgpr_kernarg_preload_length 0
		.amdhsa_user_sgpr_kernarg_preload_offset 0
		.amdhsa_user_sgpr_private_segment_size 0
		.amdhsa_uses_dynamic_stack 0
		.amdhsa_enable_private_segment 0
		.amdhsa_system_sgpr_workgroup_id_x 1
		.amdhsa_system_sgpr_workgroup_id_y 1
		.amdhsa_system_sgpr_workgroup_id_z 1
		.amdhsa_system_sgpr_workgroup_info 0
		.amdhsa_system_vgpr_workitem_id 0
		.amdhsa_next_free_vgpr 79
		.amdhsa_next_free_sgpr 100
		.amdhsa_accum_offset 80
		.amdhsa_reserve_vcc 1
		.amdhsa_float_round_mode_32 0
		.amdhsa_float_round_mode_16_64 0
		.amdhsa_float_denorm_mode_32 3
		.amdhsa_float_denorm_mode_16_64 3
		.amdhsa_dx10_clamp 1
		.amdhsa_ieee_mode 1
		.amdhsa_fp16_overflow 0
		.amdhsa_tg_split 0
		.amdhsa_exception_fp_ieee_invalid_op 0
		.amdhsa_exception_fp_denorm_src 0
		.amdhsa_exception_fp_ieee_div_zero 0
		.amdhsa_exception_fp_ieee_overflow 0
		.amdhsa_exception_fp_ieee_underflow 0
		.amdhsa_exception_fp_ieee_inexact 0
		.amdhsa_exception_int_div_zero 0
	.end_amdhsa_kernel
	.section	.text._ZN2at6native12_GLOBAL__N_112gatherMedianIsjLi2EEEvNS_4cuda6detail10TensorInfoIT_T0_EENS5_IlS7_EENS5_IKS6_S7_EES7_S7_S7_b,"axG",@progbits,_ZN2at6native12_GLOBAL__N_112gatherMedianIsjLi2EEEvNS_4cuda6detail10TensorInfoIT_T0_EENS5_IlS7_EENS5_IKS6_S7_EES7_S7_S7_b,comdat
.Lfunc_end105:
	.size	_ZN2at6native12_GLOBAL__N_112gatherMedianIsjLi2EEEvNS_4cuda6detail10TensorInfoIT_T0_EENS5_IlS7_EENS5_IKS6_S7_EES7_S7_S7_b, .Lfunc_end105-_ZN2at6native12_GLOBAL__N_112gatherMedianIsjLi2EEEvNS_4cuda6detail10TensorInfoIT_T0_EENS5_IlS7_EENS5_IKS6_S7_EES7_S7_S7_b
                                        ; -- End function
	.set _ZN2at6native12_GLOBAL__N_112gatherMedianIsjLi2EEEvNS_4cuda6detail10TensorInfoIT_T0_EENS5_IlS7_EENS5_IKS6_S7_EES7_S7_S7_b.num_vgpr, 79
	.set _ZN2at6native12_GLOBAL__N_112gatherMedianIsjLi2EEEvNS_4cuda6detail10TensorInfoIT_T0_EENS5_IlS7_EENS5_IKS6_S7_EES7_S7_S7_b.num_agpr, 0
	.set _ZN2at6native12_GLOBAL__N_112gatherMedianIsjLi2EEEvNS_4cuda6detail10TensorInfoIT_T0_EENS5_IlS7_EENS5_IKS6_S7_EES7_S7_S7_b.numbered_sgpr, 100
	.set _ZN2at6native12_GLOBAL__N_112gatherMedianIsjLi2EEEvNS_4cuda6detail10TensorInfoIT_T0_EENS5_IlS7_EENS5_IKS6_S7_EES7_S7_S7_b.num_named_barrier, 0
	.set _ZN2at6native12_GLOBAL__N_112gatherMedianIsjLi2EEEvNS_4cuda6detail10TensorInfoIT_T0_EENS5_IlS7_EENS5_IKS6_S7_EES7_S7_S7_b.private_seg_size, 0
	.set _ZN2at6native12_GLOBAL__N_112gatherMedianIsjLi2EEEvNS_4cuda6detail10TensorInfoIT_T0_EENS5_IlS7_EENS5_IKS6_S7_EES7_S7_S7_b.uses_vcc, 1
	.set _ZN2at6native12_GLOBAL__N_112gatherMedianIsjLi2EEEvNS_4cuda6detail10TensorInfoIT_T0_EENS5_IlS7_EENS5_IKS6_S7_EES7_S7_S7_b.uses_flat_scratch, 0
	.set _ZN2at6native12_GLOBAL__N_112gatherMedianIsjLi2EEEvNS_4cuda6detail10TensorInfoIT_T0_EENS5_IlS7_EENS5_IKS6_S7_EES7_S7_S7_b.has_dyn_sized_stack, 0
	.set _ZN2at6native12_GLOBAL__N_112gatherMedianIsjLi2EEEvNS_4cuda6detail10TensorInfoIT_T0_EENS5_IlS7_EENS5_IKS6_S7_EES7_S7_S7_b.has_recursion, 0
	.set _ZN2at6native12_GLOBAL__N_112gatherMedianIsjLi2EEEvNS_4cuda6detail10TensorInfoIT_T0_EENS5_IlS7_EENS5_IKS6_S7_EES7_S7_S7_b.has_indirect_call, 0
	.section	.AMDGPU.csdata,"",@progbits
; Kernel info:
; codeLenInByte = 10920
; TotalNumSgprs: 106
; NumVgprs: 79
; NumAgprs: 0
; TotalNumVgprs: 79
; ScratchSize: 0
; MemoryBound: 0
; FloatMode: 240
; IeeeMode: 1
; LDSByteSize: 4120 bytes/workgroup (compile time only)
; SGPRBlocks: 13
; VGPRBlocks: 9
; NumSGPRsForWavesPerEU: 106
; NumVGPRsForWavesPerEU: 79
; AccumOffset: 80
; Occupancy: 6
; WaveLimiterHint : 1
; COMPUTE_PGM_RSRC2:SCRATCH_EN: 0
; COMPUTE_PGM_RSRC2:USER_SGPR: 2
; COMPUTE_PGM_RSRC2:TRAP_HANDLER: 0
; COMPUTE_PGM_RSRC2:TGID_X_EN: 1
; COMPUTE_PGM_RSRC2:TGID_Y_EN: 1
; COMPUTE_PGM_RSRC2:TGID_Z_EN: 1
; COMPUTE_PGM_RSRC2:TIDIG_COMP_CNT: 0
; COMPUTE_PGM_RSRC3_GFX90A:ACCUM_OFFSET: 19
; COMPUTE_PGM_RSRC3_GFX90A:TG_SPLIT: 0
	.section	.text._ZN2at6native12_GLOBAL__N_112gatherMedianIsjLi3EEEvNS_4cuda6detail10TensorInfoIT_T0_EENS5_IlS7_EENS5_IKS6_S7_EES7_S7_S7_b,"axG",@progbits,_ZN2at6native12_GLOBAL__N_112gatherMedianIsjLi3EEEvNS_4cuda6detail10TensorInfoIT_T0_EENS5_IlS7_EENS5_IKS6_S7_EES7_S7_S7_b,comdat
	.globl	_ZN2at6native12_GLOBAL__N_112gatherMedianIsjLi3EEEvNS_4cuda6detail10TensorInfoIT_T0_EENS5_IlS7_EENS5_IKS6_S7_EES7_S7_S7_b ; -- Begin function _ZN2at6native12_GLOBAL__N_112gatherMedianIsjLi3EEEvNS_4cuda6detail10TensorInfoIT_T0_EENS5_IlS7_EENS5_IKS6_S7_EES7_S7_S7_b
	.p2align	8
	.type	_ZN2at6native12_GLOBAL__N_112gatherMedianIsjLi3EEEvNS_4cuda6detail10TensorInfoIT_T0_EENS5_IlS7_EENS5_IKS6_S7_EES7_S7_S7_b,@function
_ZN2at6native12_GLOBAL__N_112gatherMedianIsjLi3EEEvNS_4cuda6detail10TensorInfoIT_T0_EENS5_IlS7_EENS5_IKS6_S7_EES7_S7_S7_b: ; @_ZN2at6native12_GLOBAL__N_112gatherMedianIsjLi3EEEvNS_4cuda6detail10TensorInfoIT_T0_EENS5_IlS7_EENS5_IKS6_S7_EES7_S7_S7_b
; %bb.0:
	s_load_dwordx2 s[10:11], s[0:1], 0x298
	s_load_dwordx4 s[64:67], s[0:1], 0x288
	s_add_u32 s8, s0, 0x298
	s_addc_u32 s9, s1, 0
	s_waitcnt lgkmcnt(0)
	s_mul_i32 s4, s11, s4
	s_add_i32 s3, s4, s3
	s_mul_i32 s3, s3, s10
	s_add_i32 s89, s3, s2
	s_cmp_ge_u32 s89, s65
	s_cbranch_scc1 .LBB106_254
; %bb.1:
	s_load_dwordx2 s[16:17], s[0:1], 0xc
	s_load_dwordx2 s[12:13], s[0:1], 0x1bc
	;; [unrolled: 1-line block ×3, first 2 shown]
	s_load_dwordx4 s[4:7], s[0:1], 0x21c
                                        ; implicit-def: $vgpr78 : SGPR spill to VGPR lane
	v_cmp_eq_u32_e64 s[22:23], 0, v0
	s_waitcnt lgkmcnt(0)
	v_cvt_f32_u32_e32 v3, s19
	v_cvt_f32_u32_e32 v1, s17
	s_sub_i32 s3, 0, s17
	v_cvt_f32_u32_e32 v2, s16
	v_rcp_iflag_f32_e32 v3, v3
	v_rcp_iflag_f32_e32 v1, v1
	;; [unrolled: 1-line block ×3, first 2 shown]
	v_mul_f32_e32 v1, 0x4f7ffffe, v1
	v_cvt_u32_f32_e32 v1, v1
	v_mul_f32_e32 v2, 0x4f7ffffe, v2
	v_cvt_u32_f32_e32 v2, v2
	v_readfirstlane_b32 s7, v1
	s_mul_i32 s3, s3, s7
	s_mul_hi_u32 s3, s7, s3
	s_add_i32 s7, s7, s3
	s_mul_hi_u32 s3, s89, s7
	s_mul_i32 s7, s3, s17
	s_sub_i32 s7, s89, s7
	s_add_i32 s11, s3, 1
	s_sub_i32 s14, s7, s17
	v_mul_f32_e32 v1, 0x4f7ffffe, v3
	s_cmp_ge_u32 s7, s17
	v_cvt_u32_f32_e32 v1, v1
	s_cselect_b32 s3, s11, s3
	s_cselect_b32 s7, s14, s7
	s_add_i32 s11, s3, 1
	s_cmp_ge_u32 s7, s17
	s_cselect_b32 s3, s11, s3
	s_sub_i32 s11, 0, s19
	v_readfirstlane_b32 s14, v1
	v_cvt_f32_u32_e32 v1, s18
	s_mul_i32 s11, s11, s14
	s_mul_hi_u32 s11, s14, s11
	s_add_i32 s14, s14, s11
	s_mul_hi_u32 s11, s89, s14
	v_rcp_iflag_f32_e32 v1, v1
	v_writelane_b32 v78, s3, 0
	v_readfirstlane_b32 s3, v2
	s_mul_i32 s14, s11, s19
	v_cvt_f32_u32_e32 v2, s13
	v_writelane_b32 v78, s16, 1
	s_sub_i32 s14, s89, s14
	s_sub_i32 s7, 0, s16
	v_writelane_b32 v78, s17, 2
	s_add_i32 s15, s11, 1
	s_sub_i32 s16, s14, s19
	s_cmp_ge_u32 s14, s19
	v_mul_f32_e32 v1, 0x4f7ffffe, v1
	s_cselect_b32 s11, s15, s11
	v_cvt_u32_f32_e32 v1, v1
	v_rcp_iflag_f32_e32 v2, v2
	s_cselect_b32 s14, s16, s14
	s_add_i32 s15, s11, 1
	s_cmp_ge_u32 s14, s19
	s_cselect_b32 s11, s15, s11
	v_writelane_b32 v78, s11, 3
	v_readfirstlane_b32 s11, v1
	v_mul_f32_e32 v1, 0x4f7ffffe, v2
	v_cvt_f32_u32_e32 v3, s12
	v_cvt_u32_f32_e32 v1, v1
	v_writelane_b32 v78, s18, 4
	s_sub_i32 s14, 0, s18
	s_mul_i32 s14, s14, s11
	s_mul_hi_u32 s16, s11, s14
	s_sub_i32 s14, 0, s13
	v_rcp_iflag_f32_e32 v3, v3
	v_mul_lo_u32 v2, s14, v1
	v_mul_hi_u32 v2, v1, v2
	v_add_u32_e32 v1, v1, v2
	v_mul_hi_u32 v1, s89, v1
	v_mul_f32_e32 v3, 0x4f7ffffe, v3
	v_mul_lo_u32 v2, v1, s13
	v_cvt_u32_f32_e32 v3, v3
	v_sub_u32_e32 v2, s89, v2
	v_subrev_u32_e32 v5, s13, v2
	v_cmp_le_u32_e32 vcc, s13, v2
	v_add_u32_e32 v4, 1, v1
	s_sub_i32 s14, 0, s12
	v_cndmask_b32_e32 v2, v2, v5, vcc
	v_cndmask_b32_e32 v1, v1, v4, vcc
	v_cmp_le_u32_e32 vcc, s13, v2
	v_mul_lo_u32 v2, s14, v3
	s_mul_i32 s7, s7, s3
	v_add_u32_e32 v4, 1, v1
	v_mul_hi_u32 v2, v3, v2
	s_mul_hi_u32 s7, s3, s7
	v_cndmask_b32_e32 v1, v1, v4, vcc
	v_add_u32_e32 v2, v3, v2
	v_writelane_b32 v78, s19, 5
	s_and_saveexec_b64 s[14:15], s[22:23]
; %bb.2:
	v_mov_b32_e32 v4, 0
	v_mov_b32_e32 v5, v4
	ds_write_b64 v4, v[4:5] offset:4096
; %bb.3:
	s_or_b64 exec, exec, s[14:15]
	s_load_dwordx4 s[24:27], s[0:1], 0x144
	v_mov_b32_e32 v3, 0
	s_waitcnt lgkmcnt(0)
	s_barrier
	v_writelane_b32 v78, s24, 6
	s_barrier
	s_nop 0
	v_writelane_b32 v78, s25, 7
	v_writelane_b32 v78, s26, 8
	ds_read_b64 v[4:5], v3 offset:4096
	v_writelane_b32 v78, s27, 9
	s_load_dwordx4 s[24:27], s[0:1], 0x6c
	s_add_i32 s7, s3, s7
	s_add_i32 s11, s11, s16
	s_bitcmp1_b32 s67, 0
	s_waitcnt lgkmcnt(0)
	v_readfirstlane_b32 s14, v4
	v_readfirstlane_b32 s15, v5
	v_writelane_b32 v78, s24, 10
	s_cselect_b64 s[16:17], -1, 0
	v_cmp_lt_i64_e64 s[18:19], s[14:15], 1
	v_writelane_b32 v78, s25, 11
	s_or_b64 s[16:17], s[16:17], s[18:19]
	v_writelane_b32 v78, s26, 12
	v_mul_hi_u32 v2, v1, v2
	s_andn2_b64 vcc, exec, s[16:17]
	s_mov_b32 s3, s64
	v_writelane_b32 v78, s27, 13
	s_cbranch_vccnz .LBB106_5
; %bb.4:
	s_not_b64 s[14:15], s[14:15]
	s_add_u32 s3, s14, s64
	s_addc_u32 s15, s15, 0
	s_lshr_b32 s14, s15, 31
	s_add_u32 s14, s3, s14
	s_addc_u32 s15, s15, 0
	s_lshr_b64 s[14:15], s[14:15], 1
	s_add_i32 s3, s14, 1
.LBB106_5:
	s_load_dwordx2 s[14:15], s[0:1], 0xd8
                                        ; kill: killed $sgpr0 killed $sgpr1
	s_waitcnt lgkmcnt(0)
	v_writelane_b32 v78, s14, 14
	s_nop 1
	v_writelane_b32 v78, s15, 15
	s_load_dwordx2 s[14:15], s[0:1], 0x1b0
	s_load_dwordx2 s[16:17], s[0:1], 0x0
	s_waitcnt lgkmcnt(0)
	v_writelane_b32 v78, s16, 16
	s_nop 1
	v_writelane_b32 v78, s17, 17
	s_nop 0
	v_readlane_b32 s0, v78, 0
	s_mul_hi_u32 s0, s0, s7
	s_nop 0
	v_writelane_b32 v78, s0, 18
	s_nop 0
	v_readlane_b32 s0, v78, 3
	s_mul_hi_u32 s0, s0, s11
	s_nop 0
	v_writelane_b32 v78, s0, 19
	s_and_saveexec_b64 s[0:1], s[22:23]
	s_cbranch_execz .LBB106_7
; %bb.6:
	v_mov_b32_e32 v4, 0
	v_mov_b32_e32 v5, s64
	ds_write_b32 v4, v4 offset:4112
	ds_write_b64 v4, v[4:5] offset:4104
.LBB106_7:
	s_or_b64 exec, exec, s[0:1]
	v_mul_lo_u32 v4, v2, s12
	v_sub_u32_e32 v4, v1, v4
	v_add_u32_e32 v5, 1, v2
	v_subrev_u32_e32 v6, s12, v4
	v_cmp_le_u32_e32 vcc, s12, v4
	v_mul_lo_u32 v3, v1, s13
	s_waitcnt lgkmcnt(0)
	v_cndmask_b32_e32 v2, v2, v5, vcc
	v_cndmask_b32_e32 v4, v4, v6, vcc
	v_add_u32_e32 v5, 1, v2
	v_cmp_le_u32_e32 vcc, s12, v4
	s_barrier
	s_nop 0
	v_cndmask_b32_e32 v2, v2, v5, vcc
	v_mul_lo_u32 v4, v2, s12
	s_load_dword s11, s[8:9], 0xc
	v_sub_u32_e32 v3, s89, v3
	v_sub_u32_e32 v1, v1, v4
	v_mul_lo_u32 v3, v3, s6
	v_mul_lo_u32 v1, v1, s5
	v_add_u32_e32 v1, v1, v3
	v_mul_lo_u32 v2, v2, s4
	v_add_u32_e32 v14, v1, v2
	v_cmp_gt_u32_e64 s[0:1], s64, v0
	v_mbcnt_lo_u32_b32 v1, -1, 0
	s_waitcnt lgkmcnt(0)
	s_and_b32 s67, s11, 0xffff
	v_writelane_b32 v78, s0, 20
	v_mbcnt_hi_u32_b32 v22, -1, v1
	v_cmp_gt_u32_e32 vcc, 64, v0
	v_writelane_b32 v78, s1, 21
	v_cmp_gt_i32_e64 s[0:1], 4, v22
	s_add_i32 s99, s67, -1
	v_mov_b32_e32 v15, 0
	s_lshl_b32 s65, s67, 2
	s_and_b64 s[86:87], vcc, s[0:1]
	s_add_i32 s0, s99, s64
	v_lshlrev_b64 v[2:3], 1, v[14:15]
	s_cmpk_gt_u32 s64, 0x600
	v_lshl_add_u64 v[10:11], s[14:15], 0, v[2:3]
	s_cselect_b64 s[12:13], -1, 0
	s_cmp_gt_u32 s67, 63
	v_lshlrev_b64 v[2:3], v22, -1
	s_cselect_b64 s[90:91], -1, 0
	v_not_b32_e32 v18, v2
	v_lshrrev_b32_e32 v2, 2, v0
	s_cmp_lt_u32 s2, s10
	v_and_b32_e32 v2, 0xf0, v2
	s_cselect_b32 s1, 12, 18
	v_writelane_b32 v78, s12, 22
	v_or_b32_e32 v25, 0xc00, v2
	s_add_u32 s8, s8, s1
	v_add_u32_e32 v2, 2, v0
	v_writelane_b32 v78, s13, 23
	s_addc_u32 s9, s9, 0
	v_max_u32_e32 v2, s64, v2
	v_writelane_b32 v78, s8, 24
	v_xad_u32 v2, v0, -1, v2
	v_not_b32_e32 v1, v3
	v_writelane_b32 v78, s9, 25
	v_add_u32_e32 v3, -4, v2
	s_bfe_u32 s8, s11, 0xa0006
	v_cmp_lt_u32_e64 s[10:11], 31, v2
	v_lshrrev_b32_e32 v5, 2, v3
	v_add_u32_e32 v5, 1, v5
	v_writelane_b32 v78, s10, 26
	v_and_b32_e32 v6, 3, v5
	s_add_i32 s1, s8, -2
	v_writelane_b32 v78, s11, 27
	v_cmp_lt_u32_e64 s[10:11], 11, v3
	s_lshr_b32 s2, s1, 1
	v_and_b32_e32 v26, -4, v2
	v_writelane_b32 v78, s10, 28
	s_add_i32 s2, s2, 1
	s_cmpk_gt_u32 s67, 0x7f
	v_writelane_b32 v78, s11, 29
	v_cmp_ne_u32_e64 s[10:11], 0, v6
	v_lshlrev_b32_e32 v19, 2, v0
	v_lshlrev_b32_e32 v23, 1, v0
	v_writelane_b32 v78, s10, 30
	v_mul_lo_u32 v12, s66, v0
	v_mov_b32_e32 v13, v15
	v_writelane_b32 v78, s11, 31
	v_cmp_ne_u32_e64 s[10:11], v2, v26
	v_cvt_f32_u32_e32 v2, s65
	v_lshlrev_b32_e32 v4, 2, v22
	v_writelane_b32 v78, s10, 32
	s_mul_i32 s98, s66, s67
	v_rcp_iflag_f32_e32 v2, v2
	v_writelane_b32 v78, s11, 33
	s_cselect_b64 s[10:11], -1, 0
	v_writelane_b32 v78, s10, 34
	s_and_b32 s9, s8, 0x3fe
	v_mul_f32_e32 v2, 0x4f7ffffe, v2
	v_writelane_b32 v78, s11, 35
	s_and_b32 s10, s2, 7
	s_cmp_gt_u32 s1, 13
	s_cselect_b64 s[12:13], -1, 0
	v_writelane_b32 v78, s12, 36
	s_and_b32 s1, s2, -8
	s_cmp_lg_u32 s10, 0
	v_writelane_b32 v78, s13, 37
	v_writelane_b32 v78, s1, 38
	v_cvt_u32_f32_e32 v2, v2
	v_writelane_b32 v78, s10, 39
	s_cselect_b64 s[10:11], -1, 0
	v_writelane_b32 v78, s10, 40
	s_cmp_lg_u32 s9, s8
	v_readfirstlane_b32 s2, v2
	v_writelane_b32 v78, s11, 41
	v_writelane_b32 v78, s8, 42
	v_cvt_f32_u32_e32 v2, s67
	v_writelane_b32 v78, s9, 43
	s_cselect_b64 s[8:9], -1, 0
	s_sub_i32 s1, 0, s65
	s_mul_i32 s1, s1, s2
	s_mul_hi_u32 s1, s2, s1
	s_add_i32 s76, s2, s1
	v_rcp_iflag_f32_e32 v2, v2
	s_mul_hi_u32 s1, s64, s76
	s_mul_i32 s1, s1, s65
	s_sub_i32 s1, s64, s1
	s_sub_i32 s2, s1, s65
	v_mul_f32_e32 v2, 0x4f7ffffe, v2
	s_cmp_ge_u32 s1, s65
	v_cvt_u32_f32_e32 v2, v2
	s_cselect_b32 s1, s2, s1
	s_sub_i32 s2, s1, s65
	v_writelane_b32 v78, s8, 44
	s_cmp_ge_u32 s1, s65
	s_cselect_b32 s1, s2, s1
	v_writelane_b32 v78, s9, 45
	s_sub_i32 s2, 0, s67
	v_readfirstlane_b32 s8, v2
	s_mul_i32 s2, s2, s8
	s_mul_hi_u32 s2, s8, s2
	s_add_i32 s92, s8, s2
	s_mul_hi_u32 s2, s0, s92
	s_mul_i32 s2, s2, s67
	s_sub_i32 s2, s0, s2
	s_sub_i32 s77, s64, s1
	;; [unrolled: 1-line block ×3, first 2 shown]
	s_cmp_ge_u32 s2, s67
	s_cselect_b32 s2, s8, s2
	s_sub_i32 s8, s2, s67
	s_cmp_ge_u32 s2, s67
	v_mul_lo_u32 v2, s66, v19
	s_cselect_b32 s2, s8, s2
	v_add_u32_e32 v31, s66, v2
	v_or_b32_e32 v2, 2, v19
	s_sub_i32 s93, s0, s2
	v_mul_lo_u32 v32, s66, v2
	v_or_b32_e32 v2, 3, v19
	s_add_i32 s0, s67, s64
	v_add_u32_e32 v29, s77, v0
	v_mul_lo_u32 v33, s66, v2
	v_add_u32_e32 v2, s0, v0
	v_mul_lo_u32 v14, v29, s66
	v_cmp_gt_u32_e64 s[8:9], s93, v0
	v_subrev_u32_e32 v2, s1, v2
	s_mov_b32 s20, 0
	v_cmp_eq_u32_e64 s[4:5], 0, v22
	v_cmp_gt_u32_e64 s[6:7], 2, v0
	v_add_u32_e32 v24, 0xc00, v23
	v_lshl_add_u64 v[16:17], v[12:13], 1, v[10:11]
	v_and_b32_e32 v13, 0x100, v4
	v_add_u32_e32 v27, v0, v26
	s_mov_b32 s81, s66
	s_mov_b32 s24, s66
	;; [unrolled: 1-line block ×4, first 2 shown]
	v_and_b32_e32 v28, 0x7ffffffc, v5
	v_cmp_gt_u32_e64 s[16:17], s77, v19
	v_cmp_gt_u32_e64 s[18:19], s64, v29
	v_lshl_add_u64 v[20:21], v[14:15], 1, v[10:11]
	v_writelane_b32 v78, s8, 46
	v_lshlrev_b32_e32 v30, 3, v6
	s_lshl_b32 s94, s98, 2
	v_lshlrev_b32_e32 v34, 2, v12
	v_mul_lo_u32 v35, s66, v2
	v_lshlrev_b32_e32 v37, 3, v0
	s_lshl_b32 s95, s67, 3
	s_lshl_b32 s78, s67, 1
	v_or_b32_e32 v38, 0xc00, v4
	s_mov_b64 s[68:69], 0
	v_mov_b32_e32 v39, 14
	v_mov_b32_e32 v44, s3
	s_mov_b32 s79, 0x8000
	s_mov_b32 s33, 0x5040100
	v_mov_b32_e32 v49, s64
	v_mov_b32_e32 v40, 0xc00
	v_mov_b32_e32 v41, 0x5040100
	v_mov_b32_e32 v43, 0
	v_mov_b32_e32 v36, 0
	v_mov_b32_e32 v42, 0
	s_mov_b32 s21, 1
	v_writelane_b32 v78, s9, 47
                                        ; implicit-def: $sgpr70_sgpr71
                                        ; implicit-def: $sgpr12_sgpr13
                                        ; implicit-def: $sgpr10_sgpr11
                                        ; implicit-def: $sgpr14_sgpr15
                                        ; implicit-def: $sgpr72_sgpr73
                                        ; implicit-def: $sgpr82_sgpr83
	s_branch .LBB106_11
.LBB106_8:                              ;   in Loop: Header=BB106_11 Depth=1
	s_or_b64 exec, exec, s[34:35]
	s_and_b64 s[26:27], s[26:27], exec
	s_andn2_b64 s[30:31], s[30:31], exec
	s_andn2_b64 s[28:29], s[28:29], exec
	s_orn2_b64 s[2:3], s[2:3], exec
.LBB106_9:                              ;   in Loop: Header=BB106_11 Depth=1
	s_or_b64 exec, exec, s[8:9]
	s_andn2_b64 s[8:9], s[82:83], exec
	s_and_b64 s[20:21], s[26:27], exec
	s_or_b64 s[82:83], s[8:9], s[20:21]
	s_andn2_b64 s[8:9], s[72:73], exec
	s_and_b64 s[20:21], s[30:31], exec
	s_or_b64 s[72:73], s[8:9], s[20:21]
	;; [unrolled: 3-line block ×3, first 2 shown]
	s_orn2_b64 s[2:3], s[2:3], exec
.LBB106_10:                             ;   in Loop: Header=BB106_11 Depth=1
	s_or_b64 exec, exec, s[0:1]
	s_and_b64 s[0:1], exec, s[2:3]
	s_or_b64 s[68:69], s[0:1], s[68:69]
	s_andn2_b64 s[0:1], s[10:11], exec
	s_and_b64 s[2:3], s[82:83], exec
	s_or_b64 s[10:11], s[0:1], s[2:3]
	s_andn2_b64 s[0:1], s[12:13], exec
	s_and_b64 s[2:3], s[72:73], exec
	;; [unrolled: 3-line block ×3, first 2 shown]
	s_or_b64 s[70:71], s[0:1], s[2:3]
	s_mov_b32 s20, s36
	v_mov_b32_e32 v44, v5
	s_andn2_b64 exec, exec, s[68:69]
	s_cbranch_execz .LBB106_250
.LBB106_11:                             ; =>This Loop Header: Depth=1
                                        ;     Child Loop BB106_16 Depth 2
                                        ;     Child Loop BB106_37 Depth 2
	;; [unrolled: 1-line block ×19, first 2 shown]
	ds_read_b64 v[2:3], v15 offset:4104
	s_waitcnt lgkmcnt(0)
	v_readfirstlane_b32 s21, v2
	s_cmp_lg_u32 s21, 0
	s_cbranch_scc1 .LBB106_56
; %bb.12:                               ;   in Loop: Header=BB106_11 Depth=1
	v_readlane_b32 s0, v78, 22
	v_readlane_b32 s1, v78, 23
	s_and_b64 vcc, exec, s[0:1]
	s_cbranch_vccz .LBB106_24
; %bb.13:                               ;   in Loop: Header=BB106_11 Depth=1
	s_movk_i32 s0, 0x601
	v_cmp_gt_u32_e32 vcc, s0, v3
	s_mov_b64 s[8:9], 0
	s_mov_b64 s[0:1], 0
	s_cbranch_vccz .LBB106_25
; %bb.14:                               ;   in Loop: Header=BB106_11 Depth=1
	v_readlane_b32 s0, v78, 24
	v_readlane_b32 s1, v78, 25
	s_nop 4
	global_load_ushort v2, v15, s[0:1]
	global_load_ushort v4, v[16:17], off
	s_mov_b64 s[26:27], 0
	s_waitcnt vmcnt(1)
	v_add_u32_e32 v5, v0, v2
	v_mul_lo_u32 v3, s66, v2
	v_mul_lo_u32 v14, s66, v5
	v_mov_b32_e32 v5, v0
	s_branch .LBB106_16
.LBB106_15:                             ;   in Loop: Header=BB106_16 Depth=2
	s_or_b64 exec, exec, s[2:3]
	v_add_u32_e32 v14, v14, v3
	v_mov_b32_e32 v4, v6
	s_andn2_b64 exec, exec, s[26:27]
	s_cbranch_execz .LBB106_31
.LBB106_16:                             ;   Parent Loop BB106_11 Depth=1
                                        ; =>  This Inner Loop Header: Depth=2
	v_add_u32_e32 v5, v5, v2
	v_cmp_gt_u32_e64 s[0:1], s64, v5
	v_cmp_le_u32_e32 vcc, s64, v5
	s_waitcnt lgkmcnt(0)
	v_mov_b32_e32 v7, 0
	v_mov_b32_e32 v6, 0
	s_and_saveexec_b64 s[2:3], s[0:1]
	s_cbranch_execz .LBB106_18
; %bb.17:                               ;   in Loop: Header=BB106_16 Depth=2
	v_lshl_add_u64 v[8:9], v[14:15], 1, v[10:11]
	global_load_ushort v6, v[8:9], off
.LBB106_18:                             ;   in Loop: Header=BB106_16 Depth=2
	s_or_b64 exec, exec, s[2:3]
	s_waitcnt vmcnt(0)
	v_add_u32_sdwa v8, sext(v4), s79 dst_sel:DWORD dst_unused:UNUSED_PAD src0_sel:WORD_0 src1_sel:DWORD
	v_and_b32_e32 v8, v8, v42
	v_cmp_eq_u32_e64 s[0:1], v8, v36
	s_cmp_lg_u64 s[0:1], 0
	s_cselect_b64 s[2:3], -1, 0
	s_and_b64 s[2:3], s[4:5], s[2:3]
	s_and_saveexec_b64 s[28:29], s[2:3]
	s_cbranch_execz .LBB106_22
; %bb.19:                               ;   in Loop: Header=BB106_16 Depth=2
	s_mov_b64 s[34:35], exec
	v_mbcnt_lo_u32_b32 v7, s34, 0
	v_mbcnt_hi_u32_b32 v7, s35, v7
	s_bcnt1_i32_b64 s21, s[0:1]
	v_cmp_eq_u32_e64 s[2:3], 0, v7
                                        ; implicit-def: $vgpr8
	s_and_saveexec_b64 s[30:31], s[2:3]
; %bb.20:                               ;   in Loop: Header=BB106_16 Depth=2
	s_bcnt1_i32_b64 s2, s[34:35]
	s_mul_i32 s2, s21, s2
	v_mov_b32_e32 v8, s2
	ds_add_rtn_u32 v8, v15, v8 offset:4112
; %bb.21:                               ;   in Loop: Header=BB106_16 Depth=2
	s_or_b64 exec, exec, s[30:31]
	s_waitcnt lgkmcnt(0)
	v_readfirstlane_b32 s2, v8
	s_nop 1
	v_mov_b32_e32 v8, s2
	v_mad_u32_u24 v7, s21, v7, v8
.LBB106_22:                             ;   in Loop: Header=BB106_16 Depth=2
	s_or_b64 exec, exec, s[28:29]
	ds_bpermute_b32 v7, v13, v7
	s_and_b64 s[2:3], exec, vcc
	s_or_b64 s[26:27], s[2:3], s[26:27]
	s_and_saveexec_b64 s[2:3], s[0:1]
	s_cbranch_execz .LBB106_15
; %bb.23:                               ;   in Loop: Header=BB106_16 Depth=2
	v_and_b32_e32 v9, s0, v18
	v_and_b32_e32 v8, s1, v1
	v_bcnt_u32_b32 v9, v9, 0
	v_bcnt_u32_b32 v8, v8, v9
	v_lshlrev_b32_e32 v8, 1, v8
	s_waitcnt lgkmcnt(0)
	v_lshl_add_u32 v7, v7, 1, v8
	ds_write_b16 v7, v4
	s_branch .LBB106_15
.LBB106_24:                             ;   in Loop: Header=BB106_11 Depth=1
	s_mov_b64 s[8:9], -1
	s_mov_b64 s[0:1], 0
.LBB106_25:                             ;   in Loop: Header=BB106_11 Depth=1
	s_and_b64 vcc, exec, s[8:9]
	s_cbranch_vccz .LBB106_54
.LBB106_26:                             ;   in Loop: Header=BB106_11 Depth=1
	s_mov_b64 s[2:3], exec
	v_readlane_b32 s0, v78, 20
	v_readlane_b32 s1, v78, 21
	s_and_b64 s[0:1], s[2:3], s[0:1]
	s_mov_b64 exec, s[0:1]
	s_cbranch_execz .LBB106_51
; %bb.27:                               ;   in Loop: Header=BB106_11 Depth=1
	v_readlane_b32 s0, v78, 24
	v_readlane_b32 s1, v78, 25
	s_nop 4
	global_load_ushort v2, v15, s[0:1]
	global_load_ushort v45, v[16:17], off
	v_mov_b32_e32 v3, v0
	s_waitcnt vmcnt(1)
	v_readfirstlane_b32 s21, v2
	v_add_u32_e32 v2, v0, v2
	v_cmp_gt_u32_e32 vcc, s64, v2
	s_and_saveexec_b64 s[26:27], vcc
	s_cbranch_execz .LBB106_50
; %bb.28:                               ;   in Loop: Header=BB106_11 Depth=1
	v_readlane_b32 s28, v78, 26
	s_mov_b64 s[0:1], 0
	s_mul_i32 s34, s66, s21
	v_readlane_b32 s29, v78, 27
                                        ; implicit-def: $vgpr3
                                        ; implicit-def: $vgpr6
                                        ; implicit-def: $vgpr4
                                        ; implicit-def: $vgpr5
	s_and_saveexec_b64 s[8:9], s[28:29]
	s_xor_b64 s[28:29], exec, s[8:9]
	s_cbranch_execnz .LBB106_34
; %bb.29:                               ;   in Loop: Header=BB106_11 Depth=1
	s_andn2_saveexec_b64 s[8:9], s[28:29]
	s_cbranch_execnz .LBB106_45
.LBB106_30:                             ;   in Loop: Header=BB106_11 Depth=1
	s_or_b64 exec, exec, s[8:9]
	s_and_saveexec_b64 s[8:9], s[0:1]
	s_cbranch_execnz .LBB106_46
	s_branch .LBB106_49
.LBB106_31:                             ;   in Loop: Header=BB106_11 Depth=1
	s_or_b64 exec, exec, s[26:27]
	s_waitcnt lgkmcnt(0)
	s_barrier
	s_and_saveexec_b64 s[0:1], s[22:23]
	s_cbranch_execz .LBB106_33
; %bb.32:                               ;   in Loop: Header=BB106_11 Depth=1
	ds_read_b32 v2, v15 offset:4112
	s_waitcnt lgkmcnt(0)
	ds_write_b32 v15, v2 offset:4104
.LBB106_33:                             ;   in Loop: Header=BB106_11 Depth=1
	s_or_b64 exec, exec, s[0:1]
	s_waitcnt lgkmcnt(0)
	s_barrier
	s_mov_b64 s[0:1], -1
	s_and_b64 vcc, exec, s[8:9]
	s_cbranch_vccnz .LBB106_26
	s_branch .LBB106_54
.LBB106_34:                             ;   in Loop: Header=BB106_11 Depth=1
	v_cvt_f32_u32_e32 v3, s21
	v_add_u32_e32 v4, s21, v2
	v_max_u32_e32 v4, s64, v4
	s_lshl_b32 s0, s21, 1
	v_rcp_iflag_f32_e32 v3, v3
	v_sub_u32_e32 v4, v4, v0
	v_cmp_ne_u32_e32 vcc, s0, v4
	s_sub_i32 s1, 0, s21
	v_mul_f32_e32 v3, 0x4f7ffffe, v3
	v_cvt_u32_f32_e32 v3, v3
	v_cndmask_b32_e64 v5, 0, 1, vcc
	v_or_b32_e32 v5, s0, v5
	v_sub_u32_e32 v4, v4, v5
	v_mul_lo_u32 v5, s1, v3
	v_mul_hi_u32 v5, v3, v5
	v_add_u32_e32 v3, v3, v5
	v_mul_hi_u32 v3, v4, v3
	v_mul_lo_u32 v5, v3, s21
	v_sub_u32_e32 v4, v4, v5
	v_add_u32_e32 v5, 1, v3
	v_cmp_le_u32_e64 s[0:1], s21, v4
	s_nop 1
	v_cndmask_b32_e64 v3, v3, v5, s[0:1]
	v_subrev_u32_e32 v5, s21, v4
	v_cndmask_b32_e64 v4, v4, v5, s[0:1]
	v_add_u32_e32 v5, 1, v3
	v_cmp_le_u32_e64 s[0:1], s21, v4
	v_mul_lo_u32 v4, s66, v2
	s_nop 0
	v_cndmask_b32_e64 v3, v3, v5, s[0:1]
	v_addc_co_u32_e32 v3, vcc, 0, v3, vcc
	s_abs_i32 s0, s34
	v_mul_hi_u32 v5, s0, v3
	v_mul_lo_u32 v3, s0, v3
	s_not_b32 s0, s34
	s_ashr_i32 s0, s0, 31
	s_cmp_eq_u32 s21, 1
	v_cmp_eq_u32_e32 vcc, 0, v5
	v_xor_b32_e32 v4, s0, v4
	s_cselect_b64 s[8:9], -1, 0
	v_cmp_le_u32_e64 s[0:1], v3, v4
	s_and_b64 s[8:9], vcc, s[8:9]
	s_and_b64 s[30:31], s[8:9], s[0:1]
	s_mov_b64 s[8:9], -1
	v_mov_b32_e32 v4, v0
                                        ; implicit-def: $vgpr3
	s_and_saveexec_b64 s[0:1], s[30:31]
	s_cbranch_execz .LBB106_44
; %bb.35:                               ;   in Loop: Header=BB106_11 Depth=1
	v_add_u32_e32 v5, 3, v2
	v_add_u32_e32 v4, 2, v2
	;; [unrolled: 1-line block ×3, first 2 shown]
	v_mov_b64_e32 v[8:9], v[4:5]
	s_waitcnt vmcnt(0)
	v_lshlrev_b32_e32 v46, 16, v45
	v_mov_b32_e32 v14, 0
	v_mov_b64_e32 v[6:7], v[2:3]
                                        ; implicit-def: $vgpr45
	s_mov_b64 s[8:9], exec
	v_readlane_b32 s30, v78, 28
	v_readlane_b32 s31, v78, 29
	s_and_b64 s[30:31], s[8:9], s[30:31]
	s_mov_b64 exec, s[30:31]
	s_cbranch_execz .LBB106_39
; %bb.36:                               ;   in Loop: Header=BB106_11 Depth=1
	v_mov_b64_e32 v[8:9], v[4:5]
	s_mov_b32 s35, 0
	s_mov_b64 s[30:31], 0
	v_mov_b32_e32 v47, v28
	v_mov_b32_e32 v48, v23
	v_mov_b64_e32 v[6:7], v[2:3]
.LBB106_37:                             ;   Parent Loop BB106_11 Depth=1
                                        ; =>  This Inner Loop Header: Depth=2
	v_mul_lo_u32 v14, v6, s81
	v_add_u32_e32 v3, 4, v6
	v_add_u32_e32 v45, 4, v7
	;; [unrolled: 1-line block ×4, first 2 shown]
	v_mul_lo_u32 v4, v9, s80
	v_mul_lo_u32 v52, v7, s24
	v_mov_b32_e32 v53, v15
	v_mov_b32_e32 v5, v15
	v_mov_b32_e32 v55, v15
	v_mov_b32_e32 v57, v15
	v_add_u32_e32 v76, 8, v6
	v_lshl_add_u64 v[72:73], v[14:15], 1, v[10:11]
	v_mul_lo_u32 v58, v56, s80
	v_mul_lo_u32 v56, v54, s25
	v_mul_lo_u32 v54, v45, s24
	v_mul_lo_u32 v14, v3, s81
	v_mul_lo_u32 v50, v8, s25
	v_mov_b32_e32 v51, v15
	v_mov_b32_e32 v59, v15
	v_add_u32_e32 v60, 8, v7
	v_add_u32_e32 v62, 8, v8
	;; [unrolled: 1-line block ×3, first 2 shown]
	v_lshl_add_u64 v[52:53], v[52:53], 1, v[10:11]
	v_lshl_add_u64 v[4:5], v[4:5], 1, v[10:11]
	v_lshl_add_u64 v[74:75], v[14:15], 1, v[10:11]
	v_lshl_add_u64 v[54:55], v[54:55], 1, v[10:11]
	v_lshl_add_u64 v[56:57], v[56:57], 1, v[10:11]
	v_mul_lo_u32 v14, v76, s81
	v_add_u32_e32 v64, 8, v9
	v_mov_b32_e32 v61, v15
	v_mov_b32_e32 v63, v15
	v_add_u32_e32 v66, 12, v7
	v_add_u32_e32 v68, 12, v8
	;; [unrolled: 1-line block ×3, first 2 shown]
	v_lshl_add_u64 v[50:51], v[50:51], 1, v[10:11]
	v_mul_lo_u32 v62, v62, s25
	v_mul_lo_u32 v60, v60, s24
	v_lshl_add_u64 v[58:59], v[58:59], 1, v[10:11]
	global_load_ushort v3, v[72:73], off
	s_nop 0
	global_load_ushort v52, v[52:53], off
	s_nop 0
	global_load_ushort v53, v[50:51], off
	global_load_ushort v72, v[4:5], off
	;; [unrolled: 1-line block ×3, first 2 shown]
	s_nop 0
	global_load_ushort v54, v[54:55], off
	s_nop 0
	global_load_ushort v55, v[56:57], off
	;; [unrolled: 2-line block ×3, first 2 shown]
	v_lshl_add_u64 v[4:5], v[14:15], 1, v[10:11]
	v_mul_lo_u32 v14, v77, s81
	v_mov_b32_e32 v65, v15
	v_mov_b32_e32 v67, v15
	;; [unrolled: 1-line block ×4, first 2 shown]
	v_mul_lo_u32 v64, v64, s80
	v_mul_lo_u32 v70, v70, s80
	;; [unrolled: 1-line block ×4, first 2 shown]
	v_lshl_add_u64 v[60:61], v[60:61], 1, v[10:11]
	v_lshl_add_u64 v[62:63], v[62:63], 1, v[10:11]
	v_lshl_add_u64 v[50:51], v[14:15], 1, v[10:11]
	v_lshl_add_u64 v[64:65], v[64:65], 1, v[10:11]
	v_lshl_add_u64 v[66:67], v[66:67], 1, v[10:11]
	v_lshl_add_u64 v[68:69], v[68:69], 1, v[10:11]
	v_lshl_add_u64 v[70:71], v[70:71], 1, v[10:11]
	global_load_ushort v57, v[60:61], off
	global_load_ushort v58, v[62:63], off
	global_load_ushort v59, v[64:65], off
	s_nop 0
	global_load_ushort v60, v[66:67], off
	global_load_ushort v61, v[68:69], off
	;; [unrolled: 1-line block ×4, first 2 shown]
	s_nop 0
	global_load_ushort v4, v[4:5], off
	v_add_u32_e32 v47, -4, v47
	s_add_i32 s35, s35, 16
	v_cmp_eq_u32_e32 vcc, 0, v47
	v_add_u32_e32 v9, 16, v9
	v_add_u32_e32 v8, 16, v8
	;; [unrolled: 1-line block ×4, first 2 shown]
	v_mov_b32_e32 v14, s35
	s_or_b64 s[30:31], vcc, s[30:31]
	s_waitcnt vmcnt(15)
	v_alignbit_b32 v50, v3, v46, 16
	s_waitcnt vmcnt(13)
	v_perm_b32 v51, v53, v52, s33
	s_waitcnt vmcnt(11)
	v_perm_b32 v52, v73, v72, s33
	;; [unrolled: 2-line block ×3, first 2 shown]
	ds_write_b128 v48, v[50:53]
	s_waitcnt vmcnt(6)
	v_perm_b32 v55, v58, v57, s33
	s_waitcnt vmcnt(3)
	v_perm_b32 v57, v61, v60, s33
	;; [unrolled: 2-line block ×4, first 2 shown]
	v_perm_b32 v56, v62, v59, s33
	ds_write_b128 v48, v[54:57] offset:16
	v_add_u32_e32 v48, 32, v48
	s_andn2_b64 exec, exec, s[30:31]
	s_cbranch_execnz .LBB106_37
; %bb.38:                               ;   in Loop: Header=BB106_11 Depth=1
	s_or_b64 exec, exec, s[30:31]
.LBB106_39:                             ;   in Loop: Header=BB106_11 Depth=1
	s_or_b64 exec, exec, s[8:9]
	s_mov_b64 s[8:9], exec
	v_readlane_b32 s30, v78, 30
	v_readlane_b32 s31, v78, 31
	s_and_b64 s[30:31], s[8:9], s[30:31]
	s_mov_b64 exec, s[30:31]
	s_cbranch_execz .LBB106_43
; %bb.40:                               ;   in Loop: Header=BB106_11 Depth=1
	v_lshl_add_u32 v3, v14, 1, v23
	s_mov_b64 s[30:31], 0
	v_mov_b32_e32 v4, v30
.LBB106_41:                             ;   Parent Loop BB106_11 Depth=1
                                        ; =>  This Inner Loop Header: Depth=2
	v_mul_lo_u32 v52, v8, s25
	v_mov_b32_e32 v53, v15
	v_mul_lo_u32 v50, v9, s80
	v_mul_lo_u32 v54, v7, s24
	;; [unrolled: 1-line block ×3, first 2 shown]
	v_mov_b32_e32 v55, v15
	v_mov_b32_e32 v51, v15
	v_lshl_add_u64 v[52:53], v[52:53], 1, v[10:11]
	v_lshl_add_u64 v[56:57], v[14:15], 1, v[10:11]
	;; [unrolled: 1-line block ×4, first 2 shown]
	global_load_ushort v5, v[52:53], off
	global_load_ushort v45, v[50:51], off
	;; [unrolled: 1-line block ×4, first 2 shown]
	v_add_u32_e32 v4, -8, v4
	v_cmp_eq_u32_e32 vcc, 0, v4
	v_add_u32_e32 v9, 4, v9
	v_add_u32_e32 v8, 4, v8
	;; [unrolled: 1-line block ×4, first 2 shown]
	s_or_b64 s[30:31], vcc, s[30:31]
	s_waitcnt vmcnt(2)
	v_perm_b32 v50, v45, v5, s33
	s_waitcnt vmcnt(1)
	v_perm_b32 v47, v5, v14, s33
	s_waitcnt vmcnt(0)
	v_alignbit_b32 v46, v48, v46, 16
	ds_write_b64 v3, v[46:47]
	v_add_u32_e32 v3, 8, v3
	v_mov_b32_e32 v46, v50
	s_andn2_b64 exec, exec, s[30:31]
	s_cbranch_execnz .LBB106_41
; %bb.42:                               ;   in Loop: Header=BB106_11 Depth=1
	s_or_b64 exec, exec, s[30:31]
.LBB106_43:                             ;   in Loop: Header=BB106_11 Depth=1
	s_or_b64 exec, exec, s[8:9]
	v_readlane_b32 s8, v78, 32
	v_add_u32_e32 v2, v2, v26
	v_readlane_b32 s9, v78, 33
	v_add_u32_e32 v3, -1, v2
	s_orn2_b64 s[8:9], s[8:9], exec
	v_mov_b32_e32 v4, v27
.LBB106_44:                             ;   in Loop: Header=BB106_11 Depth=1
	s_or_b64 exec, exec, s[0:1]
	v_mov_b32_e32 v5, s34
	s_and_b64 s[0:1], s[8:9], exec
	s_waitcnt vmcnt(0)
	v_mov_b32_e32 v6, v45
	s_andn2_saveexec_b64 s[8:9], s[28:29]
	s_cbranch_execz .LBB106_30
.LBB106_45:                             ;   in Loop: Header=BB106_11 Depth=1
	v_mov_b32_e32 v5, s34
	s_or_b64 s[0:1], s[0:1], exec
	s_waitcnt vmcnt(0)
	v_mov_b32_e32 v6, v45
	v_mov_b32_e32 v4, v0
	s_or_b64 exec, exec, s[8:9]
	s_and_saveexec_b64 s[8:9], s[0:1]
	s_cbranch_execz .LBB106_49
.LBB106_46:                             ;   in Loop: Header=BB106_11 Depth=1
	s_sub_i32 s28, 0, s21
	v_mul_lo_u32 v14, s66, v2
	s_mov_b64 s[0:1], 0
.LBB106_47:                             ;   Parent Loop BB106_11 Depth=1
                                        ; =>  This Inner Loop Header: Depth=2
	v_lshl_add_u64 v[8:9], v[14:15], 1, v[10:11]
	global_load_ushort v45, v[8:9], off
	v_mov_b32_e32 v3, v2
	v_lshlrev_b32_e32 v2, 1, v4
	ds_write_b16 v2, v6
	v_add_u32_e32 v2, s21, v3
	v_cmp_le_u32_e32 vcc, s64, v2
	v_add_u32_e32 v14, v14, v5
	v_mov_b32_e32 v4, v3
	s_or_b64 s[0:1], vcc, s[0:1]
	s_waitcnt vmcnt(0)
	v_mov_b32_e32 v6, v45
	s_andn2_b64 exec, exec, s[0:1]
	s_cbranch_execnz .LBB106_47
; %bb.48:                               ;   in Loop: Header=BB106_11 Depth=1
	s_or_b64 exec, exec, s[0:1]
	v_add_u32_e32 v3, s28, v2
.LBB106_49:                             ;   in Loop: Header=BB106_11 Depth=1
	s_or_b64 exec, exec, s[8:9]
.LBB106_50:                             ;   in Loop: Header=BB106_11 Depth=1
	s_or_b64 exec, exec, s[26:27]
	v_lshlrev_b32_e32 v2, 1, v3
	s_waitcnt vmcnt(0)
	ds_write_b16 v2, v45
.LBB106_51:                             ;   in Loop: Header=BB106_11 Depth=1
	s_or_b64 exec, exec, s[2:3]
	s_waitcnt lgkmcnt(0)
	s_barrier
	s_and_saveexec_b64 s[0:1], s[22:23]
; %bb.52:                               ;   in Loop: Header=BB106_11 Depth=1
	ds_write_b32 v15, v49 offset:4104
; %bb.53:                               ;   in Loop: Header=BB106_11 Depth=1
	s_or_b64 exec, exec, s[0:1]
	s_mov_b64 s[0:1], -1
	s_waitcnt lgkmcnt(0)
	s_barrier
.LBB106_54:                             ;   in Loop: Header=BB106_11 Depth=1
	s_mov_b32 s21, 0
	s_and_b64 vcc, exec, s[0:1]
	s_cbranch_vccz .LBB106_56
; %bb.55:                               ;   in Loop: Header=BB106_11 Depth=1
	ds_read_b32 v2, v15 offset:4104
	s_waitcnt lgkmcnt(0)
	v_readfirstlane_b32 s21, v2
.LBB106_56:                             ;   in Loop: Header=BB106_11 Depth=1
	s_cmp_lt_i32 s21, 1
	s_mov_b64 s[0:1], -1
                                        ; implicit-def: $vgpr4_vgpr5
	s_cbranch_scc1 .LBB106_66
; %bb.57:                               ;   in Loop: Header=BB106_11 Depth=1
	s_and_b64 vcc, exec, s[0:1]
	s_cbranch_vccnz .LBB106_77
.LBB106_58:                             ;   in Loop: Header=BB106_11 Depth=1
	s_lshl_b32 s8, s20, 6
	s_and_saveexec_b64 s[0:1], s[4:5]
.LBB106_59:                             ;   in Loop: Header=BB106_11 Depth=1
	v_lshl_add_u32 v6, s8, 2, v25
	ds_write_b128 v6, v[2:5]
.LBB106_60:                             ;   in Loop: Header=BB106_11 Depth=1
	s_or_b64 exec, exec, s[0:1]
	s_waitcnt lgkmcnt(0)
	s_barrier
	s_and_saveexec_b64 s[0:1], s[86:87]
	s_cbranch_execz .LBB106_94
; %bb.61:                               ;   in Loop: Header=BB106_11 Depth=1
	v_add_u32_e32 v4, s8, v22
	s_andn2_b64 vcc, exec, s[90:91]
	v_mov_b32_e32 v2, 0
	s_cbranch_vccnz .LBB106_93
; %bb.62:                               ;   in Loop: Header=BB106_11 Depth=1
	v_readlane_b32 s2, v78, 34
	v_readlane_b32 s3, v78, 35
	s_andn2_b64 vcc, exec, s[2:3]
	s_cbranch_vccnz .LBB106_86
; %bb.63:                               ;   in Loop: Header=BB106_11 Depth=1
	v_readlane_b32 s2, v78, 36
	v_readlane_b32 s3, v78, 37
	s_andn2_b64 vcc, exec, s[2:3]
	v_lshl_add_u32 v5, v4, 2, v40
	s_cbranch_vccnz .LBB106_87
; %bb.64:                               ;   in Loop: Header=BB106_11 Depth=1
	s_mov_b32 s3, 1
	s_mov_b32 s2, 0
	v_mov_b32_e32 v2, 0
	v_mov_b32_e32 v3, 0
	v_readlane_b32 s9, v78, 38
.LBB106_65:                             ;   Parent Loop BB106_11 Depth=1
                                        ; =>  This Inner Loop Header: Depth=2
	v_lshl_add_u32 v14, s2, 4, v5
	v_lshl_add_u32 v45, s3, 4, v5
	ds_read2_b32 v[6:7], v14 offset1:8
	ds_read2_b32 v[8:9], v45 offset1:8
	ds_read2_b32 v[46:47], v14 offset0:16 offset1:24
	ds_read2_b32 v[50:51], v45 offset0:16 offset1:24
	;; [unrolled: 1-line block ×6, first 2 shown]
	s_waitcnt lgkmcnt(7)
	v_add3_u32 v2, v6, v2, v7
	s_waitcnt lgkmcnt(6)
	v_add3_u32 v3, v8, v3, v9
	;; [unrolled: 2-line block ×3, first 2 shown]
	v_add3_u32 v2, v46, v2, v47
	s_add_i32 s3, s3, 16
	s_add_i32 s2, s2, 16
	s_add_i32 s9, s9, -8
	s_waitcnt lgkmcnt(3)
	v_add3_u32 v2, v52, v2, v53
	s_waitcnt lgkmcnt(2)
	v_add3_u32 v3, v54, v3, v55
	s_cmp_lg_u32 s9, 0
	s_waitcnt lgkmcnt(0)
	v_add3_u32 v3, v58, v3, v59
	v_add3_u32 v2, v56, v2, v57
	s_cbranch_scc1 .LBB106_65
	s_branch .LBB106_88
.LBB106_66:                             ;   in Loop: Header=BB106_11 Depth=1
	v_mov_b32_e32 v14, v15
	v_mov_b64_e32 v[4:5], v[14:15]
	v_mov_b64_e32 v[2:3], v[14:15]
	s_and_saveexec_b64 s[52:53], s[16:17]
	s_cbranch_execz .LBB106_70
; %bb.67:                               ;   in Loop: Header=BB106_11 Depth=1
	s_mov_b32 s8, 0
	s_mov_b64 s[54:55], 0
	v_mov_b32_e32 v6, v19
	s_mov_b32 s58, 0
	s_mov_b32 s59, s8
	;; [unrolled: 1-line block ×4, first 2 shown]
.LBB106_68:                             ;   Parent Loop BB106_11 Depth=1
                                        ; =>  This Inner Loop Header: Depth=2
	v_add_u32_e32 v14, s8, v34
	v_lshl_add_u64 v[2:3], v[14:15], 1, v[10:11]
	v_add_u32_e32 v14, s8, v31
	v_lshl_add_u64 v[4:5], v[14:15], 1, v[10:11]
	global_load_sshort v7, v[2:3], off
	s_nop 0
	global_load_sshort v4, v[4:5], off
	v_add_u32_e32 v14, s8, v32
	v_lshl_add_u64 v[2:3], v[14:15], 1, v[10:11]
	v_add_u32_e32 v14, s8, v33
	global_load_sshort v5, v[2:3], off
	v_lshl_add_u64 v[2:3], v[14:15], 1, v[10:11]
	global_load_sshort v2, v[2:3], off
	v_add_u32_e32 v6, s65, v6
	v_cmp_le_u32_e32 vcc, s77, v6
	s_add_i32 s8, s8, s94
	s_waitcnt vmcnt(3)
	v_add_u32_e32 v3, 0x8000, v7
	v_and_b32_e32 v7, v3, v42
	v_bfe_u32 v3, v3, v39, 2
	s_waitcnt vmcnt(2)
	v_add_u32_e32 v4, 0x8000, v4
	v_cmp_eq_u32_e64 s[0:1], v7, v36
	v_cmp_eq_u32_e64 s[2:3], 0, v3
	v_and_b32_e32 v7, v4, v42
	v_bfe_u32 v4, v4, v39, 2
	v_cmp_eq_u32_e64 s[26:27], 1, v3
	s_and_b64 s[2:3], s[0:1], s[2:3]
	s_waitcnt vmcnt(1)
	v_add_u32_e32 v5, 0x8000, v5
	v_cmp_eq_u32_e64 s[28:29], 2, v3
	v_cmp_eq_u32_e64 s[30:31], 3, v3
	;; [unrolled: 1-line block ×6, first 2 shown]
	v_cndmask_b32_e64 v4, 0, 1, s[2:3]
	s_and_b64 s[2:3], s[0:1], s[26:27]
	s_waitcnt vmcnt(0)
	v_add_u32_e32 v2, 0x8000, v2
	v_cmp_eq_u32_e64 s[34:35], v7, v36
	v_and_b32_e32 v3, v5, v42
	v_bfe_u32 v5, v5, v39, 2
	v_cndmask_b32_e64 v7, 0, 1, s[2:3]
	s_and_b64 s[2:3], s[0:1], s[28:29]
	s_and_b64 s[0:1], s[0:1], s[30:31]
	v_cndmask_b32_e64 v8, 0, 1, s[2:3]
	v_cndmask_b32_e64 v9, 0, 1, s[0:1]
	v_cmp_eq_u32_e64 s[0:1], v3, v36
	v_and_b32_e32 v3, v2, v42
	v_bfe_u32 v2, v2, v39, 2
	v_cmp_eq_u32_e64 s[2:3], 0, v5
	s_and_b64 s[36:37], s[34:35], s[36:37]
	s_and_b64 s[38:39], s[34:35], s[38:39]
	;; [unrolled: 1-line block ×4, first 2 shown]
	v_cmp_eq_u32_e64 s[26:27], 1, v5
	v_cmp_eq_u32_e64 s[28:29], 2, v5
	;; [unrolled: 1-line block ×3, first 2 shown]
	v_cndmask_b32_e64 v5, 0, 1, s[38:39]
	v_cmp_ne_u32_e64 s[38:39], 0, v8
	v_cndmask_b32_e64 v8, 0, 1, s[34:35]
	v_cmp_eq_u32_e64 s[34:35], v3, v36
	v_cmp_eq_u32_e64 s[42:43], 0, v2
	s_and_b64 s[2:3], s[0:1], s[2:3]
	v_cmp_eq_u32_e64 s[46:47], 1, v2
	v_cmp_eq_u32_e64 s[48:49], 2, v2
	;; [unrolled: 1-line block ×3, first 2 shown]
	v_cndmask_b32_e64 v2, 0, 1, s[2:3]
	s_and_b64 s[26:27], s[0:1], s[26:27]
	s_and_b64 s[28:29], s[0:1], s[28:29]
	;; [unrolled: 1-line block ×4, first 2 shown]
	v_cmp_ne_u32_e64 s[44:45], 0, v4
	v_cndmask_b32_e64 v4, 0, 1, s[36:37]
	v_cmp_ne_u32_e64 s[36:37], 0, v7
	v_cndmask_b32_e64 v7, 0, 1, s[40:41]
	v_cmp_ne_u32_e64 s[40:41], 0, v9
	v_cmp_ne_u32_e64 s[2:3], 0, v5
	v_cndmask_b32_e64 v3, 0, 1, s[26:27]
	v_cndmask_b32_e64 v5, 0, 1, s[0:1]
	v_cmp_ne_u32_e64 s[0:1], 0, v2
	v_cndmask_b32_e64 v2, 0, 1, s[30:31]
	s_and_b64 s[30:31], s[34:35], s[46:47]
	s_bcnt1_i32_b64 s9, s[44:45]
	v_cmp_ne_u32_e64 s[44:45], 0, v4
	s_bcnt1_i32_b64 s36, s[36:37]
	s_bcnt1_i32_b64 s37, s[38:39]
	v_cmp_ne_u32_e64 s[26:27], 0, v7
	v_cndmask_b32_e64 v4, 0, 1, s[28:29]
	s_bcnt1_i32_b64 s38, s[40:41]
	s_bcnt1_i32_b64 s40, s[2:3]
	v_cmp_ne_u32_e64 s[2:3], 0, v3
	v_cndmask_b32_e64 v3, 0, 1, s[30:31]
	s_and_b64 s[30:31], s[34:35], s[48:49]
	v_cmp_ne_u32_e64 s[28:29], 0, v8
	s_bcnt1_i32_b64 s41, s[26:27]
	v_cmp_ne_u32_e64 s[26:27], 0, v4
	v_cndmask_b32_e64 v4, 0, 1, s[30:31]
	s_and_b64 s[30:31], s[34:35], s[50:51]
	s_bcnt1_i32_b64 s39, s[44:45]
	s_add_i32 s9, s58, s9
	s_add_i32 s36, s59, s36
	s_bcnt1_i32_b64 s42, s[28:29]
	v_cmp_ne_u32_e64 s[28:29], 0, v5
	v_cndmask_b32_e64 v5, 0, 1, s[30:31]
	s_add_i32 s30, s56, s37
	s_add_i32 s31, s57, s38
	s_bcnt1_i32_b64 s34, s[0:1]
	v_cmp_ne_u32_e64 s[0:1], 0, v2
	s_bcnt1_i32_b64 s35, s[2:3]
	v_cmp_ne_u32_e64 s[2:3], 0, v3
	s_add_i32 s36, s36, s40
	s_add_i32 s9, s9, s39
	s_bcnt1_i32_b64 s37, s[26:27]
	v_cmp_ne_u32_e64 s[26:27], 0, v4
	s_bcnt1_i32_b64 s38, s[28:29]
	v_cmp_ne_u32_e64 s[28:29], 0, v5
	s_add_i32 s31, s31, s42
	s_add_i32 s30, s30, s41
	s_bcnt1_i32_b64 s0, s[0:1]
	s_bcnt1_i32_b64 s1, s[2:3]
	s_add_i32 s2, s9, s34
	s_add_i32 s3, s36, s35
	s_bcnt1_i32_b64 s9, s[26:27]
	s_bcnt1_i32_b64 s26, s[28:29]
	s_add_i32 s27, s30, s37
	s_add_i32 s28, s31, s38
	;; [unrolled: 1-line block ×6, first 2 shown]
	s_or_b64 s[54:55], vcc, s[54:55]
	v_mov_b64_e32 v[2:3], s[58:59]
	v_mov_b64_e32 v[4:5], s[56:57]
	s_andn2_b64 exec, exec, s[54:55]
	s_cbranch_execnz .LBB106_68
; %bb.69:                               ;   in Loop: Header=BB106_11 Depth=1
	s_or_b64 exec, exec, s[54:55]
.LBB106_70:                             ;   in Loop: Header=BB106_11 Depth=1
	s_or_b64 exec, exec, s[52:53]
	s_and_saveexec_b64 s[2:3], s[18:19]
	s_cbranch_execz .LBB106_76
; %bb.71:                               ;   in Loop: Header=BB106_11 Depth=1
	global_load_ushort v8, v[20:21], off
	s_mov_b64 s[8:9], 0
	v_mov_b32_e32 v14, v35
	v_mov_b32_e32 v6, v29
	s_branch .LBB106_73
.LBB106_72:                             ;   in Loop: Header=BB106_73 Depth=2
	s_or_b64 exec, exec, s[26:27]
	s_waitcnt vmcnt(0)
	v_add_u32_sdwa v8, sext(v8), s79 dst_sel:DWORD dst_unused:UNUSED_PAD src0_sel:WORD_0 src1_sel:DWORD
	s_and_b64 s[0:1], exec, vcc
	v_and_b32_e32 v9, v8, v42
	v_bfe_u32 v8, v8, v39, 2
	s_or_b64 s[8:9], s[0:1], s[8:9]
	v_cmp_eq_u32_e32 vcc, v9, v36
	v_cmp_eq_u32_e64 s[0:1], 0, v8
	s_and_b64 s[0:1], vcc, s[0:1]
	v_add_u32_e32 v14, s98, v14
	v_cndmask_b32_e64 v9, 0, 1, s[0:1]
	v_cmp_ne_u32_e64 s[0:1], 0, v9
	s_bcnt1_i32_b64 s26, s[0:1]
	v_cmp_eq_u32_e64 s[0:1], 1, v8
	s_and_b64 s[0:1], vcc, s[0:1]
	v_add_u32_e32 v2, s26, v2
	v_cndmask_b32_e64 v9, 0, 1, s[0:1]
	v_cmp_ne_u32_e64 s[0:1], 0, v9
	s_bcnt1_i32_b64 s0, s[0:1]
	s_nop 0
	v_add_u32_e32 v3, s0, v3
	v_cmp_eq_u32_e64 s[0:1], 2, v8
	s_and_b64 s[0:1], vcc, s[0:1]
	s_nop 0
	v_cndmask_b32_e64 v9, 0, 1, s[0:1]
	v_cmp_ne_u32_e64 s[0:1], 0, v9
	s_bcnt1_i32_b64 s26, s[0:1]
	v_cmp_eq_u32_e64 s[0:1], 3, v8
	s_and_b64 s[0:1], vcc, s[0:1]
	v_add_u32_e32 v4, s26, v4
	v_cndmask_b32_e64 v8, 0, 1, s[0:1]
	v_cmp_ne_u32_e32 vcc, 0, v8
	s_bcnt1_i32_b64 s0, vcc
	v_add_u32_e32 v5, s0, v5
	v_mov_b32_e32 v8, v7
	s_andn2_b64 exec, exec, s[8:9]
	s_cbranch_execz .LBB106_75
.LBB106_73:                             ;   Parent Loop BB106_11 Depth=1
                                        ; =>  This Inner Loop Header: Depth=2
	v_add_u32_e32 v6, s67, v6
	v_cmp_gt_u32_e64 s[0:1], s64, v6
	v_cmp_le_u32_e32 vcc, s64, v6
	v_mov_b32_e32 v7, 0
	s_and_saveexec_b64 s[26:27], s[0:1]
	s_cbranch_execz .LBB106_72
; %bb.74:                               ;   in Loop: Header=BB106_73 Depth=2
	v_lshl_add_u64 v[46:47], v[14:15], 1, v[10:11]
	global_load_ushort v7, v[46:47], off
	s_branch .LBB106_72
.LBB106_75:                             ;   in Loop: Header=BB106_11 Depth=1
	s_or_b64 exec, exec, s[8:9]
.LBB106_76:                             ;   in Loop: Header=BB106_11 Depth=1
	s_or_b64 exec, exec, s[2:3]
	s_branch .LBB106_58
.LBB106_77:                             ;   in Loop: Header=BB106_11 Depth=1
	s_mul_hi_u32 s0, s21, s76
	s_mul_i32 s0, s0, s65
	s_sub_i32 s0, s21, s0
	s_sub_i32 s1, s0, s65
	s_cmp_ge_u32 s0, s65
	s_cselect_b32 s0, s1, s0
	s_sub_i32 s1, s0, s65
	s_cmp_ge_u32 s0, s65
	s_cselect_b32 s0, s1, s0
	s_sub_i32 s88, s21, s0
	v_mov_b32_e32 v14, v15
	v_cmp_gt_u32_e32 vcc, s88, v19
	v_mov_b64_e32 v[4:5], v[14:15]
	v_mov_b64_e32 v[2:3], v[14:15]
	s_and_saveexec_b64 s[74:75], vcc
	s_cbranch_execz .LBB106_81
; %bb.78:                               ;   in Loop: Header=BB106_11 Depth=1
	s_mov_b32 s96, 0
	s_mov_b64 s[84:85], 0
	v_mov_b32_e32 v6, v37
	v_mov_b32_e32 v7, v19
	s_mov_b32 s97, s96
	s_mov_b32 s8, s96
	;; [unrolled: 1-line block ×3, first 2 shown]
.LBB106_79:                             ;   Parent Loop BB106_11 Depth=1
                                        ; =>  This Inner Loop Header: Depth=2
	ds_read_b64 v[2:3], v6
	v_add_u32_e32 v7, s65, v7
	v_cmp_le_u32_e32 vcc, s88, v7
	v_add_u32_e32 v6, s95, v6
	s_waitcnt lgkmcnt(0)
	v_add_u32_sdwa v4, sext(v2), s79 dst_sel:DWORD dst_unused:UNUSED_PAD src0_sel:WORD_0 src1_sel:DWORD
	v_add_u32_sdwa v2, sext(v2), s79 dst_sel:DWORD dst_unused:UNUSED_PAD src0_sel:WORD_1 src1_sel:DWORD
	v_and_b32_e32 v8, v4, v42
	v_bfe_u32 v4, v4, v39, 2
	v_add_u32_sdwa v5, sext(v3), s79 dst_sel:DWORD dst_unused:UNUSED_PAD src0_sel:WORD_0 src1_sel:DWORD
	v_and_b32_e32 v9, v2, v42
	v_bfe_u32 v2, v2, v39, 2
	v_cmp_eq_u32_e64 s[0:1], v8, v36
	v_cmp_eq_u32_e64 s[30:31], 0, v4
	v_add_u32_sdwa v3, sext(v3), s79 dst_sel:DWORD dst_unused:UNUSED_PAD src0_sel:WORD_1 src1_sel:DWORD
	v_and_b32_e32 v14, v5, v42
	v_bfe_u32 v5, v5, v39, 2
	v_cmp_eq_u32_e64 s[2:3], v9, v36
	v_cmp_eq_u32_e64 s[34:35], 0, v2
	s_and_b64 s[30:31], s[0:1], s[30:31]
	v_and_b32_e32 v45, v3, v42
	v_bfe_u32 v3, v3, v39, 2
	v_cmp_eq_u32_e64 s[26:27], v14, v36
	v_cmp_eq_u32_e64 s[36:37], 0, v5
	v_cmp_eq_u32_e64 s[42:43], 1, v2
	v_cmp_eq_u32_e64 s[50:51], 2, v2
	v_cmp_eq_u32_e64 s[58:59], 3, v2
	v_cndmask_b32_e64 v2, 0, 1, s[30:31]
	s_and_b64 s[30:31], s[2:3], s[34:35]
	v_cmp_eq_u32_e64 s[28:29], v45, v36
	v_cmp_eq_u32_e64 s[38:39], 0, v3
	;; [unrolled: 1-line block ×5, first 2 shown]
	v_cndmask_b32_e64 v3, 0, 1, s[30:31]
	s_and_b64 s[30:31], s[26:27], s[36:37]
	v_cmp_eq_u32_e64 s[40:41], 1, v4
	v_cmp_eq_u32_e64 s[48:49], 2, v4
	;; [unrolled: 1-line block ×3, first 2 shown]
	v_cndmask_b32_e64 v4, 0, 1, s[30:31]
	s_and_b64 s[30:31], s[28:29], s[38:39]
	v_cmp_eq_u32_e64 s[44:45], 1, v5
	v_cmp_eq_u32_e64 s[52:53], 2, v5
	v_cmp_eq_u32_e64 s[60:61], 3, v5
	v_cndmask_b32_e64 v5, 0, 1, s[30:31]
	s_and_b64 s[30:31], s[0:1], s[40:41]
	v_cndmask_b32_e64 v8, 0, 1, s[30:31]
	s_and_b64 s[30:31], s[2:3], s[42:43]
	;; [unrolled: 2-line block ×5, first 2 shown]
	s_and_b64 s[0:1], s[0:1], s[56:57]
	v_cndmask_b32_e64 v46, 0, 1, s[30:31]
	s_and_b64 s[30:31], s[2:3], s[50:51]
	v_cndmask_b32_e64 v51, 0, 1, s[0:1]
	;; [unrolled: 2-line block ×7, first 2 shown]
	v_cndmask_b32_e64 v54, 0, 1, s[0:1]
	v_cmp_ne_u32_e64 s[0:1], 0, v2
	v_cmp_ne_u32_e64 s[2:3], 0, v3
	;; [unrolled: 1-line block ×11, first 2 shown]
	s_bcnt1_i32_b64 s0, s[0:1]
	s_bcnt1_i32_b64 s1, s[2:3]
	;; [unrolled: 1-line block ×8, first 2 shown]
	v_cmp_ne_u32_e64 s[38:39], 0, v45
	v_cmp_ne_u32_e64 s[44:45], 0, v48
	;; [unrolled: 1-line block ×3, first 2 shown]
	s_bcnt1_i32_b64 s27, s[34:35]
	s_bcnt1_i32_b64 s31, s[42:43]
	;; [unrolled: 1-line block ×3, first 2 shown]
	s_add_i32 s0, s96, s0
	s_add_i32 s26, s97, s26
	;; [unrolled: 1-line block ×4, first 2 shown]
	v_cmp_ne_u32_e64 s[46:47], 0, v50
	v_cmp_ne_u32_e64 s[54:55], 0, v54
	s_bcnt1_i32_b64 s29, s[38:39]
	s_bcnt1_i32_b64 s34, s[44:45]
	;; [unrolled: 1-line block ×3, first 2 shown]
	s_add_i32 s26, s26, s27
	s_add_i32 s0, s0, s1
	;; [unrolled: 1-line block ×4, first 2 shown]
	s_bcnt1_i32_b64 s35, s[46:47]
	s_bcnt1_i32_b64 s39, s[54:55]
	s_add_i32 s0, s0, s2
	s_add_i32 s2, s26, s28
	;; [unrolled: 1-line block ×8, first 2 shown]
	s_or_b64 s[84:85], vcc, s[84:85]
	v_mov_b64_e32 v[2:3], s[96:97]
	v_mov_b64_e32 v[4:5], s[8:9]
	s_andn2_b64 exec, exec, s[84:85]
	s_cbranch_execnz .LBB106_79
; %bb.80:                               ;   in Loop: Header=BB106_11 Depth=1
	s_or_b64 exec, exec, s[84:85]
.LBB106_81:                             ;   in Loop: Header=BB106_11 Depth=1
	s_or_b64 exec, exec, s[74:75]
	v_add_u32_e32 v6, s88, v0
	v_cmp_gt_u32_e32 vcc, s21, v6
	s_and_saveexec_b64 s[8:9], vcc
	s_cbranch_execz .LBB106_85
; %bb.82:                               ;   in Loop: Header=BB106_11 Depth=1
	v_lshlrev_b32_e32 v7, 1, v6
	s_mov_b64 s[34:35], 0
.LBB106_83:                             ;   Parent Loop BB106_11 Depth=1
                                        ; =>  This Inner Loop Header: Depth=2
	ds_read_i16 v8, v7
	v_add_u32_e32 v6, s67, v6
	v_cmp_le_u32_e32 vcc, s21, v6
	v_add_u32_e32 v7, s78, v7
	s_waitcnt lgkmcnt(0)
	v_add_u32_e32 v8, 0x8000, v8
	v_and_b32_e32 v9, v8, v42
	v_bfe_u32 v8, v8, v39, 2
	v_cmp_eq_u32_e64 s[0:1], v9, v36
	v_cmp_eq_u32_e64 s[2:3], 0, v8
	;; [unrolled: 1-line block ×3, first 2 shown]
	s_and_b64 s[2:3], s[0:1], s[2:3]
	v_cmp_eq_u32_e64 s[28:29], 2, v8
	v_cmp_eq_u32_e64 s[30:31], 3, v8
	v_cndmask_b32_e64 v8, 0, 1, s[2:3]
	s_and_b64 s[2:3], s[0:1], s[26:27]
	v_cndmask_b32_e64 v9, 0, 1, s[2:3]
	s_and_b64 s[2:3], s[0:1], s[28:29]
	s_and_b64 s[0:1], s[0:1], s[30:31]
	v_cndmask_b32_e64 v14, 0, 1, s[2:3]
	v_cndmask_b32_e64 v45, 0, 1, s[0:1]
	v_cmp_ne_u32_e64 s[0:1], 0, v8
	v_cmp_ne_u32_e64 s[2:3], 0, v9
	;; [unrolled: 1-line block ×4, first 2 shown]
	s_bcnt1_i32_b64 s0, s[0:1]
	s_bcnt1_i32_b64 s1, s[2:3]
	;; [unrolled: 1-line block ×4, first 2 shown]
	v_add_u32_e32 v3, s1, v3
	v_add_u32_e32 v2, s0, v2
	;; [unrolled: 1-line block ×3, first 2 shown]
	s_or_b64 s[34:35], vcc, s[34:35]
	v_add_u32_e32 v4, s2, v4
	s_andn2_b64 exec, exec, s[34:35]
	s_cbranch_execnz .LBB106_83
; %bb.84:                               ;   in Loop: Header=BB106_11 Depth=1
	s_or_b64 exec, exec, s[34:35]
.LBB106_85:                             ;   in Loop: Header=BB106_11 Depth=1
	s_or_b64 exec, exec, s[8:9]
	s_lshl_b32 s8, s20, 6
	s_and_saveexec_b64 s[0:1], s[4:5]
	s_cbranch_execnz .LBB106_59
	s_branch .LBB106_60
.LBB106_86:                             ;   in Loop: Header=BB106_11 Depth=1
	v_mov_b32_e32 v2, 0
	s_mov_b32 s9, 0
	s_cbranch_execnz .LBB106_91
	s_branch .LBB106_93
.LBB106_87:                             ;   in Loop: Header=BB106_11 Depth=1
	v_mov_b32_e32 v14, v15
	s_mov_b32 s2, 0
	v_mov_b64_e32 v[2:3], v[14:15]
	s_mov_b32 s3, 1
.LBB106_88:                             ;   in Loop: Header=BB106_11 Depth=1
	v_readlane_b32 s26, v78, 40
	v_readlane_b32 s27, v78, 41
	s_andn2_b64 vcc, exec, s[26:27]
	v_readlane_b32 s9, v78, 39
	s_cbranch_vccnz .LBB106_90
.LBB106_89:                             ;   Parent Loop BB106_11 Depth=1
                                        ; =>  This Inner Loop Header: Depth=2
	v_lshl_add_u32 v6, s2, 4, v5
	v_lshl_add_u32 v7, s3, 4, v5
	ds_read_b32 v7, v7
	ds_read_b32 v6, v6
	s_add_i32 s3, s3, 2
	s_add_i32 s2, s2, 2
	s_add_i32 s9, s9, -1
	s_cmp_lg_u32 s9, 0
	s_waitcnt lgkmcnt(1)
	v_add_u32_e32 v3, v7, v3
	s_waitcnt lgkmcnt(0)
	v_add_u32_e32 v2, v6, v2
	s_cbranch_scc1 .LBB106_89
.LBB106_90:                             ;   in Loop: Header=BB106_11 Depth=1
	v_readlane_b32 s2, v78, 44
	v_add_u32_e32 v2, v2, v3
	v_readlane_b32 s9, v78, 43
	v_readlane_b32 s3, v78, 45
	s_and_b64 vcc, exec, s[2:3]
	s_cbranch_vccz .LBB106_93
.LBB106_91:                             ;   in Loop: Header=BB106_11 Depth=1
	s_lshl_b32 s2, s20, 8
	s_lshl_b32 s3, s9, 4
	s_add_i32 s2, s2, s3
	v_add_u32_e32 v3, s2, v38
	v_readlane_b32 s2, v78, 42
	s_sub_i32 s2, s2, s9
.LBB106_92:                             ;   Parent Loop BB106_11 Depth=1
                                        ; =>  This Inner Loop Header: Depth=2
	ds_read_b32 v5, v3
	s_add_i32 s2, s2, -1
	v_add_u32_e32 v3, 16, v3
	s_cmp_eq_u32 s2, 0
	s_waitcnt lgkmcnt(0)
	v_add_u32_e32 v2, v5, v2
	s_cbranch_scc0 .LBB106_92
.LBB106_93:                             ;   in Loop: Header=BB106_11 Depth=1
	v_lshlrev_b32_e32 v3, 2, v4
	ds_write_b32 v3, v2 offset:3072
.LBB106_94:                             ;   in Loop: Header=BB106_11 Depth=1
	s_or_b64 exec, exec, s[0:1]
	s_lshl_b32 s0, s8, 2
	v_mov_b32_e32 v2, s0
	s_waitcnt lgkmcnt(0)
	s_barrier
	ds_read_b128 v[2:5], v2 offset:3072
	v_cmp_eq_u32_e32 vcc, 1, v44
	s_mov_b64 s[2:3], -1
	s_mov_b64 s[30:31], -1
                                        ; implicit-def: $sgpr28_sgpr29
                                        ; implicit-def: $sgpr8_sgpr9
	s_waitcnt lgkmcnt(0)
	v_readfirstlane_b32 s44, v2
	s_cmp_eq_u32 s44, 1
	v_lshlrev_b32_e64 v2, v39, 3
	s_cselect_b64 s[0:1], -1, 0
	v_readfirstlane_b32 s48, v3
	v_readfirstlane_b32 s56, v4
	v_readfirstlane_b32 s21, v5
	v_not_b32_e32 v4, v2
	s_and_b64 s[26:27], s[0:1], vcc
	s_and_saveexec_b64 s[0:1], s[26:27]
	s_cbranch_execz .LBB106_120
; %bb.95:                               ;   in Loop: Header=BB106_11 Depth=1
	ds_read_b32 v3, v15 offset:4104
	s_waitcnt lgkmcnt(0)
	s_barrier
	v_readfirstlane_b32 s45, v3
	s_and_saveexec_b64 s[8:9], s[6:7]
; %bb.96:                               ;   in Loop: Header=BB106_11 Depth=1
	ds_write_b16 v24, v15
; %bb.97:                               ;   in Loop: Header=BB106_11 Depth=1
	s_or_b64 exec, exec, s[8:9]
	v_and_b32_e32 v36, v36, v4
	v_or_b32_e32 v42, v42, v2
	s_mov_b64 s[8:9], -1
	s_mov_b64 s[28:29], 0
	s_cmp_eq_u32 s45, 0
	s_mov_b64 s[30:31], 0
	s_mov_b64 s[34:35], -1
	s_waitcnt lgkmcnt(0)
	s_barrier
                                        ; implicit-def: $vgpr43
	s_cbranch_scc1 .LBB106_108
; %bb.98:                               ;   in Loop: Header=BB106_11 Depth=1
	s_add_i32 s30, s45, s99
	s_mul_hi_u32 s31, s30, s92
	s_mul_i32 s31, s31, s67
	s_sub_i32 s31, s30, s31
	s_sub_i32 s34, s31, s67
	s_cmp_ge_u32 s31, s67
	s_cselect_b32 s31, s34, s31
	s_sub_i32 s34, s31, s67
	s_cmp_ge_u32 s31, s67
	s_cselect_b32 s31, s34, s31
	s_sub_i32 s46, s30, s31
	v_cmp_gt_u32_e32 vcc, s46, v0
	s_mov_b64 s[34:35], 0
	s_mov_b64 s[30:31], 0
                                        ; implicit-def: $vgpr43
	s_and_saveexec_b64 s[36:37], vcc
	s_cbranch_execz .LBB106_107
; %bb.99:                               ;   in Loop: Header=BB106_11 Depth=1
	v_mov_b32_e32 v3, v23
	v_mov_b32_e32 v5, v0
                                        ; implicit-def: $sgpr38_sgpr39
	s_branch .LBB106_102
.LBB106_100:                            ;   in Loop: Header=BB106_102 Depth=2
	s_or_b64 exec, exec, s[40:41]
	s_waitcnt lgkmcnt(0)
	s_barrier
	ds_read_b32 v6, v15 offset:3072
	s_mov_b64 s[40:41], -1
	s_waitcnt lgkmcnt(0)
	s_barrier
	v_cmp_ne_u32_sdwa s[42:43], v6, v15 src0_sel:WORD_0 src1_sel:DWORD
	s_and_b64 vcc, exec, s[42:43]
	s_mov_b64 s[42:43], -1
	s_cbranch_vccz .LBB106_105
.LBB106_101:                            ;   in Loop: Header=BB106_102 Depth=2
	s_and_b64 s[40:41], exec, s[40:41]
	s_or_b64 s[30:31], s[40:41], s[30:31]
	s_andn2_b64 s[38:39], s[38:39], exec
	s_and_b64 s[40:41], s[42:43], exec
	s_or_b64 s[38:39], s[38:39], s[40:41]
	s_andn2_b64 exec, exec, s[30:31]
	s_cbranch_execz .LBB106_106
.LBB106_102:                            ;   Parent Loop BB106_11 Depth=1
                                        ; =>  This Inner Loop Header: Depth=2
	v_cmp_gt_u32_e32 vcc, s45, v5
	s_and_saveexec_b64 s[40:41], vcc
	s_cbranch_execz .LBB106_100
; %bb.103:                              ;   in Loop: Header=BB106_102 Depth=2
	ds_read_u16 v6, v3
	s_waitcnt lgkmcnt(0)
	v_add_u32_sdwa v7, sext(v6), s79 dst_sel:DWORD dst_unused:UNUSED_PAD src0_sel:WORD_0 src1_sel:DWORD
	v_and_b32_e32 v7, v7, v42
	v_cmp_eq_u32_e32 vcc, v7, v36
	s_and_b64 exec, exec, vcc
	s_cbranch_execz .LBB106_100
; %bb.104:                              ;   in Loop: Header=BB106_102 Depth=2
	v_perm_b32 v6, v6, 1, v41
	ds_write_b32 v15, v6 offset:3072
	s_branch .LBB106_100
.LBB106_105:                            ;   in Loop: Header=BB106_102 Depth=2
	v_add_u32_e32 v5, s67, v5
	v_cmp_le_u32_e32 vcc, s46, v5
	v_add_u32_e32 v3, s78, v3
	s_mov_b64 s[42:43], 0
	s_orn2_b64 s[40:41], vcc, exec
	s_branch .LBB106_101
.LBB106_106:                            ;   in Loop: Header=BB106_11 Depth=1
	s_or_b64 exec, exec, s[30:31]
	v_lshrrev_b32_e32 v43, 16, v6
	s_and_b64 s[30:31], s[38:39], exec
.LBB106_107:                            ;   in Loop: Header=BB106_11 Depth=1
	s_or_b64 exec, exec, s[36:37]
.LBB106_108:                            ;   in Loop: Header=BB106_11 Depth=1
	s_and_b64 vcc, exec, s[34:35]
	s_cbranch_vccz .LBB106_119
; %bb.109:                              ;   in Loop: Header=BB106_11 Depth=1
                                        ; implicit-def: $vgpr43
	s_mov_b64 s[8:9], exec
	v_readlane_b32 s28, v78, 46
	v_readlane_b32 s29, v78, 47
	s_and_b64 s[28:29], s[8:9], s[28:29]
	s_mov_b64 exec, s[28:29]
	s_cbranch_execz .LBB106_118
; %bb.110:                              ;   in Loop: Header=BB106_11 Depth=1
	s_mov_b64 s[28:29], 0
	v_mov_b32_e32 v14, v12
	v_mov_b32_e32 v3, v0
                                        ; implicit-def: $sgpr34_sgpr35
	s_branch .LBB106_113
.LBB106_111:                            ;   in Loop: Header=BB106_113 Depth=2
	s_or_b64 exec, exec, s[36:37]
	s_waitcnt lgkmcnt(0)
	s_barrier
	ds_read_b32 v5, v15 offset:3072
	s_mov_b64 s[36:37], -1
	s_waitcnt lgkmcnt(0)
	s_barrier
	v_cmp_ne_u32_sdwa s[38:39], v5, v15 src0_sel:WORD_0 src1_sel:DWORD
	s_and_b64 vcc, exec, s[38:39]
	s_mov_b64 s[38:39], -1
	s_cbranch_vccz .LBB106_116
.LBB106_112:                            ;   in Loop: Header=BB106_113 Depth=2
	s_and_b64 s[36:37], exec, s[36:37]
	s_or_b64 s[28:29], s[36:37], s[28:29]
	s_andn2_b64 s[34:35], s[34:35], exec
	s_and_b64 s[36:37], s[38:39], exec
	s_or_b64 s[34:35], s[34:35], s[36:37]
	s_andn2_b64 exec, exec, s[28:29]
	s_cbranch_execz .LBB106_117
.LBB106_113:                            ;   Parent Loop BB106_11 Depth=1
                                        ; =>  This Inner Loop Header: Depth=2
	v_cmp_gt_u32_e32 vcc, s64, v3
	s_and_saveexec_b64 s[36:37], vcc
	s_cbranch_execz .LBB106_111
; %bb.114:                              ;   in Loop: Header=BB106_113 Depth=2
	v_lshl_add_u64 v[6:7], v[14:15], 1, v[10:11]
	global_load_ushort v5, v[6:7], off
	s_waitcnt vmcnt(0)
	v_add_u32_sdwa v6, sext(v5), s79 dst_sel:DWORD dst_unused:UNUSED_PAD src0_sel:WORD_0 src1_sel:DWORD
	v_and_b32_e32 v6, v6, v42
	v_cmp_eq_u32_e32 vcc, v6, v36
	s_and_b64 exec, exec, vcc
	s_cbranch_execz .LBB106_111
; %bb.115:                              ;   in Loop: Header=BB106_113 Depth=2
	v_perm_b32 v5, v5, 1, v41
	ds_write_b32 v15, v5 offset:3072
	s_branch .LBB106_111
.LBB106_116:                            ;   in Loop: Header=BB106_113 Depth=2
	v_add_u32_e32 v3, s67, v3
	v_cmp_le_u32_e32 vcc, s93, v3
	v_add_u32_e32 v14, s98, v14
	s_mov_b64 s[38:39], 0
	s_orn2_b64 s[36:37], vcc, exec
	s_branch .LBB106_112
.LBB106_117:                            ;   in Loop: Header=BB106_11 Depth=1
	s_or_b64 exec, exec, s[28:29]
	s_andn2_b64 s[28:29], s[30:31], exec
	s_and_b64 s[30:31], s[34:35], exec
	v_lshrrev_b32_e32 v43, 16, v5
	s_or_b64 s[30:31], s[28:29], s[30:31]
.LBB106_118:                            ;   in Loop: Header=BB106_11 Depth=1
	s_or_b64 exec, exec, s[8:9]
	s_mov_b64 s[8:9], 0
	s_mov_b64 s[28:29], -1
.LBB106_119:                            ;   in Loop: Header=BB106_11 Depth=1
	s_orn2_b64 s[30:31], s[30:31], exec
.LBB106_120:                            ;   in Loop: Header=BB106_11 Depth=1
	s_or_b64 exec, exec, s[0:1]
	s_andn2_b64 s[0:1], s[72:73], exec
	s_and_b64 s[28:29], s[28:29], exec
	s_or_b64 s[72:73], s[0:1], s[28:29]
	s_andn2_b64 s[0:1], s[14:15], exec
	s_and_b64 s[8:9], s[8:9], exec
	v_readfirstlane_b32 s36, v0
	s_andn2_b64 s[82:83], s[82:83], exec
	s_or_b64 s[14:15], s[0:1], s[8:9]
                                        ; implicit-def: $vgpr5
	s_and_saveexec_b64 s[0:1], s[30:31]
	s_cbranch_execz .LBB106_10
; %bb.121:                              ;   in Loop: Header=BB106_11 Depth=1
	s_xor_b64 s[8:9], s[26:27], -1
	s_mov_b64 s[26:27], 0
	v_mov_b32_e32 v5, 1
	v_mov_b32_e32 v3, 1
	s_and_saveexec_b64 s[2:3], s[8:9]
	s_cbranch_execz .LBB106_130
; %bb.122:                              ;   in Loop: Header=BB106_11 Depth=1
	v_cmp_ge_u32_e32 vcc, s44, v44
	s_and_saveexec_b64 s[8:9], vcc
	s_xor_b64 s[8:9], exec, s[8:9]
	s_cbranch_execz .LBB106_127
; %bb.123:                              ;   in Loop: Header=BB106_11 Depth=1
	ds_read_b32 v3, v15 offset:4104
	v_and_b32_e32 v36, v36, v4
	v_or_b32_e32 v42, v42, v2
	s_waitcnt lgkmcnt(0)
	v_cmp_ne_u32_e32 vcc, 0, v3
	s_cbranch_vccnz .LBB106_127
; %bb.124:                              ;   in Loop: Header=BB106_11 Depth=1
	s_and_saveexec_b64 s[26:27], s[22:23]
; %bb.125:                              ;   in Loop: Header=BB106_11 Depth=1
	v_mov_b32_e32 v3, s44
	ds_write_b32 v15, v3 offset:4108
; %bb.126:                              ;   in Loop: Header=BB106_11 Depth=1
	s_or_b64 exec, exec, s[26:27]
	s_waitcnt lgkmcnt(0)
	s_barrier
.LBB106_127:                            ;   in Loop: Header=BB106_11 Depth=1
	s_or_saveexec_b64 s[8:9], s[8:9]
	s_mov_b64 s[26:27], 0
	v_mov_b32_e32 v3, 8
	s_xor_b64 exec, exec, s[8:9]
; %bb.128:                              ;   in Loop: Header=BB106_11 Depth=1
	s_mov_b64 s[26:27], exec
	v_subrev_u32_e32 v44, s44, v44
	v_mov_b32_e32 v3, 0
; %bb.129:                              ;   in Loop: Header=BB106_11 Depth=1
	s_or_b64 exec, exec, s[8:9]
	s_and_b64 s[26:27], s[26:27], exec
	v_mov_b32_e32 v5, v44
.LBB106_130:                            ;   in Loop: Header=BB106_11 Depth=1
	s_or_b64 exec, exec, s[2:3]
	s_mov_b64 s[2:3], -1
	s_mov_b64 s[8:9], -1
                                        ; implicit-def: $sgpr28_sgpr29
                                        ; implicit-def: $sgpr30_sgpr31
	s_and_saveexec_b64 s[34:35], s[26:27]
	s_xor_b64 s[26:27], exec, s[34:35]
	s_cbranch_execz .LBB106_247
; %bb.131:                              ;   in Loop: Header=BB106_11 Depth=1
	s_cmp_eq_u32 s48, 1
	s_cselect_b64 s[8:9], -1, 0
	v_cmp_eq_u32_e32 vcc, 1, v5
	s_and_b64 s[36:37], s[8:9], vcc
	s_mov_b64 s[8:9], -1
                                        ; implicit-def: $sgpr30_sgpr31
                                        ; implicit-def: $sgpr28_sgpr29
	s_and_saveexec_b64 s[34:35], s[36:37]
	s_cbranch_execz .LBB106_157
; %bb.132:                              ;   in Loop: Header=BB106_11 Depth=1
	ds_read_b32 v6, v15 offset:4104
	s_waitcnt lgkmcnt(0)
	s_barrier
	v_readfirstlane_b32 s49, v6
	s_and_saveexec_b64 s[8:9], s[6:7]
; %bb.133:                              ;   in Loop: Header=BB106_11 Depth=1
	ds_write_b16 v24, v15
; %bb.134:                              ;   in Loop: Header=BB106_11 Depth=1
	s_or_b64 exec, exec, s[8:9]
	v_and_b32_e32 v6, v36, v4
	v_lshl_or_b32 v36, 1, v39, v6
	v_or_b32_e32 v42, v42, v2
	s_mov_b64 s[28:29], -1
	s_mov_b64 s[30:31], 0
	s_cmp_eq_u32 s49, 0
	s_mov_b64 s[8:9], 0
	s_mov_b64 s[38:39], -1
	s_waitcnt lgkmcnt(0)
	s_barrier
                                        ; implicit-def: $vgpr43
	s_cbranch_scc1 .LBB106_145
; %bb.135:                              ;   in Loop: Header=BB106_11 Depth=1
	s_add_i32 s8, s49, s99
	s_mul_hi_u32 s9, s8, s92
	s_mul_i32 s9, s9, s67
	s_sub_i32 s9, s8, s9
	s_sub_i32 s38, s9, s67
	s_cmp_ge_u32 s9, s67
	s_cselect_b32 s9, s38, s9
	s_sub_i32 s38, s9, s67
	s_cmp_ge_u32 s9, s67
	s_cselect_b32 s9, s38, s9
	s_sub_i32 s50, s8, s9
	v_cmp_gt_u32_e32 vcc, s50, v0
	s_mov_b64 s[38:39], 0
	s_mov_b64 s[8:9], 0
                                        ; implicit-def: $vgpr43
	s_and_saveexec_b64 s[40:41], vcc
	s_cbranch_execz .LBB106_144
; %bb.136:                              ;   in Loop: Header=BB106_11 Depth=1
	v_mov_b32_e32 v6, v23
	v_mov_b32_e32 v7, v0
                                        ; implicit-def: $sgpr42_sgpr43
	s_branch .LBB106_139
.LBB106_137:                            ;   in Loop: Header=BB106_139 Depth=2
	s_or_b64 exec, exec, s[44:45]
	s_waitcnt lgkmcnt(0)
	s_barrier
	ds_read_b32 v8, v15 offset:3072
	s_mov_b64 s[44:45], -1
	s_waitcnt lgkmcnt(0)
	s_barrier
	v_cmp_ne_u32_sdwa s[46:47], v8, v15 src0_sel:WORD_0 src1_sel:DWORD
	s_and_b64 vcc, exec, s[46:47]
	s_mov_b64 s[46:47], -1
	s_cbranch_vccz .LBB106_142
.LBB106_138:                            ;   in Loop: Header=BB106_139 Depth=2
	s_and_b64 s[44:45], exec, s[44:45]
	s_or_b64 s[8:9], s[44:45], s[8:9]
	s_andn2_b64 s[42:43], s[42:43], exec
	s_and_b64 s[44:45], s[46:47], exec
	s_or_b64 s[42:43], s[42:43], s[44:45]
	s_andn2_b64 exec, exec, s[8:9]
	s_cbranch_execz .LBB106_143
.LBB106_139:                            ;   Parent Loop BB106_11 Depth=1
                                        ; =>  This Inner Loop Header: Depth=2
	v_cmp_gt_u32_e32 vcc, s49, v7
	s_and_saveexec_b64 s[44:45], vcc
	s_cbranch_execz .LBB106_137
; %bb.140:                              ;   in Loop: Header=BB106_139 Depth=2
	ds_read_u16 v8, v6
	s_waitcnt lgkmcnt(0)
	v_add_u32_sdwa v9, sext(v8), s79 dst_sel:DWORD dst_unused:UNUSED_PAD src0_sel:WORD_0 src1_sel:DWORD
	v_and_b32_e32 v9, v9, v42
	v_cmp_eq_u32_e32 vcc, v9, v36
	s_and_b64 exec, exec, vcc
	s_cbranch_execz .LBB106_137
; %bb.141:                              ;   in Loop: Header=BB106_139 Depth=2
	v_perm_b32 v8, v8, 1, v41
	ds_write_b32 v15, v8 offset:3072
	s_branch .LBB106_137
.LBB106_142:                            ;   in Loop: Header=BB106_139 Depth=2
	v_add_u32_e32 v7, s67, v7
	v_cmp_le_u32_e32 vcc, s50, v7
	v_add_u32_e32 v6, s78, v6
	s_mov_b64 s[46:47], 0
	s_orn2_b64 s[44:45], vcc, exec
	s_branch .LBB106_138
.LBB106_143:                            ;   in Loop: Header=BB106_11 Depth=1
	s_or_b64 exec, exec, s[8:9]
	v_lshrrev_b32_e32 v43, 16, v8
	s_and_b64 s[8:9], s[42:43], exec
.LBB106_144:                            ;   in Loop: Header=BB106_11 Depth=1
	s_or_b64 exec, exec, s[40:41]
.LBB106_145:                            ;   in Loop: Header=BB106_11 Depth=1
	s_and_b64 vcc, exec, s[38:39]
	s_cbranch_vccz .LBB106_156
; %bb.146:                              ;   in Loop: Header=BB106_11 Depth=1
                                        ; implicit-def: $vgpr43
	s_mov_b64 s[28:29], exec
	v_readlane_b32 s30, v78, 46
	v_readlane_b32 s31, v78, 47
	s_and_b64 s[30:31], s[28:29], s[30:31]
	s_mov_b64 exec, s[30:31]
	s_cbranch_execz .LBB106_155
; %bb.147:                              ;   in Loop: Header=BB106_11 Depth=1
	s_mov_b64 s[30:31], 0
	v_mov_b32_e32 v14, v12
	v_mov_b32_e32 v6, v0
                                        ; implicit-def: $sgpr38_sgpr39
	s_branch .LBB106_150
.LBB106_148:                            ;   in Loop: Header=BB106_150 Depth=2
	s_or_b64 exec, exec, s[40:41]
	s_waitcnt lgkmcnt(0)
	s_barrier
	ds_read_b32 v7, v15 offset:3072
	s_mov_b64 s[40:41], -1
	s_waitcnt lgkmcnt(0)
	s_barrier
	v_cmp_eq_u32_sdwa s[42:43], v7, v15 src0_sel:WORD_0 src1_sel:DWORD
	s_and_b64 vcc, exec, s[42:43]
	s_mov_b64 s[42:43], -1
	s_cbranch_vccnz .LBB106_153
.LBB106_149:                            ;   in Loop: Header=BB106_150 Depth=2
	s_and_b64 s[40:41], exec, s[40:41]
	s_or_b64 s[30:31], s[40:41], s[30:31]
	s_andn2_b64 s[38:39], s[38:39], exec
	s_and_b64 s[40:41], s[42:43], exec
	s_or_b64 s[38:39], s[38:39], s[40:41]
	s_andn2_b64 exec, exec, s[30:31]
	s_cbranch_execz .LBB106_154
.LBB106_150:                            ;   Parent Loop BB106_11 Depth=1
                                        ; =>  This Inner Loop Header: Depth=2
	v_cmp_gt_u32_e32 vcc, s64, v6
	s_and_saveexec_b64 s[40:41], vcc
	s_cbranch_execz .LBB106_148
; %bb.151:                              ;   in Loop: Header=BB106_150 Depth=2
	v_lshl_add_u64 v[8:9], v[14:15], 1, v[10:11]
	global_load_ushort v7, v[8:9], off
	s_waitcnt vmcnt(0)
	v_add_u32_sdwa v8, sext(v7), s79 dst_sel:DWORD dst_unused:UNUSED_PAD src0_sel:WORD_0 src1_sel:DWORD
	v_and_b32_e32 v8, v8, v42
	v_cmp_eq_u32_e32 vcc, v8, v36
	s_and_b64 exec, exec, vcc
	s_cbranch_execz .LBB106_148
; %bb.152:                              ;   in Loop: Header=BB106_150 Depth=2
	v_perm_b32 v7, v7, 1, v41
	ds_write_b32 v15, v7 offset:3072
	s_branch .LBB106_148
.LBB106_153:                            ;   in Loop: Header=BB106_150 Depth=2
	v_add_u32_e32 v6, s67, v6
	v_cmp_le_u32_e32 vcc, s93, v6
	v_add_u32_e32 v14, s98, v14
	s_mov_b64 s[42:43], 0
	s_orn2_b64 s[40:41], vcc, exec
	s_branch .LBB106_149
.LBB106_154:                            ;   in Loop: Header=BB106_11 Depth=1
	s_or_b64 exec, exec, s[30:31]
	s_andn2_b64 s[8:9], s[8:9], exec
	s_and_b64 s[30:31], s[38:39], exec
	v_lshrrev_b32_e32 v43, 16, v7
	s_or_b64 s[8:9], s[8:9], s[30:31]
.LBB106_155:                            ;   in Loop: Header=BB106_11 Depth=1
	s_or_b64 exec, exec, s[28:29]
	s_mov_b64 s[28:29], 0
	s_mov_b64 s[30:31], -1
.LBB106_156:                            ;   in Loop: Header=BB106_11 Depth=1
	s_orn2_b64 s[8:9], s[8:9], exec
.LBB106_157:                            ;   in Loop: Header=BB106_11 Depth=1
	s_or_b64 exec, exec, s[34:35]
	s_mov_b64 s[38:39], 0
	s_and_saveexec_b64 s[34:35], s[8:9]
	s_cbranch_execz .LBB106_246
; %bb.158:                              ;   in Loop: Header=BB106_11 Depth=1
	s_xor_b64 s[36:37], s[36:37], -1
	s_mov_b64 s[42:43], 0
	v_mov_b32_e32 v6, 1
	v_mov_b32_e32 v3, 1
	s_and_saveexec_b64 s[8:9], s[36:37]
	s_cbranch_execz .LBB106_167
; %bb.159:                              ;   in Loop: Header=BB106_11 Depth=1
	v_cmp_ge_u32_e32 vcc, s48, v5
	s_and_saveexec_b64 s[36:37], vcc
	s_xor_b64 s[36:37], exec, s[36:37]
	s_cbranch_execz .LBB106_164
; %bb.160:                              ;   in Loop: Header=BB106_11 Depth=1
	ds_read_b32 v3, v15 offset:4104
	v_and_b32_e32 v6, v36, v4
	v_lshl_or_b32 v36, 1, v39, v6
	v_or_b32_e32 v42, v42, v2
	s_waitcnt lgkmcnt(0)
	v_cmp_ne_u32_e32 vcc, 0, v3
	s_cbranch_vccnz .LBB106_164
; %bb.161:                              ;   in Loop: Header=BB106_11 Depth=1
	s_and_saveexec_b64 s[38:39], s[22:23]
; %bb.162:                              ;   in Loop: Header=BB106_11 Depth=1
	v_mov_b32_e32 v3, s48
	ds_write_b32 v15, v3 offset:4108
; %bb.163:                              ;   in Loop: Header=BB106_11 Depth=1
	s_or_b64 exec, exec, s[38:39]
	s_waitcnt lgkmcnt(0)
	s_barrier
.LBB106_164:                            ;   in Loop: Header=BB106_11 Depth=1
	s_or_saveexec_b64 s[36:37], s[36:37]
	s_mov_b64 s[38:39], 0
	v_mov_b32_e32 v3, 8
	s_xor_b64 exec, exec, s[36:37]
; %bb.165:                              ;   in Loop: Header=BB106_11 Depth=1
	s_mov_b64 s[38:39], exec
	v_subrev_u32_e32 v5, s48, v5
	v_mov_b32_e32 v3, 0
; %bb.166:                              ;   in Loop: Header=BB106_11 Depth=1
	s_or_b64 exec, exec, s[36:37]
	s_and_b64 s[42:43], s[38:39], exec
	v_mov_b32_e32 v6, v5
.LBB106_167:                            ;   in Loop: Header=BB106_11 Depth=1
	s_or_b64 exec, exec, s[8:9]
	s_mov_b64 s[8:9], -1
                                        ; implicit-def: $sgpr38_sgpr39
                                        ; implicit-def: $sgpr40_sgpr41
	s_and_saveexec_b64 s[36:37], s[42:43]
	s_cbranch_execz .LBB106_245
; %bb.168:                              ;   in Loop: Header=BB106_11 Depth=1
	s_cmp_eq_u32 s56, 1
	s_cselect_b64 s[8:9], -1, 0
	v_cmp_eq_u32_e32 vcc, 1, v6
	s_and_b64 s[44:45], s[8:9], vcc
	s_mov_b64 s[8:9], -1
                                        ; implicit-def: $sgpr40_sgpr41
                                        ; implicit-def: $sgpr38_sgpr39
	s_and_saveexec_b64 s[42:43], s[44:45]
	s_cbranch_execz .LBB106_194
; %bb.169:                              ;   in Loop: Header=BB106_11 Depth=1
	ds_read_b32 v5, v15 offset:4104
	s_waitcnt lgkmcnt(0)
	s_barrier
	v_readfirstlane_b32 s57, v5
	s_and_saveexec_b64 s[8:9], s[6:7]
; %bb.170:                              ;   in Loop: Header=BB106_11 Depth=1
	ds_write_b16 v24, v15
; %bb.171:                              ;   in Loop: Header=BB106_11 Depth=1
	s_or_b64 exec, exec, s[8:9]
	v_and_b32_e32 v5, v36, v4
	v_lshl_or_b32 v36, 2, v39, v5
	v_or_b32_e32 v42, v42, v2
	s_mov_b64 s[38:39], -1
	s_mov_b64 s[40:41], 0
	s_cmp_eq_u32 s57, 0
	s_mov_b64 s[8:9], 0
	s_mov_b64 s[46:47], -1
	s_waitcnt lgkmcnt(0)
	s_barrier
                                        ; implicit-def: $vgpr43
	s_cbranch_scc1 .LBB106_182
; %bb.172:                              ;   in Loop: Header=BB106_11 Depth=1
	s_add_i32 s8, s57, s99
	s_mul_hi_u32 s9, s8, s92
	s_mul_i32 s9, s9, s67
	s_sub_i32 s9, s8, s9
	s_sub_i32 s46, s9, s67
	s_cmp_ge_u32 s9, s67
	s_cselect_b32 s9, s46, s9
	s_sub_i32 s46, s9, s67
	s_cmp_ge_u32 s9, s67
	s_cselect_b32 s9, s46, s9
	s_sub_i32 s58, s8, s9
	v_cmp_gt_u32_e32 vcc, s58, v0
	s_mov_b64 s[46:47], 0
	s_mov_b64 s[8:9], 0
                                        ; implicit-def: $vgpr43
	s_and_saveexec_b64 s[48:49], vcc
	s_cbranch_execz .LBB106_181
; %bb.173:                              ;   in Loop: Header=BB106_11 Depth=1
	v_mov_b32_e32 v5, v23
	v_mov_b32_e32 v7, v0
                                        ; implicit-def: $sgpr50_sgpr51
	s_branch .LBB106_176
.LBB106_174:                            ;   in Loop: Header=BB106_176 Depth=2
	s_or_b64 exec, exec, s[52:53]
	s_waitcnt lgkmcnt(0)
	s_barrier
	ds_read_b32 v8, v15 offset:3072
	s_mov_b64 s[52:53], -1
	s_waitcnt lgkmcnt(0)
	s_barrier
	v_cmp_ne_u32_sdwa s[54:55], v8, v15 src0_sel:WORD_0 src1_sel:DWORD
	s_and_b64 vcc, exec, s[54:55]
	s_mov_b64 s[54:55], -1
	s_cbranch_vccz .LBB106_179
.LBB106_175:                            ;   in Loop: Header=BB106_176 Depth=2
	s_and_b64 s[52:53], exec, s[52:53]
	s_or_b64 s[8:9], s[52:53], s[8:9]
	s_andn2_b64 s[50:51], s[50:51], exec
	s_and_b64 s[52:53], s[54:55], exec
	s_or_b64 s[50:51], s[50:51], s[52:53]
	s_andn2_b64 exec, exec, s[8:9]
	s_cbranch_execz .LBB106_180
.LBB106_176:                            ;   Parent Loop BB106_11 Depth=1
                                        ; =>  This Inner Loop Header: Depth=2
	v_cmp_gt_u32_e32 vcc, s57, v7
	s_and_saveexec_b64 s[52:53], vcc
	s_cbranch_execz .LBB106_174
; %bb.177:                              ;   in Loop: Header=BB106_176 Depth=2
	ds_read_u16 v8, v5
	s_waitcnt lgkmcnt(0)
	v_add_u32_sdwa v9, sext(v8), s79 dst_sel:DWORD dst_unused:UNUSED_PAD src0_sel:WORD_0 src1_sel:DWORD
	v_and_b32_e32 v9, v9, v42
	v_cmp_eq_u32_e32 vcc, v9, v36
	s_and_b64 exec, exec, vcc
	s_cbranch_execz .LBB106_174
; %bb.178:                              ;   in Loop: Header=BB106_176 Depth=2
	v_perm_b32 v8, v8, 1, v41
	ds_write_b32 v15, v8 offset:3072
	s_branch .LBB106_174
.LBB106_179:                            ;   in Loop: Header=BB106_176 Depth=2
	v_add_u32_e32 v7, s67, v7
	v_cmp_le_u32_e32 vcc, s58, v7
	v_add_u32_e32 v5, s78, v5
	s_mov_b64 s[54:55], 0
	s_orn2_b64 s[52:53], vcc, exec
	s_branch .LBB106_175
.LBB106_180:                            ;   in Loop: Header=BB106_11 Depth=1
	s_or_b64 exec, exec, s[8:9]
	v_lshrrev_b32_e32 v43, 16, v8
	s_and_b64 s[8:9], s[50:51], exec
.LBB106_181:                            ;   in Loop: Header=BB106_11 Depth=1
	s_or_b64 exec, exec, s[48:49]
.LBB106_182:                            ;   in Loop: Header=BB106_11 Depth=1
	s_and_b64 vcc, exec, s[46:47]
	s_cbranch_vccz .LBB106_193
; %bb.183:                              ;   in Loop: Header=BB106_11 Depth=1
                                        ; implicit-def: $vgpr43
	s_mov_b64 s[38:39], exec
	v_readlane_b32 s40, v78, 46
	v_readlane_b32 s41, v78, 47
	s_and_b64 s[40:41], s[38:39], s[40:41]
	s_mov_b64 exec, s[40:41]
	s_cbranch_execz .LBB106_192
; %bb.184:                              ;   in Loop: Header=BB106_11 Depth=1
	s_mov_b64 s[40:41], 0
	v_mov_b32_e32 v14, v12
	v_mov_b32_e32 v5, v0
                                        ; implicit-def: $sgpr46_sgpr47
	s_branch .LBB106_187
.LBB106_185:                            ;   in Loop: Header=BB106_187 Depth=2
	s_or_b64 exec, exec, s[48:49]
	s_waitcnt lgkmcnt(0)
	s_barrier
	ds_read_b32 v7, v15 offset:3072
	s_mov_b64 s[48:49], -1
	s_waitcnt lgkmcnt(0)
	s_barrier
	v_cmp_eq_u32_sdwa s[50:51], v7, v15 src0_sel:WORD_0 src1_sel:DWORD
	s_and_b64 vcc, exec, s[50:51]
	s_mov_b64 s[50:51], -1
	s_cbranch_vccnz .LBB106_190
.LBB106_186:                            ;   in Loop: Header=BB106_187 Depth=2
	s_and_b64 s[48:49], exec, s[48:49]
	s_or_b64 s[40:41], s[48:49], s[40:41]
	s_andn2_b64 s[46:47], s[46:47], exec
	s_and_b64 s[48:49], s[50:51], exec
	s_or_b64 s[46:47], s[46:47], s[48:49]
	s_andn2_b64 exec, exec, s[40:41]
	s_cbranch_execz .LBB106_191
.LBB106_187:                            ;   Parent Loop BB106_11 Depth=1
                                        ; =>  This Inner Loop Header: Depth=2
	v_cmp_gt_u32_e32 vcc, s64, v5
	s_and_saveexec_b64 s[48:49], vcc
	s_cbranch_execz .LBB106_185
; %bb.188:                              ;   in Loop: Header=BB106_187 Depth=2
	v_lshl_add_u64 v[8:9], v[14:15], 1, v[10:11]
	global_load_ushort v7, v[8:9], off
	s_waitcnt vmcnt(0)
	v_add_u32_sdwa v8, sext(v7), s79 dst_sel:DWORD dst_unused:UNUSED_PAD src0_sel:WORD_0 src1_sel:DWORD
	v_and_b32_e32 v8, v8, v42
	v_cmp_eq_u32_e32 vcc, v8, v36
	s_and_b64 exec, exec, vcc
	s_cbranch_execz .LBB106_185
; %bb.189:                              ;   in Loop: Header=BB106_187 Depth=2
	v_perm_b32 v7, v7, 1, v41
	ds_write_b32 v15, v7 offset:3072
	s_branch .LBB106_185
.LBB106_190:                            ;   in Loop: Header=BB106_187 Depth=2
	v_add_u32_e32 v5, s67, v5
	v_cmp_le_u32_e32 vcc, s93, v5
	v_add_u32_e32 v14, s98, v14
	s_mov_b64 s[50:51], 0
	s_orn2_b64 s[48:49], vcc, exec
	s_branch .LBB106_186
.LBB106_191:                            ;   in Loop: Header=BB106_11 Depth=1
	s_or_b64 exec, exec, s[40:41]
	s_andn2_b64 s[8:9], s[8:9], exec
	s_and_b64 s[40:41], s[46:47], exec
	v_lshrrev_b32_e32 v43, 16, v7
	s_or_b64 s[8:9], s[8:9], s[40:41]
.LBB106_192:                            ;   in Loop: Header=BB106_11 Depth=1
	s_or_b64 exec, exec, s[38:39]
	s_mov_b64 s[38:39], 0
	s_mov_b64 s[40:41], -1
.LBB106_193:                            ;   in Loop: Header=BB106_11 Depth=1
	s_orn2_b64 s[8:9], s[8:9], exec
.LBB106_194:                            ;   in Loop: Header=BB106_11 Depth=1
	s_or_b64 exec, exec, s[42:43]
	s_mov_b64 s[46:47], 0
	s_and_saveexec_b64 s[42:43], s[8:9]
	s_cbranch_execz .LBB106_244
; %bb.195:                              ;   in Loop: Header=BB106_11 Depth=1
	s_xor_b64 s[44:45], s[44:45], -1
	s_mov_b64 s[50:51], 0
	v_mov_b32_e32 v5, 1
	v_mov_b32_e32 v3, 1
	s_and_saveexec_b64 s[8:9], s[44:45]
	s_cbranch_execz .LBB106_204
; %bb.196:                              ;   in Loop: Header=BB106_11 Depth=1
	v_cmp_ge_u32_e32 vcc, s56, v6
	s_and_saveexec_b64 s[44:45], vcc
	s_xor_b64 s[44:45], exec, s[44:45]
	s_cbranch_execz .LBB106_201
; %bb.197:                              ;   in Loop: Header=BB106_11 Depth=1
	ds_read_b32 v3, v15 offset:4104
	v_and_b32_e32 v4, v36, v4
	v_lshl_or_b32 v36, 2, v39, v4
	v_or_b32_e32 v42, v42, v2
	s_waitcnt lgkmcnt(0)
	v_cmp_ne_u32_e32 vcc, 0, v3
	s_cbranch_vccnz .LBB106_201
; %bb.198:                              ;   in Loop: Header=BB106_11 Depth=1
	s_and_saveexec_b64 s[46:47], s[22:23]
; %bb.199:                              ;   in Loop: Header=BB106_11 Depth=1
	v_mov_b32_e32 v3, s56
	ds_write_b32 v15, v3 offset:4108
; %bb.200:                              ;   in Loop: Header=BB106_11 Depth=1
	s_or_b64 exec, exec, s[46:47]
	s_waitcnt lgkmcnt(0)
	s_barrier
.LBB106_201:                            ;   in Loop: Header=BB106_11 Depth=1
	s_or_saveexec_b64 s[44:45], s[44:45]
	s_mov_b64 s[46:47], 0
	v_mov_b32_e32 v3, 8
	s_xor_b64 exec, exec, s[44:45]
; %bb.202:                              ;   in Loop: Header=BB106_11 Depth=1
	s_mov_b64 s[46:47], exec
	v_subrev_u32_e32 v6, s56, v6
	v_mov_b32_e32 v3, 0
; %bb.203:                              ;   in Loop: Header=BB106_11 Depth=1
	s_or_b64 exec, exec, s[44:45]
	s_and_b64 s[50:51], s[46:47], exec
	v_mov_b32_e32 v5, v6
.LBB106_204:                            ;   in Loop: Header=BB106_11 Depth=1
	s_or_b64 exec, exec, s[8:9]
	s_mov_b64 s[8:9], -1
                                        ; implicit-def: $sgpr48_sgpr49
                                        ; implicit-def: $sgpr46_sgpr47
	s_and_saveexec_b64 s[44:45], s[50:51]
	s_cbranch_execz .LBB106_243
; %bb.205:                              ;   in Loop: Header=BB106_11 Depth=1
	s_cmp_eq_u32 s21, 1
	s_cselect_b64 s[8:9], -1, 0
	v_cmp_eq_u32_e32 vcc, 1, v5
	s_and_b64 s[50:51], s[8:9], vcc
	s_mov_b64 s[54:55], -1
                                        ; implicit-def: $sgpr48_sgpr49
                                        ; implicit-def: $sgpr46_sgpr47
	s_and_saveexec_b64 s[52:53], s[50:51]
	s_cbranch_execz .LBB106_231
; %bb.206:                              ;   in Loop: Header=BB106_11 Depth=1
	ds_read_b32 v4, v15 offset:4104
	s_waitcnt lgkmcnt(0)
	s_barrier
	v_readfirstlane_b32 s74, v4
	s_and_saveexec_b64 s[8:9], s[6:7]
; %bb.207:                              ;   in Loop: Header=BB106_11 Depth=1
	ds_write_b16 v24, v15
; %bb.208:                              ;   in Loop: Header=BB106_11 Depth=1
	s_or_b64 exec, exec, s[8:9]
	v_or_b32_e32 v36, v36, v2
	v_or_b32_e32 v42, v42, v2
	s_mov_b64 s[46:47], -1
	s_mov_b64 s[48:49], 0
	s_cmp_eq_u32 s74, 0
	s_mov_b64 s[8:9], 0
	s_waitcnt lgkmcnt(0)
	s_barrier
                                        ; implicit-def: $vgpr43
	s_cbranch_scc1 .LBB106_219
; %bb.209:                              ;   in Loop: Header=BB106_11 Depth=1
	s_add_i32 s8, s74, s99
	s_mul_hi_u32 s9, s8, s92
	s_mul_i32 s9, s9, s67
	s_sub_i32 s9, s8, s9
	s_sub_i32 s54, s9, s67
	s_cmp_ge_u32 s9, s67
	s_cselect_b32 s9, s54, s9
	s_sub_i32 s54, s9, s67
	s_cmp_ge_u32 s9, s67
	s_cselect_b32 s9, s54, s9
	s_sub_i32 s75, s8, s9
	v_cmp_gt_u32_e32 vcc, s75, v0
	s_mov_b64 s[54:55], 0
	s_mov_b64 s[8:9], 0
                                        ; implicit-def: $vgpr43
	s_and_saveexec_b64 s[56:57], vcc
	s_cbranch_execz .LBB106_218
; %bb.210:                              ;   in Loop: Header=BB106_11 Depth=1
	v_mov_b32_e32 v4, v23
	v_mov_b32_e32 v6, v0
                                        ; implicit-def: $sgpr58_sgpr59
	s_branch .LBB106_213
.LBB106_211:                            ;   in Loop: Header=BB106_213 Depth=2
	s_or_b64 exec, exec, s[60:61]
	s_waitcnt lgkmcnt(0)
	s_barrier
	ds_read_b32 v7, v15 offset:3072
	s_mov_b64 s[60:61], -1
	s_waitcnt lgkmcnt(0)
	s_barrier
	v_cmp_ne_u32_sdwa s[62:63], v7, v15 src0_sel:WORD_0 src1_sel:DWORD
	s_and_b64 vcc, exec, s[62:63]
	s_mov_b64 s[62:63], -1
	s_cbranch_vccz .LBB106_216
.LBB106_212:                            ;   in Loop: Header=BB106_213 Depth=2
	s_and_b64 s[60:61], exec, s[60:61]
	s_or_b64 s[8:9], s[60:61], s[8:9]
	s_andn2_b64 s[58:59], s[58:59], exec
	s_and_b64 s[60:61], s[62:63], exec
	s_or_b64 s[58:59], s[58:59], s[60:61]
	s_andn2_b64 exec, exec, s[8:9]
	s_cbranch_execz .LBB106_217
.LBB106_213:                            ;   Parent Loop BB106_11 Depth=1
                                        ; =>  This Inner Loop Header: Depth=2
	v_cmp_gt_u32_e32 vcc, s74, v6
	s_and_saveexec_b64 s[60:61], vcc
	s_cbranch_execz .LBB106_211
; %bb.214:                              ;   in Loop: Header=BB106_213 Depth=2
	ds_read_u16 v7, v4
	s_waitcnt lgkmcnt(0)
	v_add_u32_sdwa v8, sext(v7), s79 dst_sel:DWORD dst_unused:UNUSED_PAD src0_sel:WORD_0 src1_sel:DWORD
	v_and_b32_e32 v8, v8, v42
	v_cmp_eq_u32_e32 vcc, v8, v36
	s_and_b64 exec, exec, vcc
	s_cbranch_execz .LBB106_211
; %bb.215:                              ;   in Loop: Header=BB106_213 Depth=2
	v_perm_b32 v7, v7, 1, v41
	ds_write_b32 v15, v7 offset:3072
	s_branch .LBB106_211
.LBB106_216:                            ;   in Loop: Header=BB106_213 Depth=2
	v_add_u32_e32 v6, s67, v6
	v_cmp_le_u32_e32 vcc, s75, v6
	v_add_u32_e32 v4, s78, v4
	s_mov_b64 s[62:63], 0
	s_orn2_b64 s[60:61], vcc, exec
	s_branch .LBB106_212
.LBB106_217:                            ;   in Loop: Header=BB106_11 Depth=1
	s_or_b64 exec, exec, s[8:9]
	v_lshrrev_b32_e32 v43, 16, v7
	s_and_b64 s[8:9], s[58:59], exec
.LBB106_218:                            ;   in Loop: Header=BB106_11 Depth=1
	s_or_b64 exec, exec, s[56:57]
.LBB106_219:                            ;   in Loop: Header=BB106_11 Depth=1
	s_and_b64 vcc, exec, s[54:55]
	s_cbranch_vccz .LBB106_230
; %bb.220:                              ;   in Loop: Header=BB106_11 Depth=1
                                        ; implicit-def: $vgpr43
	s_mov_b64 s[46:47], exec
	v_readlane_b32 s48, v78, 46
	v_readlane_b32 s49, v78, 47
	s_and_b64 s[48:49], s[46:47], s[48:49]
	s_mov_b64 exec, s[48:49]
	s_cbranch_execz .LBB106_229
; %bb.221:                              ;   in Loop: Header=BB106_11 Depth=1
	s_mov_b64 s[48:49], 0
	v_mov_b32_e32 v14, v12
	v_mov_b32_e32 v4, v0
                                        ; implicit-def: $sgpr54_sgpr55
	s_branch .LBB106_224
.LBB106_222:                            ;   in Loop: Header=BB106_224 Depth=2
	s_or_b64 exec, exec, s[56:57]
	s_waitcnt lgkmcnt(0)
	s_barrier
	ds_read_b32 v6, v15 offset:3072
	s_mov_b64 s[56:57], -1
	s_waitcnt lgkmcnt(0)
	s_barrier
	v_cmp_eq_u32_sdwa s[58:59], v6, v15 src0_sel:WORD_0 src1_sel:DWORD
	s_and_b64 vcc, exec, s[58:59]
	s_mov_b64 s[58:59], -1
	s_cbranch_vccnz .LBB106_227
.LBB106_223:                            ;   in Loop: Header=BB106_224 Depth=2
	s_and_b64 s[56:57], exec, s[56:57]
	s_or_b64 s[48:49], s[56:57], s[48:49]
	s_andn2_b64 s[54:55], s[54:55], exec
	s_and_b64 s[56:57], s[58:59], exec
	s_or_b64 s[54:55], s[54:55], s[56:57]
	s_andn2_b64 exec, exec, s[48:49]
	s_cbranch_execz .LBB106_228
.LBB106_224:                            ;   Parent Loop BB106_11 Depth=1
                                        ; =>  This Inner Loop Header: Depth=2
	v_cmp_gt_u32_e32 vcc, s64, v4
	s_and_saveexec_b64 s[56:57], vcc
	s_cbranch_execz .LBB106_222
; %bb.225:                              ;   in Loop: Header=BB106_224 Depth=2
	v_lshl_add_u64 v[6:7], v[14:15], 1, v[10:11]
	global_load_ushort v6, v[6:7], off
	s_waitcnt vmcnt(0)
	v_add_u32_sdwa v7, sext(v6), s79 dst_sel:DWORD dst_unused:UNUSED_PAD src0_sel:WORD_0 src1_sel:DWORD
	v_and_b32_e32 v7, v7, v42
	v_cmp_eq_u32_e32 vcc, v7, v36
	s_and_b64 exec, exec, vcc
	s_cbranch_execz .LBB106_222
; %bb.226:                              ;   in Loop: Header=BB106_224 Depth=2
	v_perm_b32 v6, v6, 1, v41
	ds_write_b32 v15, v6 offset:3072
	s_branch .LBB106_222
.LBB106_227:                            ;   in Loop: Header=BB106_224 Depth=2
	v_add_u32_e32 v4, s67, v4
	v_cmp_le_u32_e32 vcc, s93, v4
	v_add_u32_e32 v14, s98, v14
	s_mov_b64 s[58:59], 0
	s_orn2_b64 s[56:57], vcc, exec
	s_branch .LBB106_223
.LBB106_228:                            ;   in Loop: Header=BB106_11 Depth=1
	s_or_b64 exec, exec, s[48:49]
	s_andn2_b64 s[8:9], s[8:9], exec
	s_and_b64 s[48:49], s[54:55], exec
	v_lshrrev_b32_e32 v43, 16, v6
	s_or_b64 s[8:9], s[8:9], s[48:49]
.LBB106_229:                            ;   in Loop: Header=BB106_11 Depth=1
	s_or_b64 exec, exec, s[46:47]
	s_mov_b64 s[46:47], 0
	s_mov_b64 s[48:49], -1
.LBB106_230:                            ;   in Loop: Header=BB106_11 Depth=1
	s_orn2_b64 s[54:55], s[8:9], exec
.LBB106_231:                            ;   in Loop: Header=BB106_11 Depth=1
	s_or_b64 exec, exec, s[52:53]
	s_mov_b64 s[52:53], 0
	s_and_saveexec_b64 s[8:9], s[54:55]
	s_cbranch_execz .LBB106_242
; %bb.232:                              ;   in Loop: Header=BB106_11 Depth=1
	s_xor_b64 s[52:53], s[50:51], -1
	v_mov_b32_e32 v3, 1
	v_mov_b32_e32 v4, 1
	s_and_saveexec_b64 s[50:51], s[52:53]
	s_cbranch_execz .LBB106_241
; %bb.233:                              ;   in Loop: Header=BB106_11 Depth=1
	v_cmp_ge_u32_e32 vcc, s21, v5
	s_and_saveexec_b64 s[52:53], vcc
	s_xor_b64 s[52:53], exec, s[52:53]
	s_cbranch_execz .LBB106_238
; %bb.234:                              ;   in Loop: Header=BB106_11 Depth=1
	ds_read_b32 v3, v15 offset:4104
	v_or_b32_e32 v36, v36, v2
	v_or_b32_e32 v42, v42, v2
	s_waitcnt lgkmcnt(0)
	v_cmp_ne_u32_e32 vcc, 0, v3
	s_cbranch_vccnz .LBB106_238
; %bb.235:                              ;   in Loop: Header=BB106_11 Depth=1
	s_and_saveexec_b64 s[54:55], s[22:23]
; %bb.236:                              ;   in Loop: Header=BB106_11 Depth=1
	v_mov_b32_e32 v2, s21
	ds_write_b32 v15, v2 offset:4108
; %bb.237:                              ;   in Loop: Header=BB106_11 Depth=1
	s_or_b64 exec, exec, s[54:55]
	s_waitcnt lgkmcnt(0)
	s_barrier
.LBB106_238:                            ;   in Loop: Header=BB106_11 Depth=1
	s_andn2_saveexec_b64 s[52:53], s[52:53]
; %bb.239:                              ;   in Loop: Header=BB106_11 Depth=1
	v_subrev_u32_e32 v5, s21, v5
; %bb.240:                              ;   in Loop: Header=BB106_11 Depth=1
	s_or_b64 exec, exec, s[52:53]
	v_mov_b32_e32 v3, 8
	v_mov_b32_e32 v4, v5
.LBB106_241:                            ;   in Loop: Header=BB106_11 Depth=1
	s_or_b64 exec, exec, s[50:51]
	s_mov_b64 s[52:53], exec
	v_mov_b32_e32 v5, v4
.LBB106_242:                            ;   in Loop: Header=BB106_11 Depth=1
	s_or_b64 exec, exec, s[8:9]
	s_orn2_b64 s[8:9], s[52:53], exec
.LBB106_243:                            ;   in Loop: Header=BB106_11 Depth=1
	s_or_b64 exec, exec, s[44:45]
	s_andn2_b64 s[40:41], s[40:41], exec
	s_and_b64 s[44:45], s[48:49], exec
	s_or_b64 s[40:41], s[40:41], s[44:45]
	s_andn2_b64 s[38:39], s[38:39], exec
	s_and_b64 s[44:45], s[46:47], exec
	s_or_b64 s[38:39], s[38:39], s[44:45]
	s_and_b64 s[46:47], s[8:9], exec
	v_mov_b32_e32 v6, v5
.LBB106_244:                            ;   in Loop: Header=BB106_11 Depth=1
	s_or_b64 exec, exec, s[42:43]
	s_orn2_b64 s[8:9], s[46:47], exec
.LBB106_245:                            ;   in Loop: Header=BB106_11 Depth=1
	s_or_b64 exec, exec, s[36:37]
	s_andn2_b64 s[30:31], s[30:31], exec
	s_and_b64 s[36:37], s[40:41], exec
	s_or_b64 s[30:31], s[30:31], s[36:37]
	s_andn2_b64 s[28:29], s[28:29], exec
	s_and_b64 s[36:37], s[38:39], exec
	s_or_b64 s[28:29], s[28:29], s[36:37]
	s_and_b64 s[38:39], s[8:9], exec
	v_mov_b32_e32 v5, v6
.LBB106_246:                            ;   in Loop: Header=BB106_11 Depth=1
	s_or_b64 exec, exec, s[34:35]
	s_orn2_b64 s[8:9], s[38:39], exec
.LBB106_247:                            ;   in Loop: Header=BB106_11 Depth=1
	s_or_b64 exec, exec, s[26:27]
	s_mov_b64 s[26:27], 0
                                        ; implicit-def: $sgpr36
	s_and_saveexec_b64 s[34:35], s[8:9]
	s_xor_b64 s[8:9], exec, s[34:35]
	s_cbranch_execz .LBB106_9
; %bb.248:                              ;   in Loop: Header=BB106_11 Depth=1
	v_and_b32_e32 v2, 7, v3
	v_cmp_eq_u32_e32 vcc, 0, v2
	s_mov_b64 s[2:3], -1
	s_mov_b64 s[26:27], -1
                                        ; implicit-def: $sgpr36
	s_and_saveexec_b64 s[34:35], vcc
	s_cbranch_execz .LBB106_8
; %bb.249:                              ;   in Loop: Header=BB106_11 Depth=1
	v_add_u32_e32 v2, -2, v39
	v_cmp_eq_u32_e32 vcc, 0, v39
	s_xor_b32 s36, s20, 1
	s_xor_b64 s[26:27], exec, -1
	s_orn2_b64 s[2:3], vcc, exec
	v_mov_b32_e32 v39, v2
	s_branch .LBB106_8
.LBB106_250:
	s_or_b64 exec, exec, s[68:69]
	s_xor_b64 s[6:7], s[12:13], -1
	s_xor_b64 s[0:1], s[70:71], -1
	;; [unrolled: 1-line block ×3, first 2 shown]
	s_mov_b64 s[2:3], 0
	s_and_saveexec_b64 s[8:9], s[0:1]
	s_xor_b64 s[0:1], exec, s[8:9]
	s_cbranch_execnz .LBB106_255
; %bb.251:
	s_andn2_saveexec_b64 s[0:1], s[0:1]
	s_cbranch_execnz .LBB106_268
.LBB106_252:
	s_or_b64 exec, exec, s[0:1]
	s_and_saveexec_b64 s[0:1], s[2:3]
.LBB106_253:
	; divergent unreachable
.LBB106_254:
	s_endpgm
.LBB106_255:
	s_and_saveexec_b64 s[2:3], s[6:7]
	s_xor_b64 s[2:3], exec, s[2:3]
	s_cbranch_execz .LBB106_266
; %bb.256:
	s_and_saveexec_b64 s[6:7], s[4:5]
	s_xor_b64 s[4:5], exec, s[6:7]
; %bb.257:
	v_xor_b32_e32 v43, 0xffff8000, v36
; %bb.258:
	s_or_b64 exec, exec, s[4:5]
	v_readlane_b32 s8, v78, 1
	v_readlane_b32 s9, v78, 2
	;; [unrolled: 1-line block ×3, first 2 shown]
	s_mul_i32 s4, s10, s9
	v_readlane_b32 s9, v78, 18
	s_mul_i32 s5, s9, s8
	s_sub_i32 s5, s10, s5
	s_sub_i32 s4, s89, s4
	s_add_i32 s6, s9, 1
	s_sub_i32 s7, s5, s8
	s_cmp_ge_u32 s5, s8
	s_cselect_b32 s6, s6, s9
	s_cselect_b32 s5, s7, s5
	s_add_i32 s7, s6, 1
	s_cmp_ge_u32 s5, s8
	s_cselect_b32 s5, s7, s6
	v_readlane_b32 s12, v78, 10
	s_mul_i32 s6, s5, s8
	v_readlane_b32 s13, v78, 11
	v_readlane_b32 s14, v78, 12
	s_sub_i32 s6, s10, s6
	s_mul_i32 s4, s4, s14
	s_mul_i32 s6, s6, s13
	s_add_i32 s4, s6, s4
	s_mul_i32 s5, s5, s12
	s_add_i32 s4, s4, s5
	s_mov_b32 s5, 0
	s_lshl_b64 s[4:5], s[4:5], 1
	v_readlane_b32 s6, v78, 16
	v_readlane_b32 s7, v78, 17
	s_add_u32 s4, s6, s4
	s_addc_u32 s5, s7, s5
	v_mov_b32_e32 v13, 0
	v_readlane_b32 s15, v78, 13
	global_store_short v13, v43, s[4:5]
	s_mov_b64 s[4:5], exec
	v_readlane_b32 s6, v78, 20
	v_readlane_b32 s7, v78, 21
	s_and_b64 s[6:7], s[4:5], s[6:7]
	s_mov_b64 exec, s[6:7]
	s_cbranch_execz .LBB106_265
; %bb.259:
	s_mov_b64 s[6:7], 0
                                        ; implicit-def: $sgpr8_sgpr9
                                        ; implicit-def: $sgpr12_sgpr13
                                        ; implicit-def: $sgpr10_sgpr11
	s_branch .LBB106_261
.LBB106_260:                            ;   in Loop: Header=BB106_261 Depth=1
	s_or_b64 exec, exec, s[14:15]
	s_and_b64 s[14:15], exec, s[12:13]
	s_or_b64 s[6:7], s[14:15], s[6:7]
	s_andn2_b64 s[8:9], s[8:9], exec
	s_and_b64 s[14:15], s[10:11], exec
	s_or_b64 s[8:9], s[8:9], s[14:15]
	s_andn2_b64 exec, exec, s[6:7]
	s_cbranch_execz .LBB106_263
.LBB106_261:                            ; =>This Inner Loop Header: Depth=1
	v_lshl_add_u64 v[2:3], v[12:13], 1, v[10:11]
	global_load_ushort v1, v[2:3], off
	v_mov_b32_e32 v2, v0
	s_or_b64 s[10:11], s[10:11], exec
	s_or_b64 s[12:13], s[12:13], exec
                                        ; implicit-def: $vgpr0
	s_waitcnt vmcnt(0)
	v_cmp_ne_u16_e32 vcc, v1, v43
	s_and_saveexec_b64 s[14:15], vcc
	s_cbranch_execz .LBB106_260
; %bb.262:                              ;   in Loop: Header=BB106_261 Depth=1
	v_add_u32_e32 v0, s67, v2
	v_cmp_le_u32_e32 vcc, s64, v0
	s_andn2_b64 s[12:13], s[12:13], exec
	s_and_b64 s[16:17], vcc, exec
	v_add_u32_e32 v12, s98, v12
	s_andn2_b64 s[10:11], s[10:11], exec
	s_or_b64 s[12:13], s[12:13], s[16:17]
	s_branch .LBB106_260
.LBB106_263:
	s_or_b64 exec, exec, s[6:7]
	s_and_saveexec_b64 s[6:7], s[8:9]
	s_xor_b64 s[6:7], exec, s[6:7]
	s_cbranch_execz .LBB106_265
; %bb.264:
	v_readlane_b32 s10, v78, 4
	v_readlane_b32 s11, v78, 5
	;; [unrolled: 1-line block ×3, first 2 shown]
	s_mul_i32 s6, s12, s11
	v_readlane_b32 s11, v78, 19
	s_mul_i32 s7, s11, s10
	s_sub_i32 s7, s12, s7
	s_sub_i32 s6, s89, s6
	s_add_i32 s8, s11, 1
	s_sub_i32 s9, s7, s10
	s_cmp_ge_u32 s7, s10
	s_cselect_b32 s8, s8, s11
	s_cselect_b32 s7, s9, s7
	s_add_i32 s9, s8, 1
	s_cmp_ge_u32 s7, s10
	s_cselect_b32 s7, s9, s8
	v_readlane_b32 s16, v78, 6
	s_mul_i32 s8, s7, s10
	v_readlane_b32 s17, v78, 7
	v_readlane_b32 s18, v78, 8
	s_sub_i32 s8, s12, s8
	s_mul_i32 s6, s6, s18
	s_mul_i32 s8, s8, s17
	s_add_i32 s6, s8, s6
	s_mul_i32 s7, s7, s16
	s_add_i32 s6, s6, s7
	s_mov_b32 s7, 0
	s_lshl_b64 s[6:7], s[6:7], 3
	v_readlane_b32 s8, v78, 14
	v_readlane_b32 s9, v78, 15
	s_add_u32 s6, s8, s6
	s_addc_u32 s7, s9, s7
	v_mov_b32_e32 v3, 0
	v_readlane_b32 s19, v78, 9
	global_store_dwordx2 v3, v[2:3], s[6:7]
.LBB106_265:
	s_or_b64 exec, exec, s[4:5]
.LBB106_266:
	s_or_saveexec_b64 s[2:3], s[2:3]
	s_mov_b64 s[4:5], 0
	s_xor_b64 exec, exec, s[2:3]
	s_cbranch_execnz .LBB106_269
.LBB106_267:
	s_or_b64 exec, exec, s[2:3]
	s_and_b64 s[2:3], s[4:5], exec
	s_andn2_saveexec_b64 s[0:1], s[0:1]
	s_cbranch_execz .LBB106_252
.LBB106_268:
	s_or_b64 s[2:3], s[2:3], exec
	s_trap 2
	s_or_b64 exec, exec, s[0:1]
	s_and_saveexec_b64 s[0:1], s[2:3]
	s_cbranch_execnz .LBB106_253
	s_branch .LBB106_254
.LBB106_269:
	s_mov_b64 s[4:5], exec
	s_trap 2
	s_branch .LBB106_267
	.section	.rodata,"a",@progbits
	.p2align	6, 0x0
	.amdhsa_kernel _ZN2at6native12_GLOBAL__N_112gatherMedianIsjLi3EEEvNS_4cuda6detail10TensorInfoIT_T0_EENS5_IlS7_EENS5_IKS6_S7_EES7_S7_S7_b
		.amdhsa_group_segment_fixed_size 4120
		.amdhsa_private_segment_fixed_size 0
		.amdhsa_kernarg_size 920
		.amdhsa_user_sgpr_count 2
		.amdhsa_user_sgpr_dispatch_ptr 0
		.amdhsa_user_sgpr_queue_ptr 0
		.amdhsa_user_sgpr_kernarg_segment_ptr 1
		.amdhsa_user_sgpr_dispatch_id 0
		.amdhsa_user_sgpr_kernarg_preload_length 0
		.amdhsa_user_sgpr_kernarg_preload_offset 0
		.amdhsa_user_sgpr_private_segment_size 0
		.amdhsa_uses_dynamic_stack 0
		.amdhsa_enable_private_segment 0
		.amdhsa_system_sgpr_workgroup_id_x 1
		.amdhsa_system_sgpr_workgroup_id_y 1
		.amdhsa_system_sgpr_workgroup_id_z 1
		.amdhsa_system_sgpr_workgroup_info 0
		.amdhsa_system_vgpr_workitem_id 0
		.amdhsa_next_free_vgpr 79
		.amdhsa_next_free_sgpr 100
		.amdhsa_accum_offset 80
		.amdhsa_reserve_vcc 1
		.amdhsa_float_round_mode_32 0
		.amdhsa_float_round_mode_16_64 0
		.amdhsa_float_denorm_mode_32 3
		.amdhsa_float_denorm_mode_16_64 3
		.amdhsa_dx10_clamp 1
		.amdhsa_ieee_mode 1
		.amdhsa_fp16_overflow 0
		.amdhsa_tg_split 0
		.amdhsa_exception_fp_ieee_invalid_op 0
		.amdhsa_exception_fp_denorm_src 0
		.amdhsa_exception_fp_ieee_div_zero 0
		.amdhsa_exception_fp_ieee_overflow 0
		.amdhsa_exception_fp_ieee_underflow 0
		.amdhsa_exception_fp_ieee_inexact 0
		.amdhsa_exception_int_div_zero 0
	.end_amdhsa_kernel
	.section	.text._ZN2at6native12_GLOBAL__N_112gatherMedianIsjLi3EEEvNS_4cuda6detail10TensorInfoIT_T0_EENS5_IlS7_EENS5_IKS6_S7_EES7_S7_S7_b,"axG",@progbits,_ZN2at6native12_GLOBAL__N_112gatherMedianIsjLi3EEEvNS_4cuda6detail10TensorInfoIT_T0_EENS5_IlS7_EENS5_IKS6_S7_EES7_S7_S7_b,comdat
.Lfunc_end106:
	.size	_ZN2at6native12_GLOBAL__N_112gatherMedianIsjLi3EEEvNS_4cuda6detail10TensorInfoIT_T0_EENS5_IlS7_EENS5_IKS6_S7_EES7_S7_S7_b, .Lfunc_end106-_ZN2at6native12_GLOBAL__N_112gatherMedianIsjLi3EEEvNS_4cuda6detail10TensorInfoIT_T0_EENS5_IlS7_EENS5_IKS6_S7_EES7_S7_S7_b
                                        ; -- End function
	.set _ZN2at6native12_GLOBAL__N_112gatherMedianIsjLi3EEEvNS_4cuda6detail10TensorInfoIT_T0_EENS5_IlS7_EENS5_IKS6_S7_EES7_S7_S7_b.num_vgpr, 79
	.set _ZN2at6native12_GLOBAL__N_112gatherMedianIsjLi3EEEvNS_4cuda6detail10TensorInfoIT_T0_EENS5_IlS7_EENS5_IKS6_S7_EES7_S7_S7_b.num_agpr, 0
	.set _ZN2at6native12_GLOBAL__N_112gatherMedianIsjLi3EEEvNS_4cuda6detail10TensorInfoIT_T0_EENS5_IlS7_EENS5_IKS6_S7_EES7_S7_S7_b.numbered_sgpr, 100
	.set _ZN2at6native12_GLOBAL__N_112gatherMedianIsjLi3EEEvNS_4cuda6detail10TensorInfoIT_T0_EENS5_IlS7_EENS5_IKS6_S7_EES7_S7_S7_b.num_named_barrier, 0
	.set _ZN2at6native12_GLOBAL__N_112gatherMedianIsjLi3EEEvNS_4cuda6detail10TensorInfoIT_T0_EENS5_IlS7_EENS5_IKS6_S7_EES7_S7_S7_b.private_seg_size, 0
	.set _ZN2at6native12_GLOBAL__N_112gatherMedianIsjLi3EEEvNS_4cuda6detail10TensorInfoIT_T0_EENS5_IlS7_EENS5_IKS6_S7_EES7_S7_S7_b.uses_vcc, 1
	.set _ZN2at6native12_GLOBAL__N_112gatherMedianIsjLi3EEEvNS_4cuda6detail10TensorInfoIT_T0_EENS5_IlS7_EENS5_IKS6_S7_EES7_S7_S7_b.uses_flat_scratch, 0
	.set _ZN2at6native12_GLOBAL__N_112gatherMedianIsjLi3EEEvNS_4cuda6detail10TensorInfoIT_T0_EENS5_IlS7_EENS5_IKS6_S7_EES7_S7_S7_b.has_dyn_sized_stack, 0
	.set _ZN2at6native12_GLOBAL__N_112gatherMedianIsjLi3EEEvNS_4cuda6detail10TensorInfoIT_T0_EENS5_IlS7_EENS5_IKS6_S7_EES7_S7_S7_b.has_recursion, 0
	.set _ZN2at6native12_GLOBAL__N_112gatherMedianIsjLi3EEEvNS_4cuda6detail10TensorInfoIT_T0_EENS5_IlS7_EENS5_IKS6_S7_EES7_S7_S7_b.has_indirect_call, 0
	.section	.AMDGPU.csdata,"",@progbits
; Kernel info:
; codeLenInByte = 11388
; TotalNumSgprs: 106
; NumVgprs: 79
; NumAgprs: 0
; TotalNumVgprs: 79
; ScratchSize: 0
; MemoryBound: 0
; FloatMode: 240
; IeeeMode: 1
; LDSByteSize: 4120 bytes/workgroup (compile time only)
; SGPRBlocks: 13
; VGPRBlocks: 9
; NumSGPRsForWavesPerEU: 106
; NumVGPRsForWavesPerEU: 79
; AccumOffset: 80
; Occupancy: 6
; WaveLimiterHint : 1
; COMPUTE_PGM_RSRC2:SCRATCH_EN: 0
; COMPUTE_PGM_RSRC2:USER_SGPR: 2
; COMPUTE_PGM_RSRC2:TRAP_HANDLER: 0
; COMPUTE_PGM_RSRC2:TGID_X_EN: 1
; COMPUTE_PGM_RSRC2:TGID_Y_EN: 1
; COMPUTE_PGM_RSRC2:TGID_Z_EN: 1
; COMPUTE_PGM_RSRC2:TIDIG_COMP_CNT: 0
; COMPUTE_PGM_RSRC3_GFX90A:ACCUM_OFFSET: 19
; COMPUTE_PGM_RSRC3_GFX90A:TG_SPLIT: 0
	.section	.text._ZN2at6native12_GLOBAL__N_112gatherMedianIsjLin1EEEvNS_4cuda6detail10TensorInfoIT_T0_EENS5_IlS7_EENS5_IKS6_S7_EES7_S7_S7_b,"axG",@progbits,_ZN2at6native12_GLOBAL__N_112gatherMedianIsjLin1EEEvNS_4cuda6detail10TensorInfoIT_T0_EENS5_IlS7_EENS5_IKS6_S7_EES7_S7_S7_b,comdat
	.globl	_ZN2at6native12_GLOBAL__N_112gatherMedianIsjLin1EEEvNS_4cuda6detail10TensorInfoIT_T0_EENS5_IlS7_EENS5_IKS6_S7_EES7_S7_S7_b ; -- Begin function _ZN2at6native12_GLOBAL__N_112gatherMedianIsjLin1EEEvNS_4cuda6detail10TensorInfoIT_T0_EENS5_IlS7_EENS5_IKS6_S7_EES7_S7_S7_b
	.p2align	8
	.type	_ZN2at6native12_GLOBAL__N_112gatherMedianIsjLin1EEEvNS_4cuda6detail10TensorInfoIT_T0_EENS5_IlS7_EENS5_IKS6_S7_EES7_S7_S7_b,@function
_ZN2at6native12_GLOBAL__N_112gatherMedianIsjLin1EEEvNS_4cuda6detail10TensorInfoIT_T0_EENS5_IlS7_EENS5_IKS6_S7_EES7_S7_S7_b: ; @_ZN2at6native12_GLOBAL__N_112gatherMedianIsjLin1EEEvNS_4cuda6detail10TensorInfoIT_T0_EENS5_IlS7_EENS5_IKS6_S7_EES7_S7_S7_b
; %bb.0:
	s_load_dwordx2 s[10:11], s[0:1], 0x298
	s_load_dwordx4 s[64:67], s[0:1], 0x288
	s_add_u32 s8, s0, 0x298
	s_addc_u32 s9, s1, 0
	s_waitcnt lgkmcnt(0)
	s_mul_i32 s4, s11, s4
	s_add_i32 s3, s4, s3
	s_mul_i32 s3, s3, s10
	s_add_i32 s3, s3, s2
	s_cmp_ge_u32 s3, s65
	s_cbranch_scc1 .LBB107_263
; %bb.1:
	s_load_dword s4, s[0:1], 0xd0
	s_mov_b32 s69, 0
	s_mov_b32 s33, s3
	s_waitcnt lgkmcnt(0)
	s_cmp_lt_i32 s4, 2
	s_cbranch_scc1 .LBB107_4
; %bb.2:
	s_add_i32 s68, s4, -1
	s_add_i32 s6, s4, 1
	s_lshl_b64 s[4:5], s[68:69], 2
	s_add_u32 s4, s0, s4
	s_addc_u32 s5, s1, s5
	s_add_u32 s4, s4, 8
	s_addc_u32 s5, s5, 0
	s_mov_b32 s33, s3
.LBB107_3:                              ; =>This Inner Loop Header: Depth=1
	s_load_dword s7, s[4:5], 0x0
	s_load_dword s12, s[4:5], 0x64
	s_mov_b32 s11, s33
	s_waitcnt lgkmcnt(0)
	v_cvt_f32_u32_e32 v1, s7
	s_sub_i32 s13, 0, s7
	v_rcp_iflag_f32_e32 v1, v1
	s_nop 0
	v_mul_f32_e32 v1, 0x4f7ffffe, v1
	v_cvt_u32_f32_e32 v1, v1
	s_nop 0
	v_readfirstlane_b32 s14, v1
	s_mul_i32 s13, s13, s14
	s_mul_hi_u32 s13, s14, s13
	s_add_i32 s14, s14, s13
	s_mul_hi_u32 s13, s33, s14
	s_mul_i32 s14, s13, s7
	s_sub_i32 s14, s33, s14
	s_add_i32 s15, s13, 1
	s_sub_i32 s16, s14, s7
	s_cmp_ge_u32 s14, s7
	s_cselect_b32 s13, s15, s13
	s_cselect_b32 s14, s16, s14
	s_add_i32 s15, s13, 1
	s_cmp_ge_u32 s14, s7
	s_cselect_b32 s33, s15, s13
	s_mul_i32 s7, s33, s7
	s_sub_i32 s7, s11, s7
	s_mul_i32 s7, s12, s7
	s_add_i32 s6, s6, -1
	s_add_i32 s69, s7, s69
	s_add_u32 s4, s4, -4
	s_addc_u32 s5, s5, -1
	s_cmp_gt_u32 s6, 2
	s_cbranch_scc1 .LBB107_3
.LBB107_4:
	s_load_dword s6, s[0:1], 0x1a8
	s_add_u32 s4, s0, 0xd8
	s_addc_u32 s5, s1, 0
	s_mov_b32 s71, 0
	s_mov_b32 s65, s3
	s_waitcnt lgkmcnt(0)
	s_cmp_lt_i32 s6, 2
	s_cbranch_scc1 .LBB107_7
; %bb.5:
	s_add_i32 s70, s6, -1
	s_add_i32 s11, s6, 1
	s_lshl_b64 s[6:7], s[70:71], 2
	s_add_u32 s6, s4, s6
	s_addc_u32 s7, s5, s7
	s_add_u32 s6, s6, 8
	s_addc_u32 s7, s7, 0
	s_mov_b32 s65, s3
.LBB107_6:                              ; =>This Inner Loop Header: Depth=1
	s_load_dword s12, s[6:7], 0x0
	s_load_dword s14, s[6:7], 0x64
	s_mov_b32 s13, s65
	s_waitcnt lgkmcnt(0)
	v_cvt_f32_u32_e32 v1, s12
	s_sub_i32 s15, 0, s12
	v_rcp_iflag_f32_e32 v1, v1
	s_nop 0
	v_mul_f32_e32 v1, 0x4f7ffffe, v1
	v_cvt_u32_f32_e32 v1, v1
	s_nop 0
	v_readfirstlane_b32 s16, v1
	s_mul_i32 s15, s15, s16
	s_mul_hi_u32 s15, s16, s15
	s_add_i32 s16, s16, s15
	s_mul_hi_u32 s15, s65, s16
	s_mul_i32 s16, s15, s12
	s_sub_i32 s16, s65, s16
	s_add_i32 s17, s15, 1
	s_sub_i32 s18, s16, s12
	s_cmp_ge_u32 s16, s12
	s_cselect_b32 s15, s17, s15
	s_cselect_b32 s16, s18, s16
	s_add_i32 s17, s15, 1
	s_cmp_ge_u32 s16, s12
	s_cselect_b32 s65, s17, s15
	s_mul_i32 s12, s65, s12
	s_sub_i32 s12, s13, s12
	s_mul_i32 s12, s14, s12
	s_add_i32 s11, s11, -1
	s_add_i32 s71, s12, s71
	s_add_u32 s6, s6, -4
	s_addc_u32 s7, s7, -1
	s_cmp_gt_u32 s11, 2
	s_cbranch_scc1 .LBB107_6
.LBB107_7:
	s_load_dword s6, s[0:1], 0x6c
	s_load_dword s12, s[0:1], 0x280
                                        ; implicit-def: $vgpr78 : SGPR spill to VGPR lane
	v_mov_b32_e32 v2, s3
	v_mov_b32_e32 v1, 0
	s_waitcnt lgkmcnt(0)
	v_writelane_b32 v78, s6, 0
	s_add_u32 s6, s0, 0x1b0
	s_addc_u32 s7, s1, 0
	s_cmp_lt_i32 s12, 2
	s_cbranch_scc1 .LBB107_10
; %bb.8:
	s_add_i32 s11, s12, 1
	s_add_i32 s12, s12, -1
	s_mov_b32 s13, 0
	s_lshl_b64 s[12:13], s[12:13], 2
	s_add_u32 s6, s6, s12
	s_addc_u32 s7, s7, s13
	s_add_u32 s6, s6, 8
	s_addc_u32 s7, s7, 0
	v_mov_b32_e32 v2, s3
	v_mov_b32_e32 v1, 0
.LBB107_9:                              ; =>This Inner Loop Header: Depth=1
	s_load_dword s3, s[6:7], 0x0
	s_load_dword s12, s[6:7], 0x64
	v_mov_b32_e32 v3, v2
	s_add_i32 s11, s11, -1
	s_waitcnt lgkmcnt(0)
	v_cvt_f32_u32_e32 v2, s3
	s_sub_i32 s13, 0, s3
	s_add_u32 s6, s6, -4
	s_addc_u32 s7, s7, -1
	v_rcp_iflag_f32_e32 v2, v2
	s_cmp_gt_u32 s11, 2
	v_mul_f32_e32 v2, 0x4f7ffffe, v2
	v_cvt_u32_f32_e32 v2, v2
	v_mul_lo_u32 v4, s13, v2
	v_mul_hi_u32 v4, v2, v4
	v_add_u32_e32 v2, v2, v4
	v_mul_hi_u32 v2, v3, v2
	v_mul_lo_u32 v4, v2, s3
	v_sub_u32_e32 v4, v3, v4
	v_add_u32_e32 v5, 1, v2
	v_subrev_u32_e32 v6, s3, v4
	v_cmp_le_u32_e32 vcc, s3, v4
	s_nop 1
	v_cndmask_b32_e32 v2, v2, v5, vcc
	v_cndmask_b32_e32 v4, v4, v6, vcc
	v_add_u32_e32 v5, 1, v2
	v_cmp_le_u32_e32 vcc, s3, v4
	s_nop 1
	v_cndmask_b32_e32 v2, v2, v5, vcc
	v_mul_lo_u32 v4, v2, s3
	v_sub_u32_e32 v3, v3, v4
	v_mul_lo_u32 v3, s12, v3
	v_add_u32_e32 v1, v3, v1
	s_cbranch_scc1 .LBB107_9
.LBB107_10:
	s_load_dword s3, s[4:5], 0x6c
	v_cmp_eq_u32_e64 s[6:7], 0, v0
	s_waitcnt lgkmcnt(0)
	v_writelane_b32 v78, s3, 1
	s_mov_b64 s[4:5], exec
	v_writelane_b32 v78, s6, 2
	s_nop 1
	v_writelane_b32 v78, s7, 3
	s_and_b64 s[6:7], s[4:5], s[6:7]
	s_mov_b64 exec, s[6:7]
; %bb.11:
	v_mov_b32_e32 v4, 0
	v_mov_b32_e32 v5, v4
	ds_write_b64 v4, v[4:5] offset:4096
; %bb.12:
	s_or_b64 exec, exec, s[4:5]
	v_mov_b32_e32 v3, 0
	s_waitcnt lgkmcnt(0)
	s_barrier
	s_barrier
	ds_read_b64 v[4:5], v3 offset:4096
	s_bitcmp1_b32 s67, 0
	s_cselect_b64 s[6:7], -1, 0
	s_mov_b32 s3, s64
	s_waitcnt lgkmcnt(0)
	v_readfirstlane_b32 s4, v4
	v_readfirstlane_b32 s5, v5
	s_nop 1
	v_cmp_lt_i64_e64 s[12:13], s[4:5], 1
	s_or_b64 s[6:7], s[6:7], s[12:13]
	s_andn2_b64 vcc, exec, s[6:7]
	s_cbranch_vccnz .LBB107_14
; %bb.13:
	s_not_b64 s[4:5], s[4:5]
	s_add_u32 s3, s4, s64
	s_addc_u32 s5, s5, 0
	s_lshr_b32 s4, s5, 31
	s_add_u32 s4, s3, s4
	s_addc_u32 s5, s5, 0
	s_lshr_b64 s[4:5], s[4:5], 1
	s_add_i32 s3, s4, 1
.LBB107_14:
	s_load_dwordx2 s[4:5], s[0:1], 0x0
	s_waitcnt lgkmcnt(0)
	v_writelane_b32 v78, s4, 4
	s_nop 1
	v_writelane_b32 v78, s5, 5
	s_load_dwordx2 s[4:5], s[0:1], 0xd8
	s_waitcnt lgkmcnt(0)
	v_writelane_b32 v78, s4, 6
	s_nop 1
	v_writelane_b32 v78, s5, 7
	s_load_dword s6, s[0:1], 0x21c
	s_load_dwordx2 s[4:5], s[0:1], 0x1b0
	s_mov_b64 s[0:1], exec
	v_readlane_b32 s12, v78, 2
	v_readlane_b32 s13, v78, 3
	s_and_b64 s[12:13], s[0:1], s[12:13]
	s_mov_b64 exec, s[12:13]
	s_cbranch_execz .LBB107_16
; %bb.15:
	v_mov_b32_e32 v4, 0
	v_mov_b32_e32 v5, s64
	ds_write_b32 v4, v4 offset:4112
	ds_write_b64 v4, v[4:5] offset:4104
.LBB107_16:
	s_or_b64 exec, exec, s[0:1]
	s_waitcnt lgkmcnt(0)
	s_barrier
	s_load_dword s11, s[8:9], 0xc
	v_mul_lo_u32 v2, s6, v2
	v_add_u32_e32 v14, v2, v1
	v_cmp_gt_u32_e64 s[0:1], s64, v0
	v_mbcnt_lo_u32_b32 v1, -1, 0
	v_mbcnt_hi_u32_b32 v22, -1, v1
	v_writelane_b32 v78, s0, 8
	s_waitcnt lgkmcnt(0)
	s_and_b32 s67, s11, 0xffff
	v_cmp_gt_u32_e32 vcc, 64, v0
	v_writelane_b32 v78, s1, 9
	v_cmp_gt_i32_e64 s[0:1], 4, v22
	s_and_b64 s[78:79], vcc, s[0:1]
	s_add_i32 s0, s67, -1
	v_mov_b32_e32 v15, 0
	s_lshl_b32 s70, s67, 2
	v_writelane_b32 v78, s0, 10
	s_add_i32 s0, s0, s64
	v_lshlrev_b64 v[2:3], 1, v[14:15]
	s_cmpk_gt_u32 s64, 0x600
	v_lshl_add_u64 v[10:11], s[4:5], 0, v[2:3]
	s_cselect_b64 s[12:13], -1, 0
	s_cmp_gt_u32 s67, 63
	v_lshlrev_b64 v[2:3], v22, -1
	s_cselect_b64 s[82:83], -1, 0
	v_not_b32_e32 v18, v2
	v_lshrrev_b32_e32 v2, 2, v0
	s_cmp_lt_u32 s2, s10
	v_and_b32_e32 v2, 0xf0, v2
	s_cselect_b32 s1, 12, 18
	v_writelane_b32 v78, s12, 11
	v_or_b32_e32 v25, 0xc00, v2
	s_add_u32 s8, s8, s1
	v_add_u32_e32 v2, 2, v0
	v_writelane_b32 v78, s13, 12
	s_addc_u32 s9, s9, 0
	v_max_u32_e32 v2, s64, v2
	v_writelane_b32 v78, s8, 13
	v_xad_u32 v2, v0, -1, v2
	v_not_b32_e32 v1, v3
	v_writelane_b32 v78, s9, 14
	v_add_u32_e32 v3, -4, v2
	s_bfe_u32 s8, s11, 0xa0006
	v_cmp_lt_u32_e64 s[10:11], 31, v2
	v_lshrrev_b32_e32 v5, 2, v3
	v_add_u32_e32 v5, 1, v5
	v_writelane_b32 v78, s10, 15
	v_and_b32_e32 v6, 3, v5
	s_add_i32 s1, s8, -2
	v_writelane_b32 v78, s11, 16
	v_cmp_lt_u32_e64 s[10:11], 11, v3
	s_lshr_b32 s2, s1, 1
	v_and_b32_e32 v26, -4, v2
	v_writelane_b32 v78, s10, 17
	s_add_i32 s2, s2, 1
	s_cmpk_gt_u32 s67, 0x7f
	v_writelane_b32 v78, s11, 18
	v_cmp_ne_u32_e64 s[10:11], 0, v6
	v_lshlrev_b32_e32 v19, 2, v0
	s_mov_b32 s14, 0
	v_writelane_b32 v78, s10, 19
	v_lshlrev_b32_e32 v23, 1, v0
	v_mul_lo_u32 v12, s66, v0
	v_writelane_b32 v78, s11, 20
	v_cmp_ne_u32_e64 s[10:11], v2, v26
	v_cvt_f32_u32_e32 v2, s70
	v_mov_b32_e32 v13, v15
	v_writelane_b32 v78, s10, 21
	v_lshlrev_b32_e32 v4, 2, v22
	v_rcp_iflag_f32_e32 v2, v2
	v_writelane_b32 v78, s11, 22
	s_cselect_b64 s[10:11], -1, 0
	v_writelane_b32 v78, s10, 23
	s_and_b32 s9, s8, 0x3fe
	v_mul_f32_e32 v2, 0x4f7ffffe, v2
	v_writelane_b32 v78, s11, 24
	s_and_b32 s10, s2, 7
	s_cmp_gt_u32 s1, 13
	s_cselect_b64 s[12:13], -1, 0
	v_writelane_b32 v78, s12, 25
	s_and_b32 s1, s2, -8
	s_cmp_lg_u32 s10, 0
	v_writelane_b32 v78, s13, 26
	v_writelane_b32 v78, s1, 27
	v_cvt_u32_f32_e32 v2, v2
	v_writelane_b32 v78, s10, 28
	s_cselect_b64 s[10:11], -1, 0
	v_writelane_b32 v78, s10, 29
	s_cmp_lg_u32 s9, s8
	v_readfirstlane_b32 s2, v2
	v_writelane_b32 v78, s11, 30
	v_writelane_b32 v78, s8, 31
	v_cvt_f32_u32_e32 v2, s67
	v_writelane_b32 v78, s9, 32
	s_cselect_b64 s[8:9], -1, 0
	s_sub_i32 s1, 0, s70
	s_mul_i32 s1, s1, s2
	s_mul_hi_u32 s1, s2, s1
	s_add_i32 s91, s2, s1
	v_rcp_iflag_f32_e32 v2, v2
	s_mul_hi_u32 s1, s64, s91
	s_mul_i32 s1, s1, s70
	s_sub_i32 s1, s64, s1
	s_sub_i32 s2, s1, s70
	v_mul_f32_e32 v2, 0x4f7ffffe, v2
	s_cmp_ge_u32 s1, s70
	v_cvt_u32_f32_e32 v2, v2
	s_cselect_b32 s1, s2, s1
	s_sub_i32 s2, s1, s70
	v_writelane_b32 v78, s8, 33
	s_cmp_ge_u32 s1, s70
	s_cselect_b32 s1, s2, s1
	v_writelane_b32 v78, s9, 34
	s_sub_i32 s2, 0, s67
	v_readfirstlane_b32 s8, v2
	s_mul_i32 s2, s2, s8
	s_mul_hi_u32 s2, s8, s2
	s_add_i32 s85, s8, s2
	s_mul_hi_u32 s2, s0, s85
	s_mul_i32 s2, s2, s67
	s_sub_i32 s2, s0, s2
	s_sub_i32 s84, s64, s1
	;; [unrolled: 1-line block ×3, first 2 shown]
	s_cmp_ge_u32 s2, s67
	s_cselect_b32 s2, s8, s2
	s_sub_i32 s8, s2, s67
	s_cmp_ge_u32 s2, s67
	v_mul_lo_u32 v2, s66, v19
	s_cselect_b32 s2, s8, s2
	v_add_u32_e32 v31, s66, v2
	v_or_b32_e32 v2, 2, v19
	s_sub_i32 s86, s0, s2
	v_mul_lo_u32 v32, s66, v2
	v_or_b32_e32 v2, 3, v19
	s_add_i32 s0, s67, s64
	v_add_u32_e32 v29, s84, v0
	v_mul_lo_u32 v33, s66, v2
	v_add_u32_e32 v2, s0, v0
	v_mul_lo_u32 v14, v29, s66
	v_cmp_gt_u32_e64 s[8:9], s86, v0
	s_mul_i32 s90, s66, s67
	v_subrev_u32_e32 v2, s1, v2
	s_mov_b32 s15, 1
	v_cmp_eq_u32_e64 s[4:5], 0, v22
	v_cmp_gt_u32_e64 s[6:7], 2, v0
	v_add_u32_e32 v24, 0xc00, v23
	v_lshl_add_u64 v[16:17], v[12:13], 1, v[10:11]
	v_and_b32_e32 v13, 0x100, v4
	v_add_u32_e32 v27, v0, v26
	s_mov_b32 s92, s66
	s_mov_b32 s93, s66
	;; [unrolled: 1-line block ×4, first 2 shown]
	v_and_b32_e32 v28, 0x7ffffffc, v5
	v_cmp_gt_u32_e64 s[16:17], s84, v19
	v_cmp_gt_u32_e64 s[18:19], s64, v29
	v_lshl_add_u64 v[20:21], v[14:15], 1, v[10:11]
	v_writelane_b32 v78, s8, 35
	v_lshlrev_b32_e32 v30, 3, v6
	s_lshl_b32 s87, s90, 2
	v_lshlrev_b32_e32 v34, 2, v12
	v_mul_lo_u32 v36, s66, v2
	v_lshlrev_b32_e32 v37, 3, v0
	s_lshl_b32 s20, s67, 3
	s_lshl_b32 s21, s67, 1
	v_or_b32_e32 v38, 0xc00, v4
	s_mov_b64 s[94:95], 0
	v_mov_b32_e32 v39, 14
	v_mov_b32_e32 v44, s3
	s_mov_b32 s80, 0x8000
	s_mov_b32 s81, 0x5040100
	v_mov_b32_e32 v49, s64
	v_mov_b32_e32 v40, 0xc00
	;; [unrolled: 1-line block ×6, first 2 shown]
	s_mov_b32 s22, s14
	v_writelane_b32 v78, s9, 36
                                        ; implicit-def: $sgpr96_sgpr97
                                        ; implicit-def: $sgpr72_sgpr73
                                        ; implicit-def: $sgpr98_sgpr99
                                        ; implicit-def: $sgpr10_sgpr11
                                        ; implicit-def: $sgpr12_sgpr13
                                        ; implicit-def: $sgpr14_sgpr15
	s_branch .LBB107_20
.LBB107_17:                             ;   in Loop: Header=BB107_20 Depth=1
	s_or_b64 exec, exec, s[34:35]
	s_and_b64 s[26:27], s[26:27], exec
	s_andn2_b64 s[30:31], s[30:31], exec
	s_andn2_b64 s[28:29], s[28:29], exec
	s_orn2_b64 s[2:3], s[2:3], exec
.LBB107_18:                             ;   in Loop: Header=BB107_20 Depth=1
	s_or_b64 exec, exec, s[8:9]
	s_andn2_b64 s[8:9], s[14:15], exec
	s_and_b64 s[14:15], s[26:27], exec
	s_or_b64 s[14:15], s[8:9], s[14:15]
	s_andn2_b64 s[8:9], s[12:13], exec
	s_and_b64 s[12:13], s[30:31], exec
	s_or_b64 s[12:13], s[8:9], s[12:13]
	;; [unrolled: 3-line block ×3, first 2 shown]
	s_orn2_b64 s[2:3], s[2:3], exec
.LBB107_19:                             ;   in Loop: Header=BB107_20 Depth=1
	s_or_b64 exec, exec, s[0:1]
	s_and_b64 s[0:1], exec, s[2:3]
	s_or_b64 s[94:95], s[0:1], s[94:95]
	s_andn2_b64 s[0:1], s[98:99], exec
	s_and_b64 s[2:3], s[14:15], exec
	s_or_b64 s[98:99], s[0:1], s[2:3]
	s_andn2_b64 s[0:1], s[72:73], exec
	s_and_b64 s[2:3], s[12:13], exec
	;; [unrolled: 3-line block ×3, first 2 shown]
	s_or_b64 s[96:97], s[0:1], s[2:3]
	s_mov_b32 s22, s36
	v_mov_b32_e32 v44, v5
	s_andn2_b64 exec, exec, s[94:95]
	s_cbranch_execz .LBB107_259
.LBB107_20:                             ; =>This Loop Header: Depth=1
                                        ;     Child Loop BB107_25 Depth 2
                                        ;     Child Loop BB107_46 Depth 2
	;; [unrolled: 1-line block ×19, first 2 shown]
	ds_read_b64 v[2:3], v15 offset:4104
	s_waitcnt lgkmcnt(0)
	v_readfirstlane_b32 s23, v2
	s_cmp_lg_u32 s23, 0
	s_cbranch_scc1 .LBB107_65
; %bb.21:                               ;   in Loop: Header=BB107_20 Depth=1
	v_readlane_b32 s0, v78, 11
	v_readlane_b32 s1, v78, 12
	s_and_b64 vcc, exec, s[0:1]
	s_cbranch_vccz .LBB107_33
; %bb.22:                               ;   in Loop: Header=BB107_20 Depth=1
	s_movk_i32 s0, 0x601
	v_cmp_gt_u32_e32 vcc, s0, v3
	s_mov_b64 s[8:9], 0
	s_mov_b64 s[0:1], 0
	s_cbranch_vccz .LBB107_34
; %bb.23:                               ;   in Loop: Header=BB107_20 Depth=1
	v_readlane_b32 s0, v78, 13
	v_readlane_b32 s1, v78, 14
	s_nop 4
	global_load_ushort v2, v15, s[0:1]
	global_load_ushort v4, v[16:17], off
	s_mov_b64 s[26:27], 0
	s_waitcnt vmcnt(1)
	v_add_u32_e32 v5, v0, v2
	v_mul_lo_u32 v3, s66, v2
	v_mul_lo_u32 v14, s66, v5
	v_mov_b32_e32 v5, v0
	s_branch .LBB107_25
.LBB107_24:                             ;   in Loop: Header=BB107_25 Depth=2
	s_or_b64 exec, exec, s[2:3]
	v_add_u32_e32 v14, v14, v3
	v_mov_b32_e32 v4, v6
	s_andn2_b64 exec, exec, s[26:27]
	s_cbranch_execz .LBB107_40
.LBB107_25:                             ;   Parent Loop BB107_20 Depth=1
                                        ; =>  This Inner Loop Header: Depth=2
	v_add_u32_e32 v5, v5, v2
	v_cmp_gt_u32_e64 s[0:1], s64, v5
	v_cmp_le_u32_e32 vcc, s64, v5
	s_waitcnt lgkmcnt(0)
	v_mov_b32_e32 v7, 0
	v_mov_b32_e32 v6, 0
	s_and_saveexec_b64 s[2:3], s[0:1]
	s_cbranch_execz .LBB107_27
; %bb.26:                               ;   in Loop: Header=BB107_25 Depth=2
	v_lshl_add_u64 v[8:9], v[14:15], 1, v[10:11]
	global_load_ushort v6, v[8:9], off
.LBB107_27:                             ;   in Loop: Header=BB107_25 Depth=2
	s_or_b64 exec, exec, s[2:3]
	s_waitcnt vmcnt(0)
	v_add_u32_sdwa v8, sext(v4), s80 dst_sel:DWORD dst_unused:UNUSED_PAD src0_sel:WORD_0 src1_sel:DWORD
	v_and_b32_e32 v8, v8, v42
	v_cmp_eq_u32_e64 s[0:1], v8, v35
	s_cmp_lg_u64 s[0:1], 0
	s_cselect_b64 s[2:3], -1, 0
	s_and_b64 s[2:3], s[4:5], s[2:3]
	s_and_saveexec_b64 s[28:29], s[2:3]
	s_cbranch_execz .LBB107_31
; %bb.28:                               ;   in Loop: Header=BB107_25 Depth=2
	s_mov_b64 s[34:35], exec
	v_mbcnt_lo_u32_b32 v7, s34, 0
	v_mbcnt_hi_u32_b32 v7, s35, v7
	s_bcnt1_i32_b64 s23, s[0:1]
	v_cmp_eq_u32_e64 s[2:3], 0, v7
                                        ; implicit-def: $vgpr8
	s_and_saveexec_b64 s[30:31], s[2:3]
; %bb.29:                               ;   in Loop: Header=BB107_25 Depth=2
	s_bcnt1_i32_b64 s2, s[34:35]
	s_mul_i32 s2, s23, s2
	v_mov_b32_e32 v8, s2
	ds_add_rtn_u32 v8, v15, v8 offset:4112
; %bb.30:                               ;   in Loop: Header=BB107_25 Depth=2
	s_or_b64 exec, exec, s[30:31]
	s_waitcnt lgkmcnt(0)
	v_readfirstlane_b32 s2, v8
	s_nop 1
	v_mov_b32_e32 v8, s2
	v_mad_u32_u24 v7, s23, v7, v8
.LBB107_31:                             ;   in Loop: Header=BB107_25 Depth=2
	s_or_b64 exec, exec, s[28:29]
	ds_bpermute_b32 v7, v13, v7
	s_and_b64 s[2:3], exec, vcc
	s_or_b64 s[26:27], s[2:3], s[26:27]
	s_and_saveexec_b64 s[2:3], s[0:1]
	s_cbranch_execz .LBB107_24
; %bb.32:                               ;   in Loop: Header=BB107_25 Depth=2
	v_and_b32_e32 v9, s0, v18
	v_and_b32_e32 v8, s1, v1
	v_bcnt_u32_b32 v9, v9, 0
	v_bcnt_u32_b32 v8, v8, v9
	v_lshlrev_b32_e32 v8, 1, v8
	s_waitcnt lgkmcnt(0)
	v_lshl_add_u32 v7, v7, 1, v8
	ds_write_b16 v7, v4
	s_branch .LBB107_24
.LBB107_33:                             ;   in Loop: Header=BB107_20 Depth=1
	s_mov_b64 s[8:9], -1
	s_mov_b64 s[0:1], 0
.LBB107_34:                             ;   in Loop: Header=BB107_20 Depth=1
	s_and_b64 vcc, exec, s[8:9]
	s_cbranch_vccz .LBB107_63
.LBB107_35:                             ;   in Loop: Header=BB107_20 Depth=1
	s_mov_b64 s[2:3], exec
	v_readlane_b32 s0, v78, 8
	v_readlane_b32 s1, v78, 9
	s_and_b64 s[0:1], s[2:3], s[0:1]
	s_mov_b64 exec, s[0:1]
	s_cbranch_execz .LBB107_60
; %bb.36:                               ;   in Loop: Header=BB107_20 Depth=1
	v_readlane_b32 s0, v78, 13
	v_readlane_b32 s1, v78, 14
	s_nop 4
	global_load_ushort v2, v15, s[0:1]
	global_load_ushort v45, v[16:17], off
	v_mov_b32_e32 v3, v0
	s_waitcnt vmcnt(1)
	v_readfirstlane_b32 s23, v2
	v_add_u32_e32 v2, v0, v2
	v_cmp_gt_u32_e32 vcc, s64, v2
	s_and_saveexec_b64 s[26:27], vcc
	s_cbranch_execz .LBB107_59
; %bb.37:                               ;   in Loop: Header=BB107_20 Depth=1
	v_readlane_b32 s28, v78, 15
	s_mov_b64 s[0:1], 0
	s_mul_i32 s34, s66, s23
	v_readlane_b32 s29, v78, 16
                                        ; implicit-def: $vgpr3
                                        ; implicit-def: $vgpr6
                                        ; implicit-def: $vgpr4
                                        ; implicit-def: $vgpr5
	s_and_saveexec_b64 s[8:9], s[28:29]
	s_xor_b64 s[28:29], exec, s[8:9]
	s_cbranch_execnz .LBB107_43
; %bb.38:                               ;   in Loop: Header=BB107_20 Depth=1
	s_andn2_saveexec_b64 s[8:9], s[28:29]
	s_cbranch_execnz .LBB107_54
.LBB107_39:                             ;   in Loop: Header=BB107_20 Depth=1
	s_or_b64 exec, exec, s[8:9]
	s_and_saveexec_b64 s[8:9], s[0:1]
	s_cbranch_execnz .LBB107_55
	s_branch .LBB107_58
.LBB107_40:                             ;   in Loop: Header=BB107_20 Depth=1
	s_or_b64 exec, exec, s[26:27]
	s_waitcnt lgkmcnt(0)
	s_barrier
	s_mov_b64 s[0:1], exec
	v_readlane_b32 s2, v78, 2
	v_readlane_b32 s3, v78, 3
	s_and_b64 s[2:3], s[0:1], s[2:3]
	s_mov_b64 exec, s[2:3]
	s_cbranch_execz .LBB107_42
; %bb.41:                               ;   in Loop: Header=BB107_20 Depth=1
	ds_read_b32 v2, v15 offset:4112
	s_waitcnt lgkmcnt(0)
	ds_write_b32 v15, v2 offset:4104
.LBB107_42:                             ;   in Loop: Header=BB107_20 Depth=1
	s_or_b64 exec, exec, s[0:1]
	s_waitcnt lgkmcnt(0)
	s_barrier
	s_mov_b64 s[0:1], -1
	s_and_b64 vcc, exec, s[8:9]
	s_cbranch_vccnz .LBB107_35
	s_branch .LBB107_63
.LBB107_43:                             ;   in Loop: Header=BB107_20 Depth=1
	v_cvt_f32_u32_e32 v3, s23
	v_add_u32_e32 v4, s23, v2
	v_max_u32_e32 v4, s64, v4
	s_lshl_b32 s0, s23, 1
	v_rcp_iflag_f32_e32 v3, v3
	v_sub_u32_e32 v4, v4, v0
	v_cmp_ne_u32_e32 vcc, s0, v4
	s_sub_i32 s1, 0, s23
	v_mul_f32_e32 v3, 0x4f7ffffe, v3
	v_cvt_u32_f32_e32 v3, v3
	v_cndmask_b32_e64 v5, 0, 1, vcc
	v_or_b32_e32 v5, s0, v5
	v_sub_u32_e32 v4, v4, v5
	v_mul_lo_u32 v5, s1, v3
	v_mul_hi_u32 v5, v3, v5
	v_add_u32_e32 v3, v3, v5
	v_mul_hi_u32 v3, v4, v3
	v_mul_lo_u32 v5, v3, s23
	v_sub_u32_e32 v4, v4, v5
	v_add_u32_e32 v5, 1, v3
	v_cmp_le_u32_e64 s[0:1], s23, v4
	s_nop 1
	v_cndmask_b32_e64 v3, v3, v5, s[0:1]
	v_subrev_u32_e32 v5, s23, v4
	v_cndmask_b32_e64 v4, v4, v5, s[0:1]
	v_add_u32_e32 v5, 1, v3
	v_cmp_le_u32_e64 s[0:1], s23, v4
	v_mul_lo_u32 v4, s66, v2
	s_nop 0
	v_cndmask_b32_e64 v3, v3, v5, s[0:1]
	v_addc_co_u32_e32 v3, vcc, 0, v3, vcc
	s_abs_i32 s0, s34
	v_mul_hi_u32 v5, s0, v3
	v_mul_lo_u32 v3, s0, v3
	s_not_b32 s0, s34
	s_ashr_i32 s0, s0, 31
	s_cmp_eq_u32 s23, 1
	v_cmp_eq_u32_e32 vcc, 0, v5
	v_xor_b32_e32 v4, s0, v4
	s_cselect_b64 s[8:9], -1, 0
	v_cmp_le_u32_e64 s[0:1], v3, v4
	s_and_b64 s[8:9], vcc, s[8:9]
	s_and_b64 s[30:31], s[8:9], s[0:1]
	s_mov_b64 s[8:9], -1
	v_mov_b32_e32 v4, v0
                                        ; implicit-def: $vgpr3
	s_and_saveexec_b64 s[0:1], s[30:31]
	s_cbranch_execz .LBB107_53
; %bb.44:                               ;   in Loop: Header=BB107_20 Depth=1
	v_add_u32_e32 v5, 3, v2
	v_add_u32_e32 v4, 2, v2
	;; [unrolled: 1-line block ×3, first 2 shown]
	v_mov_b64_e32 v[8:9], v[4:5]
	s_waitcnt vmcnt(0)
	v_lshlrev_b32_e32 v46, 16, v45
	v_mov_b32_e32 v14, 0
	v_mov_b64_e32 v[6:7], v[2:3]
                                        ; implicit-def: $vgpr45
	s_mov_b64 s[8:9], exec
	v_readlane_b32 s30, v78, 17
	v_readlane_b32 s31, v78, 18
	s_and_b64 s[30:31], s[8:9], s[30:31]
	s_mov_b64 exec, s[30:31]
	s_cbranch_execz .LBB107_48
; %bb.45:                               ;   in Loop: Header=BB107_20 Depth=1
	v_mov_b64_e32 v[8:9], v[4:5]
	s_mov_b32 s35, 0
	s_mov_b64 s[30:31], 0
	v_mov_b32_e32 v47, v28
	v_mov_b32_e32 v48, v23
	v_mov_b64_e32 v[6:7], v[2:3]
.LBB107_46:                             ;   Parent Loop BB107_20 Depth=1
                                        ; =>  This Inner Loop Header: Depth=2
	v_mul_lo_u32 v14, v6, s92
	v_add_u32_e32 v3, 4, v6
	v_add_u32_e32 v45, 4, v7
	;; [unrolled: 1-line block ×4, first 2 shown]
	v_mul_lo_u32 v4, v9, s25
	v_mul_lo_u32 v52, v7, s93
	v_mov_b32_e32 v53, v15
	v_mov_b32_e32 v5, v15
	;; [unrolled: 1-line block ×4, first 2 shown]
	v_add_u32_e32 v76, 8, v6
	v_lshl_add_u64 v[72:73], v[14:15], 1, v[10:11]
	v_mul_lo_u32 v58, v56, s25
	v_mul_lo_u32 v56, v54, s24
	;; [unrolled: 1-line block ×5, first 2 shown]
	v_mov_b32_e32 v51, v15
	v_mov_b32_e32 v59, v15
	v_add_u32_e32 v60, 8, v7
	v_add_u32_e32 v62, 8, v8
	;; [unrolled: 1-line block ×3, first 2 shown]
	v_lshl_add_u64 v[52:53], v[52:53], 1, v[10:11]
	v_lshl_add_u64 v[4:5], v[4:5], 1, v[10:11]
	;; [unrolled: 1-line block ×5, first 2 shown]
	v_mul_lo_u32 v14, v76, s92
	v_add_u32_e32 v64, 8, v9
	v_mov_b32_e32 v61, v15
	v_mov_b32_e32 v63, v15
	v_add_u32_e32 v66, 12, v7
	v_add_u32_e32 v68, 12, v8
	;; [unrolled: 1-line block ×3, first 2 shown]
	v_lshl_add_u64 v[50:51], v[50:51], 1, v[10:11]
	v_mul_lo_u32 v62, v62, s24
	v_mul_lo_u32 v60, v60, s93
	v_lshl_add_u64 v[58:59], v[58:59], 1, v[10:11]
	global_load_ushort v3, v[72:73], off
	s_nop 0
	global_load_ushort v52, v[52:53], off
	s_nop 0
	global_load_ushort v53, v[50:51], off
	global_load_ushort v72, v[4:5], off
	;; [unrolled: 1-line block ×3, first 2 shown]
	s_nop 0
	global_load_ushort v54, v[54:55], off
	s_nop 0
	global_load_ushort v55, v[56:57], off
	;; [unrolled: 2-line block ×3, first 2 shown]
	v_lshl_add_u64 v[4:5], v[14:15], 1, v[10:11]
	v_mul_lo_u32 v14, v77, s92
	v_mov_b32_e32 v65, v15
	v_mov_b32_e32 v67, v15
	;; [unrolled: 1-line block ×4, first 2 shown]
	v_mul_lo_u32 v64, v64, s25
	v_mul_lo_u32 v70, v70, s25
	;; [unrolled: 1-line block ×4, first 2 shown]
	v_lshl_add_u64 v[60:61], v[60:61], 1, v[10:11]
	v_lshl_add_u64 v[62:63], v[62:63], 1, v[10:11]
	;; [unrolled: 1-line block ×7, first 2 shown]
	global_load_ushort v57, v[60:61], off
	global_load_ushort v58, v[62:63], off
	;; [unrolled: 1-line block ×3, first 2 shown]
	s_nop 0
	global_load_ushort v60, v[66:67], off
	global_load_ushort v61, v[68:69], off
	;; [unrolled: 1-line block ×4, first 2 shown]
	s_nop 0
	global_load_ushort v4, v[4:5], off
	v_add_u32_e32 v47, -4, v47
	s_add_i32 s35, s35, 16
	v_cmp_eq_u32_e32 vcc, 0, v47
	v_add_u32_e32 v9, 16, v9
	v_add_u32_e32 v8, 16, v8
	;; [unrolled: 1-line block ×4, first 2 shown]
	v_mov_b32_e32 v14, s35
	s_or_b64 s[30:31], vcc, s[30:31]
	s_waitcnt vmcnt(15)
	v_alignbit_b32 v50, v3, v46, 16
	s_waitcnt vmcnt(13)
	v_perm_b32 v51, v53, v52, s81
	s_waitcnt vmcnt(11)
	v_perm_b32 v52, v73, v72, s81
	;; [unrolled: 2-line block ×3, first 2 shown]
	ds_write_b128 v48, v[50:53]
	s_waitcnt vmcnt(6)
	v_perm_b32 v55, v58, v57, s81
	s_waitcnt vmcnt(3)
	v_perm_b32 v57, v61, v60, s81
	;; [unrolled: 2-line block ×4, first 2 shown]
	v_perm_b32 v56, v62, v59, s81
	ds_write_b128 v48, v[54:57] offset:16
	v_add_u32_e32 v48, 32, v48
	s_andn2_b64 exec, exec, s[30:31]
	s_cbranch_execnz .LBB107_46
; %bb.47:                               ;   in Loop: Header=BB107_20 Depth=1
	s_or_b64 exec, exec, s[30:31]
.LBB107_48:                             ;   in Loop: Header=BB107_20 Depth=1
	s_or_b64 exec, exec, s[8:9]
	s_mov_b64 s[8:9], exec
	v_readlane_b32 s30, v78, 19
	v_readlane_b32 s31, v78, 20
	s_and_b64 s[30:31], s[8:9], s[30:31]
	s_mov_b64 exec, s[30:31]
	s_cbranch_execz .LBB107_52
; %bb.49:                               ;   in Loop: Header=BB107_20 Depth=1
	v_lshl_add_u32 v3, v14, 1, v23
	s_mov_b64 s[30:31], 0
	v_mov_b32_e32 v4, v30
.LBB107_50:                             ;   Parent Loop BB107_20 Depth=1
                                        ; =>  This Inner Loop Header: Depth=2
	v_mul_lo_u32 v52, v8, s24
	v_mov_b32_e32 v53, v15
	v_mul_lo_u32 v50, v9, s25
	v_mul_lo_u32 v54, v7, s93
	;; [unrolled: 1-line block ×3, first 2 shown]
	v_mov_b32_e32 v55, v15
	v_mov_b32_e32 v51, v15
	v_lshl_add_u64 v[52:53], v[52:53], 1, v[10:11]
	v_lshl_add_u64 v[56:57], v[14:15], 1, v[10:11]
	;; [unrolled: 1-line block ×4, first 2 shown]
	global_load_ushort v5, v[52:53], off
	global_load_ushort v45, v[50:51], off
	;; [unrolled: 1-line block ×4, first 2 shown]
	v_add_u32_e32 v4, -8, v4
	v_cmp_eq_u32_e32 vcc, 0, v4
	v_add_u32_e32 v9, 4, v9
	v_add_u32_e32 v8, 4, v8
	;; [unrolled: 1-line block ×4, first 2 shown]
	s_or_b64 s[30:31], vcc, s[30:31]
	s_waitcnt vmcnt(2)
	v_perm_b32 v50, v45, v5, s81
	s_waitcnt vmcnt(1)
	v_perm_b32 v47, v5, v14, s81
	s_waitcnt vmcnt(0)
	v_alignbit_b32 v46, v48, v46, 16
	ds_write_b64 v3, v[46:47]
	v_add_u32_e32 v3, 8, v3
	v_mov_b32_e32 v46, v50
	s_andn2_b64 exec, exec, s[30:31]
	s_cbranch_execnz .LBB107_50
; %bb.51:                               ;   in Loop: Header=BB107_20 Depth=1
	s_or_b64 exec, exec, s[30:31]
.LBB107_52:                             ;   in Loop: Header=BB107_20 Depth=1
	s_or_b64 exec, exec, s[8:9]
	v_readlane_b32 s8, v78, 21
	v_add_u32_e32 v2, v2, v26
	v_readlane_b32 s9, v78, 22
	v_add_u32_e32 v3, -1, v2
	s_orn2_b64 s[8:9], s[8:9], exec
	v_mov_b32_e32 v4, v27
.LBB107_53:                             ;   in Loop: Header=BB107_20 Depth=1
	s_or_b64 exec, exec, s[0:1]
	v_mov_b32_e32 v5, s34
	s_and_b64 s[0:1], s[8:9], exec
	s_waitcnt vmcnt(0)
	v_mov_b32_e32 v6, v45
	s_andn2_saveexec_b64 s[8:9], s[28:29]
	s_cbranch_execz .LBB107_39
.LBB107_54:                             ;   in Loop: Header=BB107_20 Depth=1
	v_mov_b32_e32 v5, s34
	s_or_b64 s[0:1], s[0:1], exec
	s_waitcnt vmcnt(0)
	v_mov_b32_e32 v6, v45
	v_mov_b32_e32 v4, v0
	s_or_b64 exec, exec, s[8:9]
	s_and_saveexec_b64 s[8:9], s[0:1]
	s_cbranch_execz .LBB107_58
.LBB107_55:                             ;   in Loop: Header=BB107_20 Depth=1
	s_sub_i32 s28, 0, s23
	v_mul_lo_u32 v14, s66, v2
	s_mov_b64 s[0:1], 0
.LBB107_56:                             ;   Parent Loop BB107_20 Depth=1
                                        ; =>  This Inner Loop Header: Depth=2
	v_lshl_add_u64 v[8:9], v[14:15], 1, v[10:11]
	global_load_ushort v45, v[8:9], off
	v_mov_b32_e32 v3, v2
	v_lshlrev_b32_e32 v2, 1, v4
	ds_write_b16 v2, v6
	v_add_u32_e32 v2, s23, v3
	v_cmp_le_u32_e32 vcc, s64, v2
	v_add_u32_e32 v14, v14, v5
	v_mov_b32_e32 v4, v3
	s_or_b64 s[0:1], vcc, s[0:1]
	s_waitcnt vmcnt(0)
	v_mov_b32_e32 v6, v45
	s_andn2_b64 exec, exec, s[0:1]
	s_cbranch_execnz .LBB107_56
; %bb.57:                               ;   in Loop: Header=BB107_20 Depth=1
	s_or_b64 exec, exec, s[0:1]
	v_add_u32_e32 v3, s28, v2
.LBB107_58:                             ;   in Loop: Header=BB107_20 Depth=1
	s_or_b64 exec, exec, s[8:9]
.LBB107_59:                             ;   in Loop: Header=BB107_20 Depth=1
	s_or_b64 exec, exec, s[26:27]
	v_lshlrev_b32_e32 v2, 1, v3
	s_waitcnt vmcnt(0)
	ds_write_b16 v2, v45
.LBB107_60:                             ;   in Loop: Header=BB107_20 Depth=1
	s_or_b64 exec, exec, s[2:3]
	s_waitcnt lgkmcnt(0)
	s_barrier
	s_mov_b64 s[0:1], exec
	v_readlane_b32 s2, v78, 2
	v_readlane_b32 s3, v78, 3
	s_and_b64 s[2:3], s[0:1], s[2:3]
	s_mov_b64 exec, s[2:3]
; %bb.61:                               ;   in Loop: Header=BB107_20 Depth=1
	ds_write_b32 v15, v49 offset:4104
; %bb.62:                               ;   in Loop: Header=BB107_20 Depth=1
	s_or_b64 exec, exec, s[0:1]
	s_mov_b64 s[0:1], -1
	s_waitcnt lgkmcnt(0)
	s_barrier
.LBB107_63:                             ;   in Loop: Header=BB107_20 Depth=1
	s_mov_b32 s23, 0
	s_and_b64 vcc, exec, s[0:1]
	s_cbranch_vccz .LBB107_65
; %bb.64:                               ;   in Loop: Header=BB107_20 Depth=1
	ds_read_b32 v2, v15 offset:4104
	s_waitcnt lgkmcnt(0)
	v_readfirstlane_b32 s23, v2
.LBB107_65:                             ;   in Loop: Header=BB107_20 Depth=1
	s_cmp_lt_i32 s23, 1
	s_mov_b64 s[0:1], -1
                                        ; implicit-def: $vgpr4_vgpr5
	s_cbranch_scc1 .LBB107_75
; %bb.66:                               ;   in Loop: Header=BB107_20 Depth=1
	s_and_b64 vcc, exec, s[0:1]
	s_cbranch_vccnz .LBB107_86
.LBB107_67:                             ;   in Loop: Header=BB107_20 Depth=1
	s_lshl_b32 s8, s22, 6
	s_and_saveexec_b64 s[0:1], s[4:5]
.LBB107_68:                             ;   in Loop: Header=BB107_20 Depth=1
	v_lshl_add_u32 v6, s8, 2, v25
	ds_write_b128 v6, v[2:5]
.LBB107_69:                             ;   in Loop: Header=BB107_20 Depth=1
	s_or_b64 exec, exec, s[0:1]
	s_waitcnt lgkmcnt(0)
	s_barrier
	s_and_saveexec_b64 s[0:1], s[78:79]
	s_cbranch_execz .LBB107_103
; %bb.70:                               ;   in Loop: Header=BB107_20 Depth=1
	v_add_u32_e32 v4, s8, v22
	s_andn2_b64 vcc, exec, s[82:83]
	v_mov_b32_e32 v2, 0
	s_cbranch_vccnz .LBB107_102
; %bb.71:                               ;   in Loop: Header=BB107_20 Depth=1
	v_readlane_b32 s2, v78, 23
	v_readlane_b32 s3, v78, 24
	s_andn2_b64 vcc, exec, s[2:3]
	s_cbranch_vccnz .LBB107_95
; %bb.72:                               ;   in Loop: Header=BB107_20 Depth=1
	v_readlane_b32 s2, v78, 25
	v_readlane_b32 s3, v78, 26
	s_andn2_b64 vcc, exec, s[2:3]
	v_lshl_add_u32 v5, v4, 2, v40
	s_cbranch_vccnz .LBB107_96
; %bb.73:                               ;   in Loop: Header=BB107_20 Depth=1
	s_mov_b32 s3, 1
	s_mov_b32 s2, 0
	v_mov_b32_e32 v2, 0
	v_mov_b32_e32 v3, 0
	v_readlane_b32 s9, v78, 27
.LBB107_74:                             ;   Parent Loop BB107_20 Depth=1
                                        ; =>  This Inner Loop Header: Depth=2
	v_lshl_add_u32 v14, s2, 4, v5
	v_lshl_add_u32 v45, s3, 4, v5
	ds_read2_b32 v[6:7], v14 offset1:8
	ds_read2_b32 v[8:9], v45 offset1:8
	ds_read2_b32 v[46:47], v14 offset0:16 offset1:24
	ds_read2_b32 v[50:51], v45 offset0:16 offset1:24
	;; [unrolled: 1-line block ×6, first 2 shown]
	s_waitcnt lgkmcnt(7)
	v_add3_u32 v2, v6, v2, v7
	s_waitcnt lgkmcnt(6)
	v_add3_u32 v3, v8, v3, v9
	;; [unrolled: 2-line block ×3, first 2 shown]
	v_add3_u32 v2, v46, v2, v47
	s_add_i32 s3, s3, 16
	s_add_i32 s2, s2, 16
	s_add_i32 s9, s9, -8
	s_waitcnt lgkmcnt(3)
	v_add3_u32 v2, v52, v2, v53
	s_waitcnt lgkmcnt(2)
	v_add3_u32 v3, v54, v3, v55
	s_cmp_lg_u32 s9, 0
	s_waitcnt lgkmcnt(0)
	v_add3_u32 v3, v58, v3, v59
	v_add3_u32 v2, v56, v2, v57
	s_cbranch_scc1 .LBB107_74
	s_branch .LBB107_97
.LBB107_75:                             ;   in Loop: Header=BB107_20 Depth=1
	v_mov_b32_e32 v14, v15
	v_mov_b64_e32 v[4:5], v[14:15]
	v_mov_b64_e32 v[2:3], v[14:15]
	s_and_saveexec_b64 s[52:53], s[16:17]
	s_cbranch_execz .LBB107_79
; %bb.76:                               ;   in Loop: Header=BB107_20 Depth=1
	s_mov_b32 s8, 0
	s_mov_b64 s[54:55], 0
	v_mov_b32_e32 v6, v19
	s_mov_b32 s58, 0
	s_mov_b32 s59, s8
	;; [unrolled: 1-line block ×4, first 2 shown]
.LBB107_77:                             ;   Parent Loop BB107_20 Depth=1
                                        ; =>  This Inner Loop Header: Depth=2
	v_add_u32_e32 v14, s8, v34
	v_lshl_add_u64 v[2:3], v[14:15], 1, v[10:11]
	v_add_u32_e32 v14, s8, v31
	v_lshl_add_u64 v[4:5], v[14:15], 1, v[10:11]
	global_load_sshort v7, v[2:3], off
	s_nop 0
	global_load_sshort v4, v[4:5], off
	v_add_u32_e32 v14, s8, v32
	v_lshl_add_u64 v[2:3], v[14:15], 1, v[10:11]
	v_add_u32_e32 v14, s8, v33
	global_load_sshort v5, v[2:3], off
	v_lshl_add_u64 v[2:3], v[14:15], 1, v[10:11]
	global_load_sshort v2, v[2:3], off
	v_add_u32_e32 v6, s70, v6
	v_cmp_le_u32_e32 vcc, s84, v6
	s_add_i32 s8, s8, s87
	s_waitcnt vmcnt(3)
	v_add_u32_e32 v3, 0x8000, v7
	v_and_b32_e32 v7, v3, v42
	v_bfe_u32 v3, v3, v39, 2
	s_waitcnt vmcnt(2)
	v_add_u32_e32 v4, 0x8000, v4
	v_cmp_eq_u32_e64 s[0:1], v7, v35
	v_cmp_eq_u32_e64 s[2:3], 0, v3
	v_and_b32_e32 v7, v4, v42
	v_bfe_u32 v4, v4, v39, 2
	v_cmp_eq_u32_e64 s[26:27], 1, v3
	s_and_b64 s[2:3], s[0:1], s[2:3]
	s_waitcnt vmcnt(1)
	v_add_u32_e32 v5, 0x8000, v5
	v_cmp_eq_u32_e64 s[28:29], 2, v3
	v_cmp_eq_u32_e64 s[30:31], 3, v3
	;; [unrolled: 1-line block ×6, first 2 shown]
	v_cndmask_b32_e64 v4, 0, 1, s[2:3]
	s_and_b64 s[2:3], s[0:1], s[26:27]
	s_waitcnt vmcnt(0)
	v_add_u32_e32 v2, 0x8000, v2
	v_cmp_eq_u32_e64 s[34:35], v7, v35
	v_and_b32_e32 v3, v5, v42
	v_bfe_u32 v5, v5, v39, 2
	v_cndmask_b32_e64 v7, 0, 1, s[2:3]
	s_and_b64 s[2:3], s[0:1], s[28:29]
	s_and_b64 s[0:1], s[0:1], s[30:31]
	v_cndmask_b32_e64 v8, 0, 1, s[2:3]
	v_cndmask_b32_e64 v9, 0, 1, s[0:1]
	v_cmp_eq_u32_e64 s[0:1], v3, v35
	v_and_b32_e32 v3, v2, v42
	v_bfe_u32 v2, v2, v39, 2
	v_cmp_eq_u32_e64 s[2:3], 0, v5
	s_and_b64 s[36:37], s[34:35], s[36:37]
	s_and_b64 s[38:39], s[34:35], s[38:39]
	;; [unrolled: 1-line block ×4, first 2 shown]
	v_cmp_eq_u32_e64 s[26:27], 1, v5
	v_cmp_eq_u32_e64 s[28:29], 2, v5
	;; [unrolled: 1-line block ×3, first 2 shown]
	v_cndmask_b32_e64 v5, 0, 1, s[38:39]
	v_cmp_ne_u32_e64 s[38:39], 0, v8
	v_cndmask_b32_e64 v8, 0, 1, s[34:35]
	v_cmp_eq_u32_e64 s[34:35], v3, v35
	v_cmp_eq_u32_e64 s[42:43], 0, v2
	s_and_b64 s[2:3], s[0:1], s[2:3]
	v_cmp_eq_u32_e64 s[46:47], 1, v2
	v_cmp_eq_u32_e64 s[48:49], 2, v2
	;; [unrolled: 1-line block ×3, first 2 shown]
	v_cndmask_b32_e64 v2, 0, 1, s[2:3]
	s_and_b64 s[26:27], s[0:1], s[26:27]
	s_and_b64 s[28:29], s[0:1], s[28:29]
	;; [unrolled: 1-line block ×4, first 2 shown]
	v_cmp_ne_u32_e64 s[44:45], 0, v4
	v_cndmask_b32_e64 v4, 0, 1, s[36:37]
	v_cmp_ne_u32_e64 s[36:37], 0, v7
	v_cndmask_b32_e64 v7, 0, 1, s[40:41]
	v_cmp_ne_u32_e64 s[40:41], 0, v9
	v_cmp_ne_u32_e64 s[2:3], 0, v5
	v_cndmask_b32_e64 v3, 0, 1, s[26:27]
	v_cndmask_b32_e64 v5, 0, 1, s[0:1]
	v_cmp_ne_u32_e64 s[0:1], 0, v2
	v_cndmask_b32_e64 v2, 0, 1, s[30:31]
	s_and_b64 s[30:31], s[34:35], s[46:47]
	s_bcnt1_i32_b64 s9, s[44:45]
	v_cmp_ne_u32_e64 s[44:45], 0, v4
	s_bcnt1_i32_b64 s36, s[36:37]
	s_bcnt1_i32_b64 s37, s[38:39]
	v_cmp_ne_u32_e64 s[26:27], 0, v7
	v_cndmask_b32_e64 v4, 0, 1, s[28:29]
	s_bcnt1_i32_b64 s38, s[40:41]
	s_bcnt1_i32_b64 s40, s[2:3]
	v_cmp_ne_u32_e64 s[2:3], 0, v3
	v_cndmask_b32_e64 v3, 0, 1, s[30:31]
	s_and_b64 s[30:31], s[34:35], s[48:49]
	v_cmp_ne_u32_e64 s[28:29], 0, v8
	s_bcnt1_i32_b64 s41, s[26:27]
	v_cmp_ne_u32_e64 s[26:27], 0, v4
	v_cndmask_b32_e64 v4, 0, 1, s[30:31]
	s_and_b64 s[30:31], s[34:35], s[50:51]
	s_bcnt1_i32_b64 s39, s[44:45]
	s_add_i32 s9, s58, s9
	s_add_i32 s36, s59, s36
	s_bcnt1_i32_b64 s42, s[28:29]
	v_cmp_ne_u32_e64 s[28:29], 0, v5
	v_cndmask_b32_e64 v5, 0, 1, s[30:31]
	s_add_i32 s30, s56, s37
	s_add_i32 s31, s57, s38
	s_bcnt1_i32_b64 s34, s[0:1]
	v_cmp_ne_u32_e64 s[0:1], 0, v2
	s_bcnt1_i32_b64 s35, s[2:3]
	v_cmp_ne_u32_e64 s[2:3], 0, v3
	s_add_i32 s36, s36, s40
	s_add_i32 s9, s9, s39
	s_bcnt1_i32_b64 s37, s[26:27]
	v_cmp_ne_u32_e64 s[26:27], 0, v4
	s_bcnt1_i32_b64 s38, s[28:29]
	v_cmp_ne_u32_e64 s[28:29], 0, v5
	s_add_i32 s31, s31, s42
	s_add_i32 s30, s30, s41
	s_bcnt1_i32_b64 s0, s[0:1]
	s_bcnt1_i32_b64 s1, s[2:3]
	s_add_i32 s2, s9, s34
	s_add_i32 s3, s36, s35
	s_bcnt1_i32_b64 s9, s[26:27]
	s_bcnt1_i32_b64 s26, s[28:29]
	s_add_i32 s27, s30, s37
	s_add_i32 s28, s31, s38
	;; [unrolled: 1-line block ×6, first 2 shown]
	s_or_b64 s[54:55], vcc, s[54:55]
	v_mov_b64_e32 v[2:3], s[58:59]
	v_mov_b64_e32 v[4:5], s[56:57]
	s_andn2_b64 exec, exec, s[54:55]
	s_cbranch_execnz .LBB107_77
; %bb.78:                               ;   in Loop: Header=BB107_20 Depth=1
	s_or_b64 exec, exec, s[54:55]
.LBB107_79:                             ;   in Loop: Header=BB107_20 Depth=1
	s_or_b64 exec, exec, s[52:53]
	s_and_saveexec_b64 s[2:3], s[18:19]
	s_cbranch_execz .LBB107_85
; %bb.80:                               ;   in Loop: Header=BB107_20 Depth=1
	global_load_ushort v8, v[20:21], off
	s_mov_b64 s[8:9], 0
	v_mov_b32_e32 v14, v36
	v_mov_b32_e32 v6, v29
	s_branch .LBB107_82
.LBB107_81:                             ;   in Loop: Header=BB107_82 Depth=2
	s_or_b64 exec, exec, s[26:27]
	s_waitcnt vmcnt(0)
	v_add_u32_sdwa v8, sext(v8), s80 dst_sel:DWORD dst_unused:UNUSED_PAD src0_sel:WORD_0 src1_sel:DWORD
	s_and_b64 s[0:1], exec, vcc
	v_and_b32_e32 v9, v8, v42
	v_bfe_u32 v8, v8, v39, 2
	s_or_b64 s[8:9], s[0:1], s[8:9]
	v_cmp_eq_u32_e32 vcc, v9, v35
	v_cmp_eq_u32_e64 s[0:1], 0, v8
	s_and_b64 s[0:1], vcc, s[0:1]
	v_add_u32_e32 v14, s90, v14
	v_cndmask_b32_e64 v9, 0, 1, s[0:1]
	v_cmp_ne_u32_e64 s[0:1], 0, v9
	s_bcnt1_i32_b64 s26, s[0:1]
	v_cmp_eq_u32_e64 s[0:1], 1, v8
	s_and_b64 s[0:1], vcc, s[0:1]
	v_add_u32_e32 v2, s26, v2
	v_cndmask_b32_e64 v9, 0, 1, s[0:1]
	v_cmp_ne_u32_e64 s[0:1], 0, v9
	s_bcnt1_i32_b64 s0, s[0:1]
	s_nop 0
	v_add_u32_e32 v3, s0, v3
	v_cmp_eq_u32_e64 s[0:1], 2, v8
	s_and_b64 s[0:1], vcc, s[0:1]
	s_nop 0
	v_cndmask_b32_e64 v9, 0, 1, s[0:1]
	v_cmp_ne_u32_e64 s[0:1], 0, v9
	s_bcnt1_i32_b64 s26, s[0:1]
	v_cmp_eq_u32_e64 s[0:1], 3, v8
	s_and_b64 s[0:1], vcc, s[0:1]
	v_add_u32_e32 v4, s26, v4
	v_cndmask_b32_e64 v8, 0, 1, s[0:1]
	v_cmp_ne_u32_e32 vcc, 0, v8
	s_bcnt1_i32_b64 s0, vcc
	v_add_u32_e32 v5, s0, v5
	v_mov_b32_e32 v8, v7
	s_andn2_b64 exec, exec, s[8:9]
	s_cbranch_execz .LBB107_84
.LBB107_82:                             ;   Parent Loop BB107_20 Depth=1
                                        ; =>  This Inner Loop Header: Depth=2
	v_add_u32_e32 v6, s67, v6
	v_cmp_gt_u32_e64 s[0:1], s64, v6
	v_cmp_le_u32_e32 vcc, s64, v6
	v_mov_b32_e32 v7, 0
	s_and_saveexec_b64 s[26:27], s[0:1]
	s_cbranch_execz .LBB107_81
; %bb.83:                               ;   in Loop: Header=BB107_82 Depth=2
	v_lshl_add_u64 v[46:47], v[14:15], 1, v[10:11]
	global_load_ushort v7, v[46:47], off
	s_branch .LBB107_81
.LBB107_84:                             ;   in Loop: Header=BB107_20 Depth=1
	s_or_b64 exec, exec, s[8:9]
.LBB107_85:                             ;   in Loop: Header=BB107_20 Depth=1
	s_or_b64 exec, exec, s[2:3]
	s_branch .LBB107_67
.LBB107_86:                             ;   in Loop: Header=BB107_20 Depth=1
	s_mul_hi_u32 s0, s23, s91
	s_mul_i32 s0, s0, s70
	s_sub_i32 s0, s23, s0
	s_sub_i32 s1, s0, s70
	s_cmp_ge_u32 s0, s70
	s_cselect_b32 s0, s1, s0
	s_sub_i32 s1, s0, s70
	s_cmp_ge_u32 s0, s70
	s_cselect_b32 s0, s1, s0
	s_sub_i32 s68, s23, s0
	v_mov_b32_e32 v14, v15
	v_cmp_gt_u32_e32 vcc, s68, v19
	v_mov_b64_e32 v[4:5], v[14:15]
	v_mov_b64_e32 v[2:3], v[14:15]
	s_and_saveexec_b64 s[74:75], vcc
	s_cbranch_execz .LBB107_90
; %bb.87:                               ;   in Loop: Header=BB107_20 Depth=1
	s_mov_b32 s88, 0
	s_mov_b64 s[76:77], 0
	v_mov_b32_e32 v6, v37
	v_mov_b32_e32 v7, v19
	s_mov_b32 s89, s88
	s_mov_b32 s8, s88
	;; [unrolled: 1-line block ×3, first 2 shown]
.LBB107_88:                             ;   Parent Loop BB107_20 Depth=1
                                        ; =>  This Inner Loop Header: Depth=2
	ds_read_b64 v[2:3], v6
	v_add_u32_e32 v7, s70, v7
	v_cmp_le_u32_e32 vcc, s68, v7
	v_add_u32_e32 v6, s20, v6
	s_waitcnt lgkmcnt(0)
	v_add_u32_sdwa v4, sext(v2), s80 dst_sel:DWORD dst_unused:UNUSED_PAD src0_sel:WORD_0 src1_sel:DWORD
	v_add_u32_sdwa v2, sext(v2), s80 dst_sel:DWORD dst_unused:UNUSED_PAD src0_sel:WORD_1 src1_sel:DWORD
	v_and_b32_e32 v8, v4, v42
	v_bfe_u32 v4, v4, v39, 2
	v_add_u32_sdwa v5, sext(v3), s80 dst_sel:DWORD dst_unused:UNUSED_PAD src0_sel:WORD_0 src1_sel:DWORD
	v_and_b32_e32 v9, v2, v42
	v_bfe_u32 v2, v2, v39, 2
	v_cmp_eq_u32_e64 s[0:1], v8, v35
	v_cmp_eq_u32_e64 s[30:31], 0, v4
	v_add_u32_sdwa v3, sext(v3), s80 dst_sel:DWORD dst_unused:UNUSED_PAD src0_sel:WORD_1 src1_sel:DWORD
	v_and_b32_e32 v14, v5, v42
	v_bfe_u32 v5, v5, v39, 2
	v_cmp_eq_u32_e64 s[2:3], v9, v35
	v_cmp_eq_u32_e64 s[34:35], 0, v2
	s_and_b64 s[30:31], s[0:1], s[30:31]
	v_and_b32_e32 v45, v3, v42
	v_bfe_u32 v3, v3, v39, 2
	v_cmp_eq_u32_e64 s[26:27], v14, v35
	v_cmp_eq_u32_e64 s[36:37], 0, v5
	v_cmp_eq_u32_e64 s[42:43], 1, v2
	v_cmp_eq_u32_e64 s[50:51], 2, v2
	v_cmp_eq_u32_e64 s[58:59], 3, v2
	v_cndmask_b32_e64 v2, 0, 1, s[30:31]
	s_and_b64 s[30:31], s[2:3], s[34:35]
	v_cmp_eq_u32_e64 s[28:29], v45, v35
	v_cmp_eq_u32_e64 s[38:39], 0, v3
	v_cmp_eq_u32_e64 s[46:47], 1, v3
	v_cmp_eq_u32_e64 s[54:55], 2, v3
	v_cmp_eq_u32_e64 s[62:63], 3, v3
	v_cndmask_b32_e64 v3, 0, 1, s[30:31]
	s_and_b64 s[30:31], s[26:27], s[36:37]
	v_cmp_eq_u32_e64 s[40:41], 1, v4
	v_cmp_eq_u32_e64 s[48:49], 2, v4
	;; [unrolled: 1-line block ×3, first 2 shown]
	v_cndmask_b32_e64 v4, 0, 1, s[30:31]
	s_and_b64 s[30:31], s[28:29], s[38:39]
	v_cmp_eq_u32_e64 s[44:45], 1, v5
	v_cmp_eq_u32_e64 s[52:53], 2, v5
	;; [unrolled: 1-line block ×3, first 2 shown]
	v_cndmask_b32_e64 v5, 0, 1, s[30:31]
	s_and_b64 s[30:31], s[0:1], s[40:41]
	v_cndmask_b32_e64 v8, 0, 1, s[30:31]
	s_and_b64 s[30:31], s[2:3], s[42:43]
	;; [unrolled: 2-line block ×5, first 2 shown]
	s_and_b64 s[0:1], s[0:1], s[56:57]
	v_cndmask_b32_e64 v46, 0, 1, s[30:31]
	s_and_b64 s[30:31], s[2:3], s[50:51]
	v_cndmask_b32_e64 v51, 0, 1, s[0:1]
	;; [unrolled: 2-line block ×7, first 2 shown]
	v_cndmask_b32_e64 v54, 0, 1, s[0:1]
	v_cmp_ne_u32_e64 s[0:1], 0, v2
	v_cmp_ne_u32_e64 s[2:3], 0, v3
	;; [unrolled: 1-line block ×11, first 2 shown]
	s_bcnt1_i32_b64 s0, s[0:1]
	s_bcnt1_i32_b64 s1, s[2:3]
	;; [unrolled: 1-line block ×8, first 2 shown]
	v_cmp_ne_u32_e64 s[38:39], 0, v45
	v_cmp_ne_u32_e64 s[44:45], 0, v48
	;; [unrolled: 1-line block ×3, first 2 shown]
	s_bcnt1_i32_b64 s27, s[34:35]
	s_bcnt1_i32_b64 s31, s[42:43]
	;; [unrolled: 1-line block ×3, first 2 shown]
	s_add_i32 s0, s88, s0
	s_add_i32 s26, s89, s26
	s_add_i32 s8, s8, s30
	s_add_i32 s9, s9, s36
	v_cmp_ne_u32_e64 s[46:47], 0, v50
	v_cmp_ne_u32_e64 s[54:55], 0, v54
	s_bcnt1_i32_b64 s29, s[38:39]
	s_bcnt1_i32_b64 s34, s[44:45]
	;; [unrolled: 1-line block ×3, first 2 shown]
	s_add_i32 s26, s26, s27
	s_add_i32 s0, s0, s1
	;; [unrolled: 1-line block ×4, first 2 shown]
	s_bcnt1_i32_b64 s35, s[46:47]
	s_bcnt1_i32_b64 s39, s[54:55]
	s_add_i32 s0, s0, s2
	s_add_i32 s2, s26, s28
	;; [unrolled: 1-line block ×8, first 2 shown]
	s_or_b64 s[76:77], vcc, s[76:77]
	v_mov_b64_e32 v[2:3], s[88:89]
	v_mov_b64_e32 v[4:5], s[8:9]
	s_andn2_b64 exec, exec, s[76:77]
	s_cbranch_execnz .LBB107_88
; %bb.89:                               ;   in Loop: Header=BB107_20 Depth=1
	s_or_b64 exec, exec, s[76:77]
.LBB107_90:                             ;   in Loop: Header=BB107_20 Depth=1
	s_or_b64 exec, exec, s[74:75]
	v_add_u32_e32 v6, s68, v0
	v_cmp_gt_u32_e32 vcc, s23, v6
	s_and_saveexec_b64 s[8:9], vcc
	s_cbranch_execz .LBB107_94
; %bb.91:                               ;   in Loop: Header=BB107_20 Depth=1
	v_lshlrev_b32_e32 v7, 1, v6
	s_mov_b64 s[34:35], 0
.LBB107_92:                             ;   Parent Loop BB107_20 Depth=1
                                        ; =>  This Inner Loop Header: Depth=2
	ds_read_i16 v8, v7
	v_add_u32_e32 v6, s67, v6
	v_cmp_le_u32_e32 vcc, s23, v6
	v_add_u32_e32 v7, s21, v7
	s_waitcnt lgkmcnt(0)
	v_add_u32_e32 v8, 0x8000, v8
	v_and_b32_e32 v9, v8, v42
	v_bfe_u32 v8, v8, v39, 2
	v_cmp_eq_u32_e64 s[0:1], v9, v35
	v_cmp_eq_u32_e64 s[2:3], 0, v8
	;; [unrolled: 1-line block ×3, first 2 shown]
	s_and_b64 s[2:3], s[0:1], s[2:3]
	v_cmp_eq_u32_e64 s[28:29], 2, v8
	v_cmp_eq_u32_e64 s[30:31], 3, v8
	v_cndmask_b32_e64 v8, 0, 1, s[2:3]
	s_and_b64 s[2:3], s[0:1], s[26:27]
	v_cndmask_b32_e64 v9, 0, 1, s[2:3]
	s_and_b64 s[2:3], s[0:1], s[28:29]
	s_and_b64 s[0:1], s[0:1], s[30:31]
	v_cndmask_b32_e64 v14, 0, 1, s[2:3]
	v_cndmask_b32_e64 v45, 0, 1, s[0:1]
	v_cmp_ne_u32_e64 s[0:1], 0, v8
	v_cmp_ne_u32_e64 s[2:3], 0, v9
	;; [unrolled: 1-line block ×4, first 2 shown]
	s_bcnt1_i32_b64 s0, s[0:1]
	s_bcnt1_i32_b64 s1, s[2:3]
	;; [unrolled: 1-line block ×4, first 2 shown]
	v_add_u32_e32 v3, s1, v3
	v_add_u32_e32 v2, s0, v2
	;; [unrolled: 1-line block ×3, first 2 shown]
	s_or_b64 s[34:35], vcc, s[34:35]
	v_add_u32_e32 v4, s2, v4
	s_andn2_b64 exec, exec, s[34:35]
	s_cbranch_execnz .LBB107_92
; %bb.93:                               ;   in Loop: Header=BB107_20 Depth=1
	s_or_b64 exec, exec, s[34:35]
.LBB107_94:                             ;   in Loop: Header=BB107_20 Depth=1
	s_or_b64 exec, exec, s[8:9]
	s_lshl_b32 s8, s22, 6
	s_and_saveexec_b64 s[0:1], s[4:5]
	s_cbranch_execnz .LBB107_68
	s_branch .LBB107_69
.LBB107_95:                             ;   in Loop: Header=BB107_20 Depth=1
	v_mov_b32_e32 v2, 0
	s_mov_b32 s9, 0
	s_cbranch_execnz .LBB107_100
	s_branch .LBB107_102
.LBB107_96:                             ;   in Loop: Header=BB107_20 Depth=1
	v_mov_b32_e32 v14, v15
	s_mov_b32 s2, 0
	v_mov_b64_e32 v[2:3], v[14:15]
	s_mov_b32 s3, 1
.LBB107_97:                             ;   in Loop: Header=BB107_20 Depth=1
	v_readlane_b32 s26, v78, 29
	v_readlane_b32 s27, v78, 30
	s_andn2_b64 vcc, exec, s[26:27]
	v_readlane_b32 s9, v78, 28
	s_cbranch_vccnz .LBB107_99
.LBB107_98:                             ;   Parent Loop BB107_20 Depth=1
                                        ; =>  This Inner Loop Header: Depth=2
	v_lshl_add_u32 v6, s2, 4, v5
	v_lshl_add_u32 v7, s3, 4, v5
	ds_read_b32 v7, v7
	ds_read_b32 v6, v6
	s_add_i32 s3, s3, 2
	s_add_i32 s2, s2, 2
	s_add_i32 s9, s9, -1
	s_cmp_lg_u32 s9, 0
	s_waitcnt lgkmcnt(1)
	v_add_u32_e32 v3, v7, v3
	s_waitcnt lgkmcnt(0)
	v_add_u32_e32 v2, v6, v2
	s_cbranch_scc1 .LBB107_98
.LBB107_99:                             ;   in Loop: Header=BB107_20 Depth=1
	v_readlane_b32 s2, v78, 33
	v_add_u32_e32 v2, v2, v3
	v_readlane_b32 s9, v78, 32
	v_readlane_b32 s3, v78, 34
	s_and_b64 vcc, exec, s[2:3]
	s_cbranch_vccz .LBB107_102
.LBB107_100:                            ;   in Loop: Header=BB107_20 Depth=1
	s_lshl_b32 s2, s22, 8
	s_lshl_b32 s3, s9, 4
	s_add_i32 s2, s2, s3
	v_add_u32_e32 v3, s2, v38
	v_readlane_b32 s2, v78, 31
	s_sub_i32 s2, s2, s9
.LBB107_101:                            ;   Parent Loop BB107_20 Depth=1
                                        ; =>  This Inner Loop Header: Depth=2
	ds_read_b32 v5, v3
	s_add_i32 s2, s2, -1
	v_add_u32_e32 v3, 16, v3
	s_cmp_eq_u32 s2, 0
	s_waitcnt lgkmcnt(0)
	v_add_u32_e32 v2, v5, v2
	s_cbranch_scc0 .LBB107_101
.LBB107_102:                            ;   in Loop: Header=BB107_20 Depth=1
	v_lshlrev_b32_e32 v3, 2, v4
	ds_write_b32 v3, v2 offset:3072
.LBB107_103:                            ;   in Loop: Header=BB107_20 Depth=1
	s_or_b64 exec, exec, s[0:1]
	s_lshl_b32 s0, s8, 2
	v_mov_b32_e32 v2, s0
	s_waitcnt lgkmcnt(0)
	s_barrier
	ds_read_b128 v[2:5], v2 offset:3072
	v_cmp_eq_u32_e32 vcc, 1, v44
	s_mov_b64 s[2:3], -1
	s_mov_b64 s[30:31], -1
                                        ; implicit-def: $sgpr28_sgpr29
                                        ; implicit-def: $sgpr8_sgpr9
	s_waitcnt lgkmcnt(0)
	v_readfirstlane_b32 s44, v2
	s_cmp_eq_u32 s44, 1
	v_lshlrev_b32_e64 v2, v39, 3
	s_cselect_b64 s[0:1], -1, 0
	v_readfirstlane_b32 s48, v3
	v_readfirstlane_b32 s56, v4
	;; [unrolled: 1-line block ×3, first 2 shown]
	v_not_b32_e32 v4, v2
	s_and_b64 s[26:27], s[0:1], vcc
	s_and_saveexec_b64 s[0:1], s[26:27]
	s_cbranch_execz .LBB107_129
; %bb.104:                              ;   in Loop: Header=BB107_20 Depth=1
	ds_read_b32 v3, v15 offset:4104
	s_waitcnt lgkmcnt(0)
	s_barrier
	v_readfirstlane_b32 s45, v3
	s_and_saveexec_b64 s[8:9], s[6:7]
; %bb.105:                              ;   in Loop: Header=BB107_20 Depth=1
	ds_write_b16 v24, v15
; %bb.106:                              ;   in Loop: Header=BB107_20 Depth=1
	s_or_b64 exec, exec, s[8:9]
	v_and_b32_e32 v35, v35, v4
	v_or_b32_e32 v42, v42, v2
	s_mov_b64 s[8:9], -1
	s_mov_b64 s[28:29], 0
	s_cmp_eq_u32 s45, 0
	s_mov_b64 s[30:31], 0
	s_mov_b64 s[34:35], -1
	s_waitcnt lgkmcnt(0)
	s_barrier
                                        ; implicit-def: $vgpr43
	s_cbranch_scc1 .LBB107_117
; %bb.107:                              ;   in Loop: Header=BB107_20 Depth=1
	v_readlane_b32 s30, v78, 10
	s_add_i32 s30, s45, s30
	s_mul_hi_u32 s31, s30, s85
	s_mul_i32 s31, s31, s67
	s_sub_i32 s31, s30, s31
	s_sub_i32 s34, s31, s67
	s_cmp_ge_u32 s31, s67
	s_cselect_b32 s31, s34, s31
	s_sub_i32 s34, s31, s67
	s_cmp_ge_u32 s31, s67
	s_cselect_b32 s31, s34, s31
	s_sub_i32 s46, s30, s31
	v_cmp_gt_u32_e32 vcc, s46, v0
	s_mov_b64 s[34:35], 0
	s_mov_b64 s[30:31], 0
                                        ; implicit-def: $vgpr43
	s_and_saveexec_b64 s[36:37], vcc
	s_cbranch_execz .LBB107_116
; %bb.108:                              ;   in Loop: Header=BB107_20 Depth=1
	v_mov_b32_e32 v3, v23
	v_mov_b32_e32 v5, v0
                                        ; implicit-def: $sgpr38_sgpr39
	s_branch .LBB107_111
.LBB107_109:                            ;   in Loop: Header=BB107_111 Depth=2
	s_or_b64 exec, exec, s[40:41]
	s_waitcnt lgkmcnt(0)
	s_barrier
	ds_read_b32 v6, v15 offset:3072
	s_mov_b64 s[40:41], -1
	s_waitcnt lgkmcnt(0)
	s_barrier
	v_cmp_ne_u32_sdwa s[42:43], v6, v15 src0_sel:WORD_0 src1_sel:DWORD
	s_and_b64 vcc, exec, s[42:43]
	s_mov_b64 s[42:43], -1
	s_cbranch_vccz .LBB107_114
.LBB107_110:                            ;   in Loop: Header=BB107_111 Depth=2
	s_and_b64 s[40:41], exec, s[40:41]
	s_or_b64 s[30:31], s[40:41], s[30:31]
	s_andn2_b64 s[38:39], s[38:39], exec
	s_and_b64 s[40:41], s[42:43], exec
	s_or_b64 s[38:39], s[38:39], s[40:41]
	s_andn2_b64 exec, exec, s[30:31]
	s_cbranch_execz .LBB107_115
.LBB107_111:                            ;   Parent Loop BB107_20 Depth=1
                                        ; =>  This Inner Loop Header: Depth=2
	v_cmp_gt_u32_e32 vcc, s45, v5
	s_and_saveexec_b64 s[40:41], vcc
	s_cbranch_execz .LBB107_109
; %bb.112:                              ;   in Loop: Header=BB107_111 Depth=2
	ds_read_u16 v6, v3
	s_waitcnt lgkmcnt(0)
	v_add_u32_sdwa v7, sext(v6), s80 dst_sel:DWORD dst_unused:UNUSED_PAD src0_sel:WORD_0 src1_sel:DWORD
	v_and_b32_e32 v7, v7, v42
	v_cmp_eq_u32_e32 vcc, v7, v35
	s_and_b64 exec, exec, vcc
	s_cbranch_execz .LBB107_109
; %bb.113:                              ;   in Loop: Header=BB107_111 Depth=2
	v_perm_b32 v6, v6, 1, v41
	ds_write_b32 v15, v6 offset:3072
	s_branch .LBB107_109
.LBB107_114:                            ;   in Loop: Header=BB107_111 Depth=2
	v_add_u32_e32 v5, s67, v5
	v_cmp_le_u32_e32 vcc, s46, v5
	v_add_u32_e32 v3, s21, v3
	s_mov_b64 s[42:43], 0
	s_orn2_b64 s[40:41], vcc, exec
	s_branch .LBB107_110
.LBB107_115:                            ;   in Loop: Header=BB107_20 Depth=1
	s_or_b64 exec, exec, s[30:31]
	v_lshrrev_b32_e32 v43, 16, v6
	s_and_b64 s[30:31], s[38:39], exec
.LBB107_116:                            ;   in Loop: Header=BB107_20 Depth=1
	s_or_b64 exec, exec, s[36:37]
.LBB107_117:                            ;   in Loop: Header=BB107_20 Depth=1
	s_and_b64 vcc, exec, s[34:35]
	s_cbranch_vccz .LBB107_128
; %bb.118:                              ;   in Loop: Header=BB107_20 Depth=1
                                        ; implicit-def: $vgpr43
	s_mov_b64 s[8:9], exec
	v_readlane_b32 s28, v78, 35
	v_readlane_b32 s29, v78, 36
	s_and_b64 s[28:29], s[8:9], s[28:29]
	s_mov_b64 exec, s[28:29]
	s_cbranch_execz .LBB107_127
; %bb.119:                              ;   in Loop: Header=BB107_20 Depth=1
	s_mov_b64 s[28:29], 0
	v_mov_b32_e32 v14, v12
	v_mov_b32_e32 v3, v0
                                        ; implicit-def: $sgpr34_sgpr35
	s_branch .LBB107_122
.LBB107_120:                            ;   in Loop: Header=BB107_122 Depth=2
	s_or_b64 exec, exec, s[36:37]
	s_waitcnt lgkmcnt(0)
	s_barrier
	ds_read_b32 v5, v15 offset:3072
	s_mov_b64 s[36:37], -1
	s_waitcnt lgkmcnt(0)
	s_barrier
	v_cmp_ne_u32_sdwa s[38:39], v5, v15 src0_sel:WORD_0 src1_sel:DWORD
	s_and_b64 vcc, exec, s[38:39]
	s_mov_b64 s[38:39], -1
	s_cbranch_vccz .LBB107_125
.LBB107_121:                            ;   in Loop: Header=BB107_122 Depth=2
	s_and_b64 s[36:37], exec, s[36:37]
	s_or_b64 s[28:29], s[36:37], s[28:29]
	s_andn2_b64 s[34:35], s[34:35], exec
	s_and_b64 s[36:37], s[38:39], exec
	s_or_b64 s[34:35], s[34:35], s[36:37]
	s_andn2_b64 exec, exec, s[28:29]
	s_cbranch_execz .LBB107_126
.LBB107_122:                            ;   Parent Loop BB107_20 Depth=1
                                        ; =>  This Inner Loop Header: Depth=2
	v_cmp_gt_u32_e32 vcc, s64, v3
	s_and_saveexec_b64 s[36:37], vcc
	s_cbranch_execz .LBB107_120
; %bb.123:                              ;   in Loop: Header=BB107_122 Depth=2
	v_lshl_add_u64 v[6:7], v[14:15], 1, v[10:11]
	global_load_ushort v5, v[6:7], off
	s_waitcnt vmcnt(0)
	v_add_u32_sdwa v6, sext(v5), s80 dst_sel:DWORD dst_unused:UNUSED_PAD src0_sel:WORD_0 src1_sel:DWORD
	v_and_b32_e32 v6, v6, v42
	v_cmp_eq_u32_e32 vcc, v6, v35
	s_and_b64 exec, exec, vcc
	s_cbranch_execz .LBB107_120
; %bb.124:                              ;   in Loop: Header=BB107_122 Depth=2
	v_perm_b32 v5, v5, 1, v41
	ds_write_b32 v15, v5 offset:3072
	s_branch .LBB107_120
.LBB107_125:                            ;   in Loop: Header=BB107_122 Depth=2
	v_add_u32_e32 v3, s67, v3
	v_cmp_le_u32_e32 vcc, s86, v3
	v_add_u32_e32 v14, s90, v14
	s_mov_b64 s[38:39], 0
	s_orn2_b64 s[36:37], vcc, exec
	s_branch .LBB107_121
.LBB107_126:                            ;   in Loop: Header=BB107_20 Depth=1
	s_or_b64 exec, exec, s[28:29]
	s_andn2_b64 s[28:29], s[30:31], exec
	s_and_b64 s[30:31], s[34:35], exec
	v_lshrrev_b32_e32 v43, 16, v5
	s_or_b64 s[30:31], s[28:29], s[30:31]
.LBB107_127:                            ;   in Loop: Header=BB107_20 Depth=1
	s_or_b64 exec, exec, s[8:9]
	s_mov_b64 s[8:9], 0
	s_mov_b64 s[28:29], -1
.LBB107_128:                            ;   in Loop: Header=BB107_20 Depth=1
	s_orn2_b64 s[30:31], s[30:31], exec
.LBB107_129:                            ;   in Loop: Header=BB107_20 Depth=1
	s_or_b64 exec, exec, s[0:1]
	s_andn2_b64 s[0:1], s[12:13], exec
	s_and_b64 s[12:13], s[28:29], exec
	s_or_b64 s[12:13], s[0:1], s[12:13]
	s_andn2_b64 s[0:1], s[10:11], exec
	s_and_b64 s[8:9], s[8:9], exec
	v_readfirstlane_b32 s36, v0
	s_andn2_b64 s[14:15], s[14:15], exec
	s_or_b64 s[10:11], s[0:1], s[8:9]
                                        ; implicit-def: $vgpr5
	s_and_saveexec_b64 s[0:1], s[30:31]
	s_cbranch_execz .LBB107_19
; %bb.130:                              ;   in Loop: Header=BB107_20 Depth=1
	s_xor_b64 s[8:9], s[26:27], -1
	s_mov_b64 s[26:27], 0
	v_mov_b32_e32 v5, 1
	v_mov_b32_e32 v3, 1
	s_and_saveexec_b64 s[2:3], s[8:9]
	s_cbranch_execz .LBB107_139
; %bb.131:                              ;   in Loop: Header=BB107_20 Depth=1
	v_cmp_ge_u32_e32 vcc, s44, v44
	s_and_saveexec_b64 s[8:9], vcc
	s_xor_b64 s[8:9], exec, s[8:9]
	s_cbranch_execz .LBB107_136
; %bb.132:                              ;   in Loop: Header=BB107_20 Depth=1
	ds_read_b32 v3, v15 offset:4104
	v_and_b32_e32 v35, v35, v4
	v_or_b32_e32 v42, v42, v2
	s_waitcnt lgkmcnt(0)
	v_cmp_ne_u32_e32 vcc, 0, v3
	s_cbranch_vccnz .LBB107_136
; %bb.133:                              ;   in Loop: Header=BB107_20 Depth=1
	s_mov_b64 s[26:27], exec
	v_readlane_b32 s28, v78, 2
	v_readlane_b32 s29, v78, 3
	s_and_b64 s[28:29], s[26:27], s[28:29]
	s_mov_b64 exec, s[28:29]
; %bb.134:                              ;   in Loop: Header=BB107_20 Depth=1
	v_mov_b32_e32 v3, s44
	ds_write_b32 v15, v3 offset:4108
; %bb.135:                              ;   in Loop: Header=BB107_20 Depth=1
	s_or_b64 exec, exec, s[26:27]
	s_waitcnt lgkmcnt(0)
	s_barrier
.LBB107_136:                            ;   in Loop: Header=BB107_20 Depth=1
	s_or_saveexec_b64 s[8:9], s[8:9]
	s_mov_b64 s[26:27], 0
	v_mov_b32_e32 v3, 8
	s_xor_b64 exec, exec, s[8:9]
; %bb.137:                              ;   in Loop: Header=BB107_20 Depth=1
	s_mov_b64 s[26:27], exec
	v_subrev_u32_e32 v44, s44, v44
	v_mov_b32_e32 v3, 0
; %bb.138:                              ;   in Loop: Header=BB107_20 Depth=1
	s_or_b64 exec, exec, s[8:9]
	s_and_b64 s[26:27], s[26:27], exec
	v_mov_b32_e32 v5, v44
.LBB107_139:                            ;   in Loop: Header=BB107_20 Depth=1
	s_or_b64 exec, exec, s[2:3]
	s_mov_b64 s[2:3], -1
	s_mov_b64 s[8:9], -1
                                        ; implicit-def: $sgpr28_sgpr29
                                        ; implicit-def: $sgpr30_sgpr31
	s_and_saveexec_b64 s[34:35], s[26:27]
	s_xor_b64 s[26:27], exec, s[34:35]
	s_cbranch_execz .LBB107_256
; %bb.140:                              ;   in Loop: Header=BB107_20 Depth=1
	s_cmp_eq_u32 s48, 1
	s_cselect_b64 s[8:9], -1, 0
	v_cmp_eq_u32_e32 vcc, 1, v5
	s_and_b64 s[36:37], s[8:9], vcc
	s_mov_b64 s[8:9], -1
                                        ; implicit-def: $sgpr30_sgpr31
                                        ; implicit-def: $sgpr28_sgpr29
	s_and_saveexec_b64 s[34:35], s[36:37]
	s_cbranch_execz .LBB107_166
; %bb.141:                              ;   in Loop: Header=BB107_20 Depth=1
	ds_read_b32 v6, v15 offset:4104
	s_waitcnt lgkmcnt(0)
	s_barrier
	v_readfirstlane_b32 s49, v6
	s_and_saveexec_b64 s[8:9], s[6:7]
; %bb.142:                              ;   in Loop: Header=BB107_20 Depth=1
	ds_write_b16 v24, v15
; %bb.143:                              ;   in Loop: Header=BB107_20 Depth=1
	s_or_b64 exec, exec, s[8:9]
	v_and_b32_e32 v6, v35, v4
	v_lshl_or_b32 v35, 1, v39, v6
	v_or_b32_e32 v42, v42, v2
	s_mov_b64 s[28:29], -1
	s_mov_b64 s[30:31], 0
	s_cmp_eq_u32 s49, 0
	s_mov_b64 s[8:9], 0
	s_mov_b64 s[38:39], -1
	s_waitcnt lgkmcnt(0)
	s_barrier
                                        ; implicit-def: $vgpr43
	s_cbranch_scc1 .LBB107_154
; %bb.144:                              ;   in Loop: Header=BB107_20 Depth=1
	v_readlane_b32 s8, v78, 10
	s_add_i32 s8, s49, s8
	s_mul_hi_u32 s9, s8, s85
	s_mul_i32 s9, s9, s67
	s_sub_i32 s9, s8, s9
	s_sub_i32 s38, s9, s67
	s_cmp_ge_u32 s9, s67
	s_cselect_b32 s9, s38, s9
	s_sub_i32 s38, s9, s67
	s_cmp_ge_u32 s9, s67
	s_cselect_b32 s9, s38, s9
	s_sub_i32 s50, s8, s9
	v_cmp_gt_u32_e32 vcc, s50, v0
	s_mov_b64 s[38:39], 0
	s_mov_b64 s[8:9], 0
                                        ; implicit-def: $vgpr43
	s_and_saveexec_b64 s[40:41], vcc
	s_cbranch_execz .LBB107_153
; %bb.145:                              ;   in Loop: Header=BB107_20 Depth=1
	v_mov_b32_e32 v6, v23
	v_mov_b32_e32 v7, v0
                                        ; implicit-def: $sgpr42_sgpr43
	s_branch .LBB107_148
.LBB107_146:                            ;   in Loop: Header=BB107_148 Depth=2
	s_or_b64 exec, exec, s[44:45]
	s_waitcnt lgkmcnt(0)
	s_barrier
	ds_read_b32 v8, v15 offset:3072
	s_mov_b64 s[44:45], -1
	s_waitcnt lgkmcnt(0)
	s_barrier
	v_cmp_ne_u32_sdwa s[46:47], v8, v15 src0_sel:WORD_0 src1_sel:DWORD
	s_and_b64 vcc, exec, s[46:47]
	s_mov_b64 s[46:47], -1
	s_cbranch_vccz .LBB107_151
.LBB107_147:                            ;   in Loop: Header=BB107_148 Depth=2
	s_and_b64 s[44:45], exec, s[44:45]
	s_or_b64 s[8:9], s[44:45], s[8:9]
	s_andn2_b64 s[42:43], s[42:43], exec
	s_and_b64 s[44:45], s[46:47], exec
	s_or_b64 s[42:43], s[42:43], s[44:45]
	s_andn2_b64 exec, exec, s[8:9]
	s_cbranch_execz .LBB107_152
.LBB107_148:                            ;   Parent Loop BB107_20 Depth=1
                                        ; =>  This Inner Loop Header: Depth=2
	v_cmp_gt_u32_e32 vcc, s49, v7
	s_and_saveexec_b64 s[44:45], vcc
	s_cbranch_execz .LBB107_146
; %bb.149:                              ;   in Loop: Header=BB107_148 Depth=2
	ds_read_u16 v8, v6
	s_waitcnt lgkmcnt(0)
	v_add_u32_sdwa v9, sext(v8), s80 dst_sel:DWORD dst_unused:UNUSED_PAD src0_sel:WORD_0 src1_sel:DWORD
	v_and_b32_e32 v9, v9, v42
	v_cmp_eq_u32_e32 vcc, v9, v35
	s_and_b64 exec, exec, vcc
	s_cbranch_execz .LBB107_146
; %bb.150:                              ;   in Loop: Header=BB107_148 Depth=2
	v_perm_b32 v8, v8, 1, v41
	ds_write_b32 v15, v8 offset:3072
	s_branch .LBB107_146
.LBB107_151:                            ;   in Loop: Header=BB107_148 Depth=2
	v_add_u32_e32 v7, s67, v7
	v_cmp_le_u32_e32 vcc, s50, v7
	v_add_u32_e32 v6, s21, v6
	s_mov_b64 s[46:47], 0
	s_orn2_b64 s[44:45], vcc, exec
	s_branch .LBB107_147
.LBB107_152:                            ;   in Loop: Header=BB107_20 Depth=1
	s_or_b64 exec, exec, s[8:9]
	v_lshrrev_b32_e32 v43, 16, v8
	s_and_b64 s[8:9], s[42:43], exec
.LBB107_153:                            ;   in Loop: Header=BB107_20 Depth=1
	s_or_b64 exec, exec, s[40:41]
.LBB107_154:                            ;   in Loop: Header=BB107_20 Depth=1
	s_and_b64 vcc, exec, s[38:39]
	s_cbranch_vccz .LBB107_165
; %bb.155:                              ;   in Loop: Header=BB107_20 Depth=1
                                        ; implicit-def: $vgpr43
	s_mov_b64 s[28:29], exec
	v_readlane_b32 s30, v78, 35
	v_readlane_b32 s31, v78, 36
	s_and_b64 s[30:31], s[28:29], s[30:31]
	s_mov_b64 exec, s[30:31]
	s_cbranch_execz .LBB107_164
; %bb.156:                              ;   in Loop: Header=BB107_20 Depth=1
	s_mov_b64 s[30:31], 0
	v_mov_b32_e32 v14, v12
	v_mov_b32_e32 v6, v0
                                        ; implicit-def: $sgpr38_sgpr39
	s_branch .LBB107_159
.LBB107_157:                            ;   in Loop: Header=BB107_159 Depth=2
	s_or_b64 exec, exec, s[40:41]
	s_waitcnt lgkmcnt(0)
	s_barrier
	ds_read_b32 v7, v15 offset:3072
	s_mov_b64 s[40:41], -1
	s_waitcnt lgkmcnt(0)
	s_barrier
	v_cmp_eq_u32_sdwa s[42:43], v7, v15 src0_sel:WORD_0 src1_sel:DWORD
	s_and_b64 vcc, exec, s[42:43]
	s_mov_b64 s[42:43], -1
	s_cbranch_vccnz .LBB107_162
.LBB107_158:                            ;   in Loop: Header=BB107_159 Depth=2
	s_and_b64 s[40:41], exec, s[40:41]
	s_or_b64 s[30:31], s[40:41], s[30:31]
	s_andn2_b64 s[38:39], s[38:39], exec
	s_and_b64 s[40:41], s[42:43], exec
	s_or_b64 s[38:39], s[38:39], s[40:41]
	s_andn2_b64 exec, exec, s[30:31]
	s_cbranch_execz .LBB107_163
.LBB107_159:                            ;   Parent Loop BB107_20 Depth=1
                                        ; =>  This Inner Loop Header: Depth=2
	v_cmp_gt_u32_e32 vcc, s64, v6
	s_and_saveexec_b64 s[40:41], vcc
	s_cbranch_execz .LBB107_157
; %bb.160:                              ;   in Loop: Header=BB107_159 Depth=2
	v_lshl_add_u64 v[8:9], v[14:15], 1, v[10:11]
	global_load_ushort v7, v[8:9], off
	s_waitcnt vmcnt(0)
	v_add_u32_sdwa v8, sext(v7), s80 dst_sel:DWORD dst_unused:UNUSED_PAD src0_sel:WORD_0 src1_sel:DWORD
	v_and_b32_e32 v8, v8, v42
	v_cmp_eq_u32_e32 vcc, v8, v35
	s_and_b64 exec, exec, vcc
	s_cbranch_execz .LBB107_157
; %bb.161:                              ;   in Loop: Header=BB107_159 Depth=2
	v_perm_b32 v7, v7, 1, v41
	ds_write_b32 v15, v7 offset:3072
	s_branch .LBB107_157
.LBB107_162:                            ;   in Loop: Header=BB107_159 Depth=2
	v_add_u32_e32 v6, s67, v6
	v_cmp_le_u32_e32 vcc, s86, v6
	v_add_u32_e32 v14, s90, v14
	s_mov_b64 s[42:43], 0
	s_orn2_b64 s[40:41], vcc, exec
	s_branch .LBB107_158
.LBB107_163:                            ;   in Loop: Header=BB107_20 Depth=1
	s_or_b64 exec, exec, s[30:31]
	s_andn2_b64 s[8:9], s[8:9], exec
	s_and_b64 s[30:31], s[38:39], exec
	v_lshrrev_b32_e32 v43, 16, v7
	s_or_b64 s[8:9], s[8:9], s[30:31]
.LBB107_164:                            ;   in Loop: Header=BB107_20 Depth=1
	s_or_b64 exec, exec, s[28:29]
	s_mov_b64 s[28:29], 0
	s_mov_b64 s[30:31], -1
.LBB107_165:                            ;   in Loop: Header=BB107_20 Depth=1
	s_orn2_b64 s[8:9], s[8:9], exec
.LBB107_166:                            ;   in Loop: Header=BB107_20 Depth=1
	s_or_b64 exec, exec, s[34:35]
	s_mov_b64 s[38:39], 0
	s_and_saveexec_b64 s[34:35], s[8:9]
	s_cbranch_execz .LBB107_255
; %bb.167:                              ;   in Loop: Header=BB107_20 Depth=1
	s_xor_b64 s[36:37], s[36:37], -1
	s_mov_b64 s[42:43], 0
	v_mov_b32_e32 v6, 1
	v_mov_b32_e32 v3, 1
	s_and_saveexec_b64 s[8:9], s[36:37]
	s_cbranch_execz .LBB107_176
; %bb.168:                              ;   in Loop: Header=BB107_20 Depth=1
	v_cmp_ge_u32_e32 vcc, s48, v5
	s_and_saveexec_b64 s[36:37], vcc
	s_xor_b64 s[36:37], exec, s[36:37]
	s_cbranch_execz .LBB107_173
; %bb.169:                              ;   in Loop: Header=BB107_20 Depth=1
	ds_read_b32 v3, v15 offset:4104
	v_and_b32_e32 v6, v35, v4
	v_lshl_or_b32 v35, 1, v39, v6
	v_or_b32_e32 v42, v42, v2
	s_waitcnt lgkmcnt(0)
	v_cmp_ne_u32_e32 vcc, 0, v3
	s_cbranch_vccnz .LBB107_173
; %bb.170:                              ;   in Loop: Header=BB107_20 Depth=1
	s_mov_b64 s[38:39], exec
	v_readlane_b32 s40, v78, 2
	v_readlane_b32 s41, v78, 3
	s_and_b64 s[40:41], s[38:39], s[40:41]
	s_mov_b64 exec, s[40:41]
; %bb.171:                              ;   in Loop: Header=BB107_20 Depth=1
	v_mov_b32_e32 v3, s48
	ds_write_b32 v15, v3 offset:4108
; %bb.172:                              ;   in Loop: Header=BB107_20 Depth=1
	s_or_b64 exec, exec, s[38:39]
	s_waitcnt lgkmcnt(0)
	s_barrier
.LBB107_173:                            ;   in Loop: Header=BB107_20 Depth=1
	s_or_saveexec_b64 s[36:37], s[36:37]
	s_mov_b64 s[38:39], 0
	v_mov_b32_e32 v3, 8
	s_xor_b64 exec, exec, s[36:37]
; %bb.174:                              ;   in Loop: Header=BB107_20 Depth=1
	s_mov_b64 s[38:39], exec
	v_subrev_u32_e32 v5, s48, v5
	v_mov_b32_e32 v3, 0
; %bb.175:                              ;   in Loop: Header=BB107_20 Depth=1
	s_or_b64 exec, exec, s[36:37]
	s_and_b64 s[42:43], s[38:39], exec
	v_mov_b32_e32 v6, v5
.LBB107_176:                            ;   in Loop: Header=BB107_20 Depth=1
	s_or_b64 exec, exec, s[8:9]
	s_mov_b64 s[8:9], -1
                                        ; implicit-def: $sgpr38_sgpr39
                                        ; implicit-def: $sgpr40_sgpr41
	s_and_saveexec_b64 s[36:37], s[42:43]
	s_cbranch_execz .LBB107_254
; %bb.177:                              ;   in Loop: Header=BB107_20 Depth=1
	s_cmp_eq_u32 s56, 1
	s_cselect_b64 s[8:9], -1, 0
	v_cmp_eq_u32_e32 vcc, 1, v6
	s_and_b64 s[44:45], s[8:9], vcc
	s_mov_b64 s[8:9], -1
                                        ; implicit-def: $sgpr40_sgpr41
                                        ; implicit-def: $sgpr38_sgpr39
	s_and_saveexec_b64 s[42:43], s[44:45]
	s_cbranch_execz .LBB107_203
; %bb.178:                              ;   in Loop: Header=BB107_20 Depth=1
	ds_read_b32 v5, v15 offset:4104
	s_waitcnt lgkmcnt(0)
	s_barrier
	v_readfirstlane_b32 s57, v5
	s_and_saveexec_b64 s[8:9], s[6:7]
; %bb.179:                              ;   in Loop: Header=BB107_20 Depth=1
	ds_write_b16 v24, v15
; %bb.180:                              ;   in Loop: Header=BB107_20 Depth=1
	s_or_b64 exec, exec, s[8:9]
	v_and_b32_e32 v5, v35, v4
	v_lshl_or_b32 v35, 2, v39, v5
	v_or_b32_e32 v42, v42, v2
	s_mov_b64 s[38:39], -1
	s_mov_b64 s[40:41], 0
	s_cmp_eq_u32 s57, 0
	s_mov_b64 s[8:9], 0
	s_mov_b64 s[46:47], -1
	s_waitcnt lgkmcnt(0)
	s_barrier
                                        ; implicit-def: $vgpr43
	s_cbranch_scc1 .LBB107_191
; %bb.181:                              ;   in Loop: Header=BB107_20 Depth=1
	v_readlane_b32 s8, v78, 10
	s_add_i32 s8, s57, s8
	s_mul_hi_u32 s9, s8, s85
	s_mul_i32 s9, s9, s67
	s_sub_i32 s9, s8, s9
	s_sub_i32 s46, s9, s67
	s_cmp_ge_u32 s9, s67
	s_cselect_b32 s9, s46, s9
	s_sub_i32 s46, s9, s67
	s_cmp_ge_u32 s9, s67
	s_cselect_b32 s9, s46, s9
	s_sub_i32 s58, s8, s9
	v_cmp_gt_u32_e32 vcc, s58, v0
	s_mov_b64 s[46:47], 0
	s_mov_b64 s[8:9], 0
                                        ; implicit-def: $vgpr43
	s_and_saveexec_b64 s[48:49], vcc
	s_cbranch_execz .LBB107_190
; %bb.182:                              ;   in Loop: Header=BB107_20 Depth=1
	v_mov_b32_e32 v5, v23
	v_mov_b32_e32 v7, v0
                                        ; implicit-def: $sgpr50_sgpr51
	s_branch .LBB107_185
.LBB107_183:                            ;   in Loop: Header=BB107_185 Depth=2
	s_or_b64 exec, exec, s[52:53]
	s_waitcnt lgkmcnt(0)
	s_barrier
	ds_read_b32 v8, v15 offset:3072
	s_mov_b64 s[52:53], -1
	s_waitcnt lgkmcnt(0)
	s_barrier
	v_cmp_ne_u32_sdwa s[54:55], v8, v15 src0_sel:WORD_0 src1_sel:DWORD
	s_and_b64 vcc, exec, s[54:55]
	s_mov_b64 s[54:55], -1
	s_cbranch_vccz .LBB107_188
.LBB107_184:                            ;   in Loop: Header=BB107_185 Depth=2
	s_and_b64 s[52:53], exec, s[52:53]
	s_or_b64 s[8:9], s[52:53], s[8:9]
	s_andn2_b64 s[50:51], s[50:51], exec
	s_and_b64 s[52:53], s[54:55], exec
	s_or_b64 s[50:51], s[50:51], s[52:53]
	s_andn2_b64 exec, exec, s[8:9]
	s_cbranch_execz .LBB107_189
.LBB107_185:                            ;   Parent Loop BB107_20 Depth=1
                                        ; =>  This Inner Loop Header: Depth=2
	v_cmp_gt_u32_e32 vcc, s57, v7
	s_and_saveexec_b64 s[52:53], vcc
	s_cbranch_execz .LBB107_183
; %bb.186:                              ;   in Loop: Header=BB107_185 Depth=2
	ds_read_u16 v8, v5
	s_waitcnt lgkmcnt(0)
	v_add_u32_sdwa v9, sext(v8), s80 dst_sel:DWORD dst_unused:UNUSED_PAD src0_sel:WORD_0 src1_sel:DWORD
	v_and_b32_e32 v9, v9, v42
	v_cmp_eq_u32_e32 vcc, v9, v35
	s_and_b64 exec, exec, vcc
	s_cbranch_execz .LBB107_183
; %bb.187:                              ;   in Loop: Header=BB107_185 Depth=2
	v_perm_b32 v8, v8, 1, v41
	ds_write_b32 v15, v8 offset:3072
	s_branch .LBB107_183
.LBB107_188:                            ;   in Loop: Header=BB107_185 Depth=2
	v_add_u32_e32 v7, s67, v7
	v_cmp_le_u32_e32 vcc, s58, v7
	v_add_u32_e32 v5, s21, v5
	s_mov_b64 s[54:55], 0
	s_orn2_b64 s[52:53], vcc, exec
	s_branch .LBB107_184
.LBB107_189:                            ;   in Loop: Header=BB107_20 Depth=1
	s_or_b64 exec, exec, s[8:9]
	v_lshrrev_b32_e32 v43, 16, v8
	s_and_b64 s[8:9], s[50:51], exec
.LBB107_190:                            ;   in Loop: Header=BB107_20 Depth=1
	s_or_b64 exec, exec, s[48:49]
.LBB107_191:                            ;   in Loop: Header=BB107_20 Depth=1
	s_and_b64 vcc, exec, s[46:47]
	s_cbranch_vccz .LBB107_202
; %bb.192:                              ;   in Loop: Header=BB107_20 Depth=1
                                        ; implicit-def: $vgpr43
	s_mov_b64 s[38:39], exec
	v_readlane_b32 s40, v78, 35
	v_readlane_b32 s41, v78, 36
	s_and_b64 s[40:41], s[38:39], s[40:41]
	s_mov_b64 exec, s[40:41]
	s_cbranch_execz .LBB107_201
; %bb.193:                              ;   in Loop: Header=BB107_20 Depth=1
	s_mov_b64 s[40:41], 0
	v_mov_b32_e32 v14, v12
	v_mov_b32_e32 v5, v0
                                        ; implicit-def: $sgpr46_sgpr47
	s_branch .LBB107_196
.LBB107_194:                            ;   in Loop: Header=BB107_196 Depth=2
	s_or_b64 exec, exec, s[48:49]
	s_waitcnt lgkmcnt(0)
	s_barrier
	ds_read_b32 v7, v15 offset:3072
	s_mov_b64 s[48:49], -1
	s_waitcnt lgkmcnt(0)
	s_barrier
	v_cmp_eq_u32_sdwa s[50:51], v7, v15 src0_sel:WORD_0 src1_sel:DWORD
	s_and_b64 vcc, exec, s[50:51]
	s_mov_b64 s[50:51], -1
	s_cbranch_vccnz .LBB107_199
.LBB107_195:                            ;   in Loop: Header=BB107_196 Depth=2
	s_and_b64 s[48:49], exec, s[48:49]
	s_or_b64 s[40:41], s[48:49], s[40:41]
	s_andn2_b64 s[46:47], s[46:47], exec
	s_and_b64 s[48:49], s[50:51], exec
	s_or_b64 s[46:47], s[46:47], s[48:49]
	s_andn2_b64 exec, exec, s[40:41]
	s_cbranch_execz .LBB107_200
.LBB107_196:                            ;   Parent Loop BB107_20 Depth=1
                                        ; =>  This Inner Loop Header: Depth=2
	v_cmp_gt_u32_e32 vcc, s64, v5
	s_and_saveexec_b64 s[48:49], vcc
	s_cbranch_execz .LBB107_194
; %bb.197:                              ;   in Loop: Header=BB107_196 Depth=2
	v_lshl_add_u64 v[8:9], v[14:15], 1, v[10:11]
	global_load_ushort v7, v[8:9], off
	s_waitcnt vmcnt(0)
	v_add_u32_sdwa v8, sext(v7), s80 dst_sel:DWORD dst_unused:UNUSED_PAD src0_sel:WORD_0 src1_sel:DWORD
	v_and_b32_e32 v8, v8, v42
	v_cmp_eq_u32_e32 vcc, v8, v35
	s_and_b64 exec, exec, vcc
	s_cbranch_execz .LBB107_194
; %bb.198:                              ;   in Loop: Header=BB107_196 Depth=2
	v_perm_b32 v7, v7, 1, v41
	ds_write_b32 v15, v7 offset:3072
	s_branch .LBB107_194
.LBB107_199:                            ;   in Loop: Header=BB107_196 Depth=2
	v_add_u32_e32 v5, s67, v5
	v_cmp_le_u32_e32 vcc, s86, v5
	v_add_u32_e32 v14, s90, v14
	s_mov_b64 s[50:51], 0
	s_orn2_b64 s[48:49], vcc, exec
	s_branch .LBB107_195
.LBB107_200:                            ;   in Loop: Header=BB107_20 Depth=1
	s_or_b64 exec, exec, s[40:41]
	s_andn2_b64 s[8:9], s[8:9], exec
	s_and_b64 s[40:41], s[46:47], exec
	v_lshrrev_b32_e32 v43, 16, v7
	s_or_b64 s[8:9], s[8:9], s[40:41]
.LBB107_201:                            ;   in Loop: Header=BB107_20 Depth=1
	s_or_b64 exec, exec, s[38:39]
	s_mov_b64 s[38:39], 0
	s_mov_b64 s[40:41], -1
.LBB107_202:                            ;   in Loop: Header=BB107_20 Depth=1
	s_orn2_b64 s[8:9], s[8:9], exec
.LBB107_203:                            ;   in Loop: Header=BB107_20 Depth=1
	s_or_b64 exec, exec, s[42:43]
	s_mov_b64 s[46:47], 0
	s_and_saveexec_b64 s[42:43], s[8:9]
	s_cbranch_execz .LBB107_253
; %bb.204:                              ;   in Loop: Header=BB107_20 Depth=1
	s_xor_b64 s[44:45], s[44:45], -1
	s_mov_b64 s[50:51], 0
	v_mov_b32_e32 v5, 1
	v_mov_b32_e32 v3, 1
	s_and_saveexec_b64 s[8:9], s[44:45]
	s_cbranch_execz .LBB107_213
; %bb.205:                              ;   in Loop: Header=BB107_20 Depth=1
	v_cmp_ge_u32_e32 vcc, s56, v6
	s_and_saveexec_b64 s[44:45], vcc
	s_xor_b64 s[44:45], exec, s[44:45]
	s_cbranch_execz .LBB107_210
; %bb.206:                              ;   in Loop: Header=BB107_20 Depth=1
	ds_read_b32 v3, v15 offset:4104
	v_and_b32_e32 v4, v35, v4
	v_lshl_or_b32 v35, 2, v39, v4
	v_or_b32_e32 v42, v42, v2
	s_waitcnt lgkmcnt(0)
	v_cmp_ne_u32_e32 vcc, 0, v3
	s_cbranch_vccnz .LBB107_210
; %bb.207:                              ;   in Loop: Header=BB107_20 Depth=1
	s_mov_b64 s[46:47], exec
	v_readlane_b32 s48, v78, 2
	v_readlane_b32 s49, v78, 3
	s_and_b64 s[48:49], s[46:47], s[48:49]
	s_mov_b64 exec, s[48:49]
; %bb.208:                              ;   in Loop: Header=BB107_20 Depth=1
	v_mov_b32_e32 v3, s56
	ds_write_b32 v15, v3 offset:4108
; %bb.209:                              ;   in Loop: Header=BB107_20 Depth=1
	s_or_b64 exec, exec, s[46:47]
	s_waitcnt lgkmcnt(0)
	s_barrier
.LBB107_210:                            ;   in Loop: Header=BB107_20 Depth=1
	s_or_saveexec_b64 s[44:45], s[44:45]
	s_mov_b64 s[46:47], 0
	v_mov_b32_e32 v3, 8
	s_xor_b64 exec, exec, s[44:45]
; %bb.211:                              ;   in Loop: Header=BB107_20 Depth=1
	s_mov_b64 s[46:47], exec
	v_subrev_u32_e32 v6, s56, v6
	v_mov_b32_e32 v3, 0
; %bb.212:                              ;   in Loop: Header=BB107_20 Depth=1
	s_or_b64 exec, exec, s[44:45]
	s_and_b64 s[50:51], s[46:47], exec
	v_mov_b32_e32 v5, v6
.LBB107_213:                            ;   in Loop: Header=BB107_20 Depth=1
	s_or_b64 exec, exec, s[8:9]
	s_mov_b64 s[8:9], -1
                                        ; implicit-def: $sgpr48_sgpr49
                                        ; implicit-def: $sgpr46_sgpr47
	s_and_saveexec_b64 s[44:45], s[50:51]
	s_cbranch_execz .LBB107_252
; %bb.214:                              ;   in Loop: Header=BB107_20 Depth=1
	s_cmp_eq_u32 s23, 1
	s_cselect_b64 s[8:9], -1, 0
	v_cmp_eq_u32_e32 vcc, 1, v5
	s_and_b64 s[50:51], s[8:9], vcc
	s_mov_b64 s[54:55], -1
                                        ; implicit-def: $sgpr48_sgpr49
                                        ; implicit-def: $sgpr46_sgpr47
	s_and_saveexec_b64 s[52:53], s[50:51]
	s_cbranch_execz .LBB107_240
; %bb.215:                              ;   in Loop: Header=BB107_20 Depth=1
	ds_read_b32 v4, v15 offset:4104
	s_waitcnt lgkmcnt(0)
	s_barrier
	v_readfirstlane_b32 s68, v4
	s_and_saveexec_b64 s[8:9], s[6:7]
; %bb.216:                              ;   in Loop: Header=BB107_20 Depth=1
	ds_write_b16 v24, v15
; %bb.217:                              ;   in Loop: Header=BB107_20 Depth=1
	s_or_b64 exec, exec, s[8:9]
	v_or_b32_e32 v35, v35, v2
	v_or_b32_e32 v42, v42, v2
	s_mov_b64 s[46:47], -1
	s_mov_b64 s[48:49], 0
	s_cmp_eq_u32 s68, 0
	s_mov_b64 s[8:9], 0
	s_waitcnt lgkmcnt(0)
	s_barrier
                                        ; implicit-def: $vgpr43
	s_cbranch_scc1 .LBB107_228
; %bb.218:                              ;   in Loop: Header=BB107_20 Depth=1
	v_readlane_b32 s8, v78, 10
	s_add_i32 s8, s68, s8
	s_mul_hi_u32 s9, s8, s85
	s_mul_i32 s9, s9, s67
	s_sub_i32 s9, s8, s9
	s_sub_i32 s54, s9, s67
	s_cmp_ge_u32 s9, s67
	s_cselect_b32 s9, s54, s9
	s_sub_i32 s54, s9, s67
	s_cmp_ge_u32 s9, s67
	s_cselect_b32 s9, s54, s9
	s_sub_i32 s74, s8, s9
	v_cmp_gt_u32_e32 vcc, s74, v0
	s_mov_b64 s[54:55], 0
	s_mov_b64 s[8:9], 0
                                        ; implicit-def: $vgpr43
	s_and_saveexec_b64 s[56:57], vcc
	s_cbranch_execz .LBB107_227
; %bb.219:                              ;   in Loop: Header=BB107_20 Depth=1
	v_mov_b32_e32 v4, v23
	v_mov_b32_e32 v6, v0
                                        ; implicit-def: $sgpr58_sgpr59
	s_branch .LBB107_222
.LBB107_220:                            ;   in Loop: Header=BB107_222 Depth=2
	s_or_b64 exec, exec, s[60:61]
	s_waitcnt lgkmcnt(0)
	s_barrier
	ds_read_b32 v7, v15 offset:3072
	s_mov_b64 s[60:61], -1
	s_waitcnt lgkmcnt(0)
	s_barrier
	v_cmp_ne_u32_sdwa s[62:63], v7, v15 src0_sel:WORD_0 src1_sel:DWORD
	s_and_b64 vcc, exec, s[62:63]
	s_mov_b64 s[62:63], -1
	s_cbranch_vccz .LBB107_225
.LBB107_221:                            ;   in Loop: Header=BB107_222 Depth=2
	s_and_b64 s[60:61], exec, s[60:61]
	s_or_b64 s[8:9], s[60:61], s[8:9]
	s_andn2_b64 s[58:59], s[58:59], exec
	s_and_b64 s[60:61], s[62:63], exec
	s_or_b64 s[58:59], s[58:59], s[60:61]
	s_andn2_b64 exec, exec, s[8:9]
	s_cbranch_execz .LBB107_226
.LBB107_222:                            ;   Parent Loop BB107_20 Depth=1
                                        ; =>  This Inner Loop Header: Depth=2
	v_cmp_gt_u32_e32 vcc, s68, v6
	s_and_saveexec_b64 s[60:61], vcc
	s_cbranch_execz .LBB107_220
; %bb.223:                              ;   in Loop: Header=BB107_222 Depth=2
	ds_read_u16 v7, v4
	s_waitcnt lgkmcnt(0)
	v_add_u32_sdwa v8, sext(v7), s80 dst_sel:DWORD dst_unused:UNUSED_PAD src0_sel:WORD_0 src1_sel:DWORD
	v_and_b32_e32 v8, v8, v42
	v_cmp_eq_u32_e32 vcc, v8, v35
	s_and_b64 exec, exec, vcc
	s_cbranch_execz .LBB107_220
; %bb.224:                              ;   in Loop: Header=BB107_222 Depth=2
	v_perm_b32 v7, v7, 1, v41
	ds_write_b32 v15, v7 offset:3072
	s_branch .LBB107_220
.LBB107_225:                            ;   in Loop: Header=BB107_222 Depth=2
	v_add_u32_e32 v6, s67, v6
	v_cmp_le_u32_e32 vcc, s74, v6
	v_add_u32_e32 v4, s21, v4
	s_mov_b64 s[62:63], 0
	s_orn2_b64 s[60:61], vcc, exec
	s_branch .LBB107_221
.LBB107_226:                            ;   in Loop: Header=BB107_20 Depth=1
	s_or_b64 exec, exec, s[8:9]
	v_lshrrev_b32_e32 v43, 16, v7
	s_and_b64 s[8:9], s[58:59], exec
.LBB107_227:                            ;   in Loop: Header=BB107_20 Depth=1
	s_or_b64 exec, exec, s[56:57]
.LBB107_228:                            ;   in Loop: Header=BB107_20 Depth=1
	s_and_b64 vcc, exec, s[54:55]
	s_cbranch_vccz .LBB107_239
; %bb.229:                              ;   in Loop: Header=BB107_20 Depth=1
                                        ; implicit-def: $vgpr43
	s_mov_b64 s[46:47], exec
	v_readlane_b32 s48, v78, 35
	v_readlane_b32 s49, v78, 36
	s_and_b64 s[48:49], s[46:47], s[48:49]
	s_mov_b64 exec, s[48:49]
	s_cbranch_execz .LBB107_238
; %bb.230:                              ;   in Loop: Header=BB107_20 Depth=1
	s_mov_b64 s[48:49], 0
	v_mov_b32_e32 v14, v12
	v_mov_b32_e32 v4, v0
                                        ; implicit-def: $sgpr54_sgpr55
	s_branch .LBB107_233
.LBB107_231:                            ;   in Loop: Header=BB107_233 Depth=2
	s_or_b64 exec, exec, s[56:57]
	s_waitcnt lgkmcnt(0)
	s_barrier
	ds_read_b32 v6, v15 offset:3072
	s_mov_b64 s[56:57], -1
	s_waitcnt lgkmcnt(0)
	s_barrier
	v_cmp_eq_u32_sdwa s[58:59], v6, v15 src0_sel:WORD_0 src1_sel:DWORD
	s_and_b64 vcc, exec, s[58:59]
	s_mov_b64 s[58:59], -1
	s_cbranch_vccnz .LBB107_236
.LBB107_232:                            ;   in Loop: Header=BB107_233 Depth=2
	s_and_b64 s[56:57], exec, s[56:57]
	s_or_b64 s[48:49], s[56:57], s[48:49]
	s_andn2_b64 s[54:55], s[54:55], exec
	s_and_b64 s[56:57], s[58:59], exec
	s_or_b64 s[54:55], s[54:55], s[56:57]
	s_andn2_b64 exec, exec, s[48:49]
	s_cbranch_execz .LBB107_237
.LBB107_233:                            ;   Parent Loop BB107_20 Depth=1
                                        ; =>  This Inner Loop Header: Depth=2
	v_cmp_gt_u32_e32 vcc, s64, v4
	s_and_saveexec_b64 s[56:57], vcc
	s_cbranch_execz .LBB107_231
; %bb.234:                              ;   in Loop: Header=BB107_233 Depth=2
	v_lshl_add_u64 v[6:7], v[14:15], 1, v[10:11]
	global_load_ushort v6, v[6:7], off
	s_waitcnt vmcnt(0)
	v_add_u32_sdwa v7, sext(v6), s80 dst_sel:DWORD dst_unused:UNUSED_PAD src0_sel:WORD_0 src1_sel:DWORD
	v_and_b32_e32 v7, v7, v42
	v_cmp_eq_u32_e32 vcc, v7, v35
	s_and_b64 exec, exec, vcc
	s_cbranch_execz .LBB107_231
; %bb.235:                              ;   in Loop: Header=BB107_233 Depth=2
	v_perm_b32 v6, v6, 1, v41
	ds_write_b32 v15, v6 offset:3072
	s_branch .LBB107_231
.LBB107_236:                            ;   in Loop: Header=BB107_233 Depth=2
	v_add_u32_e32 v4, s67, v4
	v_cmp_le_u32_e32 vcc, s86, v4
	v_add_u32_e32 v14, s90, v14
	s_mov_b64 s[58:59], 0
	s_orn2_b64 s[56:57], vcc, exec
	s_branch .LBB107_232
.LBB107_237:                            ;   in Loop: Header=BB107_20 Depth=1
	s_or_b64 exec, exec, s[48:49]
	s_andn2_b64 s[8:9], s[8:9], exec
	s_and_b64 s[48:49], s[54:55], exec
	v_lshrrev_b32_e32 v43, 16, v6
	s_or_b64 s[8:9], s[8:9], s[48:49]
.LBB107_238:                            ;   in Loop: Header=BB107_20 Depth=1
	s_or_b64 exec, exec, s[46:47]
	s_mov_b64 s[46:47], 0
	s_mov_b64 s[48:49], -1
.LBB107_239:                            ;   in Loop: Header=BB107_20 Depth=1
	s_orn2_b64 s[54:55], s[8:9], exec
.LBB107_240:                            ;   in Loop: Header=BB107_20 Depth=1
	s_or_b64 exec, exec, s[52:53]
	s_mov_b64 s[52:53], 0
	s_and_saveexec_b64 s[8:9], s[54:55]
	s_cbranch_execz .LBB107_251
; %bb.241:                              ;   in Loop: Header=BB107_20 Depth=1
	s_xor_b64 s[52:53], s[50:51], -1
	v_mov_b32_e32 v3, 1
	v_mov_b32_e32 v4, 1
	s_and_saveexec_b64 s[50:51], s[52:53]
	s_cbranch_execz .LBB107_250
; %bb.242:                              ;   in Loop: Header=BB107_20 Depth=1
	v_cmp_ge_u32_e32 vcc, s23, v5
	s_and_saveexec_b64 s[52:53], vcc
	s_xor_b64 s[52:53], exec, s[52:53]
	s_cbranch_execz .LBB107_247
; %bb.243:                              ;   in Loop: Header=BB107_20 Depth=1
	ds_read_b32 v3, v15 offset:4104
	v_or_b32_e32 v35, v35, v2
	v_or_b32_e32 v42, v42, v2
	s_waitcnt lgkmcnt(0)
	v_cmp_ne_u32_e32 vcc, 0, v3
	s_cbranch_vccnz .LBB107_247
; %bb.244:                              ;   in Loop: Header=BB107_20 Depth=1
	s_mov_b64 s[54:55], exec
	v_readlane_b32 s56, v78, 2
	v_readlane_b32 s57, v78, 3
	s_and_b64 s[56:57], s[54:55], s[56:57]
	s_mov_b64 exec, s[56:57]
; %bb.245:                              ;   in Loop: Header=BB107_20 Depth=1
	v_mov_b32_e32 v2, s23
	ds_write_b32 v15, v2 offset:4108
; %bb.246:                              ;   in Loop: Header=BB107_20 Depth=1
	s_or_b64 exec, exec, s[54:55]
	s_waitcnt lgkmcnt(0)
	s_barrier
.LBB107_247:                            ;   in Loop: Header=BB107_20 Depth=1
	s_andn2_saveexec_b64 s[52:53], s[52:53]
; %bb.248:                              ;   in Loop: Header=BB107_20 Depth=1
	v_subrev_u32_e32 v5, s23, v5
; %bb.249:                              ;   in Loop: Header=BB107_20 Depth=1
	s_or_b64 exec, exec, s[52:53]
	v_mov_b32_e32 v3, 8
	v_mov_b32_e32 v4, v5
.LBB107_250:                            ;   in Loop: Header=BB107_20 Depth=1
	s_or_b64 exec, exec, s[50:51]
	s_mov_b64 s[52:53], exec
	v_mov_b32_e32 v5, v4
.LBB107_251:                            ;   in Loop: Header=BB107_20 Depth=1
	s_or_b64 exec, exec, s[8:9]
	s_orn2_b64 s[8:9], s[52:53], exec
.LBB107_252:                            ;   in Loop: Header=BB107_20 Depth=1
	s_or_b64 exec, exec, s[44:45]
	s_andn2_b64 s[40:41], s[40:41], exec
	s_and_b64 s[44:45], s[48:49], exec
	s_or_b64 s[40:41], s[40:41], s[44:45]
	s_andn2_b64 s[38:39], s[38:39], exec
	s_and_b64 s[44:45], s[46:47], exec
	s_or_b64 s[38:39], s[38:39], s[44:45]
	s_and_b64 s[46:47], s[8:9], exec
	v_mov_b32_e32 v6, v5
.LBB107_253:                            ;   in Loop: Header=BB107_20 Depth=1
	s_or_b64 exec, exec, s[42:43]
	s_orn2_b64 s[8:9], s[46:47], exec
.LBB107_254:                            ;   in Loop: Header=BB107_20 Depth=1
	s_or_b64 exec, exec, s[36:37]
	s_andn2_b64 s[30:31], s[30:31], exec
	s_and_b64 s[36:37], s[40:41], exec
	s_or_b64 s[30:31], s[30:31], s[36:37]
	s_andn2_b64 s[28:29], s[28:29], exec
	s_and_b64 s[36:37], s[38:39], exec
	s_or_b64 s[28:29], s[28:29], s[36:37]
	s_and_b64 s[38:39], s[8:9], exec
	v_mov_b32_e32 v5, v6
.LBB107_255:                            ;   in Loop: Header=BB107_20 Depth=1
	s_or_b64 exec, exec, s[34:35]
	s_orn2_b64 s[8:9], s[38:39], exec
.LBB107_256:                            ;   in Loop: Header=BB107_20 Depth=1
	s_or_b64 exec, exec, s[26:27]
	s_mov_b64 s[26:27], 0
                                        ; implicit-def: $sgpr36
	s_and_saveexec_b64 s[34:35], s[8:9]
	s_xor_b64 s[8:9], exec, s[34:35]
	s_cbranch_execz .LBB107_18
; %bb.257:                              ;   in Loop: Header=BB107_20 Depth=1
	v_and_b32_e32 v2, 7, v3
	v_cmp_eq_u32_e32 vcc, 0, v2
	s_mov_b64 s[2:3], -1
	s_mov_b64 s[26:27], -1
                                        ; implicit-def: $sgpr36
	s_and_saveexec_b64 s[34:35], vcc
	s_cbranch_execz .LBB107_17
; %bb.258:                              ;   in Loop: Header=BB107_20 Depth=1
	v_add_u32_e32 v2, -2, v39
	v_cmp_eq_u32_e32 vcc, 0, v39
	s_xor_b32 s36, s22, 1
	s_xor_b64 s[26:27], exec, -1
	s_orn2_b64 s[2:3], vcc, exec
	v_mov_b32_e32 v39, v2
	s_branch .LBB107_17
.LBB107_259:
	s_or_b64 exec, exec, s[94:95]
	s_xor_b64 s[6:7], s[72:73], -1
	s_xor_b64 s[0:1], s[96:97], -1
	;; [unrolled: 1-line block ×3, first 2 shown]
	s_mov_b64 s[2:3], 0
	s_and_saveexec_b64 s[8:9], s[0:1]
	s_xor_b64 s[0:1], exec, s[8:9]
	s_cbranch_execnz .LBB107_264
; %bb.260:
	s_andn2_saveexec_b64 s[0:1], s[0:1]
	s_cbranch_execnz .LBB107_277
.LBB107_261:
	s_or_b64 exec, exec, s[0:1]
	s_and_saveexec_b64 s[0:1], s[2:3]
.LBB107_262:
	; divergent unreachable
.LBB107_263:
	s_endpgm
.LBB107_264:
	s_and_saveexec_b64 s[2:3], s[6:7]
	s_xor_b64 s[2:3], exec, s[2:3]
	s_cbranch_execz .LBB107_275
; %bb.265:
	s_and_saveexec_b64 s[6:7], s[4:5]
	s_xor_b64 s[4:5], exec, s[6:7]
; %bb.266:
	v_xor_b32_e32 v43, 0xffff8000, v35
; %bb.267:
	s_or_b64 exec, exec, s[4:5]
	v_readlane_b32 s4, v78, 0
	s_mul_i32 s4, s4, s33
	s_add_i32 s4, s4, s69
	s_mov_b32 s5, 0
	s_lshl_b64 s[4:5], s[4:5], 1
	v_readlane_b32 s6, v78, 4
	v_readlane_b32 s7, v78, 5
	s_add_u32 s4, s6, s4
	s_addc_u32 s5, s7, s5
	v_mov_b32_e32 v13, 0
	global_store_short v13, v43, s[4:5]
	s_mov_b64 s[4:5], exec
	v_readlane_b32 s6, v78, 8
	v_readlane_b32 s7, v78, 9
	s_and_b64 s[6:7], s[4:5], s[6:7]
	s_mov_b64 exec, s[6:7]
	s_cbranch_execz .LBB107_274
; %bb.268:
	s_mov_b64 s[6:7], 0
                                        ; implicit-def: $sgpr8_sgpr9
                                        ; implicit-def: $sgpr12_sgpr13
                                        ; implicit-def: $sgpr10_sgpr11
	s_branch .LBB107_270
.LBB107_269:                            ;   in Loop: Header=BB107_270 Depth=1
	s_or_b64 exec, exec, s[14:15]
	s_and_b64 s[14:15], exec, s[12:13]
	s_or_b64 s[6:7], s[14:15], s[6:7]
	s_andn2_b64 s[8:9], s[8:9], exec
	s_and_b64 s[14:15], s[10:11], exec
	s_or_b64 s[8:9], s[8:9], s[14:15]
	s_andn2_b64 exec, exec, s[6:7]
	s_cbranch_execz .LBB107_272
.LBB107_270:                            ; =>This Inner Loop Header: Depth=1
	v_lshl_add_u64 v[2:3], v[12:13], 1, v[10:11]
	global_load_ushort v1, v[2:3], off
	v_mov_b32_e32 v2, v0
	s_or_b64 s[10:11], s[10:11], exec
	s_or_b64 s[12:13], s[12:13], exec
                                        ; implicit-def: $vgpr0
	s_waitcnt vmcnt(0)
	v_cmp_ne_u16_e32 vcc, v1, v43
	s_and_saveexec_b64 s[14:15], vcc
	s_cbranch_execz .LBB107_269
; %bb.271:                              ;   in Loop: Header=BB107_270 Depth=1
	v_add_u32_e32 v0, s67, v2
	v_cmp_le_u32_e32 vcc, s64, v0
	s_andn2_b64 s[12:13], s[12:13], exec
	s_and_b64 s[16:17], vcc, exec
	v_add_u32_e32 v12, s90, v12
	s_andn2_b64 s[10:11], s[10:11], exec
	s_or_b64 s[12:13], s[12:13], s[16:17]
	s_branch .LBB107_269
.LBB107_272:
	s_or_b64 exec, exec, s[6:7]
	s_and_saveexec_b64 s[6:7], s[8:9]
	s_xor_b64 s[6:7], exec, s[6:7]
	s_cbranch_execz .LBB107_274
; %bb.273:
	v_readlane_b32 s6, v78, 1
	s_mul_i32 s6, s6, s65
	s_add_i32 s6, s6, s71
	s_mov_b32 s7, 0
	s_lshl_b64 s[6:7], s[6:7], 3
	v_readlane_b32 s8, v78, 6
	v_readlane_b32 s9, v78, 7
	s_add_u32 s6, s8, s6
	s_addc_u32 s7, s9, s7
	v_mov_b32_e32 v3, 0
	global_store_dwordx2 v3, v[2:3], s[6:7]
.LBB107_274:
	s_or_b64 exec, exec, s[4:5]
.LBB107_275:
	s_or_saveexec_b64 s[2:3], s[2:3]
	s_mov_b64 s[4:5], 0
	s_xor_b64 exec, exec, s[2:3]
	s_cbranch_execnz .LBB107_278
.LBB107_276:
	s_or_b64 exec, exec, s[2:3]
	s_and_b64 s[2:3], s[4:5], exec
	s_andn2_saveexec_b64 s[0:1], s[0:1]
	s_cbranch_execz .LBB107_261
.LBB107_277:
	s_or_b64 s[2:3], s[2:3], exec
	s_trap 2
	s_or_b64 exec, exec, s[0:1]
	s_and_saveexec_b64 s[0:1], s[2:3]
	s_cbranch_execnz .LBB107_262
	s_branch .LBB107_263
.LBB107_278:
	s_mov_b64 s[4:5], exec
	s_trap 2
	s_branch .LBB107_276
	.section	.rodata,"a",@progbits
	.p2align	6, 0x0
	.amdhsa_kernel _ZN2at6native12_GLOBAL__N_112gatherMedianIsjLin1EEEvNS_4cuda6detail10TensorInfoIT_T0_EENS5_IlS7_EENS5_IKS6_S7_EES7_S7_S7_b
		.amdhsa_group_segment_fixed_size 4120
		.amdhsa_private_segment_fixed_size 0
		.amdhsa_kernarg_size 920
		.amdhsa_user_sgpr_count 2
		.amdhsa_user_sgpr_dispatch_ptr 0
		.amdhsa_user_sgpr_queue_ptr 0
		.amdhsa_user_sgpr_kernarg_segment_ptr 1
		.amdhsa_user_sgpr_dispatch_id 0
		.amdhsa_user_sgpr_kernarg_preload_length 0
		.amdhsa_user_sgpr_kernarg_preload_offset 0
		.amdhsa_user_sgpr_private_segment_size 0
		.amdhsa_uses_dynamic_stack 0
		.amdhsa_enable_private_segment 0
		.amdhsa_system_sgpr_workgroup_id_x 1
		.amdhsa_system_sgpr_workgroup_id_y 1
		.amdhsa_system_sgpr_workgroup_id_z 1
		.amdhsa_system_sgpr_workgroup_info 0
		.amdhsa_system_vgpr_workitem_id 0
		.amdhsa_next_free_vgpr 79
		.amdhsa_next_free_sgpr 100
		.amdhsa_accum_offset 80
		.amdhsa_reserve_vcc 1
		.amdhsa_float_round_mode_32 0
		.amdhsa_float_round_mode_16_64 0
		.amdhsa_float_denorm_mode_32 3
		.amdhsa_float_denorm_mode_16_64 3
		.amdhsa_dx10_clamp 1
		.amdhsa_ieee_mode 1
		.amdhsa_fp16_overflow 0
		.amdhsa_tg_split 0
		.amdhsa_exception_fp_ieee_invalid_op 0
		.amdhsa_exception_fp_denorm_src 0
		.amdhsa_exception_fp_ieee_div_zero 0
		.amdhsa_exception_fp_ieee_overflow 0
		.amdhsa_exception_fp_ieee_underflow 0
		.amdhsa_exception_fp_ieee_inexact 0
		.amdhsa_exception_int_div_zero 0
	.end_amdhsa_kernel
	.section	.text._ZN2at6native12_GLOBAL__N_112gatherMedianIsjLin1EEEvNS_4cuda6detail10TensorInfoIT_T0_EENS5_IlS7_EENS5_IKS6_S7_EES7_S7_S7_b,"axG",@progbits,_ZN2at6native12_GLOBAL__N_112gatherMedianIsjLin1EEEvNS_4cuda6detail10TensorInfoIT_T0_EENS5_IlS7_EENS5_IKS6_S7_EES7_S7_S7_b,comdat
.Lfunc_end107:
	.size	_ZN2at6native12_GLOBAL__N_112gatherMedianIsjLin1EEEvNS_4cuda6detail10TensorInfoIT_T0_EENS5_IlS7_EENS5_IKS6_S7_EES7_S7_S7_b, .Lfunc_end107-_ZN2at6native12_GLOBAL__N_112gatherMedianIsjLin1EEEvNS_4cuda6detail10TensorInfoIT_T0_EENS5_IlS7_EENS5_IKS6_S7_EES7_S7_S7_b
                                        ; -- End function
	.set _ZN2at6native12_GLOBAL__N_112gatherMedianIsjLin1EEEvNS_4cuda6detail10TensorInfoIT_T0_EENS5_IlS7_EENS5_IKS6_S7_EES7_S7_S7_b.num_vgpr, 79
	.set _ZN2at6native12_GLOBAL__N_112gatherMedianIsjLin1EEEvNS_4cuda6detail10TensorInfoIT_T0_EENS5_IlS7_EENS5_IKS6_S7_EES7_S7_S7_b.num_agpr, 0
	.set _ZN2at6native12_GLOBAL__N_112gatherMedianIsjLin1EEEvNS_4cuda6detail10TensorInfoIT_T0_EENS5_IlS7_EENS5_IKS6_S7_EES7_S7_S7_b.numbered_sgpr, 100
	.set _ZN2at6native12_GLOBAL__N_112gatherMedianIsjLin1EEEvNS_4cuda6detail10TensorInfoIT_T0_EENS5_IlS7_EENS5_IKS6_S7_EES7_S7_S7_b.num_named_barrier, 0
	.set _ZN2at6native12_GLOBAL__N_112gatherMedianIsjLin1EEEvNS_4cuda6detail10TensorInfoIT_T0_EENS5_IlS7_EENS5_IKS6_S7_EES7_S7_S7_b.private_seg_size, 0
	.set _ZN2at6native12_GLOBAL__N_112gatherMedianIsjLin1EEEvNS_4cuda6detail10TensorInfoIT_T0_EENS5_IlS7_EENS5_IKS6_S7_EES7_S7_S7_b.uses_vcc, 1
	.set _ZN2at6native12_GLOBAL__N_112gatherMedianIsjLin1EEEvNS_4cuda6detail10TensorInfoIT_T0_EENS5_IlS7_EENS5_IKS6_S7_EES7_S7_S7_b.uses_flat_scratch, 0
	.set _ZN2at6native12_GLOBAL__N_112gatherMedianIsjLin1EEEvNS_4cuda6detail10TensorInfoIT_T0_EENS5_IlS7_EENS5_IKS6_S7_EES7_S7_S7_b.has_dyn_sized_stack, 0
	.set _ZN2at6native12_GLOBAL__N_112gatherMedianIsjLin1EEEvNS_4cuda6detail10TensorInfoIT_T0_EENS5_IlS7_EENS5_IKS6_S7_EES7_S7_S7_b.has_recursion, 0
	.set _ZN2at6native12_GLOBAL__N_112gatherMedianIsjLin1EEEvNS_4cuda6detail10TensorInfoIT_T0_EENS5_IlS7_EENS5_IKS6_S7_EES7_S7_S7_b.has_indirect_call, 0
	.section	.AMDGPU.csdata,"",@progbits
; Kernel info:
; codeLenInByte = 11404
; TotalNumSgprs: 106
; NumVgprs: 79
; NumAgprs: 0
; TotalNumVgprs: 79
; ScratchSize: 0
; MemoryBound: 0
; FloatMode: 240
; IeeeMode: 1
; LDSByteSize: 4120 bytes/workgroup (compile time only)
; SGPRBlocks: 13
; VGPRBlocks: 9
; NumSGPRsForWavesPerEU: 106
; NumVGPRsForWavesPerEU: 79
; AccumOffset: 80
; Occupancy: 6
; WaveLimiterHint : 1
; COMPUTE_PGM_RSRC2:SCRATCH_EN: 0
; COMPUTE_PGM_RSRC2:USER_SGPR: 2
; COMPUTE_PGM_RSRC2:TRAP_HANDLER: 0
; COMPUTE_PGM_RSRC2:TGID_X_EN: 1
; COMPUTE_PGM_RSRC2:TGID_Y_EN: 1
; COMPUTE_PGM_RSRC2:TGID_Z_EN: 1
; COMPUTE_PGM_RSRC2:TIDIG_COMP_CNT: 0
; COMPUTE_PGM_RSRC3_GFX90A:ACCUM_OFFSET: 19
; COMPUTE_PGM_RSRC3_GFX90A:TG_SPLIT: 0
	.section	.text._ZN2at6native12_GLOBAL__N_112gatherMedianIsmLi1EEEvNS_4cuda6detail10TensorInfoIT_T0_EENS5_IlS7_EENS5_IKS6_S7_EES7_S7_S7_b,"axG",@progbits,_ZN2at6native12_GLOBAL__N_112gatherMedianIsmLi1EEEvNS_4cuda6detail10TensorInfoIT_T0_EENS5_IlS7_EENS5_IKS6_S7_EES7_S7_S7_b,comdat
	.globl	_ZN2at6native12_GLOBAL__N_112gatherMedianIsmLi1EEEvNS_4cuda6detail10TensorInfoIT_T0_EENS5_IlS7_EENS5_IKS6_S7_EES7_S7_S7_b ; -- Begin function _ZN2at6native12_GLOBAL__N_112gatherMedianIsmLi1EEEvNS_4cuda6detail10TensorInfoIT_T0_EENS5_IlS7_EENS5_IKS6_S7_EES7_S7_S7_b
	.p2align	8
	.type	_ZN2at6native12_GLOBAL__N_112gatherMedianIsmLi1EEEvNS_4cuda6detail10TensorInfoIT_T0_EENS5_IlS7_EENS5_IKS6_S7_EES7_S7_S7_b,@function
_ZN2at6native12_GLOBAL__N_112gatherMedianIsmLi1EEEvNS_4cuda6detail10TensorInfoIT_T0_EENS5_IlS7_EENS5_IKS6_S7_EES7_S7_S7_b: ; @_ZN2at6native12_GLOBAL__N_112gatherMedianIsmLi1EEEvNS_4cuda6detail10TensorInfoIT_T0_EENS5_IlS7_EENS5_IKS6_S7_EES7_S7_S7_b
; %bb.0:
	s_load_dwordx2 s[6:7], s[0:1], 0x500
	s_load_dwordx4 s[56:59], s[0:1], 0x4e0
	s_add_u32 s8, s0, 0x500
	s_addc_u32 s9, s1, 0
	s_mov_b32 s19, 0
	s_waitcnt lgkmcnt(0)
	s_mul_i32 s4, s7, s4
	s_add_i32 s3, s4, s3
	s_mul_i32 s3, s3, s6
	s_add_i32 s18, s3, s2
	v_mov_b64_e32 v[2:3], s[18:19]
	v_cmp_le_u64_e32 vcc, s[58:59], v[2:3]
	s_cbranch_vccnz .LBB108_276
; %bb.1:
	s_load_dwordx2 s[68:69], s[0:1], 0x4f0
	s_load_dwordx2 s[12:13], s[0:1], 0x410
	;; [unrolled: 1-line block ×3, first 2 shown]
	v_cmp_eq_u32_e64 s[14:15], 0, v0
	s_mov_b64 s[10:11], exec
                                        ; implicit-def: $vgpr66 : SGPR spill to VGPR lane
	s_nop 0
	v_writelane_b32 v66, s14, 0
	s_nop 1
	v_writelane_b32 v66, s15, 1
	s_and_b64 s[14:15], s[10:11], s[14:15]
	s_mov_b64 exec, s[14:15]
; %bb.2:
	v_mov_b32_e32 v2, 0
	v_mov_b32_e32 v3, v2
	ds_write_b64 v2, v[2:3] offset:5136
; %bb.3:
	s_or_b64 exec, exec, s[10:11]
	s_load_dwordx2 s[10:11], s[0:1], 0x270
	v_mov_b32_e32 v3, 0
	s_waitcnt lgkmcnt(0)
	s_barrier
	v_writelane_b32 v66, s10, 2
	s_barrier
	s_nop 0
	v_writelane_b32 v66, s11, 3
	s_load_dwordx2 s[10:11], s[0:1], 0x1a0
	s_waitcnt lgkmcnt(0)
	ds_read_b64 v[4:5], v3 offset:5136
	v_writelane_b32 v66, s10, 4
	s_nop 1
	v_writelane_b32 v66, s11, 5
	s_load_dwordx2 s[10:11], s[0:1], 0xd0
	s_waitcnt lgkmcnt(0)
	v_writelane_b32 v66, s10, 6
	s_nop 1
	v_writelane_b32 v66, s11, 7
	s_load_dwordx2 s[10:11], s[0:1], 0x0
	s_waitcnt lgkmcnt(0)
	v_writelane_b32 v66, s10, 8
	s_nop 1
	v_writelane_b32 v66, s11, 9
	v_readfirstlane_b32 s10, v4
	v_readfirstlane_b32 s11, v5
	s_mov_b64 s[14:15], exec
	v_readlane_b32 s16, v66, 0
	v_readlane_b32 s17, v66, 1
	s_and_b64 s[16:17], s[14:15], s[16:17]
	s_mov_b64 exec, s[16:17]
	s_cbranch_execz .LBB108_5
; %bb.4:
	v_mov_b32_e32 v4, 0
	v_mov_b32_e32 v6, s56
	;; [unrolled: 1-line block ×4, first 2 shown]
	ds_write_b32 v4, v4 offset:5144
	ds_write_b128 v4, v[4:7] offset:5120
.LBB108_5:
	s_or_b64 exec, exec, s[14:15]
	s_load_dword s3, s[0:1], 0x4f8
	v_cmp_lt_i64_e64 s[0:1], s[10:11], 1
	s_mul_i32 s7, s13, s18
	v_mov_b32_e32 v1, v3
	v_mbcnt_lo_u32_b32 v2, -1, 0
	s_waitcnt lgkmcnt(0)
	s_bitcmp1_b32 s3, 0
	s_cselect_b64 s[14:15], -1, 0
	s_not_b64 s[10:11], s[10:11]
	s_or_b64 s[0:1], s[14:15], s[0:1]
	s_add_u32 s10, s56, s10
	s_addc_u32 s11, s57, s11
	s_lshr_b64 s[10:11], s[10:11], 1
	s_add_u32 s3, s10, 1
	s_addc_u32 s10, s11, 0
	s_and_b64 s[0:1], s[0:1], exec
	s_mul_hi_u32 s0, s12, s18
	s_cselect_b32 s11, s10, s57
	s_cselect_b32 s10, s3, s56
	s_add_i32 s1, s0, s7
	s_mov_b32 s0, s18
	v_writelane_b32 v66, s0, 10
	v_mbcnt_hi_u32_b32 v34, -1, v2
	v_cmp_gt_u32_e32 vcc, 64, v0
	v_writelane_b32 v66, s1, 11
	s_mul_i32 s0, s12, s18
	s_lshl_b64 s[0:1], s[0:1], 1
	s_add_u32 s60, s4, s0
	s_addc_u32 s61, s5, s1
	v_cmp_gt_u64_e64 s[0:1], s[56:57], v[0:1]
	v_mov_b64_e32 v[4:5], 0x600
	s_nop 0
	v_writelane_b32 v66, s0, 12
	s_barrier
	s_nop 0
	v_writelane_b32 v66, s1, 13
	v_cmp_gt_i32_e64 s[0:1], 4, v34
	s_and_b64 s[54:55], vcc, s[0:1]
	v_cmp_gt_u32_e64 s[0:1], 2, v0
	v_mov_b32_e32 v9, -1
	v_not_b32_e32 v8, v0
	v_writelane_b32 v66, s0, 14
	v_lshlrev_b32_e32 v39, 3, v0
	s_mov_b32 s53, s68
	v_writelane_b32 v66, s1, 15
	v_cmp_gt_u64_e64 s[0:1], s[56:57], v[4:5]
	s_mov_b32 s80, s69
	s_mov_b32 s75, 0
	v_writelane_b32 v66, s0, 16
	v_lshlrev_b32_e32 v35, 1, v0
	s_mov_b32 s81, s69
	v_writelane_b32 v66, s1, 17
	v_mad_u64_u32 v[4:5], s[0:1], s68, v0, 0
	v_mov_b32_e32 v2, v5
	v_mad_u64_u32 v[6:7], s[0:1], s69, v0, v[2:3]
	s_load_dword s0, s[8:9], 0xc
	v_lshlrev_b32_e32 v2, 2, v34
	v_and_b32_e32 v37, 0x100, v2
	v_lshrrev_b32_e32 v2, 1, v0
	v_and_b32_e32 v2, 0x1e0, v2
	s_waitcnt lgkmcnt(0)
	s_and_b32 s70, s0, 0xffff
	s_bfe_u32 s0, s0, 0xa0006
	s_cmp_gt_u32 s70, 63
	v_mov_b32_e32 v5, v6
	v_lshlrev_b64 v[6:7], v34, -1
	s_cselect_b64 s[12:13], -1, 0
	v_or_b32_e32 v38, 0xc00, v2
	v_add_u32_e32 v2, 2, v0
	v_not_b32_e32 v16, v6
	v_writelane_b32 v66, s12, 18
	s_add_u32 s1, s70, -1
	v_mov_b32_e32 v6, s57
	v_cmp_gt_u64_e32 vcc, s[56:57], v[2:3]
	v_not_b32_e32 v17, v7
	v_writelane_b32 v66, s13, 19
	s_addc_u32 s3, 0, -1
	v_cndmask_b32_e32 v7, 0, v6, vcc
	v_mov_b32_e32 v6, s56
	v_writelane_b32 v66, s1, 20
	s_add_u32 s1, s1, s56
	v_cndmask_b32_e32 v6, v2, v6, vcc
	v_writelane_b32 v66, s1, 21
	s_addc_u32 s83, s3, s57
	v_lshl_add_u64 v[6:7], v[6:7], 0, v[8:9]
	v_writelane_b32 v66, s3, 22
	s_cmp_lt_u32 s2, s6
	v_cmp_lt_u64_e64 s[2:3], 3, v[6:7]
	s_cselect_b32 s1, 12, 18
	v_and_b32_e32 v18, -4, v6
	v_writelane_b32 v66, s2, 23
	v_mov_b32_e32 v19, v7
	s_add_u32 s72, s8, s1
	v_writelane_b32 v66, s3, 24
	v_cmp_ne_u64_e64 s[2:3], v[6:7], v[18:19]
	s_addc_u32 s73, s9, 0
	s_add_i32 s1, s0, -1
	v_writelane_b32 v66, s2, 25
	s_and_b32 s1, s1, 0xffff
	v_or_b32_e32 v6, 6, v39
	v_writelane_b32 v66, s3, 26
	s_bfe_u32 s2, s70, 0x30006
	s_cmp_gt_u32 s1, 6
	s_cselect_b64 s[6:7], -1, 0
	v_writelane_b32 v66, s6, 27
	s_and_b32 s77, s0, 0x3f8
	s_cmp_lg_u32 s2, 0
	v_writelane_b32 v66, s7, 28
	v_writelane_b32 v66, s2, 29
	s_cselect_b64 s[0:1], -1, 0
	v_writelane_b32 v66, s0, 30
	v_cmp_eq_u32_e64 s[4:5], 0, v34
	v_add_u32_e32 v36, 0xc00, v35
	v_writelane_b32 v66, s1, 31
	s_lshl_b64 s[0:1], s[68:69], 1
	v_writelane_b32 v66, s0, 32
	v_lshl_add_u64 v[12:13], v[4:5], 1, s[60:61]
	v_lshlrev_b32_e32 v14, 2, v0
	v_writelane_b32 v66, s1, 33
	v_mad_u64_u32 v[22:23], s[0:1], s68, v6, 0
	v_mov_b32_e32 v2, v23
	v_mad_u64_u32 v[6:7], s[0:1], s69, v6, v[2:3]
	v_mov_b32_e32 v23, v6
	v_or_b32_e32 v6, 4, v39
	v_mad_u64_u32 v[24:25], s[0:1], s68, v6, 0
	v_mov_b32_e32 v2, v25
	v_mad_u64_u32 v[6:7], s[0:1], s69, v6, v[2:3]
	v_mov_b32_e32 v25, v6
	v_or_b32_e32 v6, 2, v39
	v_writelane_b32 v66, s54, 34
	v_mad_u64_u32 v[26:27], s[0:1], s68, v6, 0
	s_nop 0
	v_writelane_b32 v66, s55, 35
	v_mov_b32_e32 v2, v27
	v_writelane_b32 v66, s72, 36
	v_mad_u64_u32 v[6:7], s[0:1], s69, v6, v[2:3]
	s_nop 0
	v_writelane_b32 v66, s73, 37
	s_mul_i32 s0, s69, s70
	s_mul_hi_u32 s1, s68, s70
	v_writelane_b32 v66, s53, 38
	v_mov_b32_e32 v2, 0xc00
	s_add_i32 s1, s1, s0
	s_mul_i32 s0, s68, s70
	v_writelane_b32 v66, s80, 39
	v_mov_b32_e32 v15, v3
	s_mov_b32 s71, s75
	v_lshl_add_u64 v[20:21], v[18:19], 0, v[0:1]
	s_mov_b32 s91, s68
	s_mov_b32 s76, s68
	s_mov_b32 s50, s69
	s_lshl_b64 s[92:93], s[68:69], 3
	v_mov_b32_e32 v27, v6
	v_lshlrev_b64 v[28:29], 3, v[4:5]
	v_lshl_or_b32 v40, v34, 3, v2
	s_lshl_b32 s84, s70, 1
	s_lshl_b64 s[78:79], s[0:1], 1
	s_mov_b32 s33, 14
	s_mov_b64 s[94:95], 0
	v_mov_b64_e32 v[30:31], s[10:11]
	s_mov_b32 s85, 0x8000
	s_mov_b32 s51, 0x5040100
	v_mov_b64_e32 v[50:51], s[56:57]
	v_mov_b32_e32 v42, 0x4f800000
	v_mov_b32_e32 v43, 0x5040100
	;; [unrolled: 1-line block ×3, first 2 shown]
	s_mov_b32 s90, 0
	v_mov_b32_e32 v41, 0
	v_mov_b32_e32 v44, 0
	v_writelane_b32 v66, s81, 40
                                        ; implicit-def: $sgpr96_sgpr97
                                        ; implicit-def: $sgpr58_sgpr59
                                        ; implicit-def: $sgpr98_sgpr99
                                        ; implicit-def: $sgpr64_sgpr65
                                        ; implicit-def: $sgpr66_sgpr67
                                        ; implicit-def: $sgpr62_sgpr63
	v_writelane_b32 v66, s50, 41
	s_branch .LBB108_9
.LBB108_6:                              ;   in Loop: Header=BB108_9 Depth=1
	s_or_b64 exec, exec, s[10:11]
	s_and_b64 s[8:9], s[8:9], exec
	s_andn2_b64 s[22:23], s[22:23], exec
	s_andn2_b64 s[0:1], s[0:1], exec
	s_orn2_b64 s[16:17], s[6:7], exec
.LBB108_7:                              ;   in Loop: Header=BB108_9 Depth=1
	s_or_b64 exec, exec, s[2:3]
	s_andn2_b64 s[2:3], s[62:63], exec
	s_and_b64 s[6:7], s[8:9], exec
	s_or_b64 s[62:63], s[2:3], s[6:7]
	s_andn2_b64 s[2:3], s[66:67], exec
	s_and_b64 s[6:7], s[22:23], exec
	s_or_b64 s[66:67], s[2:3], s[6:7]
	;; [unrolled: 3-line block ×3, first 2 shown]
	s_orn2_b64 s[0:1], s[16:17], exec
.LBB108_8:                              ;   in Loop: Header=BB108_9 Depth=1
	s_or_b64 exec, exec, s[14:15]
	s_and_b64 s[0:1], exec, s[0:1]
	s_or_b64 s[94:95], s[0:1], s[94:95]
	s_andn2_b64 s[0:1], s[98:99], exec
	s_and_b64 s[2:3], s[62:63], exec
	s_or_b64 s[98:99], s[0:1], s[2:3]
	s_andn2_b64 s[0:1], s[58:59], exec
	s_and_b64 s[2:3], s[66:67], exec
	;; [unrolled: 3-line block ×3, first 2 shown]
	s_or_b64 s[96:97], s[0:1], s[2:3]
	v_mov_b64_e32 v[30:31], v[8:9]
	s_andn2_b64 exec, exec, s[94:95]
	s_cbranch_execz .LBB108_272
.LBB108_9:                              ; =>This Loop Header: Depth=1
                                        ;     Child Loop BB108_14 Depth 2
                                        ;     Child Loop BB108_28 Depth 2
	;; [unrolled: 1-line block ×17, first 2 shown]
	ds_read_b128 v[4:7], v3 offset:5120
	s_waitcnt lgkmcnt(0)
	v_readfirstlane_b32 s13, v5
	v_readfirstlane_b32 s12, v4
	s_cmp_lg_u64 s[12:13], 0
	s_cbranch_scc1 .LBB108_41
; %bb.10:                               ;   in Loop: Header=BB108_9 Depth=1
	v_readlane_b32 s0, v66, 16
	v_readlane_b32 s1, v66, 17
	s_and_b64 vcc, exec, s[0:1]
	s_cbranch_vccz .LBB108_22
; %bb.11:                               ;   in Loop: Header=BB108_9 Depth=1
	s_mov_b64 s[0:1], 0x601
	v_cmp_gt_u64_e32 vcc, s[0:1], v[6:7]
	s_mov_b64 s[6:7], 0
	s_mov_b64 s[0:1], 0
	s_cbranch_vccz .LBB108_23
; %bb.12:                               ;   in Loop: Header=BB108_9 Depth=1
	global_load_ushort v6, v3, s[72:73]
	global_load_ushort v8, v[12:13], off
	v_mov_b64_e32 v[4:5], s[60:61]
	v_readlane_b32 s10, v66, 32
	v_readlane_b32 s11, v66, 33
	s_mov_b64 s[8:9], 0
	s_waitcnt vmcnt(1)
	v_and_b32_e32 v2, 0xffff, v6
	v_readfirstlane_b32 s0, v6
	v_lshl_add_u64 v[6:7], v[0:1], 0, v[2:3]
	s_and_b32 s2, 0xffff, s0
	v_mad_u64_u32 v[4:5], s[0:1], s10, v6, v[4:5]
	v_mul_lo_u32 v7, s10, v7
	v_mul_lo_u32 v9, s11, v6
	s_mul_i32 s0, s11, s2
	s_mul_hi_u32 s1, s10, s2
	s_mul_i32 s10, s10, s2
	v_add3_u32 v5, v9, v5, v7
	s_add_i32 s11, s1, s0
	v_mov_b64_e32 v[6:7], v[0:1]
	s_branch .LBB108_14
.LBB108_13:                             ;   in Loop: Header=BB108_14 Depth=2
	s_or_b64 exec, exec, s[2:3]
	v_lshl_add_u64 v[4:5], v[4:5], 0, s[10:11]
	v_mov_b32_e32 v8, v9
	s_andn2_b64 exec, exec, s[8:9]
	s_cbranch_execz .LBB108_139
.LBB108_14:                             ;   Parent Loop BB108_9 Depth=1
                                        ; =>  This Inner Loop Header: Depth=2
	v_lshl_add_u64 v[6:7], v[6:7], 0, v[2:3]
	v_cmp_gt_u64_e64 s[0:1], s[56:57], v[6:7]
	v_cmp_le_u64_e32 vcc, s[56:57], v[6:7]
	s_waitcnt lgkmcnt(0)
	v_mov_b32_e32 v10, 0
	v_mov_b32_e32 v9, 0
	s_and_saveexec_b64 s[2:3], s[0:1]
	s_cbranch_execz .LBB108_16
; %bb.15:                               ;   in Loop: Header=BB108_14 Depth=2
	global_load_ushort v9, v[4:5], off
.LBB108_16:                             ;   in Loop: Header=BB108_14 Depth=2
	s_or_b64 exec, exec, s[2:3]
	s_waitcnt vmcnt(0)
	v_add_u32_sdwa v11, sext(v8), s85 dst_sel:DWORD dst_unused:UNUSED_PAD src0_sel:WORD_0 src1_sel:DWORD
	v_and_b32_e32 v11, v11, v44
	v_cmp_eq_u32_e64 s[0:1], v11, v41
	s_cmp_lg_u64 s[0:1], 0
	s_cselect_b64 s[2:3], -1, 0
	s_and_b64 s[2:3], s[4:5], s[2:3]
	s_and_saveexec_b64 s[12:13], s[2:3]
	s_cbranch_execz .LBB108_20
; %bb.17:                               ;   in Loop: Header=BB108_14 Depth=2
	s_mov_b64 s[16:17], exec
	v_mbcnt_lo_u32_b32 v10, s16, 0
	v_mbcnt_hi_u32_b32 v10, s17, v10
	s_bcnt1_i32_b64 s18, s[0:1]
	v_cmp_eq_u32_e64 s[2:3], 0, v10
                                        ; implicit-def: $vgpr11
	s_and_saveexec_b64 s[14:15], s[2:3]
; %bb.18:                               ;   in Loop: Header=BB108_14 Depth=2
	s_bcnt1_i32_b64 s2, s[16:17]
	s_mul_i32 s2, s18, s2
	v_mov_b32_e32 v11, s2
	ds_add_rtn_u32 v11, v3, v11 offset:5144
; %bb.19:                               ;   in Loop: Header=BB108_14 Depth=2
	s_or_b64 exec, exec, s[14:15]
	s_waitcnt lgkmcnt(0)
	v_readfirstlane_b32 s2, v11
	s_nop 1
	v_mov_b32_e32 v11, s2
	v_mad_u32_u24 v10, s18, v10, v11
.LBB108_20:                             ;   in Loop: Header=BB108_14 Depth=2
	s_or_b64 exec, exec, s[12:13]
	ds_bpermute_b32 v10, v37, v10
	s_and_b64 s[2:3], exec, vcc
	s_or_b64 s[8:9], s[2:3], s[8:9]
	s_and_saveexec_b64 s[2:3], s[0:1]
	s_cbranch_execz .LBB108_13
; %bb.21:                               ;   in Loop: Header=BB108_14 Depth=2
	v_and_b32_e32 v32, s0, v16
	v_and_b32_e32 v11, s1, v17
	v_bcnt_u32_b32 v32, v32, 0
	v_bcnt_u32_b32 v11, v11, v32
	v_lshlrev_b32_e32 v11, 1, v11
	s_waitcnt lgkmcnt(0)
	v_lshl_add_u32 v10, v10, 1, v11
	ds_write_b16 v10, v8
	s_branch .LBB108_13
.LBB108_22:                             ;   in Loop: Header=BB108_9 Depth=1
	s_mov_b64 s[6:7], -1
	s_mov_b64 s[0:1], 0
.LBB108_23:                             ;   in Loop: Header=BB108_9 Depth=1
	s_and_b64 vcc, exec, s[6:7]
	s_cbranch_vccz .LBB108_39
.LBB108_24:                             ;   in Loop: Header=BB108_9 Depth=1
	s_mov_b64 s[0:1], exec
	v_readlane_b32 s2, v66, 12
	v_readlane_b32 s3, v66, 13
	s_and_b64 s[2:3], s[0:1], s[2:3]
	s_mov_b64 exec, s[2:3]
	s_cbranch_execz .LBB108_36
; %bb.25:                               ;   in Loop: Header=BB108_9 Depth=1
	global_load_ushort v2, v3, s[72:73]
	global_load_ushort v46, v[12:13], off
	v_mov_b32_e32 v8, v0
	s_waitcnt vmcnt(1)
	v_readfirstlane_b32 s6, v2
	v_add_u32_sdwa v2, v2, v0 dst_sel:DWORD dst_unused:UNUSED_PAD src0_sel:WORD_0 src1_sel:DWORD
	v_cmp_gt_u64_e32 vcc, s[56:57], v[2:3]
	s_and_saveexec_b64 s[2:3], vcc
	s_cbranch_execz .LBB108_35
; %bb.26:                               ;   in Loop: Header=BB108_9 Depth=1
	s_and_b32 s74, s6, 0xffff
	s_cmp_eq_u32 s74, 1
	v_readlane_b32 s8, v66, 23
	s_cselect_b64 s[6:7], -1, 0
	v_readlane_b32 s9, v66, 24
	s_and_b64 s[10:11], s[8:9], s[6:7]
	s_mov_b64 s[8:9], -1
	v_mov_b64_e32 v[6:7], v[0:1]
	v_mov_b64_e32 v[4:5], v[2:3]
                                        ; implicit-def: $vgpr8_vgpr9
	s_and_saveexec_b64 s[6:7], s[10:11]
	s_cbranch_execz .LBB108_30
; %bb.27:                               ;   in Loop: Header=BB108_9 Depth=1
	v_lshl_add_u64 v[8:9], v[2:3], 0, 3
	v_lshl_add_u64 v[6:7], v[2:3], 0, 2
	;; [unrolled: 1-line block ×3, first 2 shown]
	v_mov_b64_e32 v[10:11], v[8:9]
	s_waitcnt vmcnt(0)
	v_lshlrev_b32_e32 v48, 16, v46
	s_mov_b64 s[8:9], 0
	v_mov_b64_e32 v[32:33], v[18:19]
	v_mov_b32_e32 v47, v35
	v_mov_b64_e32 v[8:9], v[6:7]
	v_mov_b64_e32 v[6:7], v[4:5]
	;; [unrolled: 1-line block ×3, first 2 shown]
.LBB108_28:                             ;   Parent Loop BB108_9 Depth=1
                                        ; =>  This Inner Loop Header: Depth=2
	v_mul_lo_u32 v46, v11, s76
	v_mul_lo_u32 v49, v10, s50
	v_mad_u64_u32 v[52:53], s[10:11], v10, s76, 0
	v_mul_lo_u32 v60, v9, s91
	v_mul_lo_u32 v61, v8, s81
	v_mad_u64_u32 v[54:55], s[10:11], v8, s91, 0
	;; [unrolled: 3-line block ×4, first 2 shown]
	v_add3_u32 v53, v53, v49, v46
	v_add3_u32 v55, v55, v61, v60
	;; [unrolled: 1-line block ×4, first 2 shown]
	v_lshl_add_u64 v[54:55], v[54:55], 1, s[60:61]
	v_lshl_add_u64 v[52:53], v[52:53], 1, s[60:61]
	;; [unrolled: 1-line block ×4, first 2 shown]
	global_load_ushort v49, v[54:55], off
	global_load_ushort v46, v[52:53], off
	s_nop 0
	global_load_ushort v52, v[56:57], off
	global_load_ushort v53, v[58:59], off
	v_lshl_add_u64 v[32:33], v[32:33], 0, -4
	v_cmp_eq_u64_e32 vcc, 0, v[32:33]
	v_lshl_add_u64 v[10:11], v[10:11], 0, 4
	v_lshl_add_u64 v[8:9], v[8:9], 0, 4
	;; [unrolled: 1-line block ×4, first 2 shown]
	s_or_b64 s[8:9], vcc, s[8:9]
	s_waitcnt vmcnt(2)
	v_perm_b32 v54, v46, v49, s51
	s_waitcnt vmcnt(1)
	v_perm_b32 v49, v49, v52, s51
	s_waitcnt vmcnt(0)
	v_alignbit_b32 v48, v53, v48, 16
	ds_write_b64 v47, v[48:49]
	v_add_u32_e32 v47, 8, v47
	v_mov_b32_e32 v48, v54
	s_andn2_b64 exec, exec, s[8:9]
	s_cbranch_execnz .LBB108_28
; %bb.29:                               ;   in Loop: Header=BB108_9 Depth=1
	s_or_b64 exec, exec, s[8:9]
	v_readlane_b32 s8, v66, 25
	v_lshl_add_u64 v[4:5], v[2:3], 0, v[18:19]
	v_readlane_b32 s9, v66, 26
	v_lshl_add_u64 v[8:9], v[4:5], 0, -1
	s_orn2_b64 s[8:9], s[8:9], exec
	v_mov_b64_e32 v[6:7], v[20:21]
.LBB108_30:                             ;   in Loop: Header=BB108_9 Depth=1
	s_or_b64 exec, exec, s[6:7]
	s_and_saveexec_b64 s[6:7], s[8:9]
	s_cbranch_execz .LBB108_34
; %bb.31:                               ;   in Loop: Header=BB108_9 Depth=1
	v_mov_b64_e32 v[8:9], s[60:61]
	v_readlane_b32 s14, v66, 32
	v_readlane_b32 s15, v66, 33
	s_sub_u32 s8, 0, s74
	v_mad_u64_u32 v[8:9], s[12:13], s14, v4, v[8:9]
	v_mul_lo_u32 v2, s14, v5
	v_mul_lo_u32 v7, s15, v4
	s_mul_i32 s12, s15, s74
	s_mul_hi_u32 s13, s14, s74
	s_mov_b64 s[10:11], 0
	s_subb_u32 s9, 0, 0
	v_add3_u32 v9, v7, v9, v2
	s_add_i32 s13, s13, s12
	s_mul_i32 s12, s14, s74
.LBB108_32:                             ;   Parent Loop BB108_9 Depth=1
                                        ; =>  This Inner Loop Header: Depth=2
	global_load_ushort v2, v[8:9], off
	v_mov_b64_e32 v[10:11], v[4:5]
	v_lshlrev_b32_e32 v4, 1, v6
	s_waitcnt vmcnt(1)
	ds_write_b16 v4, v46
	v_lshl_add_u64 v[4:5], v[10:11], 0, s[74:75]
	v_cmp_le_u64_e32 vcc, s[56:57], v[4:5]
	v_lshl_add_u64 v[8:9], v[8:9], 0, s[12:13]
	v_mov_b64_e32 v[6:7], v[10:11]
	s_or_b64 s[10:11], vcc, s[10:11]
	s_waitcnt vmcnt(0)
	v_mov_b32_e32 v46, v2
	s_andn2_b64 exec, exec, s[10:11]
	s_cbranch_execnz .LBB108_32
; %bb.33:                               ;   in Loop: Header=BB108_9 Depth=1
	s_or_b64 exec, exec, s[10:11]
	v_lshl_add_u64 v[8:9], s[8:9], 0, v[4:5]
	v_mov_b32_e32 v46, v2
.LBB108_34:                             ;   in Loop: Header=BB108_9 Depth=1
	s_or_b64 exec, exec, s[6:7]
.LBB108_35:                             ;   in Loop: Header=BB108_9 Depth=1
	s_or_b64 exec, exec, s[2:3]
	v_lshlrev_b32_e32 v2, 1, v8
	s_waitcnt vmcnt(0)
	ds_write_b16 v2, v46
.LBB108_36:                             ;   in Loop: Header=BB108_9 Depth=1
	s_or_b64 exec, exec, s[0:1]
	s_waitcnt lgkmcnt(0)
	s_barrier
	s_mov_b64 s[0:1], exec
	v_readlane_b32 s2, v66, 0
	v_readlane_b32 s3, v66, 1
	s_and_b64 s[2:3], s[0:1], s[2:3]
	s_mov_b64 exec, s[2:3]
; %bb.37:                               ;   in Loop: Header=BB108_9 Depth=1
	ds_write_b64 v3, v[50:51] offset:5120
; %bb.38:                               ;   in Loop: Header=BB108_9 Depth=1
	s_or_b64 exec, exec, s[0:1]
	s_mov_b64 s[0:1], -1
	s_waitcnt lgkmcnt(0)
	s_barrier
.LBB108_39:                             ;   in Loop: Header=BB108_9 Depth=1
	s_mov_b64 s[12:13], 0
	s_and_b64 vcc, exec, s[0:1]
	s_cbranch_vccz .LBB108_41
; %bb.40:                               ;   in Loop: Header=BB108_9 Depth=1
	ds_read_b64 v[4:5], v3 offset:5120
	s_waitcnt lgkmcnt(0)
	v_readfirstlane_b32 s12, v4
.LBB108_41:                             ;   in Loop: Header=BB108_9 Depth=1
	s_cmp_lt_i32 s12, 1
	s_mov_b64 s[0:1], -1
                                        ; implicit-def: $vgpr4_vgpr5
                                        ; implicit-def: $vgpr8_vgpr9
	s_cbranch_scc1 .LBB108_51
; %bb.42:                               ;   in Loop: Header=BB108_9 Depth=1
	s_and_b64 vcc, exec, s[0:1]
	s_cbranch_vccnz .LBB108_65
.LBB108_43:                             ;   in Loop: Header=BB108_9 Depth=1
	s_lshl_b32 s2, s90, 6
	s_and_saveexec_b64 s[0:1], s[4:5]
	s_cbranch_execz .LBB108_45
.LBB108_44:                             ;   in Loop: Header=BB108_9 Depth=1
	v_lshl_add_u32 v2, s2, 3, v38
	ds_write_b128 v2, v[4:7]
	ds_write_b128 v2, v[8:11] offset:16
.LBB108_45:                             ;   in Loop: Header=BB108_9 Depth=1
	s_or_b64 exec, exec, s[0:1]
	s_waitcnt lgkmcnt(0)
	s_barrier
	s_and_saveexec_b64 s[0:1], s[54:55]
	s_cbranch_execz .LBB108_80
; %bb.46:                               ;   in Loop: Header=BB108_9 Depth=1
	v_readlane_b32 s6, v66, 18
	v_readlane_b32 s7, v66, 19
	s_andn2_b64 vcc, exec, s[6:7]
	v_mov_b64_e32 v[4:5], 0
	s_cbranch_vccnz .LBB108_79
; %bb.47:                               ;   in Loop: Header=BB108_9 Depth=1
	v_readlane_b32 s6, v66, 27
	v_readlane_b32 s7, v66, 28
	s_andn2_b64 vcc, exec, s[6:7]
	s_cbranch_vccnz .LBB108_75
; %bb.48:                               ;   in Loop: Header=BB108_9 Depth=1
	v_lshl_add_u32 v2, s90, 9, v40
	v_mov_b64_e32 v[4:5], 0
	s_mov_b32 s3, 0
.LBB108_49:                             ;   Parent Loop BB108_9 Depth=1
                                        ; =>  This Inner Loop Header: Depth=2
	ds_read2_b64 v[6:9], v2 offset1:4
	ds_read2_b64 v[46:49], v2 offset0:8 offset1:12
	ds_read2_b64 v[52:55], v2 offset0:16 offset1:20
	;; [unrolled: 1-line block ×3, first 2 shown]
	s_add_i32 s3, s3, 8
	s_waitcnt lgkmcnt(3)
	v_lshl_add_u64 v[4:5], v[6:7], 0, v[4:5]
	v_lshl_add_u64 v[4:5], v[8:9], 0, v[4:5]
	s_waitcnt lgkmcnt(2)
	v_lshl_add_u64 v[4:5], v[46:47], 0, v[4:5]
	v_lshl_add_u64 v[4:5], v[48:49], 0, v[4:5]
	;; [unrolled: 3-line block ×3, first 2 shown]
	s_waitcnt lgkmcnt(0)
	v_lshl_add_u64 v[4:5], v[56:57], 0, v[4:5]
	v_add_u32_e32 v2, 0x100, v2
	s_cmp_eq_u32 s77, s3
	v_lshl_add_u64 v[4:5], v[58:59], 0, v[4:5]
	s_cbranch_scc0 .LBB108_49
; %bb.50:                               ;   in Loop: Header=BB108_9 Depth=1
	s_mov_b32 s3, s77
	s_branch .LBB108_76
.LBB108_51:                             ;   in Loop: Header=BB108_9 Depth=1
	global_load_ushort v2, v3, s[72:73]
	s_mov_b32 s0, s75
	s_waitcnt vmcnt(0)
	v_readfirstlane_b32 s1, v2
	s_and_b32 s10, s1, 0xffff
	s_lshl_b32 s74, s10, 2
	s_mov_b32 s1, s57
	s_cmp_lg_u64 s[0:1], 0
	s_cbranch_scc0 .LBB108_74
; %bb.52:                               ;   in Loop: Header=BB108_9 Depth=1
	v_cvt_f32_u32_e32 v2, s74
	s_sub_u32 s2, 0, s74
	s_subb_u32 s3, 0, 0
	v_fmac_f32_e32 v2, 0, v42
	v_rcp_f32_e32 v2, v2
	s_nop 0
	v_mul_f32_e32 v2, 0x5f7ffffc, v2
	v_mul_f32_e32 v4, 0x2f800000, v2
	v_trunc_f32_e32 v4, v4
	v_fmac_f32_e32 v2, 0xcf800000, v4
	v_cvt_u32_f32_e32 v4, v4
	v_cvt_u32_f32_e32 v2, v2
	v_readfirstlane_b32 s6, v4
	v_readfirstlane_b32 s0, v2
	s_mul_i32 s1, s2, s6
	s_mul_hi_u32 s8, s2, s0
	s_mul_i32 s7, s3, s0
	s_add_i32 s1, s8, s1
	s_mul_i32 s9, s2, s0
	s_add_i32 s1, s1, s7
	s_mul_hi_u32 s8, s0, s9
	s_mul_i32 s11, s0, s1
	s_mul_hi_u32 s7, s0, s1
	s_add_u32 s8, s8, s11
	s_addc_u32 s7, 0, s7
	s_mul_hi_u32 s13, s6, s9
	s_mul_i32 s9, s6, s9
	s_add_u32 s8, s8, s9
	s_mul_hi_u32 s11, s6, s1
	s_addc_u32 s7, s7, s13
	s_addc_u32 s8, s11, 0
	s_mul_i32 s1, s6, s1
	s_add_u32 s1, s7, s1
	s_addc_u32 s7, 0, s8
	s_add_u32 s8, s0, s1
	s_cselect_b64 s[0:1], -1, 0
	s_cmp_lg_u64 s[0:1], 0
	s_addc_u32 s6, s6, s7
	s_mul_i32 s0, s2, s6
	s_mul_hi_u32 s1, s2, s8
	s_add_i32 s0, s1, s0
	s_mul_i32 s3, s3, s8
	s_add_i32 s0, s0, s3
	s_mul_i32 s2, s2, s8
	s_mul_hi_u32 s3, s6, s2
	s_mul_i32 s7, s6, s2
	s_mul_i32 s11, s8, s0
	s_mul_hi_u32 s2, s8, s2
	s_mul_hi_u32 s9, s8, s0
	s_add_u32 s2, s2, s11
	s_addc_u32 s9, 0, s9
	s_add_u32 s2, s2, s7
	s_mul_hi_u32 s1, s6, s0
	s_addc_u32 s2, s9, s3
	s_addc_u32 s1, s1, 0
	s_mul_i32 s0, s6, s0
	s_add_u32 s0, s2, s0
	s_addc_u32 s2, 0, s1
	s_add_u32 s3, s8, s0
	s_cselect_b64 s[0:1], -1, 0
	s_cmp_lg_u64 s[0:1], 0
	s_addc_u32 s0, s6, s2
	s_mul_i32 s2, s56, s0
	s_mul_hi_u32 s6, s56, s3
	s_mul_hi_u32 s1, s56, s0
	s_add_u32 s2, s6, s2
	s_addc_u32 s1, 0, s1
	s_mul_hi_u32 s7, s57, s3
	s_mul_i32 s3, s57, s3
	s_add_u32 s2, s2, s3
	s_mul_hi_u32 s6, s57, s0
	s_addc_u32 s1, s1, s7
	s_addc_u32 s2, s6, 0
	s_mul_i32 s0, s57, s0
	s_add_u32 s0, s1, s0
	s_addc_u32 s1, 0, s2
	s_mul_i32 s1, s74, s1
	s_mul_hi_u32 s2, s74, s0
	s_add_i32 s2, s2, s1
	s_mul_i32 s0, s74, s0
	s_sub_u32 s3, s56, s0
	s_cselect_b64 s[0:1], -1, 0
	s_cmp_lg_u64 s[0:1], 0
	s_subb_u32 s2, s57, s2
	s_sub_u32 s6, s3, s74
	s_cselect_b64 s[0:1], -1, 0
	s_cmp_lg_u64 s[0:1], 0
	s_subb_u32 s7, s2, 0
	;; [unrolled: 4-line block ×3, first 2 shown]
	s_cmp_ge_u32 s6, s74
	s_cselect_b32 s1, -1, 0
	s_cmp_eq_u32 s7, 0
	s_cselect_b32 s1, s1, -1
	s_cmp_lg_u32 s1, 0
	s_cselect_b32 s0, s0, s7
	s_cselect_b32 s6, s8, s6
	s_cmp_ge_u32 s3, s74
	s_cselect_b32 s1, -1, 0
	s_cmp_eq_u32 s2, 0
	s_cselect_b32 s1, s1, -1
	s_cmp_lg_u32 s1, 0
	s_cselect_b32 s1, s0, s2
	s_cselect_b32 s0, s6, s3
	s_cbranch_execnz .LBB108_54
.LBB108_53:                             ;   in Loop: Header=BB108_9 Depth=1
	v_cvt_f32_u32_e32 v2, s74
	s_sub_i32 s0, 0, s74
	v_rcp_iflag_f32_e32 v2, v2
	s_nop 0
	v_mul_f32_e32 v2, 0x4f7ffffe, v2
	v_cvt_u32_f32_e32 v2, v2
	s_nop 0
	v_readfirstlane_b32 s1, v2
	s_mul_i32 s0, s0, s1
	s_mul_hi_u32 s0, s1, s0
	s_add_i32 s1, s1, s0
	s_mul_hi_u32 s0, s56, s1
	s_mul_i32 s0, s0, s74
	s_sub_i32 s0, s56, s0
	s_sub_i32 s1, s0, s74
	s_cmp_ge_u32 s0, s74
	s_cselect_b32 s0, s1, s0
	s_sub_i32 s1, s0, s74
	s_cmp_ge_u32 s0, s74
	s_cselect_b32 s0, s1, s0
	s_mov_b32 s1, s75
.LBB108_54:                             ;   in Loop: Header=BB108_9 Depth=1
	s_sub_u32 s34, s56, s0
	s_subb_u32 s35, s57, s1
	s_mov_b32 s11, s75
	v_cmp_gt_u64_e32 vcc, s[34:35], v[14:15]
	v_mov_b64_e32 v[4:5], 0
	v_mov_b64_e32 v[6:7], 0
	;; [unrolled: 1-line block ×4, first 2 shown]
	s_and_saveexec_b64 s[86:87], vcc
	s_cbranch_execz .LBB108_58
; %bb.55:                               ;   in Loop: Header=BB108_9 Depth=1
	s_mul_i32 s0, s93, s10
	s_mul_hi_u32 s1, s92, s10
	s_add_i32 s13, s1, s0
	s_mov_b64 s[88:89], 0
	s_mov_b64 s[72:73], s[60:61]
	;; [unrolled: 1-line block ×6, first 2 shown]
	v_mov_b64_e32 v[32:33], v[14:15]
.LBB108_56:                             ;   Parent Loop BB108_9 Depth=1
                                        ; =>  This Inner Loop Header: Depth=2
	v_lshl_add_u64 v[4:5], s[72:73], 0, v[28:29]
	v_lshl_add_u64 v[6:7], s[72:73], 0, v[26:27]
	;; [unrolled: 1-line block ×4, first 2 shown]
	global_load_sshort v2, v[4:5], off
	s_nop 0
	global_load_sshort v4, v[6:7], off
	global_load_sshort v5, v[8:9], off
	s_nop 0
	global_load_sshort v6, v[10:11], off
	s_mul_i32 s82, s92, s10
	v_lshl_add_u64 v[32:33], v[32:33], 0, s[74:75]
	v_cmp_le_u64_e32 vcc, s[34:35], v[32:33]
	s_waitcnt vmcnt(3)
	v_add_u32_e32 v2, 0x8000, v2
	s_waitcnt vmcnt(2)
	v_add_u32_e32 v4, 0x8000, v4
	v_and_b32_e32 v7, v2, v44
	v_bfe_u32 v2, v2, s33, 2
	s_waitcnt vmcnt(1)
	v_add_u32_e32 v5, 0x8000, v5
	v_and_b32_e32 v8, v4, v44
	v_bfe_u32 v4, v4, s33, 2
	v_cmp_eq_u32_e64 s[0:1], v7, v41
	v_cmp_eq_u32_e64 s[18:19], 0, v2
	s_waitcnt vmcnt(0)
	v_add_u32_e32 v6, 0x8000, v6
	v_and_b32_e32 v9, v5, v44
	v_bfe_u32 v5, v5, s33, 2
	v_cmp_eq_u32_e64 s[2:3], v8, v41
	v_cmp_eq_u32_e64 s[20:21], 0, v4
	s_and_b64 s[18:19], s[0:1], s[18:19]
	v_and_b32_e32 v10, v6, v44
	v_bfe_u32 v6, v6, s33, 2
	v_cmp_eq_u32_e64 s[14:15], v9, v41
	v_cmp_eq_u32_e64 s[22:23], 0, v5
	;; [unrolled: 1-line block ×5, first 2 shown]
	v_cndmask_b32_e64 v2, 0, 1, s[18:19]
	s_and_b64 s[18:19], s[2:3], s[20:21]
	v_cmp_eq_u32_e64 s[16:17], v10, v41
	v_cmp_eq_u32_e64 s[24:25], 0, v6
	;; [unrolled: 1-line block ×5, first 2 shown]
	v_cndmask_b32_e64 v4, 0, 1, s[18:19]
	s_and_b64 s[18:19], s[14:15], s[22:23]
	v_cmp_eq_u32_e64 s[36:37], 1, v5
	v_cmp_eq_u32_e64 s[44:45], 2, v5
	;; [unrolled: 1-line block ×3, first 2 shown]
	v_cndmask_b32_e64 v5, 0, 1, s[18:19]
	s_and_b64 s[18:19], s[16:17], s[24:25]
	v_cmp_eq_u32_e64 s[38:39], 1, v6
	v_cmp_eq_u32_e64 s[46:47], 2, v6
	;; [unrolled: 1-line block ×3, first 2 shown]
	v_cndmask_b32_e64 v6, 0, 1, s[18:19]
	v_cmp_ne_u32_e64 s[18:19], 0, v2
	v_cmp_ne_u32_e64 s[20:21], 0, v4
	v_cmp_ne_u32_e64 s[22:23], 0, v5
	v_cmp_ne_u32_e64 s[24:25], 0, v6
	s_bcnt1_i32_b64 s18, s[18:19]
	s_bcnt1_i32_b64 s19, s[20:21]
	s_bcnt1_i32_b64 s20, s[22:23]
	s_bcnt1_i32_b64 s21, s[24:25]
	s_add_u32 s6, s18, s6
	s_addc_u32 s7, 0, s7
	s_add_u32 s6, s6, s19
	s_addc_u32 s7, s7, 0
	s_add_u32 s6, s6, s20
	s_addc_u32 s7, s7, 0
	s_add_u32 s6, s6, s21
	s_addc_u32 s7, s7, 0
	s_and_b64 s[18:19], s[0:1], s[26:27]
	v_cndmask_b32_e64 v2, 0, 1, s[18:19]
	s_and_b64 s[18:19], s[2:3], s[28:29]
	v_cndmask_b32_e64 v6, 0, 1, s[18:19]
	s_and_b64 s[18:19], s[14:15], s[36:37]
	v_cndmask_b32_e64 v7, 0, 1, s[18:19]
	s_and_b64 s[18:19], s[16:17], s[38:39]
	v_cndmask_b32_e64 v8, 0, 1, s[18:19]
	v_cmp_ne_u32_e64 s[18:19], 0, v2
	v_cmp_ne_u32_e64 s[20:21], 0, v6
	v_cmp_ne_u32_e64 s[22:23], 0, v7
	v_cmp_ne_u32_e64 s[24:25], 0, v8
	s_bcnt1_i32_b64 s18, s[18:19]
	s_bcnt1_i32_b64 s19, s[20:21]
	s_bcnt1_i32_b64 s20, s[22:23]
	s_bcnt1_i32_b64 s21, s[24:25]
	s_add_u32 s18, s18, s80
	s_addc_u32 s22, 0, s81
	s_add_u32 s18, s18, s19
	s_addc_u32 s19, s22, 0
	s_add_u32 s18, s18, s20
	s_addc_u32 s19, s19, 0
	s_add_u32 s80, s18, s21
	s_addc_u32 s81, s19, 0
	s_and_b64 s[18:19], s[0:1], s[40:41]
	v_cndmask_b32_e64 v2, 0, 1, s[18:19]
	s_and_b64 s[18:19], s[2:3], s[42:43]
	v_cndmask_b32_e64 v8, 0, 1, s[18:19]
	s_and_b64 s[18:19], s[14:15], s[44:45]
	v_cndmask_b32_e64 v9, 0, 1, s[18:19]
	s_and_b64 s[18:19], s[16:17], s[46:47]
	;; [unrolled: 24-line block ×3, first 2 shown]
	v_cndmask_b32_e64 v46, 0, 1, s[0:1]
	v_cmp_ne_u32_e64 s[0:1], 0, v2
	v_cmp_ne_u32_e64 s[2:3], 0, v10
	;; [unrolled: 1-line block ×4, first 2 shown]
	s_bcnt1_i32_b64 s0, s[0:1]
	s_bcnt1_i32_b64 s1, s[2:3]
	;; [unrolled: 1-line block ×4, first 2 shown]
	s_add_u32 s0, s0, s8
	s_addc_u32 s8, 0, s9
	s_add_u32 s0, s0, s1
	s_addc_u32 s1, s8, 0
	;; [unrolled: 2-line block ×5, first 2 shown]
	v_mov_b64_e32 v[4:5], s[6:7]
	v_mov_b64_e32 v[6:7], s[80:81]
	;; [unrolled: 1-line block ×3, first 2 shown]
	s_or_b64 s[88:89], vcc, s[88:89]
	v_mov_b64_e32 v[10:11], s[8:9]
	s_andn2_b64 exec, exec, s[88:89]
	s_cbranch_execnz .LBB108_56
; %bb.57:                               ;   in Loop: Header=BB108_9 Depth=1
	s_or_b64 exec, exec, s[88:89]
	v_readlane_b32 s54, v66, 34
	v_readlane_b32 s72, v66, 36
	;; [unrolled: 1-line block ×8, first 2 shown]
	s_mov_b32 s51, 0x5040100
.LBB108_58:                             ;   in Loop: Header=BB108_9 Depth=1
	s_or_b64 exec, exec, s[86:87]
	v_lshl_add_u64 v[32:33], s[34:35], 0, v[0:1]
	v_cmp_gt_u64_e32 vcc, s[56:57], v[32:33]
	s_and_saveexec_b64 s[2:3], vcc
	s_cbranch_execz .LBB108_64
; %bb.59:                               ;   in Loop: Header=BB108_9 Depth=1
	v_mul_lo_u32 v2, v33, s68
	v_mul_lo_u32 v48, v32, s69
	v_mad_u64_u32 v[46:47], s[0:1], v32, s68, 0
	v_add3_u32 v47, v47, v48, v2
	v_lshl_add_u64 v[46:47], v[46:47], 1, s[60:61]
	global_load_ushort v46, v[46:47], off
	s_mov_b64 s[6:7], 0
	s_branch .LBB108_61
.LBB108_60:                             ;   in Loop: Header=BB108_61 Depth=2
	s_or_b64 exec, exec, s[8:9]
	s_waitcnt vmcnt(0)
	v_add_u32_sdwa v46, sext(v46), s85 dst_sel:DWORD dst_unused:UNUSED_PAD src0_sel:WORD_0 src1_sel:DWORD
	s_and_b64 s[0:1], exec, vcc
	v_and_b32_e32 v47, v46, v44
	v_bfe_u32 v46, v46, s33, 2
	s_or_b64 s[6:7], s[0:1], s[6:7]
	v_cmp_eq_u32_e32 vcc, v47, v41
	v_cmp_eq_u32_e64 s[0:1], 0, v46
	s_and_b64 s[0:1], vcc, s[0:1]
	s_nop 0
	v_cndmask_b32_e64 v47, 0, 1, s[0:1]
	v_cmp_ne_u32_e64 s[0:1], 0, v47
	s_bcnt1_i32_b64 s74, s[0:1]
	v_cmp_eq_u32_e64 s[0:1], 1, v46
	s_and_b64 s[0:1], vcc, s[0:1]
	v_lshl_add_u64 v[4:5], s[74:75], 0, v[4:5]
	v_cndmask_b32_e64 v47, 0, 1, s[0:1]
	v_cmp_ne_u32_e64 s[0:1], 0, v47
	s_bcnt1_i32_b64 s74, s[0:1]
	v_cmp_eq_u32_e64 s[0:1], 2, v46
	s_and_b64 s[0:1], vcc, s[0:1]
	v_lshl_add_u64 v[6:7], s[74:75], 0, v[6:7]
	;; [unrolled: 6-line block ×3, first 2 shown]
	v_cndmask_b32_e64 v46, 0, 1, s[0:1]
	v_cmp_ne_u32_e32 vcc, 0, v46
	s_bcnt1_i32_b64 s74, vcc
	v_lshl_add_u64 v[10:11], s[74:75], 0, v[10:11]
	v_mov_b32_e32 v46, v2
	s_andn2_b64 exec, exec, s[6:7]
	s_cbranch_execz .LBB108_63
.LBB108_61:                             ;   Parent Loop BB108_9 Depth=1
                                        ; =>  This Inner Loop Header: Depth=2
	v_lshl_add_u64 v[32:33], v[32:33], 0, s[10:11]
	v_cmp_gt_u64_e64 s[0:1], s[56:57], v[32:33]
	v_cmp_le_u64_e32 vcc, s[56:57], v[32:33]
	v_mov_b32_e32 v2, 0
	s_and_saveexec_b64 s[8:9], s[0:1]
	s_cbranch_execz .LBB108_60
; %bb.62:                               ;   in Loop: Header=BB108_61 Depth=2
	v_mul_lo_u32 v2, v33, s68
	v_mul_lo_u32 v47, v32, s69
	v_mad_u64_u32 v[48:49], s[0:1], v32, s68, 0
	v_add3_u32 v49, v49, v47, v2
	v_lshl_add_u64 v[48:49], v[48:49], 1, s[60:61]
	global_load_ushort v2, v[48:49], off
	s_branch .LBB108_60
.LBB108_63:                             ;   in Loop: Header=BB108_9 Depth=1
	s_or_b64 exec, exec, s[6:7]
.LBB108_64:                             ;   in Loop: Header=BB108_9 Depth=1
	s_or_b64 exec, exec, s[2:3]
	s_branch .LBB108_43
.LBB108_65:                             ;   in Loop: Header=BB108_9 Depth=1
	global_load_ushort v2, v3, s[72:73]
	v_mov_b64_e32 v[8:9], 0
	s_waitcnt vmcnt(0)
	v_readfirstlane_b32 s0, v2
	s_and_b32 s13, 0xffff, s0
	s_lshl_b32 s74, s13, 2
	v_cvt_f32_u32_e32 v4, s74
	s_sub_i32 s0, 0, s74
	v_rcp_iflag_f32_e32 v6, v4
	v_mov_b64_e32 v[4:5], 0
	v_mul_f32_e32 v6, 0x4f7ffffe, v6
	v_cvt_u32_f32_e32 v10, v6
	v_mov_b64_e32 v[6:7], 0
	v_readfirstlane_b32 s1, v10
	s_mul_i32 s0, s0, s1
	s_mul_hi_u32 s0, s1, s0
	s_add_i32 s1, s1, s0
	s_mul_hi_u32 s0, s12, s1
	s_mul_i32 s1, s0, s74
	s_sub_i32 s1, s12, s1
	s_add_i32 s2, s0, 1
	s_sub_i32 s3, s1, s74
	s_cmp_ge_u32 s1, s74
	s_cselect_b32 s0, s2, s0
	s_cselect_b32 s1, s3, s1
	s_add_i32 s2, s0, 1
	s_cmp_ge_u32 s1, s74
	s_cselect_b32 s0, s2, s0
	s_mul_hi_u32 s7, s13, s0
	s_mul_i32 s6, s13, s0
	s_lshl_b64 s[8:9], s[6:7], 2
	v_cmp_gt_u64_e32 vcc, s[8:9], v[14:15]
	v_mov_b64_e32 v[10:11], 0
	s_and_saveexec_b64 s[10:11], vcc
	s_cbranch_execz .LBB108_69
; %bb.66:                               ;   in Loop: Header=BB108_9 Depth=1
	s_lshl_b32 s7, s13, 3
	s_mov_b64 s[30:31], 0
	v_mov_b32_e32 v46, v39
	s_mov_b64 s[34:35], 0
	s_mov_b64 s[72:73], 0
	;; [unrolled: 1-line block ×4, first 2 shown]
	v_mov_b64_e32 v[32:33], v[14:15]
.LBB108_67:                             ;   Parent Loop BB108_9 Depth=1
                                        ; =>  This Inner Loop Header: Depth=2
	ds_read_b64 v[4:5], v46
	v_lshl_add_u64 v[32:33], v[32:33], 0, s[74:75]
	v_cmp_le_u64_e32 vcc, s[8:9], v[32:33]
	v_add_u32_e32 v46, s7, v46
	s_waitcnt lgkmcnt(0)
	v_add_u32_sdwa v6, sext(v4), s85 dst_sel:DWORD dst_unused:UNUSED_PAD src0_sel:WORD_0 src1_sel:DWORD
	v_add_u32_sdwa v4, sext(v4), s85 dst_sel:DWORD dst_unused:UNUSED_PAD src0_sel:WORD_1 src1_sel:DWORD
	v_and_b32_e32 v8, v6, v44
	v_bfe_u32 v6, v6, s33, 2
	v_add_u32_sdwa v7, sext(v5), s85 dst_sel:DWORD dst_unused:UNUSED_PAD src0_sel:WORD_0 src1_sel:DWORD
	v_and_b32_e32 v9, v4, v44
	v_bfe_u32 v4, v4, s33, 2
	v_cmp_eq_u32_e64 s[20:21], v8, v41
	v_cmp_eq_u32_e64 s[0:1], 0, v6
	v_add_u32_sdwa v5, sext(v5), s85 dst_sel:DWORD dst_unused:UNUSED_PAD src0_sel:WORD_1 src1_sel:DWORD
	v_and_b32_e32 v10, v7, v44
	v_bfe_u32 v7, v7, s33, 2
	v_cmp_eq_u32_e64 s[18:19], v9, v41
	v_cmp_eq_u32_e64 s[2:3], 0, v4
	s_and_b64 s[0:1], s[20:21], s[0:1]
	v_and_b32_e32 v11, v5, v44
	v_bfe_u32 v5, v5, s33, 2
	v_cmp_eq_u32_e64 s[16:17], v10, v41
	v_cmp_eq_u32_e64 s[36:37], 0, v7
	;; [unrolled: 1-line block ×5, first 2 shown]
	v_cndmask_b32_e64 v4, 0, 1, s[0:1]
	s_and_b64 s[0:1], s[18:19], s[2:3]
	v_cmp_eq_u32_e64 s[14:15], v11, v41
	v_cmp_eq_u32_e64 s[38:39], 0, v5
	;; [unrolled: 1-line block ×5, first 2 shown]
	v_cndmask_b32_e64 v5, 0, 1, s[0:1]
	s_and_b64 s[0:1], s[16:17], s[36:37]
	v_cmp_eq_u32_e64 s[40:41], 1, v6
	v_cmp_eq_u32_e64 s[48:49], 2, v6
	;; [unrolled: 1-line block ×3, first 2 shown]
	v_cndmask_b32_e64 v6, 0, 1, s[0:1]
	s_and_b64 s[0:1], s[14:15], s[38:39]
	v_cmp_eq_u32_e64 s[44:45], 1, v7
	v_cmp_eq_u32_e64 s[52:53], 2, v7
	;; [unrolled: 1-line block ×3, first 2 shown]
	v_cndmask_b32_e64 v7, 0, 1, s[0:1]
	v_cmp_ne_u32_e64 s[0:1], 0, v4
	v_cmp_ne_u32_e64 s[2:3], 0, v5
	v_cmp_ne_u32_e64 s[36:37], 0, v6
	v_cmp_ne_u32_e64 s[38:39], 0, v7
	s_bcnt1_i32_b64 s0, s[0:1]
	s_bcnt1_i32_b64 s1, s[2:3]
	s_bcnt1_i32_b64 s2, s[36:37]
	s_bcnt1_i32_b64 s3, s[38:39]
	s_add_u32 s0, s0, s86
	s_addc_u32 s36, 0, s87
	s_add_u32 s0, s0, s1
	s_addc_u32 s1, s36, 0
	s_add_u32 s0, s0, s2
	s_addc_u32 s1, s1, 0
	s_add_u32 s86, s0, s3
	s_addc_u32 s87, s1, 0
	s_and_b64 s[0:1], s[20:21], s[40:41]
	v_cndmask_b32_e64 v6, 0, 1, s[0:1]
	s_and_b64 s[0:1], s[18:19], s[42:43]
	v_cndmask_b32_e64 v7, 0, 1, s[0:1]
	s_and_b64 s[0:1], s[16:17], s[44:45]
	v_cndmask_b32_e64 v8, 0, 1, s[0:1]
	s_and_b64 s[0:1], s[14:15], s[46:47]
	v_cndmask_b32_e64 v9, 0, 1, s[0:1]
	v_cmp_ne_u32_e64 s[0:1], 0, v6
	v_cmp_ne_u32_e64 s[2:3], 0, v7
	v_cmp_ne_u32_e64 s[36:37], 0, v8
	v_cmp_ne_u32_e64 s[38:39], 0, v9
	s_bcnt1_i32_b64 s0, s[0:1]
	s_bcnt1_i32_b64 s1, s[2:3]
	s_bcnt1_i32_b64 s2, s[36:37]
	s_bcnt1_i32_b64 s3, s[38:39]
	s_add_u32 s0, s0, s80
	s_addc_u32 s36, 0, s81
	s_add_u32 s0, s0, s1
	s_addc_u32 s1, s36, 0
	s_add_u32 s0, s0, s2
	s_addc_u32 s1, s1, 0
	s_add_u32 s80, s0, s3
	s_addc_u32 s81, s1, 0
	s_and_b64 s[0:1], s[20:21], s[48:49]
	v_cndmask_b32_e64 v8, 0, 1, s[0:1]
	s_and_b64 s[0:1], s[18:19], s[50:51]
	v_cndmask_b32_e64 v9, 0, 1, s[0:1]
	s_and_b64 s[0:1], s[16:17], s[52:53]
	v_cndmask_b32_e64 v10, 0, 1, s[0:1]
	s_and_b64 s[0:1], s[14:15], s[54:55]
	;; [unrolled: 24-line block ×3, first 2 shown]
	v_cndmask_b32_e64 v48, 0, 1, s[0:1]
	v_cmp_ne_u32_e64 s[0:1], 0, v10
	v_cmp_ne_u32_e64 s[2:3], 0, v11
	;; [unrolled: 1-line block ×4, first 2 shown]
	s_bcnt1_i32_b64 s0, s[0:1]
	s_bcnt1_i32_b64 s1, s[2:3]
	;; [unrolled: 1-line block ×4, first 2 shown]
	s_add_u32 s0, s0, s34
	s_addc_u32 s14, 0, s35
	s_add_u32 s0, s0, s1
	s_addc_u32 s1, s14, 0
	;; [unrolled: 2-line block ×4, first 2 shown]
	v_mov_b64_e32 v[4:5], s[86:87]
	v_mov_b64_e32 v[6:7], s[80:81]
	;; [unrolled: 1-line block ×3, first 2 shown]
	s_or_b64 s[30:31], vcc, s[30:31]
	v_mov_b64_e32 v[10:11], s[34:35]
	s_andn2_b64 exec, exec, s[30:31]
	s_cbranch_execnz .LBB108_67
; %bb.68:                               ;   in Loop: Header=BB108_9 Depth=1
	s_or_b64 exec, exec, s[30:31]
	v_readlane_b32 s54, v66, 34
	v_readlane_b32 s72, v66, 36
	;; [unrolled: 1-line block ×8, first 2 shown]
	s_mov_b32 s51, 0x5040100
.LBB108_69:                             ;   in Loop: Header=BB108_9 Depth=1
	s_or_b64 exec, exec, s[10:11]
	s_and_b32 s10, s12, 0x7fffffff
	s_mov_b32 s11, s75
	v_lshl_add_u64 v[32:33], s[8:9], 0, v[0:1]
	v_and_b32_e32 v2, 0xffff, v2
	v_cmp_gt_u64_e32 vcc, s[10:11], v[32:33]
	s_and_saveexec_b64 s[8:9], vcc
	s_cbranch_execz .LBB108_73
; %bb.70:                               ;   in Loop: Header=BB108_9 Depth=1
	v_lshl_add_u32 v46, s6, 3, v35
	s_lshl_b32 s12, s13, 1
	s_mov_b64 s[6:7], 0
.LBB108_71:                             ;   Parent Loop BB108_9 Depth=1
                                        ; =>  This Inner Loop Header: Depth=2
	ds_read_i16 v47, v46
	v_lshl_add_u64 v[32:33], v[32:33], 0, v[2:3]
	v_cmp_le_u64_e32 vcc, s[10:11], v[32:33]
	v_add_u32_e32 v46, s12, v46
	s_waitcnt lgkmcnt(0)
	v_add_u32_e32 v47, 0x8000, v47
	v_and_b32_e32 v48, v47, v44
	v_bfe_u32 v47, v47, s33, 2
	v_cmp_eq_u32_e64 s[0:1], v48, v41
	v_cmp_eq_u32_e64 s[2:3], 0, v47
	;; [unrolled: 1-line block ×3, first 2 shown]
	s_and_b64 s[2:3], s[0:1], s[2:3]
	v_cmp_eq_u32_e64 s[16:17], 2, v47
	v_cmp_eq_u32_e64 s[18:19], 3, v47
	v_cndmask_b32_e64 v47, 0, 1, s[2:3]
	s_and_b64 s[2:3], s[0:1], s[14:15]
	v_cndmask_b32_e64 v48, 0, 1, s[2:3]
	s_and_b64 s[2:3], s[0:1], s[16:17]
	s_and_b64 s[0:1], s[0:1], s[18:19]
	v_cndmask_b32_e64 v52, 0, 1, s[0:1]
	v_cmp_ne_u32_e64 s[0:1], 0, v47
	v_cndmask_b32_e64 v49, 0, 1, s[2:3]
	v_cmp_ne_u32_e64 s[2:3], 0, v48
	s_bcnt1_i32_b64 s74, s[0:1]
	v_cmp_ne_u32_e64 s[14:15], 0, v49
	v_lshl_add_u64 v[4:5], s[74:75], 0, v[4:5]
	s_bcnt1_i32_b64 s74, s[2:3]
	v_cmp_ne_u32_e64 s[16:17], 0, v52
	v_lshl_add_u64 v[6:7], s[74:75], 0, v[6:7]
	s_bcnt1_i32_b64 s74, s[14:15]
	v_lshl_add_u64 v[8:9], s[74:75], 0, v[8:9]
	s_bcnt1_i32_b64 s74, s[16:17]
	s_or_b64 s[6:7], vcc, s[6:7]
	v_lshl_add_u64 v[10:11], s[74:75], 0, v[10:11]
	s_andn2_b64 exec, exec, s[6:7]
	s_cbranch_execnz .LBB108_71
; %bb.72:                               ;   in Loop: Header=BB108_9 Depth=1
	s_or_b64 exec, exec, s[6:7]
.LBB108_73:                             ;   in Loop: Header=BB108_9 Depth=1
	s_or_b64 exec, exec, s[8:9]
	s_lshl_b32 s2, s90, 6
	s_and_saveexec_b64 s[0:1], s[4:5]
	s_cbranch_execnz .LBB108_44
	s_branch .LBB108_45
.LBB108_74:                             ;   in Loop: Header=BB108_9 Depth=1
                                        ; implicit-def: $sgpr0_sgpr1
	s_branch .LBB108_53
.LBB108_75:                             ;   in Loop: Header=BB108_9 Depth=1
	s_mov_b32 s3, 0
	v_mov_b64_e32 v[4:5], 0
.LBB108_76:                             ;   in Loop: Header=BB108_9 Depth=1
	v_readlane_b32 s6, v66, 30
	v_readlane_b32 s7, v66, 31
	s_andn2_b64 vcc, exec, s[6:7]
	s_cbranch_vccnz .LBB108_79
; %bb.77:                               ;   in Loop: Header=BB108_9 Depth=1
	s_lshl_b32 s6, s90, 9
	s_lshl_b32 s3, s3, 5
	s_add_i32 s6, s6, s3
	v_add_u32_e32 v2, s6, v40
	v_readlane_b32 s3, v66, 29
.LBB108_78:                             ;   Parent Loop BB108_9 Depth=1
                                        ; =>  This Inner Loop Header: Depth=2
	ds_read_b64 v[6:7], v2
	s_add_i32 s3, s3, -1
	v_add_u32_e32 v2, 32, v2
	s_cmp_lg_u32 s3, 0
	s_waitcnt lgkmcnt(0)
	v_lshl_add_u64 v[4:5], v[6:7], 0, v[4:5]
	s_cbranch_scc1 .LBB108_78
.LBB108_79:                             ;   in Loop: Header=BB108_9 Depth=1
	v_add_lshl_u32 v2, s2, v34, 3
	ds_write_b64 v2, v[4:5] offset:3072
.LBB108_80:                             ;   in Loop: Header=BB108_9 Depth=1
	s_or_b64 exec, exec, s[0:1]
	s_lshl_b32 s0, s2, 3
	v_mov_b32_e32 v2, s0
	s_waitcnt lgkmcnt(0)
	s_barrier
	ds_read_b128 v[8:11], v2 offset:3088
	ds_read_b128 v[4:7], v2 offset:3072
	s_lshl_b32 s52, 3, s33
	v_cmp_eq_u64_e64 s[0:1], 1, v[30:31]
	s_not_b32 s46, s52
	s_waitcnt lgkmcnt(1)
	v_readfirstlane_b32 s20, v8
	s_waitcnt lgkmcnt(0)
	v_cmp_eq_u64_e32 vcc, 1, v[4:5]
	v_readfirstlane_b32 s21, v9
	v_readfirstlane_b32 s2, v10
	;; [unrolled: 1-line block ×3, first 2 shown]
	s_and_b64 s[10:11], vcc, s[0:1]
	s_mov_b64 s[0:1], -1
	s_mov_b64 s[16:17], -1
                                        ; implicit-def: $sgpr8_sgpr9
                                        ; implicit-def: $sgpr6_sgpr7
	s_and_saveexec_b64 s[12:13], s[10:11]
	s_cbranch_execz .LBB108_112
; %bb.81:                               ;   in Loop: Header=BB108_9 Depth=1
	ds_read_b64 v[8:9], v3 offset:5120
	s_waitcnt lgkmcnt(0)
	s_barrier
	v_readfirstlane_b32 s16, v8
	v_readfirstlane_b32 s17, v9
	s_mov_b64 s[6:7], exec
	v_readlane_b32 s8, v66, 14
	v_readlane_b32 s9, v66, 15
	s_and_b64 s[8:9], s[6:7], s[8:9]
	s_mov_b64 exec, s[8:9]
; %bb.82:                               ;   in Loop: Header=BB108_9 Depth=1
	ds_write_b16 v36, v3
; %bb.83:                               ;   in Loop: Header=BB108_9 Depth=1
	s_or_b64 exec, exec, s[6:7]
	v_and_b32_e32 v41, s46, v41
	v_or_b32_e32 v44, s52, v44
	s_mov_b64 s[6:7], -1
	s_mov_b64 s[8:9], 0
	s_cmp_eq_u64 s[16:17], 0
	s_mov_b64 s[14:15], 0
	s_mov_b64 s[18:19], -1
	s_waitcnt lgkmcnt(0)
	s_barrier
                                        ; implicit-def: $vgpr45
	s_cbranch_scc1 .LBB108_97
; %bb.84:                               ;   in Loop: Header=BB108_9 Depth=1
	v_readlane_b32 s14, v66, 20
	s_add_u32 s24, s16, s14
	v_readlane_b32 s14, v66, 22
	s_addc_u32 s15, s17, s14
	s_mov_b32 s14, s75
	s_cmp_lg_u64 s[14:15], 0
	s_cbranch_scc0 .LBB108_138
; %bb.85:                               ;   in Loop: Header=BB108_9 Depth=1
	v_cvt_f32_u32_e32 v2, s70
	s_sub_u32 s14, 0, s70
	s_subb_u32 s22, 0, 0
	v_fmac_f32_e32 v2, 0, v42
	v_rcp_f32_e32 v2, v2
	s_nop 0
	v_mul_f32_e32 v2, 0x5f7ffffc, v2
	v_mul_f32_e32 v8, 0x2f800000, v2
	v_trunc_f32_e32 v8, v8
	v_fmac_f32_e32 v2, 0xcf800000, v8
	v_cvt_u32_f32_e32 v8, v8
	v_cvt_u32_f32_e32 v2, v2
	v_readfirstlane_b32 s23, v8
	v_readfirstlane_b32 s18, v2
	s_mul_i32 s19, s14, s23
	s_mul_hi_u32 s26, s14, s18
	s_mul_i32 s25, s22, s18
	s_add_i32 s19, s26, s19
	s_mul_i32 s27, s14, s18
	s_add_i32 s19, s19, s25
	s_mul_hi_u32 s26, s18, s27
	s_mul_i32 s28, s18, s19
	s_mul_hi_u32 s25, s18, s19
	s_add_u32 s26, s26, s28
	s_addc_u32 s25, 0, s25
	s_mul_hi_u32 s29, s23, s27
	s_mul_i32 s27, s23, s27
	s_add_u32 s26, s26, s27
	s_mul_hi_u32 s28, s23, s19
	s_addc_u32 s25, s25, s29
	s_addc_u32 s26, s28, 0
	s_mul_i32 s19, s23, s19
	s_add_u32 s19, s25, s19
	s_addc_u32 s25, 0, s26
	s_add_u32 s26, s18, s19
	s_cselect_b64 s[18:19], -1, 0
	s_cmp_lg_u64 s[18:19], 0
	s_addc_u32 s23, s23, s25
	s_mul_i32 s18, s14, s23
	s_mul_hi_u32 s19, s14, s26
	s_add_i32 s18, s19, s18
	s_mul_i32 s22, s22, s26
	s_add_i32 s18, s18, s22
	s_mul_i32 s14, s14, s26
	s_mul_hi_u32 s22, s23, s14
	s_mul_i32 s25, s23, s14
	s_mul_i32 s28, s26, s18
	s_mul_hi_u32 s14, s26, s14
	s_mul_hi_u32 s27, s26, s18
	s_add_u32 s14, s14, s28
	s_addc_u32 s27, 0, s27
	s_add_u32 s14, s14, s25
	s_mul_hi_u32 s19, s23, s18
	s_addc_u32 s14, s27, s22
	s_addc_u32 s19, s19, 0
	s_mul_i32 s18, s23, s18
	s_add_u32 s14, s14, s18
	s_addc_u32 s22, 0, s19
	s_add_u32 s14, s26, s14
	s_cselect_b64 s[18:19], -1, 0
	s_cmp_lg_u64 s[18:19], 0
	s_addc_u32 s18, s23, s22
	s_mul_i32 s22, s24, s18
	s_mul_hi_u32 s23, s24, s14
	s_mul_hi_u32 s19, s24, s18
	s_add_u32 s22, s23, s22
	s_addc_u32 s19, 0, s19
	s_mul_hi_u32 s25, s15, s14
	s_mul_i32 s14, s15, s14
	s_add_u32 s14, s22, s14
	s_mul_hi_u32 s23, s15, s18
	s_addc_u32 s14, s19, s25
	s_addc_u32 s19, s23, 0
	s_mul_i32 s18, s15, s18
	s_add_u32 s14, s14, s18
	s_addc_u32 s18, 0, s19
	s_mul_i32 s18, s70, s18
	s_mul_hi_u32 s19, s70, s14
	s_add_i32 s22, s19, s18
	s_mul_i32 s14, s70, s14
	s_sub_u32 s14, s24, s14
	s_cselect_b64 s[18:19], -1, 0
	s_cmp_lg_u64 s[18:19], 0
	s_subb_u32 s22, s15, s22
	s_sub_u32 s23, s14, s70
	s_cselect_b64 s[18:19], -1, 0
	s_cmp_lg_u64 s[18:19], 0
	s_subb_u32 s25, s22, 0
	;; [unrolled: 4-line block ×3, first 2 shown]
	s_cmp_ge_u32 s23, s70
	s_cselect_b32 s19, -1, 0
	s_cmp_eq_u32 s25, 0
	s_cselect_b32 s19, s19, -1
	s_cmp_lg_u32 s19, 0
	s_cselect_b32 s18, s18, s25
	s_cselect_b32 s23, s26, s23
	s_cmp_ge_u32 s14, s70
	s_cselect_b32 s19, -1, 0
	s_cmp_eq_u32 s22, 0
	s_cselect_b32 s19, s19, -1
	s_cmp_lg_u32 s19, 0
	s_cselect_b32 s19, s18, s22
	s_cselect_b32 s18, s23, s14
	s_cbranch_execnz .LBB108_87
.LBB108_86:                             ;   in Loop: Header=BB108_9 Depth=1
	v_cvt_f32_u32_e32 v2, s70
	s_sub_i32 s14, 0, s70
	v_rcp_iflag_f32_e32 v2, v2
	s_nop 0
	v_mul_f32_e32 v2, 0x4f7ffffe, v2
	v_cvt_u32_f32_e32 v2, v2
	s_nop 0
	v_readfirstlane_b32 s18, v2
	s_mul_i32 s14, s14, s18
	s_mul_hi_u32 s14, s18, s14
	s_add_i32 s18, s18, s14
	s_mul_hi_u32 s14, s24, s18
	s_mul_i32 s14, s14, s70
	s_sub_i32 s14, s24, s14
	s_sub_i32 s18, s14, s70
	s_cmp_ge_u32 s14, s70
	s_cselect_b32 s14, s18, s14
	s_sub_i32 s18, s14, s70
	s_cmp_ge_u32 s14, s70
	s_cselect_b32 s74, s18, s14
	s_mov_b64 s[18:19], s[74:75]
.LBB108_87:                             ;   in Loop: Header=BB108_9 Depth=1
	s_sub_u32 s24, s24, s18
	s_subb_u32 s25, s15, s19
	v_cmp_gt_u64_e32 vcc, s[24:25], v[0:1]
	s_mov_b64 s[18:19], 0
	s_mov_b64 s[14:15], 0
                                        ; implicit-def: $vgpr45
	s_and_saveexec_b64 s[22:23], vcc
	s_cbranch_execz .LBB108_96
; %bb.88:                               ;   in Loop: Header=BB108_9 Depth=1
	v_mov_b32_e32 v2, v35
	v_mov_b64_e32 v[8:9], v[0:1]
                                        ; implicit-def: $sgpr26_sgpr27
	s_branch .LBB108_91
.LBB108_89:                             ;   in Loop: Header=BB108_91 Depth=2
	s_or_b64 exec, exec, s[28:29]
	s_waitcnt lgkmcnt(0)
	s_barrier
	ds_read_b32 v10, v3 offset:3072
	s_mov_b64 s[28:29], -1
	s_waitcnt lgkmcnt(0)
	s_barrier
	v_cmp_ne_u32_sdwa s[30:31], v10, v3 src0_sel:WORD_0 src1_sel:DWORD
	s_and_b64 vcc, exec, s[30:31]
	s_mov_b64 s[30:31], -1
	s_cbranch_vccz .LBB108_94
.LBB108_90:                             ;   in Loop: Header=BB108_91 Depth=2
	s_and_b64 s[28:29], exec, s[28:29]
	s_or_b64 s[14:15], s[28:29], s[14:15]
	s_andn2_b64 s[26:27], s[26:27], exec
	s_and_b64 s[28:29], s[30:31], exec
	s_or_b64 s[26:27], s[26:27], s[28:29]
	s_andn2_b64 exec, exec, s[14:15]
	s_cbranch_execz .LBB108_95
.LBB108_91:                             ;   Parent Loop BB108_9 Depth=1
                                        ; =>  This Inner Loop Header: Depth=2
	v_cmp_gt_u64_e32 vcc, s[16:17], v[8:9]
	s_and_saveexec_b64 s[28:29], vcc
	s_cbranch_execz .LBB108_89
; %bb.92:                               ;   in Loop: Header=BB108_91 Depth=2
	ds_read_u16 v10, v2
	s_waitcnt lgkmcnt(0)
	v_add_u32_sdwa v11, sext(v10), s85 dst_sel:DWORD dst_unused:UNUSED_PAD src0_sel:WORD_0 src1_sel:DWORD
	v_and_b32_e32 v11, v11, v44
	v_cmp_eq_u32_e32 vcc, v11, v41
	s_and_b64 exec, exec, vcc
	s_cbranch_execz .LBB108_89
; %bb.93:                               ;   in Loop: Header=BB108_91 Depth=2
	v_perm_b32 v10, v10, 1, v43
	ds_write_b32 v3, v10 offset:3072
	s_branch .LBB108_89
.LBB108_94:                             ;   in Loop: Header=BB108_91 Depth=2
	v_lshl_add_u64 v[8:9], v[8:9], 0, s[70:71]
	v_cmp_le_u64_e32 vcc, s[24:25], v[8:9]
	v_add_u32_e32 v2, s84, v2
	s_mov_b64 s[30:31], 0
	s_orn2_b64 s[28:29], vcc, exec
	s_branch .LBB108_90
.LBB108_95:                             ;   in Loop: Header=BB108_9 Depth=1
	s_or_b64 exec, exec, s[14:15]
	v_lshrrev_b32_e32 v45, 16, v10
	s_and_b64 s[14:15], s[26:27], exec
.LBB108_96:                             ;   in Loop: Header=BB108_9 Depth=1
	s_or_b64 exec, exec, s[22:23]
.LBB108_97:                             ;   in Loop: Header=BB108_9 Depth=1
	s_and_b64 vcc, exec, s[18:19]
	s_cbranch_vccz .LBB108_111
; %bb.98:                               ;   in Loop: Header=BB108_9 Depth=1
	s_mov_b32 s82, s75
	s_cmp_lg_u64 s[82:83], 0
	s_cbranch_scc0 .LBB108_142
; %bb.99:                               ;   in Loop: Header=BB108_9 Depth=1
	v_cvt_f32_u32_e32 v2, s70
	s_sub_u32 s8, 0, s70
	s_subb_u32 s9, 0, 0
	v_fmac_f32_e32 v2, 0, v42
	v_rcp_f32_e32 v2, v2
	s_nop 0
	v_mul_f32_e32 v2, 0x5f7ffffc, v2
	v_mul_f32_e32 v8, 0x2f800000, v2
	v_trunc_f32_e32 v8, v8
	v_fmac_f32_e32 v2, 0xcf800000, v8
	v_cvt_u32_f32_e32 v8, v8
	v_cvt_u32_f32_e32 v2, v2
	v_readfirstlane_b32 s16, v8
	v_readfirstlane_b32 s6, v2
	s_mul_i32 s7, s8, s16
	s_mul_hi_u32 s18, s8, s6
	s_mul_i32 s17, s9, s6
	s_add_i32 s7, s18, s7
	s_mul_i32 s19, s8, s6
	s_add_i32 s7, s7, s17
	s_mul_hi_u32 s18, s6, s19
	s_mul_i32 s22, s6, s7
	s_mul_hi_u32 s17, s6, s7
	s_add_u32 s18, s18, s22
	s_addc_u32 s17, 0, s17
	s_mul_hi_u32 s23, s16, s19
	s_mul_i32 s19, s16, s19
	s_add_u32 s18, s18, s19
	s_mul_hi_u32 s22, s16, s7
	s_addc_u32 s17, s17, s23
	s_addc_u32 s18, s22, 0
	s_mul_i32 s7, s16, s7
	s_add_u32 s7, s17, s7
	s_addc_u32 s17, 0, s18
	s_add_u32 s18, s6, s7
	s_cselect_b64 s[6:7], -1, 0
	s_cmp_lg_u64 s[6:7], 0
	s_addc_u32 s16, s16, s17
	s_mul_i32 s6, s8, s16
	s_mul_hi_u32 s7, s8, s18
	s_add_i32 s6, s7, s6
	s_mul_i32 s9, s9, s18
	s_add_i32 s6, s6, s9
	s_mul_i32 s8, s8, s18
	s_mul_hi_u32 s9, s16, s8
	s_mul_i32 s17, s16, s8
	s_mul_i32 s22, s18, s6
	s_mul_hi_u32 s8, s18, s8
	s_mul_hi_u32 s19, s18, s6
	s_add_u32 s8, s8, s22
	s_addc_u32 s19, 0, s19
	s_add_u32 s8, s8, s17
	s_mul_hi_u32 s7, s16, s6
	s_addc_u32 s8, s19, s9
	s_addc_u32 s7, s7, 0
	s_mul_i32 s6, s16, s6
	s_add_u32 s6, s8, s6
	s_addc_u32 s8, 0, s7
	s_add_u32 s9, s18, s6
	s_cselect_b64 s[6:7], -1, 0
	s_cmp_lg_u64 s[6:7], 0
	s_addc_u32 s6, s16, s8
	v_readlane_b32 s18, v66, 21
	s_mul_i32 s8, s18, s6
	s_mul_hi_u32 s16, s18, s9
	s_mul_hi_u32 s7, s18, s6
	s_add_u32 s8, s16, s8
	s_addc_u32 s7, 0, s7
	s_mul_hi_u32 s17, s83, s9
	s_mul_i32 s9, s83, s9
	s_add_u32 s8, s8, s9
	s_mul_hi_u32 s16, s83, s6
	s_addc_u32 s7, s7, s17
	s_addc_u32 s8, s16, 0
	s_mul_i32 s6, s83, s6
	s_add_u32 s6, s7, s6
	s_addc_u32 s7, 0, s8
	s_mul_i32 s7, s70, s7
	s_mul_hi_u32 s8, s70, s6
	s_add_i32 s8, s8, s7
	s_mul_i32 s6, s70, s6
	s_sub_u32 s9, s18, s6
	s_cselect_b64 s[6:7], -1, 0
	s_cmp_lg_u64 s[6:7], 0
	s_subb_u32 s8, s83, s8
	s_sub_u32 s16, s9, s70
	s_cselect_b64 s[6:7], -1, 0
	s_cmp_lg_u64 s[6:7], 0
	s_subb_u32 s17, s8, 0
	;; [unrolled: 4-line block ×3, first 2 shown]
	s_cmp_ge_u32 s16, s70
	s_cselect_b32 s7, -1, 0
	s_cmp_eq_u32 s17, 0
	s_cselect_b32 s7, s7, -1
	s_cmp_lg_u32 s7, 0
	s_cselect_b32 s6, s6, s17
	s_cselect_b32 s16, s18, s16
	s_cmp_ge_u32 s9, s70
	s_cselect_b32 s7, -1, 0
	s_cmp_eq_u32 s8, 0
	s_cselect_b32 s7, s7, -1
	s_cmp_lg_u32 s7, 0
	s_cselect_b32 s7, s6, s8
	s_cselect_b32 s6, s16, s9
	s_cbranch_execnz .LBB108_101
.LBB108_100:                            ;   in Loop: Header=BB108_9 Depth=1
	v_cvt_f32_u32_e32 v2, s70
	s_sub_i32 s6, 0, s70
	v_readlane_b32 s8, v66, 21
	v_rcp_iflag_f32_e32 v2, v2
	s_nop 0
	v_mul_f32_e32 v2, 0x4f7ffffe, v2
	v_cvt_u32_f32_e32 v2, v2
	s_nop 0
	v_readfirstlane_b32 s7, v2
	s_mul_i32 s6, s6, s7
	s_mul_hi_u32 s6, s7, s6
	s_add_i32 s7, s7, s6
	s_mul_hi_u32 s6, s8, s7
	s_mul_i32 s6, s6, s70
	s_sub_i32 s6, s8, s6
	s_sub_i32 s7, s6, s70
	s_cmp_ge_u32 s6, s70
	s_cselect_b32 s6, s7, s6
	s_sub_i32 s7, s6, s70
	s_cmp_ge_u32 s6, s70
	s_cselect_b32 s74, s7, s6
	s_mov_b64 s[6:7], s[74:75]
.LBB108_101:                            ;   in Loop: Header=BB108_9 Depth=1
	v_readlane_b32 s8, v66, 21
	s_sub_u32 s8, s8, s6
	s_subb_u32 s9, s83, s7
	v_cmp_gt_u64_e32 vcc, s[8:9], v[0:1]
                                        ; implicit-def: $vgpr45
	s_and_saveexec_b64 s[6:7], vcc
	s_cbranch_execz .LBB108_110
; %bb.102:                              ;   in Loop: Header=BB108_9 Depth=1
	s_mov_b64 s[16:17], 0
	v_mov_b64_e32 v[8:9], v[12:13]
	v_mov_b64_e32 v[10:11], v[0:1]
                                        ; implicit-def: $sgpr18_sgpr19
	s_branch .LBB108_105
.LBB108_103:                            ;   in Loop: Header=BB108_105 Depth=2
	s_or_b64 exec, exec, s[22:23]
	s_waitcnt lgkmcnt(0)
	s_barrier
	ds_read_b32 v2, v3 offset:3072
	s_mov_b64 s[22:23], -1
	s_waitcnt lgkmcnt(0)
	s_barrier
	v_cmp_ne_u32_sdwa s[24:25], v2, v3 src0_sel:WORD_0 src1_sel:DWORD
	s_and_b64 vcc, exec, s[24:25]
	s_mov_b64 s[24:25], -1
	s_cbranch_vccz .LBB108_108
.LBB108_104:                            ;   in Loop: Header=BB108_105 Depth=2
	s_and_b64 s[22:23], exec, s[22:23]
	s_or_b64 s[16:17], s[22:23], s[16:17]
	s_andn2_b64 s[18:19], s[18:19], exec
	s_and_b64 s[22:23], s[24:25], exec
	s_or_b64 s[18:19], s[18:19], s[22:23]
	s_andn2_b64 exec, exec, s[16:17]
	s_cbranch_execz .LBB108_109
.LBB108_105:                            ;   Parent Loop BB108_9 Depth=1
                                        ; =>  This Inner Loop Header: Depth=2
	v_cmp_gt_u64_e32 vcc, s[56:57], v[10:11]
	s_and_saveexec_b64 s[22:23], vcc
	s_cbranch_execz .LBB108_103
; %bb.106:                              ;   in Loop: Header=BB108_105 Depth=2
	global_load_ushort v2, v[8:9], off
	s_waitcnt vmcnt(0)
	v_add_u32_sdwa v32, sext(v2), s85 dst_sel:DWORD dst_unused:UNUSED_PAD src0_sel:WORD_0 src1_sel:DWORD
	v_and_b32_e32 v32, v32, v44
	v_cmp_eq_u32_e32 vcc, v32, v41
	s_and_b64 exec, exec, vcc
	s_cbranch_execz .LBB108_103
; %bb.107:                              ;   in Loop: Header=BB108_105 Depth=2
	v_perm_b32 v2, v2, 1, v43
	ds_write_b32 v3, v2 offset:3072
	s_branch .LBB108_103
.LBB108_108:                            ;   in Loop: Header=BB108_105 Depth=2
	v_lshl_add_u64 v[10:11], v[10:11], 0, s[70:71]
	v_cmp_le_u64_e32 vcc, s[8:9], v[10:11]
	v_lshl_add_u64 v[8:9], v[8:9], 0, s[78:79]
	s_mov_b64 s[24:25], 0
	s_orn2_b64 s[22:23], vcc, exec
	s_branch .LBB108_104
.LBB108_109:                            ;   in Loop: Header=BB108_9 Depth=1
	s_or_b64 exec, exec, s[16:17]
	s_andn2_b64 s[8:9], s[14:15], exec
	s_and_b64 s[14:15], s[18:19], exec
	v_lshrrev_b32_e32 v45, 16, v2
	s_or_b64 s[14:15], s[8:9], s[14:15]
.LBB108_110:                            ;   in Loop: Header=BB108_9 Depth=1
	s_or_b64 exec, exec, s[6:7]
	s_mov_b64 s[6:7], 0
	s_mov_b64 s[8:9], -1
.LBB108_111:                            ;   in Loop: Header=BB108_9 Depth=1
	s_orn2_b64 s[16:17], s[14:15], exec
.LBB108_112:                            ;   in Loop: Header=BB108_9 Depth=1
	s_or_b64 exec, exec, s[12:13]
	s_andn2_b64 s[12:13], s[66:67], exec
	s_and_b64 s[8:9], s[8:9], exec
	s_or_b64 s[66:67], s[12:13], s[8:9]
	s_andn2_b64 s[8:9], s[64:65], exec
	s_and_b64 s[6:7], s[6:7], exec
	s_andn2_b64 s[62:63], s[62:63], exec
	s_or_b64 s[64:65], s[8:9], s[6:7]
                                        ; implicit-def: $vgpr8_vgpr9
	s_and_saveexec_b64 s[14:15], s[16:17]
	s_cbranch_execz .LBB108_8
; %bb.113:                              ;   in Loop: Header=BB108_9 Depth=1
	s_xor_b64 s[6:7], s[10:11], -1
	v_mov_b32_e32 v2, 1
	s_mov_b64 s[8:9], 0
	v_mov_b64_e32 v[8:9], 1
	s_and_saveexec_b64 s[0:1], s[6:7]
	s_cbranch_execz .LBB108_122
; %bb.114:                              ;   in Loop: Header=BB108_9 Depth=1
	v_cmp_le_u64_e32 vcc, v[30:31], v[4:5]
	s_and_saveexec_b64 s[6:7], vcc
	s_xor_b64 s[6:7], exec, s[6:7]
	s_cbranch_execz .LBB108_119
; %bb.115:                              ;   in Loop: Header=BB108_9 Depth=1
	ds_read_b64 v[8:9], v3 offset:5120
	v_and_b32_e32 v41, s46, v41
	v_or_b32_e32 v44, s52, v44
	s_waitcnt lgkmcnt(0)
	v_cmp_ne_u64_e32 vcc, 0, v[8:9]
	s_cbranch_vccnz .LBB108_119
; %bb.116:                              ;   in Loop: Header=BB108_9 Depth=1
	s_mov_b64 s[8:9], exec
	v_readlane_b32 s10, v66, 0
	v_readlane_b32 s11, v66, 1
	s_and_b64 s[10:11], s[8:9], s[10:11]
	s_mov_b64 exec, s[10:11]
; %bb.117:                              ;   in Loop: Header=BB108_9 Depth=1
	ds_write_b64 v3, v[4:5] offset:5128
; %bb.118:                              ;   in Loop: Header=BB108_9 Depth=1
	s_or_b64 exec, exec, s[8:9]
	s_waitcnt lgkmcnt(0)
	s_barrier
.LBB108_119:                            ;   in Loop: Header=BB108_9 Depth=1
	s_or_saveexec_b64 s[6:7], s[6:7]
	s_mov_b64 s[8:9], 0
	v_mov_b32_e32 v2, 8
	s_xor_b64 exec, exec, s[6:7]
; %bb.120:                              ;   in Loop: Header=BB108_9 Depth=1
	v_sub_co_u32_e32 v30, vcc, v30, v4
	s_mov_b64 s[8:9], exec
	s_nop 0
	v_subb_co_u32_e32 v31, vcc, v31, v5, vcc
	v_mov_b32_e32 v2, 0
; %bb.121:                              ;   in Loop: Header=BB108_9 Depth=1
	s_or_b64 exec, exec, s[6:7]
	s_and_b64 s[8:9], s[8:9], exec
	v_mov_b64_e32 v[8:9], v[30:31]
.LBB108_122:                            ;   in Loop: Header=BB108_9 Depth=1
	s_or_b64 exec, exec, s[0:1]
	s_mov_b64 s[16:17], -1
	s_mov_b64 s[6:7], -1
                                        ; implicit-def: $sgpr0_sgpr1
                                        ; implicit-def: $sgpr22_sgpr23
	s_and_saveexec_b64 s[10:11], s[8:9]
	s_xor_b64 s[18:19], exec, s[10:11]
	s_cbranch_execz .LBB108_267
; %bb.123:                              ;   in Loop: Header=BB108_9 Depth=1
	v_cmp_eq_u64_e32 vcc, 1, v[6:7]
	v_cmp_eq_u64_e64 s[0:1], 1, v[8:9]
	s_and_b64 s[10:11], vcc, s[0:1]
                                        ; implicit-def: $sgpr22_sgpr23
                                        ; implicit-def: $sgpr0_sgpr1
	s_and_saveexec_b64 s[12:13], s[10:11]
	s_cbranch_execz .LBB108_160
; %bb.124:                              ;   in Loop: Header=BB108_9 Depth=1
	ds_read_b64 v[4:5], v3 offset:5120
	s_waitcnt lgkmcnt(0)
	s_barrier
	v_readfirstlane_b32 s8, v4
	v_readfirstlane_b32 s9, v5
	s_mov_b64 s[0:1], exec
	v_readlane_b32 s6, v66, 14
	v_readlane_b32 s7, v66, 15
	s_and_b64 s[6:7], s[0:1], s[6:7]
	s_mov_b64 exec, s[6:7]
; %bb.125:                              ;   in Loop: Header=BB108_9 Depth=1
	ds_write_b16 v36, v3
; %bb.126:                              ;   in Loop: Header=BB108_9 Depth=1
	s_or_b64 exec, exec, s[0:1]
	v_and_b32_e32 v4, s46, v41
	v_lshl_or_b32 v41, 1, s33, v4
	v_or_b32_e32 v44, s52, v44
	s_mov_b64 s[0:1], -1
	s_mov_b64 s[22:23], 0
	s_cmp_eq_u64 s[8:9], 0
	s_mov_b64 s[6:7], 0
	s_mov_b64 s[24:25], -1
	s_waitcnt lgkmcnt(0)
	s_barrier
                                        ; implicit-def: $vgpr45
	s_cbranch_scc1 .LBB108_145
; %bb.127:                              ;   in Loop: Header=BB108_9 Depth=1
	v_readlane_b32 s6, v66, 20
	s_add_u32 s28, s8, s6
	v_readlane_b32 s6, v66, 22
	s_addc_u32 s7, s9, s6
	s_mov_b32 s6, s75
	s_cmp_lg_u64 s[6:7], 0
	s_cbranch_scc0 .LBB108_187
; %bb.128:                              ;   in Loop: Header=BB108_9 Depth=1
	v_cvt_f32_u32_e32 v4, s70
	s_sub_u32 s6, 0, s70
	s_subb_u32 s26, 0, 0
	v_fmac_f32_e32 v4, 0, v42
	v_rcp_f32_e32 v4, v4
	s_nop 0
	v_mul_f32_e32 v4, 0x5f7ffffc, v4
	v_mul_f32_e32 v5, 0x2f800000, v4
	v_trunc_f32_e32 v5, v5
	v_fmac_f32_e32 v4, 0xcf800000, v5
	v_cvt_u32_f32_e32 v5, v5
	v_cvt_u32_f32_e32 v4, v4
	v_readfirstlane_b32 s27, v5
	v_readfirstlane_b32 s24, v4
	s_mul_i32 s25, s6, s27
	s_mul_hi_u32 s30, s6, s24
	s_mul_i32 s29, s26, s24
	s_add_i32 s25, s30, s25
	s_mul_i32 s31, s6, s24
	s_add_i32 s25, s25, s29
	s_mul_hi_u32 s30, s24, s31
	s_mul_i32 s34, s24, s25
	s_mul_hi_u32 s29, s24, s25
	s_add_u32 s30, s30, s34
	s_addc_u32 s29, 0, s29
	s_mul_hi_u32 s35, s27, s31
	s_mul_i32 s31, s27, s31
	s_add_u32 s30, s30, s31
	s_mul_hi_u32 s34, s27, s25
	s_addc_u32 s29, s29, s35
	s_addc_u32 s30, s34, 0
	s_mul_i32 s25, s27, s25
	s_add_u32 s25, s29, s25
	s_addc_u32 s29, 0, s30
	s_add_u32 s30, s24, s25
	s_cselect_b64 s[24:25], -1, 0
	s_cmp_lg_u64 s[24:25], 0
	s_addc_u32 s27, s27, s29
	s_mul_i32 s24, s6, s27
	s_mul_hi_u32 s25, s6, s30
	s_add_i32 s24, s25, s24
	s_mul_i32 s26, s26, s30
	s_add_i32 s24, s24, s26
	s_mul_i32 s6, s6, s30
	s_mul_hi_u32 s26, s27, s6
	s_mul_i32 s29, s27, s6
	s_mul_i32 s34, s30, s24
	s_mul_hi_u32 s6, s30, s6
	s_mul_hi_u32 s31, s30, s24
	s_add_u32 s6, s6, s34
	s_addc_u32 s31, 0, s31
	s_add_u32 s6, s6, s29
	s_mul_hi_u32 s25, s27, s24
	s_addc_u32 s6, s31, s26
	s_addc_u32 s25, s25, 0
	s_mul_i32 s24, s27, s24
	s_add_u32 s6, s6, s24
	s_addc_u32 s26, 0, s25
	s_add_u32 s6, s30, s6
	s_cselect_b64 s[24:25], -1, 0
	s_cmp_lg_u64 s[24:25], 0
	s_addc_u32 s24, s27, s26
	s_mul_i32 s26, s28, s24
	s_mul_hi_u32 s27, s28, s6
	s_mul_hi_u32 s25, s28, s24
	s_add_u32 s26, s27, s26
	s_addc_u32 s25, 0, s25
	s_mul_hi_u32 s29, s7, s6
	s_mul_i32 s6, s7, s6
	s_add_u32 s6, s26, s6
	s_mul_hi_u32 s27, s7, s24
	s_addc_u32 s6, s25, s29
	s_addc_u32 s25, s27, 0
	s_mul_i32 s24, s7, s24
	s_add_u32 s6, s6, s24
	s_addc_u32 s24, 0, s25
	s_mul_i32 s24, s70, s24
	s_mul_hi_u32 s25, s70, s6
	s_add_i32 s26, s25, s24
	s_mul_i32 s6, s70, s6
	s_sub_u32 s6, s28, s6
	s_cselect_b64 s[24:25], -1, 0
	s_cmp_lg_u64 s[24:25], 0
	s_subb_u32 s26, s7, s26
	s_sub_u32 s27, s6, s70
	s_cselect_b64 s[24:25], -1, 0
	s_cmp_lg_u64 s[24:25], 0
	s_subb_u32 s29, s26, 0
	s_sub_u32 s30, s27, s70
	s_cselect_b64 s[24:25], -1, 0
	s_cmp_lg_u64 s[24:25], 0
	s_subb_u32 s24, s29, 0
	s_cmp_ge_u32 s27, s70
	s_cselect_b32 s25, -1, 0
	s_cmp_eq_u32 s29, 0
	s_cselect_b32 s25, s25, -1
	s_cmp_lg_u32 s25, 0
	s_cselect_b32 s24, s24, s29
	s_cselect_b32 s27, s30, s27
	s_cmp_ge_u32 s6, s70
	s_cselect_b32 s25, -1, 0
	s_cmp_eq_u32 s26, 0
	s_cselect_b32 s25, s25, -1
	s_cmp_lg_u32 s25, 0
	s_cselect_b32 s25, s24, s26
	s_cselect_b32 s24, s27, s6
	s_cbranch_execnz .LBB108_130
.LBB108_129:                            ;   in Loop: Header=BB108_9 Depth=1
	v_cvt_f32_u32_e32 v4, s70
	s_sub_i32 s6, 0, s70
	v_rcp_iflag_f32_e32 v4, v4
	s_nop 0
	v_mul_f32_e32 v4, 0x4f7ffffe, v4
	v_cvt_u32_f32_e32 v4, v4
	s_nop 0
	v_readfirstlane_b32 s24, v4
	s_mul_i32 s6, s6, s24
	s_mul_hi_u32 s6, s24, s6
	s_add_i32 s24, s24, s6
	s_mul_hi_u32 s6, s28, s24
	s_mul_i32 s6, s6, s70
	s_sub_i32 s6, s28, s6
	s_sub_i32 s24, s6, s70
	s_cmp_ge_u32 s6, s70
	s_cselect_b32 s6, s24, s6
	s_sub_i32 s24, s6, s70
	s_cmp_ge_u32 s6, s70
	s_cselect_b32 s74, s24, s6
	s_mov_b64 s[24:25], s[74:75]
.LBB108_130:                            ;   in Loop: Header=BB108_9 Depth=1
	s_sub_u32 s28, s28, s24
	s_subb_u32 s29, s7, s25
	v_cmp_gt_u64_e32 vcc, s[28:29], v[0:1]
	s_mov_b64 s[24:25], 0
	s_mov_b64 s[6:7], 0
                                        ; implicit-def: $vgpr45
	s_and_saveexec_b64 s[26:27], vcc
	s_cbranch_execz .LBB108_144
; %bb.131:                              ;   in Loop: Header=BB108_9 Depth=1
	v_mov_b32_e32 v10, v35
	v_mov_b64_e32 v[4:5], v[0:1]
                                        ; implicit-def: $sgpr30_sgpr31
	s_branch .LBB108_134
.LBB108_132:                            ;   in Loop: Header=BB108_134 Depth=2
	s_or_b64 exec, exec, s[34:35]
	s_waitcnt lgkmcnt(0)
	s_barrier
	ds_read_b32 v11, v3 offset:3072
	s_mov_b64 s[34:35], -1
	s_waitcnt lgkmcnt(0)
	s_barrier
	v_cmp_ne_u32_sdwa s[36:37], v11, v3 src0_sel:WORD_0 src1_sel:DWORD
	s_and_b64 vcc, exec, s[36:37]
	s_mov_b64 s[36:37], -1
	s_cbranch_vccz .LBB108_137
.LBB108_133:                            ;   in Loop: Header=BB108_134 Depth=2
	s_and_b64 s[34:35], exec, s[34:35]
	s_or_b64 s[6:7], s[34:35], s[6:7]
	s_andn2_b64 s[30:31], s[30:31], exec
	s_and_b64 s[34:35], s[36:37], exec
	s_or_b64 s[30:31], s[30:31], s[34:35]
	s_andn2_b64 exec, exec, s[6:7]
	s_cbranch_execz .LBB108_143
.LBB108_134:                            ;   Parent Loop BB108_9 Depth=1
                                        ; =>  This Inner Loop Header: Depth=2
	v_cmp_gt_u64_e32 vcc, s[8:9], v[4:5]
	s_and_saveexec_b64 s[34:35], vcc
	s_cbranch_execz .LBB108_132
; %bb.135:                              ;   in Loop: Header=BB108_134 Depth=2
	ds_read_u16 v11, v10
	s_waitcnt lgkmcnt(0)
	v_add_u32_sdwa v30, sext(v11), s85 dst_sel:DWORD dst_unused:UNUSED_PAD src0_sel:WORD_0 src1_sel:DWORD
	v_and_b32_e32 v30, v30, v44
	v_cmp_eq_u32_e32 vcc, v30, v41
	s_and_b64 exec, exec, vcc
	s_cbranch_execz .LBB108_132
; %bb.136:                              ;   in Loop: Header=BB108_134 Depth=2
	v_perm_b32 v11, v11, 1, v43
	ds_write_b32 v3, v11 offset:3072
	s_branch .LBB108_132
.LBB108_137:                            ;   in Loop: Header=BB108_134 Depth=2
	v_lshl_add_u64 v[4:5], v[4:5], 0, s[70:71]
	v_cmp_le_u64_e32 vcc, s[28:29], v[4:5]
	v_add_u32_e32 v10, s84, v10
	s_mov_b64 s[36:37], 0
	s_orn2_b64 s[34:35], vcc, exec
	s_branch .LBB108_133
.LBB108_138:                            ;   in Loop: Header=BB108_9 Depth=1
                                        ; implicit-def: $sgpr18_sgpr19
	s_branch .LBB108_86
.LBB108_139:                            ;   in Loop: Header=BB108_9 Depth=1
	s_or_b64 exec, exec, s[8:9]
	s_waitcnt lgkmcnt(0)
	s_barrier
	s_mov_b64 s[0:1], exec
	v_readlane_b32 s2, v66, 0
	v_readlane_b32 s3, v66, 1
	s_and_b64 s[2:3], s[0:1], s[2:3]
	s_mov_b64 exec, s[2:3]
	s_cbranch_execz .LBB108_141
; %bb.140:                              ;   in Loop: Header=BB108_9 Depth=1
	ds_read_b32 v4, v3 offset:5144
	s_waitcnt lgkmcnt(0)
	v_ashrrev_i32_e32 v5, 31, v4
	ds_write_b64 v3, v[4:5] offset:5120
.LBB108_141:                            ;   in Loop: Header=BB108_9 Depth=1
	s_or_b64 exec, exec, s[0:1]
	s_waitcnt lgkmcnt(0)
	s_barrier
	s_mov_b64 s[0:1], -1
	s_and_b64 vcc, exec, s[6:7]
	s_cbranch_vccnz .LBB108_24
	s_branch .LBB108_39
.LBB108_142:                            ;   in Loop: Header=BB108_9 Depth=1
                                        ; implicit-def: $sgpr6_sgpr7
	s_branch .LBB108_100
.LBB108_143:                            ;   in Loop: Header=BB108_9 Depth=1
	s_or_b64 exec, exec, s[6:7]
	v_lshrrev_b32_e32 v45, 16, v11
	s_and_b64 s[6:7], s[30:31], exec
.LBB108_144:                            ;   in Loop: Header=BB108_9 Depth=1
	s_or_b64 exec, exec, s[26:27]
.LBB108_145:                            ;   in Loop: Header=BB108_9 Depth=1
	s_and_b64 vcc, exec, s[24:25]
	s_cbranch_vccz .LBB108_159
; %bb.146:                              ;   in Loop: Header=BB108_9 Depth=1
	s_mov_b32 s82, s75
	s_cmp_lg_u64 s[82:83], 0
	s_cbranch_scc0 .LBB108_188
; %bb.147:                              ;   in Loop: Header=BB108_9 Depth=1
	v_cvt_f32_u32_e32 v4, s70
	s_sub_u32 s8, 0, s70
	s_subb_u32 s9, 0, 0
	v_fmac_f32_e32 v4, 0, v42
	v_rcp_f32_e32 v4, v4
	s_nop 0
	v_mul_f32_e32 v4, 0x5f7ffffc, v4
	v_mul_f32_e32 v5, 0x2f800000, v4
	v_trunc_f32_e32 v5, v5
	v_fmac_f32_e32 v4, 0xcf800000, v5
	v_cvt_u32_f32_e32 v5, v5
	v_cvt_u32_f32_e32 v4, v4
	v_readfirstlane_b32 s22, v5
	v_readfirstlane_b32 s0, v4
	s_mul_i32 s1, s8, s22
	s_mul_hi_u32 s24, s8, s0
	s_mul_i32 s23, s9, s0
	s_add_i32 s1, s24, s1
	s_mul_i32 s25, s8, s0
	s_add_i32 s1, s1, s23
	s_mul_hi_u32 s24, s0, s25
	s_mul_i32 s26, s0, s1
	s_mul_hi_u32 s23, s0, s1
	s_add_u32 s24, s24, s26
	s_addc_u32 s23, 0, s23
	s_mul_hi_u32 s27, s22, s25
	s_mul_i32 s25, s22, s25
	s_add_u32 s24, s24, s25
	s_mul_hi_u32 s26, s22, s1
	s_addc_u32 s23, s23, s27
	s_addc_u32 s24, s26, 0
	s_mul_i32 s1, s22, s1
	s_add_u32 s1, s23, s1
	s_addc_u32 s23, 0, s24
	s_add_u32 s24, s0, s1
	s_cselect_b64 s[0:1], -1, 0
	s_cmp_lg_u64 s[0:1], 0
	s_addc_u32 s22, s22, s23
	s_mul_i32 s0, s8, s22
	s_mul_hi_u32 s1, s8, s24
	s_add_i32 s0, s1, s0
	s_mul_i32 s9, s9, s24
	s_add_i32 s0, s0, s9
	s_mul_i32 s8, s8, s24
	s_mul_hi_u32 s9, s22, s8
	s_mul_i32 s23, s22, s8
	s_mul_i32 s26, s24, s0
	s_mul_hi_u32 s8, s24, s8
	s_mul_hi_u32 s25, s24, s0
	s_add_u32 s8, s8, s26
	s_addc_u32 s25, 0, s25
	s_add_u32 s8, s8, s23
	s_mul_hi_u32 s1, s22, s0
	s_addc_u32 s8, s25, s9
	s_addc_u32 s1, s1, 0
	s_mul_i32 s0, s22, s0
	s_add_u32 s0, s8, s0
	s_addc_u32 s8, 0, s1
	s_add_u32 s9, s24, s0
	s_cselect_b64 s[0:1], -1, 0
	s_cmp_lg_u64 s[0:1], 0
	s_addc_u32 s0, s22, s8
	v_readlane_b32 s24, v66, 21
	s_mul_i32 s8, s24, s0
	s_mul_hi_u32 s22, s24, s9
	s_mul_hi_u32 s1, s24, s0
	s_add_u32 s8, s22, s8
	s_addc_u32 s1, 0, s1
	s_mul_hi_u32 s23, s83, s9
	s_mul_i32 s9, s83, s9
	s_add_u32 s8, s8, s9
	s_mul_hi_u32 s22, s83, s0
	s_addc_u32 s1, s1, s23
	s_addc_u32 s8, s22, 0
	s_mul_i32 s0, s83, s0
	s_add_u32 s0, s1, s0
	s_addc_u32 s1, 0, s8
	s_mul_i32 s1, s70, s1
	s_mul_hi_u32 s8, s70, s0
	s_add_i32 s8, s8, s1
	s_mul_i32 s0, s70, s0
	s_sub_u32 s9, s24, s0
	s_cselect_b64 s[0:1], -1, 0
	s_cmp_lg_u64 s[0:1], 0
	s_subb_u32 s8, s83, s8
	s_sub_u32 s22, s9, s70
	s_cselect_b64 s[0:1], -1, 0
	s_cmp_lg_u64 s[0:1], 0
	s_subb_u32 s23, s8, 0
	;; [unrolled: 4-line block ×3, first 2 shown]
	s_cmp_ge_u32 s22, s70
	s_cselect_b32 s1, -1, 0
	s_cmp_eq_u32 s23, 0
	s_cselect_b32 s1, s1, -1
	s_cmp_lg_u32 s1, 0
	s_cselect_b32 s0, s0, s23
	s_cselect_b32 s22, s24, s22
	s_cmp_ge_u32 s9, s70
	s_cselect_b32 s1, -1, 0
	s_cmp_eq_u32 s8, 0
	s_cselect_b32 s1, s1, -1
	s_cmp_lg_u32 s1, 0
	s_cselect_b32 s1, s0, s8
	s_cselect_b32 s0, s22, s9
	s_cbranch_execnz .LBB108_149
.LBB108_148:                            ;   in Loop: Header=BB108_9 Depth=1
	v_cvt_f32_u32_e32 v4, s70
	s_sub_i32 s0, 0, s70
	v_readlane_b32 s8, v66, 21
	v_rcp_iflag_f32_e32 v4, v4
	s_nop 0
	v_mul_f32_e32 v4, 0x4f7ffffe, v4
	v_cvt_u32_f32_e32 v4, v4
	s_nop 0
	v_readfirstlane_b32 s1, v4
	s_mul_i32 s0, s0, s1
	s_mul_hi_u32 s0, s1, s0
	s_add_i32 s1, s1, s0
	s_mul_hi_u32 s0, s8, s1
	s_mul_i32 s0, s0, s70
	s_sub_i32 s0, s8, s0
	s_sub_i32 s1, s0, s70
	s_cmp_ge_u32 s0, s70
	s_cselect_b32 s0, s1, s0
	s_sub_i32 s1, s0, s70
	s_cmp_ge_u32 s0, s70
	s_cselect_b32 s74, s1, s0
	s_mov_b64 s[0:1], s[74:75]
.LBB108_149:                            ;   in Loop: Header=BB108_9 Depth=1
	v_readlane_b32 s8, v66, 21
	s_sub_u32 s8, s8, s0
	s_subb_u32 s9, s83, s1
	v_cmp_gt_u64_e32 vcc, s[8:9], v[0:1]
                                        ; implicit-def: $vgpr45
	s_and_saveexec_b64 s[0:1], vcc
	s_cbranch_execz .LBB108_158
; %bb.150:                              ;   in Loop: Header=BB108_9 Depth=1
	s_mov_b64 s[22:23], 0
	v_mov_b64_e32 v[4:5], v[12:13]
	v_mov_b64_e32 v[10:11], v[0:1]
                                        ; implicit-def: $sgpr24_sgpr25
	s_branch .LBB108_153
.LBB108_151:                            ;   in Loop: Header=BB108_153 Depth=2
	s_or_b64 exec, exec, s[26:27]
	s_waitcnt lgkmcnt(0)
	s_barrier
	ds_read_b32 v30, v3 offset:3072
	s_mov_b64 s[26:27], -1
	s_waitcnt lgkmcnt(0)
	s_barrier
	v_cmp_eq_u32_sdwa s[28:29], v30, v3 src0_sel:WORD_0 src1_sel:DWORD
	s_and_b64 vcc, exec, s[28:29]
	s_mov_b64 s[28:29], -1
	s_cbranch_vccnz .LBB108_156
.LBB108_152:                            ;   in Loop: Header=BB108_153 Depth=2
	s_and_b64 s[26:27], exec, s[26:27]
	s_or_b64 s[22:23], s[26:27], s[22:23]
	s_andn2_b64 s[24:25], s[24:25], exec
	s_and_b64 s[26:27], s[28:29], exec
	s_or_b64 s[24:25], s[24:25], s[26:27]
	s_andn2_b64 exec, exec, s[22:23]
	s_cbranch_execz .LBB108_157
.LBB108_153:                            ;   Parent Loop BB108_9 Depth=1
                                        ; =>  This Inner Loop Header: Depth=2
	v_cmp_gt_u64_e32 vcc, s[56:57], v[10:11]
	s_and_saveexec_b64 s[26:27], vcc
	s_cbranch_execz .LBB108_151
; %bb.154:                              ;   in Loop: Header=BB108_153 Depth=2
	global_load_ushort v30, v[4:5], off
	s_waitcnt vmcnt(0)
	v_add_u32_sdwa v31, sext(v30), s85 dst_sel:DWORD dst_unused:UNUSED_PAD src0_sel:WORD_0 src1_sel:DWORD
	v_and_b32_e32 v31, v31, v44
	v_cmp_eq_u32_e32 vcc, v31, v41
	s_and_b64 exec, exec, vcc
	s_cbranch_execz .LBB108_151
; %bb.155:                              ;   in Loop: Header=BB108_153 Depth=2
	v_perm_b32 v30, v30, 1, v43
	ds_write_b32 v3, v30 offset:3072
	s_branch .LBB108_151
.LBB108_156:                            ;   in Loop: Header=BB108_153 Depth=2
	v_lshl_add_u64 v[10:11], v[10:11], 0, s[70:71]
	v_cmp_le_u64_e32 vcc, s[8:9], v[10:11]
	v_lshl_add_u64 v[4:5], v[4:5], 0, s[78:79]
	s_mov_b64 s[28:29], 0
	s_orn2_b64 s[26:27], vcc, exec
	s_branch .LBB108_152
.LBB108_157:                            ;   in Loop: Header=BB108_9 Depth=1
	s_or_b64 exec, exec, s[22:23]
	s_andn2_b64 s[6:7], s[6:7], exec
	s_and_b64 s[8:9], s[24:25], exec
	v_lshrrev_b32_e32 v45, 16, v30
	s_or_b64 s[6:7], s[6:7], s[8:9]
.LBB108_158:                            ;   in Loop: Header=BB108_9 Depth=1
	s_or_b64 exec, exec, s[0:1]
	s_mov_b64 s[0:1], 0
	s_mov_b64 s[22:23], -1
.LBB108_159:                            ;   in Loop: Header=BB108_9 Depth=1
	s_orn2_b64 s[6:7], s[6:7], exec
.LBB108_160:                            ;   in Loop: Header=BB108_9 Depth=1
	s_or_b64 exec, exec, s[12:13]
	s_mov_b64 s[8:9], 0
	s_and_saveexec_b64 s[24:25], s[6:7]
	s_cbranch_execz .LBB108_266
; %bb.161:                              ;   in Loop: Header=BB108_9 Depth=1
	s_xor_b64 s[10:11], s[10:11], -1
	v_mov_b32_e32 v2, 1
	v_mov_b64_e32 v[4:5], 1
	s_and_saveexec_b64 s[6:7], s[10:11]
	s_cbranch_execz .LBB108_171
; %bb.162:                              ;   in Loop: Header=BB108_9 Depth=1
	v_cmp_le_u64_e32 vcc, v[8:9], v[6:7]
	s_and_saveexec_b64 s[8:9], vcc
	s_xor_b64 s[8:9], exec, s[8:9]
	s_cbranch_execz .LBB108_168
; %bb.163:                              ;   in Loop: Header=BB108_9 Depth=1
	ds_read_b64 v[4:5], v3 offset:5120
	v_and_b32_e32 v2, s46, v41
	v_lshl_or_b32 v41, 1, s33, v2
	v_or_b32_e32 v44, s52, v44
	s_waitcnt lgkmcnt(0)
	v_cmp_ne_u64_e32 vcc, 0, v[4:5]
	s_cbranch_vccnz .LBB108_167
; %bb.164:                              ;   in Loop: Header=BB108_9 Depth=1
	s_mov_b64 s[10:11], exec
	v_readlane_b32 s12, v66, 0
	v_readlane_b32 s13, v66, 1
	s_and_b64 s[12:13], s[10:11], s[12:13]
	s_mov_b64 exec, s[12:13]
; %bb.165:                              ;   in Loop: Header=BB108_9 Depth=1
	ds_write_b64 v3, v[6:7] offset:5128
; %bb.166:                              ;   in Loop: Header=BB108_9 Depth=1
	s_or_b64 exec, exec, s[10:11]
	s_waitcnt lgkmcnt(0)
	s_barrier
.LBB108_167:                            ;   in Loop: Header=BB108_9 Depth=1
                                        ; implicit-def: $vgpr4_vgpr5_vgpr6_vgpr7
.LBB108_168:                            ;   in Loop: Header=BB108_9 Depth=1
	s_or_saveexec_b64 s[8:9], s[8:9]
	s_mov_b64 s[10:11], 0
	v_mov_b32_e32 v2, 8
	s_xor_b64 exec, exec, s[8:9]
; %bb.169:                              ;   in Loop: Header=BB108_9 Depth=1
	v_sub_co_u32_e32 v8, vcc, v8, v6
	s_mov_b64 s[10:11], exec
	s_nop 0
	v_subb_co_u32_e32 v9, vcc, v9, v7, vcc
	v_mov_b32_e32 v2, 0
; %bb.170:                              ;   in Loop: Header=BB108_9 Depth=1
	s_or_b64 exec, exec, s[8:9]
	s_and_b64 s[8:9], s[10:11], exec
	v_mov_b64_e32 v[4:5], v[8:9]
.LBB108_171:                            ;   in Loop: Header=BB108_9 Depth=1
	s_or_b64 exec, exec, s[6:7]
	s_mov_b64 s[6:7], -1
                                        ; implicit-def: $sgpr28_sgpr29
                                        ; implicit-def: $sgpr36_sgpr37
	s_and_saveexec_b64 s[26:27], s[8:9]
	s_cbranch_execz .LBB108_265
; %bb.172:                              ;   in Loop: Header=BB108_9 Depth=1
	s_cmp_eq_u64 s[20:21], 1
	s_cselect_b64 s[6:7], -1, 0
	v_cmp_eq_u64_e32 vcc, 1, v[4:5]
	s_and_b64 s[10:11], s[6:7], vcc
	s_mov_b64 s[6:7], -1
                                        ; implicit-def: $sgpr36_sgpr37
                                        ; implicit-def: $sgpr28_sgpr29
	s_and_saveexec_b64 s[12:13], s[10:11]
	s_cbranch_execz .LBB108_206
; %bb.173:                              ;   in Loop: Header=BB108_9 Depth=1
	ds_read_b64 v[6:7], v3 offset:5120
	s_waitcnt lgkmcnt(0)
	s_barrier
	v_readfirstlane_b32 s8, v6
	v_readfirstlane_b32 s9, v7
	s_mov_b64 s[6:7], exec
	v_readlane_b32 s28, v66, 14
	v_readlane_b32 s29, v66, 15
	s_and_b64 s[28:29], s[6:7], s[28:29]
	s_mov_b64 exec, s[28:29]
; %bb.174:                              ;   in Loop: Header=BB108_9 Depth=1
	ds_write_b16 v36, v3
; %bb.175:                              ;   in Loop: Header=BB108_9 Depth=1
	s_or_b64 exec, exec, s[6:7]
	v_and_b32_e32 v6, s46, v41
	v_lshl_or_b32 v41, 2, s33, v6
	v_or_b32_e32 v44, s52, v44
	s_mov_b64 s[28:29], -1
	s_mov_b64 s[36:37], 0
	s_cmp_eq_u64 s[8:9], 0
	s_mov_b64 s[6:7], 0
	s_mov_b64 s[30:31], -1
	s_waitcnt lgkmcnt(0)
	s_barrier
                                        ; implicit-def: $vgpr45
	s_cbranch_scc1 .LBB108_191
; %bb.176:                              ;   in Loop: Header=BB108_9 Depth=1
	v_readlane_b32 s6, v66, 20
	s_add_u32 s38, s8, s6
	v_readlane_b32 s6, v66, 22
	s_addc_u32 s7, s9, s6
	s_mov_b32 s6, s75
	s_cmp_lg_u64 s[6:7], 0
	s_cbranch_scc0 .LBB108_232
; %bb.177:                              ;   in Loop: Header=BB108_9 Depth=1
	v_cvt_f32_u32_e32 v6, s70
	s_sub_u32 s6, 0, s70
	s_subb_u32 s34, 0, 0
	v_fmac_f32_e32 v6, 0, v42
	v_rcp_f32_e32 v6, v6
	s_nop 0
	v_mul_f32_e32 v6, 0x5f7ffffc, v6
	v_mul_f32_e32 v7, 0x2f800000, v6
	v_trunc_f32_e32 v7, v7
	v_fmac_f32_e32 v6, 0xcf800000, v7
	v_cvt_u32_f32_e32 v7, v7
	v_cvt_u32_f32_e32 v6, v6
	v_readfirstlane_b32 s35, v7
	v_readfirstlane_b32 s30, v6
	s_mul_i32 s31, s6, s35
	s_mul_hi_u32 s40, s6, s30
	s_mul_i32 s39, s34, s30
	s_add_i32 s31, s40, s31
	s_mul_i32 s41, s6, s30
	s_add_i32 s31, s31, s39
	s_mul_hi_u32 s40, s30, s41
	s_mul_i32 s42, s30, s31
	s_mul_hi_u32 s39, s30, s31
	s_add_u32 s40, s40, s42
	s_addc_u32 s39, 0, s39
	s_mul_hi_u32 s43, s35, s41
	s_mul_i32 s41, s35, s41
	s_add_u32 s40, s40, s41
	s_mul_hi_u32 s42, s35, s31
	s_addc_u32 s39, s39, s43
	s_addc_u32 s40, s42, 0
	s_mul_i32 s31, s35, s31
	s_add_u32 s31, s39, s31
	s_addc_u32 s39, 0, s40
	s_add_u32 s40, s30, s31
	s_cselect_b64 s[30:31], -1, 0
	s_cmp_lg_u64 s[30:31], 0
	s_addc_u32 s35, s35, s39
	s_mul_i32 s30, s6, s35
	s_mul_hi_u32 s31, s6, s40
	s_add_i32 s30, s31, s30
	s_mul_i32 s34, s34, s40
	s_add_i32 s30, s30, s34
	s_mul_i32 s6, s6, s40
	s_mul_hi_u32 s34, s35, s6
	s_mul_i32 s39, s35, s6
	s_mul_i32 s42, s40, s30
	s_mul_hi_u32 s6, s40, s6
	s_mul_hi_u32 s41, s40, s30
	s_add_u32 s6, s6, s42
	s_addc_u32 s41, 0, s41
	s_add_u32 s6, s6, s39
	s_mul_hi_u32 s31, s35, s30
	s_addc_u32 s6, s41, s34
	s_addc_u32 s31, s31, 0
	s_mul_i32 s30, s35, s30
	s_add_u32 s6, s6, s30
	s_addc_u32 s34, 0, s31
	s_add_u32 s6, s40, s6
	s_cselect_b64 s[30:31], -1, 0
	s_cmp_lg_u64 s[30:31], 0
	s_addc_u32 s30, s35, s34
	s_mul_i32 s34, s38, s30
	s_mul_hi_u32 s35, s38, s6
	s_mul_hi_u32 s31, s38, s30
	s_add_u32 s34, s35, s34
	s_addc_u32 s31, 0, s31
	s_mul_hi_u32 s39, s7, s6
	s_mul_i32 s6, s7, s6
	s_add_u32 s6, s34, s6
	s_mul_hi_u32 s35, s7, s30
	s_addc_u32 s6, s31, s39
	s_addc_u32 s31, s35, 0
	s_mul_i32 s30, s7, s30
	s_add_u32 s6, s6, s30
	s_addc_u32 s30, 0, s31
	s_mul_i32 s30, s70, s30
	s_mul_hi_u32 s31, s70, s6
	s_add_i32 s34, s31, s30
	s_mul_i32 s6, s70, s6
	s_sub_u32 s6, s38, s6
	s_cselect_b64 s[30:31], -1, 0
	s_cmp_lg_u64 s[30:31], 0
	s_subb_u32 s34, s7, s34
	s_sub_u32 s35, s6, s70
	s_cselect_b64 s[30:31], -1, 0
	s_cmp_lg_u64 s[30:31], 0
	s_subb_u32 s39, s34, 0
	;; [unrolled: 4-line block ×3, first 2 shown]
	s_cmp_ge_u32 s35, s70
	s_cselect_b32 s31, -1, 0
	s_cmp_eq_u32 s39, 0
	s_cselect_b32 s31, s31, -1
	s_cmp_lg_u32 s31, 0
	s_cselect_b32 s30, s30, s39
	s_cselect_b32 s35, s40, s35
	s_cmp_ge_u32 s6, s70
	s_cselect_b32 s31, -1, 0
	s_cmp_eq_u32 s34, 0
	s_cselect_b32 s31, s31, -1
	s_cmp_lg_u32 s31, 0
	s_cselect_b32 s31, s30, s34
	s_cselect_b32 s30, s35, s6
	s_cbranch_execnz .LBB108_179
.LBB108_178:                            ;   in Loop: Header=BB108_9 Depth=1
	v_cvt_f32_u32_e32 v6, s70
	s_sub_i32 s6, 0, s70
	v_rcp_iflag_f32_e32 v6, v6
	s_nop 0
	v_mul_f32_e32 v6, 0x4f7ffffe, v6
	v_cvt_u32_f32_e32 v6, v6
	s_nop 0
	v_readfirstlane_b32 s30, v6
	s_mul_i32 s6, s6, s30
	s_mul_hi_u32 s6, s30, s6
	s_add_i32 s30, s30, s6
	s_mul_hi_u32 s6, s38, s30
	s_mul_i32 s6, s6, s70
	s_sub_i32 s6, s38, s6
	s_sub_i32 s30, s6, s70
	s_cmp_ge_u32 s6, s70
	s_cselect_b32 s6, s30, s6
	s_sub_i32 s30, s6, s70
	s_cmp_ge_u32 s6, s70
	s_cselect_b32 s74, s30, s6
	s_mov_b64 s[30:31], s[74:75]
.LBB108_179:                            ;   in Loop: Header=BB108_9 Depth=1
	s_sub_u32 s38, s38, s30
	s_subb_u32 s39, s7, s31
	v_cmp_gt_u64_e32 vcc, s[38:39], v[0:1]
	s_mov_b64 s[30:31], 0
	s_mov_b64 s[6:7], 0
                                        ; implicit-def: $vgpr45
	s_and_saveexec_b64 s[34:35], vcc
	s_cbranch_execz .LBB108_190
; %bb.180:                              ;   in Loop: Header=BB108_9 Depth=1
	v_mov_b32_e32 v8, v35
	v_mov_b64_e32 v[6:7], v[0:1]
                                        ; implicit-def: $sgpr40_sgpr41
	s_branch .LBB108_183
.LBB108_181:                            ;   in Loop: Header=BB108_183 Depth=2
	s_or_b64 exec, exec, s[42:43]
	s_waitcnt lgkmcnt(0)
	s_barrier
	ds_read_b32 v9, v3 offset:3072
	s_mov_b64 s[42:43], -1
	s_waitcnt lgkmcnt(0)
	s_barrier
	v_cmp_ne_u32_sdwa s[44:45], v9, v3 src0_sel:WORD_0 src1_sel:DWORD
	s_and_b64 vcc, exec, s[44:45]
	s_mov_b64 s[44:45], -1
	s_cbranch_vccz .LBB108_186
.LBB108_182:                            ;   in Loop: Header=BB108_183 Depth=2
	s_and_b64 s[42:43], exec, s[42:43]
	s_or_b64 s[6:7], s[42:43], s[6:7]
	s_andn2_b64 s[40:41], s[40:41], exec
	s_and_b64 s[42:43], s[44:45], exec
	s_or_b64 s[40:41], s[40:41], s[42:43]
	s_andn2_b64 exec, exec, s[6:7]
	s_cbranch_execz .LBB108_189
.LBB108_183:                            ;   Parent Loop BB108_9 Depth=1
                                        ; =>  This Inner Loop Header: Depth=2
	v_cmp_gt_u64_e32 vcc, s[8:9], v[6:7]
	s_and_saveexec_b64 s[42:43], vcc
	s_cbranch_execz .LBB108_181
; %bb.184:                              ;   in Loop: Header=BB108_183 Depth=2
	ds_read_u16 v9, v8
	s_waitcnt lgkmcnt(0)
	v_add_u32_sdwa v10, sext(v9), s85 dst_sel:DWORD dst_unused:UNUSED_PAD src0_sel:WORD_0 src1_sel:DWORD
	v_and_b32_e32 v10, v10, v44
	v_cmp_eq_u32_e32 vcc, v10, v41
	s_and_b64 exec, exec, vcc
	s_cbranch_execz .LBB108_181
; %bb.185:                              ;   in Loop: Header=BB108_183 Depth=2
	v_perm_b32 v9, v9, 1, v43
	ds_write_b32 v3, v9 offset:3072
	s_branch .LBB108_181
.LBB108_186:                            ;   in Loop: Header=BB108_183 Depth=2
	v_lshl_add_u64 v[6:7], v[6:7], 0, s[70:71]
	v_cmp_le_u64_e32 vcc, s[38:39], v[6:7]
	v_add_u32_e32 v8, s84, v8
	s_mov_b64 s[44:45], 0
	s_orn2_b64 s[42:43], vcc, exec
	s_branch .LBB108_182
.LBB108_187:                            ;   in Loop: Header=BB108_9 Depth=1
                                        ; implicit-def: $sgpr24_sgpr25
	s_branch .LBB108_129
.LBB108_188:                            ;   in Loop: Header=BB108_9 Depth=1
                                        ; implicit-def: $sgpr0_sgpr1
	s_branch .LBB108_148
.LBB108_189:                            ;   in Loop: Header=BB108_9 Depth=1
	s_or_b64 exec, exec, s[6:7]
	v_lshrrev_b32_e32 v45, 16, v9
	s_and_b64 s[6:7], s[40:41], exec
.LBB108_190:                            ;   in Loop: Header=BB108_9 Depth=1
	s_or_b64 exec, exec, s[34:35]
.LBB108_191:                            ;   in Loop: Header=BB108_9 Depth=1
	s_and_b64 vcc, exec, s[30:31]
	s_cbranch_vccz .LBB108_205
; %bb.192:                              ;   in Loop: Header=BB108_9 Depth=1
	s_mov_b32 s82, s75
	s_cmp_lg_u64 s[82:83], 0
	s_cbranch_scc0 .LBB108_233
; %bb.193:                              ;   in Loop: Header=BB108_9 Depth=1
	v_cvt_f32_u32_e32 v6, s70
	s_sub_u32 s28, 0, s70
	s_subb_u32 s29, 0, 0
	v_fmac_f32_e32 v6, 0, v42
	v_rcp_f32_e32 v6, v6
	s_nop 0
	v_mul_f32_e32 v6, 0x5f7ffffc, v6
	v_mul_f32_e32 v7, 0x2f800000, v6
	v_trunc_f32_e32 v7, v7
	v_fmac_f32_e32 v6, 0xcf800000, v7
	v_cvt_u32_f32_e32 v7, v7
	v_cvt_u32_f32_e32 v6, v6
	v_readfirstlane_b32 s30, v7
	v_readfirstlane_b32 s8, v6
	s_mul_i32 s9, s28, s30
	s_mul_hi_u32 s34, s28, s8
	s_mul_i32 s31, s29, s8
	s_add_i32 s9, s34, s9
	s_mul_i32 s35, s28, s8
	s_add_i32 s9, s9, s31
	s_mul_hi_u32 s34, s8, s35
	s_mul_i32 s36, s8, s9
	s_mul_hi_u32 s31, s8, s9
	s_add_u32 s34, s34, s36
	s_addc_u32 s31, 0, s31
	s_mul_hi_u32 s37, s30, s35
	s_mul_i32 s35, s30, s35
	s_add_u32 s34, s34, s35
	s_mul_hi_u32 s36, s30, s9
	s_addc_u32 s31, s31, s37
	s_addc_u32 s34, s36, 0
	s_mul_i32 s9, s30, s9
	s_add_u32 s9, s31, s9
	s_addc_u32 s31, 0, s34
	s_add_u32 s34, s8, s9
	s_cselect_b64 s[8:9], -1, 0
	s_cmp_lg_u64 s[8:9], 0
	s_addc_u32 s30, s30, s31
	s_mul_i32 s8, s28, s30
	s_mul_hi_u32 s9, s28, s34
	s_add_i32 s8, s9, s8
	s_mul_i32 s29, s29, s34
	s_add_i32 s8, s8, s29
	s_mul_i32 s28, s28, s34
	s_mul_hi_u32 s29, s30, s28
	s_mul_i32 s31, s30, s28
	s_mul_i32 s36, s34, s8
	s_mul_hi_u32 s28, s34, s28
	s_mul_hi_u32 s35, s34, s8
	s_add_u32 s28, s28, s36
	s_addc_u32 s35, 0, s35
	s_add_u32 s28, s28, s31
	s_mul_hi_u32 s9, s30, s8
	s_addc_u32 s28, s35, s29
	s_addc_u32 s9, s9, 0
	s_mul_i32 s8, s30, s8
	s_add_u32 s8, s28, s8
	s_addc_u32 s28, 0, s9
	s_add_u32 s29, s34, s8
	s_cselect_b64 s[8:9], -1, 0
	s_cmp_lg_u64 s[8:9], 0
	s_addc_u32 s8, s30, s28
	v_readlane_b32 s34, v66, 21
	s_mul_i32 s28, s34, s8
	s_mul_hi_u32 s30, s34, s29
	s_mul_hi_u32 s9, s34, s8
	s_add_u32 s28, s30, s28
	s_addc_u32 s9, 0, s9
	s_mul_hi_u32 s31, s83, s29
	s_mul_i32 s29, s83, s29
	s_add_u32 s28, s28, s29
	s_mul_hi_u32 s30, s83, s8
	s_addc_u32 s9, s9, s31
	s_addc_u32 s28, s30, 0
	s_mul_i32 s8, s83, s8
	s_add_u32 s8, s9, s8
	s_addc_u32 s9, 0, s28
	s_mul_i32 s9, s70, s9
	s_mul_hi_u32 s28, s70, s8
	s_add_i32 s28, s28, s9
	s_mul_i32 s8, s70, s8
	s_sub_u32 s29, s34, s8
	s_cselect_b64 s[8:9], -1, 0
	s_cmp_lg_u64 s[8:9], 0
	s_subb_u32 s28, s83, s28
	s_sub_u32 s30, s29, s70
	s_cselect_b64 s[8:9], -1, 0
	s_cmp_lg_u64 s[8:9], 0
	s_subb_u32 s31, s28, 0
	;; [unrolled: 4-line block ×3, first 2 shown]
	s_cmp_ge_u32 s30, s70
	s_cselect_b32 s9, -1, 0
	s_cmp_eq_u32 s31, 0
	s_cselect_b32 s9, s9, -1
	s_cmp_lg_u32 s9, 0
	s_cselect_b32 s8, s8, s31
	s_cselect_b32 s30, s34, s30
	s_cmp_ge_u32 s29, s70
	s_cselect_b32 s9, -1, 0
	s_cmp_eq_u32 s28, 0
	s_cselect_b32 s9, s9, -1
	s_cmp_lg_u32 s9, 0
	s_cselect_b32 s9, s8, s28
	s_cselect_b32 s8, s30, s29
	s_cbranch_execnz .LBB108_195
.LBB108_194:                            ;   in Loop: Header=BB108_9 Depth=1
	v_cvt_f32_u32_e32 v6, s70
	s_sub_i32 s8, 0, s70
	v_readlane_b32 s28, v66, 21
	v_rcp_iflag_f32_e32 v6, v6
	s_nop 0
	v_mul_f32_e32 v6, 0x4f7ffffe, v6
	v_cvt_u32_f32_e32 v6, v6
	s_nop 0
	v_readfirstlane_b32 s9, v6
	s_mul_i32 s8, s8, s9
	s_mul_hi_u32 s8, s9, s8
	s_add_i32 s9, s9, s8
	s_mul_hi_u32 s8, s28, s9
	s_mul_i32 s8, s8, s70
	s_sub_i32 s8, s28, s8
	s_sub_i32 s9, s8, s70
	s_cmp_ge_u32 s8, s70
	s_cselect_b32 s8, s9, s8
	s_sub_i32 s9, s8, s70
	s_cmp_ge_u32 s8, s70
	s_cselect_b32 s74, s9, s8
	s_mov_b64 s[8:9], s[74:75]
.LBB108_195:                            ;   in Loop: Header=BB108_9 Depth=1
	v_readlane_b32 s28, v66, 21
	s_sub_u32 s28, s28, s8
	s_subb_u32 s29, s83, s9
	v_cmp_gt_u64_e32 vcc, s[28:29], v[0:1]
                                        ; implicit-def: $vgpr45
	s_and_saveexec_b64 s[8:9], vcc
	s_cbranch_execz .LBB108_204
; %bb.196:                              ;   in Loop: Header=BB108_9 Depth=1
	s_mov_b64 s[30:31], 0
	v_mov_b64_e32 v[6:7], v[12:13]
	v_mov_b64_e32 v[8:9], v[0:1]
                                        ; implicit-def: $sgpr34_sgpr35
	s_branch .LBB108_199
.LBB108_197:                            ;   in Loop: Header=BB108_199 Depth=2
	s_or_b64 exec, exec, s[36:37]
	s_waitcnt lgkmcnt(0)
	s_barrier
	ds_read_b32 v10, v3 offset:3072
	s_mov_b64 s[36:37], -1
	s_waitcnt lgkmcnt(0)
	s_barrier
	v_cmp_eq_u32_sdwa s[38:39], v10, v3 src0_sel:WORD_0 src1_sel:DWORD
	s_and_b64 vcc, exec, s[38:39]
	s_mov_b64 s[38:39], -1
	s_cbranch_vccnz .LBB108_202
.LBB108_198:                            ;   in Loop: Header=BB108_199 Depth=2
	s_and_b64 s[36:37], exec, s[36:37]
	s_or_b64 s[30:31], s[36:37], s[30:31]
	s_andn2_b64 s[34:35], s[34:35], exec
	s_and_b64 s[36:37], s[38:39], exec
	s_or_b64 s[34:35], s[34:35], s[36:37]
	s_andn2_b64 exec, exec, s[30:31]
	s_cbranch_execz .LBB108_203
.LBB108_199:                            ;   Parent Loop BB108_9 Depth=1
                                        ; =>  This Inner Loop Header: Depth=2
	v_cmp_gt_u64_e32 vcc, s[56:57], v[8:9]
	s_and_saveexec_b64 s[36:37], vcc
	s_cbranch_execz .LBB108_197
; %bb.200:                              ;   in Loop: Header=BB108_199 Depth=2
	global_load_ushort v10, v[6:7], off
	s_waitcnt vmcnt(0)
	v_add_u32_sdwa v11, sext(v10), s85 dst_sel:DWORD dst_unused:UNUSED_PAD src0_sel:WORD_0 src1_sel:DWORD
	v_and_b32_e32 v11, v11, v44
	v_cmp_eq_u32_e32 vcc, v11, v41
	s_and_b64 exec, exec, vcc
	s_cbranch_execz .LBB108_197
; %bb.201:                              ;   in Loop: Header=BB108_199 Depth=2
	v_perm_b32 v10, v10, 1, v43
	ds_write_b32 v3, v10 offset:3072
	s_branch .LBB108_197
.LBB108_202:                            ;   in Loop: Header=BB108_199 Depth=2
	v_lshl_add_u64 v[8:9], v[8:9], 0, s[70:71]
	v_cmp_le_u64_e32 vcc, s[28:29], v[8:9]
	v_lshl_add_u64 v[6:7], v[6:7], 0, s[78:79]
	s_mov_b64 s[38:39], 0
	s_orn2_b64 s[36:37], vcc, exec
	s_branch .LBB108_198
.LBB108_203:                            ;   in Loop: Header=BB108_9 Depth=1
	s_or_b64 exec, exec, s[30:31]
	s_andn2_b64 s[6:7], s[6:7], exec
	s_and_b64 s[28:29], s[34:35], exec
	v_lshrrev_b32_e32 v45, 16, v10
	s_or_b64 s[6:7], s[6:7], s[28:29]
.LBB108_204:                            ;   in Loop: Header=BB108_9 Depth=1
	s_or_b64 exec, exec, s[8:9]
	s_mov_b64 s[28:29], 0
	s_mov_b64 s[36:37], -1
.LBB108_205:                            ;   in Loop: Header=BB108_9 Depth=1
	s_orn2_b64 s[6:7], s[6:7], exec
.LBB108_206:                            ;   in Loop: Header=BB108_9 Depth=1
	s_or_b64 exec, exec, s[12:13]
	s_mov_b64 s[8:9], 0
	s_and_saveexec_b64 s[12:13], s[6:7]
	s_cbranch_execz .LBB108_264
; %bb.207:                              ;   in Loop: Header=BB108_9 Depth=1
	s_xor_b64 s[10:11], s[10:11], -1
	v_mov_b32_e32 v2, 1
	v_mov_b64_e32 v[6:7], 1
	s_and_saveexec_b64 s[6:7], s[10:11]
	s_cbranch_execz .LBB108_216
; %bb.208:                              ;   in Loop: Header=BB108_9 Depth=1
	v_cmp_ge_u64_e32 vcc, s[20:21], v[4:5]
	s_and_saveexec_b64 s[8:9], vcc
	s_xor_b64 s[8:9], exec, s[8:9]
	s_cbranch_execz .LBB108_213
; %bb.209:                              ;   in Loop: Header=BB108_9 Depth=1
	ds_read_b64 v[6:7], v3 offset:5120
	v_and_b32_e32 v2, s46, v41
	v_lshl_or_b32 v41, 2, s33, v2
	v_or_b32_e32 v44, s52, v44
	s_waitcnt lgkmcnt(0)
	v_cmp_ne_u64_e32 vcc, 0, v[6:7]
	s_cbranch_vccnz .LBB108_213
; %bb.210:                              ;   in Loop: Header=BB108_9 Depth=1
	s_mov_b64 s[10:11], exec
	v_readlane_b32 s30, v66, 0
	v_readlane_b32 s31, v66, 1
	s_and_b64 s[30:31], s[10:11], s[30:31]
	s_mov_b64 exec, s[30:31]
; %bb.211:                              ;   in Loop: Header=BB108_9 Depth=1
	v_mov_b64_e32 v[6:7], s[20:21]
	ds_write_b64 v3, v[6:7] offset:5128
; %bb.212:                              ;   in Loop: Header=BB108_9 Depth=1
	s_or_b64 exec, exec, s[10:11]
	s_waitcnt lgkmcnt(0)
	s_barrier
.LBB108_213:                            ;   in Loop: Header=BB108_9 Depth=1
	s_or_saveexec_b64 s[8:9], s[8:9]
	s_mov_b64 s[10:11], 0
	v_mov_b32_e32 v2, 8
	s_xor_b64 exec, exec, s[8:9]
; %bb.214:                              ;   in Loop: Header=BB108_9 Depth=1
	v_mov_b32_e32 v2, s21
	v_subrev_co_u32_e32 v4, vcc, s20, v4
	s_mov_b64 s[10:11], exec
	s_nop 0
	v_subb_co_u32_e32 v5, vcc, v5, v2, vcc
	v_mov_b32_e32 v2, 0
; %bb.215:                              ;   in Loop: Header=BB108_9 Depth=1
	s_or_b64 exec, exec, s[8:9]
	s_and_b64 s[8:9], s[10:11], exec
	v_mov_b64_e32 v[6:7], v[4:5]
.LBB108_216:                            ;   in Loop: Header=BB108_9 Depth=1
	s_or_b64 exec, exec, s[6:7]
	s_mov_b64 s[6:7], -1
                                        ; implicit-def: $sgpr40_sgpr41
                                        ; implicit-def: $sgpr34_sgpr35
	s_and_saveexec_b64 s[10:11], s[8:9]
	s_cbranch_execz .LBB108_263
; %bb.217:                              ;   in Loop: Header=BB108_9 Depth=1
	s_cmp_eq_u64 s[2:3], 1
	s_cselect_b64 s[6:7], -1, 0
	v_cmp_eq_u64_e32 vcc, 1, v[6:7]
	s_and_b64 s[20:21], s[6:7], vcc
	s_mov_b64 s[8:9], -1
                                        ; implicit-def: $sgpr40_sgpr41
                                        ; implicit-def: $sgpr34_sgpr35
	s_and_saveexec_b64 s[38:39], s[20:21]
	s_cbranch_execz .LBB108_251
; %bb.218:                              ;   in Loop: Header=BB108_9 Depth=1
	ds_read_b64 v[4:5], v3 offset:5120
	s_waitcnt lgkmcnt(0)
	s_barrier
	v_readfirstlane_b32 s8, v4
	v_readfirstlane_b32 s9, v5
	s_mov_b64 s[6:7], exec
	v_readlane_b32 s30, v66, 14
	v_readlane_b32 s31, v66, 15
	s_and_b64 s[30:31], s[6:7], s[30:31]
	s_mov_b64 exec, s[30:31]
; %bb.219:                              ;   in Loop: Header=BB108_9 Depth=1
	ds_write_b16 v36, v3
; %bb.220:                              ;   in Loop: Header=BB108_9 Depth=1
	s_or_b64 exec, exec, s[6:7]
	v_or_b32_e32 v41, s52, v41
	v_or_b32_e32 v44, s52, v44
	s_mov_b64 s[34:35], -1
	s_mov_b64 s[40:41], 0
	s_cmp_eq_u64 s[8:9], 0
	s_mov_b64 s[6:7], 0
	s_mov_b64 s[30:31], -1
	s_waitcnt lgkmcnt(0)
	s_barrier
                                        ; implicit-def: $vgpr45
	s_cbranch_scc1 .LBB108_236
; %bb.221:                              ;   in Loop: Header=BB108_9 Depth=1
	v_readlane_b32 s6, v66, 20
	s_add_u32 s44, s8, s6
	v_readlane_b32 s6, v66, 22
	s_addc_u32 s7, s9, s6
	s_mov_b32 s6, s75
	s_cmp_lg_u64 s[6:7], 0
	s_cbranch_scc0 .LBB108_270
; %bb.222:                              ;   in Loop: Header=BB108_9 Depth=1
	v_cvt_f32_u32_e32 v4, s70
	s_sub_u32 s6, 0, s70
	s_subb_u32 s42, 0, 0
	v_fmac_f32_e32 v4, 0, v42
	v_rcp_f32_e32 v4, v4
	s_nop 0
	v_mul_f32_e32 v4, 0x5f7ffffc, v4
	v_mul_f32_e32 v5, 0x2f800000, v4
	v_trunc_f32_e32 v5, v5
	v_fmac_f32_e32 v4, 0xcf800000, v5
	v_cvt_u32_f32_e32 v5, v5
	v_cvt_u32_f32_e32 v4, v4
	v_readfirstlane_b32 s43, v5
	v_readfirstlane_b32 s30, v4
	s_mul_i32 s31, s6, s43
	s_mul_hi_u32 s46, s6, s30
	s_mul_i32 s45, s42, s30
	s_add_i32 s31, s46, s31
	s_mul_i32 s47, s6, s30
	s_add_i32 s31, s31, s45
	s_mul_hi_u32 s46, s30, s47
	s_mul_i32 s48, s30, s31
	s_mul_hi_u32 s45, s30, s31
	s_add_u32 s46, s46, s48
	s_addc_u32 s45, 0, s45
	s_mul_hi_u32 s49, s43, s47
	s_mul_i32 s47, s43, s47
	s_add_u32 s46, s46, s47
	s_mul_hi_u32 s48, s43, s31
	s_addc_u32 s45, s45, s49
	s_addc_u32 s46, s48, 0
	s_mul_i32 s31, s43, s31
	s_add_u32 s31, s45, s31
	s_addc_u32 s45, 0, s46
	s_add_u32 s46, s30, s31
	s_cselect_b64 s[30:31], -1, 0
	s_cmp_lg_u64 s[30:31], 0
	s_addc_u32 s43, s43, s45
	s_mul_i32 s30, s6, s43
	s_mul_hi_u32 s31, s6, s46
	s_add_i32 s30, s31, s30
	s_mul_i32 s42, s42, s46
	s_add_i32 s30, s30, s42
	s_mul_i32 s6, s6, s46
	s_mul_hi_u32 s42, s43, s6
	s_mul_i32 s45, s43, s6
	s_mul_i32 s48, s46, s30
	s_mul_hi_u32 s6, s46, s6
	s_mul_hi_u32 s47, s46, s30
	s_add_u32 s6, s6, s48
	s_addc_u32 s47, 0, s47
	s_add_u32 s6, s6, s45
	s_mul_hi_u32 s31, s43, s30
	s_addc_u32 s6, s47, s42
	s_addc_u32 s31, s31, 0
	s_mul_i32 s30, s43, s30
	s_add_u32 s6, s6, s30
	s_addc_u32 s42, 0, s31
	s_add_u32 s6, s46, s6
	s_cselect_b64 s[30:31], -1, 0
	s_cmp_lg_u64 s[30:31], 0
	s_addc_u32 s30, s43, s42
	s_mul_i32 s42, s44, s30
	s_mul_hi_u32 s43, s44, s6
	s_mul_hi_u32 s31, s44, s30
	s_add_u32 s42, s43, s42
	s_addc_u32 s31, 0, s31
	s_mul_hi_u32 s45, s7, s6
	s_mul_i32 s6, s7, s6
	s_add_u32 s6, s42, s6
	s_mul_hi_u32 s43, s7, s30
	s_addc_u32 s6, s31, s45
	s_addc_u32 s31, s43, 0
	s_mul_i32 s30, s7, s30
	s_add_u32 s6, s6, s30
	s_addc_u32 s30, 0, s31
	s_mul_i32 s30, s70, s30
	s_mul_hi_u32 s31, s70, s6
	s_add_i32 s42, s31, s30
	s_mul_i32 s6, s70, s6
	s_sub_u32 s6, s44, s6
	s_cselect_b64 s[30:31], -1, 0
	s_cmp_lg_u64 s[30:31], 0
	s_subb_u32 s42, s7, s42
	s_sub_u32 s43, s6, s70
	s_cselect_b64 s[30:31], -1, 0
	s_cmp_lg_u64 s[30:31], 0
	s_subb_u32 s45, s42, 0
	s_sub_u32 s46, s43, s70
	s_cselect_b64 s[30:31], -1, 0
	s_cmp_lg_u64 s[30:31], 0
	s_subb_u32 s30, s45, 0
	s_cmp_ge_u32 s43, s70
	s_cselect_b32 s31, -1, 0
	s_cmp_eq_u32 s45, 0
	s_cselect_b32 s31, s31, -1
	s_cmp_lg_u32 s31, 0
	s_cselect_b32 s30, s30, s45
	s_cselect_b32 s43, s46, s43
	s_cmp_ge_u32 s6, s70
	s_cselect_b32 s31, -1, 0
	s_cmp_eq_u32 s42, 0
	s_cselect_b32 s31, s31, -1
	s_cmp_lg_u32 s31, 0
	s_cselect_b32 s31, s30, s42
	s_cselect_b32 s30, s43, s6
	s_cbranch_execnz .LBB108_224
.LBB108_223:                            ;   in Loop: Header=BB108_9 Depth=1
	v_cvt_f32_u32_e32 v4, s70
	s_sub_i32 s6, 0, s70
	v_rcp_iflag_f32_e32 v4, v4
	s_nop 0
	v_mul_f32_e32 v4, 0x4f7ffffe, v4
	v_cvt_u32_f32_e32 v4, v4
	s_nop 0
	v_readfirstlane_b32 s30, v4
	s_mul_i32 s6, s6, s30
	s_mul_hi_u32 s6, s30, s6
	s_add_i32 s30, s30, s6
	s_mul_hi_u32 s6, s44, s30
	s_mul_i32 s6, s6, s70
	s_sub_i32 s6, s44, s6
	s_sub_i32 s30, s6, s70
	s_cmp_ge_u32 s6, s70
	s_cselect_b32 s6, s30, s6
	s_sub_i32 s30, s6, s70
	s_cmp_ge_u32 s6, s70
	s_cselect_b32 s74, s30, s6
	s_mov_b64 s[30:31], s[74:75]
.LBB108_224:                            ;   in Loop: Header=BB108_9 Depth=1
	s_sub_u32 s44, s44, s30
	s_subb_u32 s45, s7, s31
	v_cmp_gt_u64_e32 vcc, s[44:45], v[0:1]
	s_mov_b64 s[30:31], 0
	s_mov_b64 s[6:7], 0
                                        ; implicit-def: $vgpr45
	s_and_saveexec_b64 s[42:43], vcc
	s_cbranch_execz .LBB108_235
; %bb.225:                              ;   in Loop: Header=BB108_9 Depth=1
	v_mov_b32_e32 v8, v35
	v_mov_b64_e32 v[4:5], v[0:1]
                                        ; implicit-def: $sgpr46_sgpr47
	s_branch .LBB108_228
.LBB108_226:                            ;   in Loop: Header=BB108_228 Depth=2
	s_or_b64 exec, exec, s[48:49]
	s_waitcnt lgkmcnt(0)
	s_barrier
	ds_read_b32 v9, v3 offset:3072
	s_mov_b64 s[48:49], -1
	s_waitcnt lgkmcnt(0)
	s_barrier
	v_cmp_ne_u32_sdwa s[50:51], v9, v3 src0_sel:WORD_0 src1_sel:DWORD
	s_and_b64 vcc, exec, s[50:51]
	s_mov_b64 s[50:51], -1
	s_cbranch_vccz .LBB108_231
.LBB108_227:                            ;   in Loop: Header=BB108_228 Depth=2
	s_and_b64 s[48:49], exec, s[48:49]
	s_or_b64 s[6:7], s[48:49], s[6:7]
	s_andn2_b64 s[46:47], s[46:47], exec
	s_and_b64 s[48:49], s[50:51], exec
	s_or_b64 s[46:47], s[46:47], s[48:49]
	s_andn2_b64 exec, exec, s[6:7]
	s_cbranch_execz .LBB108_234
.LBB108_228:                            ;   Parent Loop BB108_9 Depth=1
                                        ; =>  This Inner Loop Header: Depth=2
	v_cmp_gt_u64_e32 vcc, s[8:9], v[4:5]
	s_and_saveexec_b64 s[48:49], vcc
	s_cbranch_execz .LBB108_226
; %bb.229:                              ;   in Loop: Header=BB108_228 Depth=2
	ds_read_u16 v9, v8
	s_waitcnt lgkmcnt(0)
	v_add_u32_sdwa v10, sext(v9), s85 dst_sel:DWORD dst_unused:UNUSED_PAD src0_sel:WORD_0 src1_sel:DWORD
	v_and_b32_e32 v10, v10, v44
	v_cmp_eq_u32_e32 vcc, v10, v41
	s_and_b64 exec, exec, vcc
	s_cbranch_execz .LBB108_226
; %bb.230:                              ;   in Loop: Header=BB108_228 Depth=2
	v_perm_b32 v9, v9, 1, v43
	ds_write_b32 v3, v9 offset:3072
	s_branch .LBB108_226
.LBB108_231:                            ;   in Loop: Header=BB108_228 Depth=2
	v_lshl_add_u64 v[4:5], v[4:5], 0, s[70:71]
	v_cmp_le_u64_e32 vcc, s[44:45], v[4:5]
	v_add_u32_e32 v8, s84, v8
	s_mov_b64 s[50:51], 0
	s_orn2_b64 s[48:49], vcc, exec
	s_branch .LBB108_227
.LBB108_232:                            ;   in Loop: Header=BB108_9 Depth=1
                                        ; implicit-def: $sgpr30_sgpr31
	s_branch .LBB108_178
.LBB108_233:                            ;   in Loop: Header=BB108_9 Depth=1
                                        ; implicit-def: $sgpr8_sgpr9
	s_branch .LBB108_194
.LBB108_234:                            ;   in Loop: Header=BB108_9 Depth=1
	s_or_b64 exec, exec, s[6:7]
	v_lshrrev_b32_e32 v45, 16, v9
	s_and_b64 s[6:7], s[46:47], exec
	v_readlane_b32 s50, v66, 41
	s_mov_b32 s51, 0x5040100
.LBB108_235:                            ;   in Loop: Header=BB108_9 Depth=1
	s_or_b64 exec, exec, s[42:43]
.LBB108_236:                            ;   in Loop: Header=BB108_9 Depth=1
	s_and_b64 vcc, exec, s[30:31]
	s_cbranch_vccz .LBB108_250
; %bb.237:                              ;   in Loop: Header=BB108_9 Depth=1
	s_mov_b32 s82, s75
	s_cmp_lg_u64 s[82:83], 0
	s_cbranch_scc0 .LBB108_271
; %bb.238:                              ;   in Loop: Header=BB108_9 Depth=1
	v_cvt_f32_u32_e32 v4, s70
	s_sub_u32 s30, 0, s70
	s_subb_u32 s31, 0, 0
	v_fmac_f32_e32 v4, 0, v42
	v_rcp_f32_e32 v4, v4
	s_nop 0
	v_mul_f32_e32 v4, 0x5f7ffffc, v4
	v_mul_f32_e32 v5, 0x2f800000, v4
	v_trunc_f32_e32 v5, v5
	v_fmac_f32_e32 v4, 0xcf800000, v5
	v_cvt_u32_f32_e32 v5, v5
	v_cvt_u32_f32_e32 v4, v4
	v_readfirstlane_b32 s34, v5
	v_readfirstlane_b32 s8, v4
	s_mul_i32 s9, s30, s34
	s_mul_hi_u32 s40, s30, s8
	s_mul_i32 s35, s31, s8
	s_add_i32 s9, s40, s9
	s_mul_i32 s41, s30, s8
	s_add_i32 s9, s9, s35
	s_mul_hi_u32 s40, s8, s41
	s_mul_i32 s42, s8, s9
	s_mul_hi_u32 s35, s8, s9
	s_add_u32 s40, s40, s42
	s_addc_u32 s35, 0, s35
	s_mul_hi_u32 s43, s34, s41
	s_mul_i32 s41, s34, s41
	s_add_u32 s40, s40, s41
	s_mul_hi_u32 s42, s34, s9
	s_addc_u32 s35, s35, s43
	s_addc_u32 s40, s42, 0
	s_mul_i32 s9, s34, s9
	s_add_u32 s9, s35, s9
	s_addc_u32 s35, 0, s40
	s_add_u32 s40, s8, s9
	s_cselect_b64 s[8:9], -1, 0
	s_cmp_lg_u64 s[8:9], 0
	s_addc_u32 s34, s34, s35
	s_mul_i32 s8, s30, s34
	s_mul_hi_u32 s9, s30, s40
	s_add_i32 s8, s9, s8
	s_mul_i32 s31, s31, s40
	s_add_i32 s8, s8, s31
	s_mul_i32 s30, s30, s40
	s_mul_hi_u32 s31, s34, s30
	s_mul_i32 s35, s34, s30
	s_mul_i32 s42, s40, s8
	s_mul_hi_u32 s30, s40, s30
	s_mul_hi_u32 s41, s40, s8
	s_add_u32 s30, s30, s42
	s_addc_u32 s41, 0, s41
	s_add_u32 s30, s30, s35
	s_mul_hi_u32 s9, s34, s8
	s_addc_u32 s30, s41, s31
	s_addc_u32 s9, s9, 0
	s_mul_i32 s8, s34, s8
	s_add_u32 s8, s30, s8
	s_addc_u32 s30, 0, s9
	s_add_u32 s31, s40, s8
	s_cselect_b64 s[8:9], -1, 0
	s_cmp_lg_u64 s[8:9], 0
	s_addc_u32 s8, s34, s30
	v_readlane_b32 s40, v66, 21
	s_mul_i32 s30, s40, s8
	s_mul_hi_u32 s34, s40, s31
	s_mul_hi_u32 s9, s40, s8
	s_add_u32 s30, s34, s30
	s_addc_u32 s9, 0, s9
	s_mul_hi_u32 s35, s83, s31
	s_mul_i32 s31, s83, s31
	s_add_u32 s30, s30, s31
	s_mul_hi_u32 s34, s83, s8
	s_addc_u32 s9, s9, s35
	s_addc_u32 s30, s34, 0
	s_mul_i32 s8, s83, s8
	s_add_u32 s8, s9, s8
	s_addc_u32 s9, 0, s30
	s_mul_i32 s9, s70, s9
	s_mul_hi_u32 s30, s70, s8
	s_add_i32 s30, s30, s9
	s_mul_i32 s8, s70, s8
	s_sub_u32 s31, s40, s8
	s_cselect_b64 s[8:9], -1, 0
	s_cmp_lg_u64 s[8:9], 0
	s_subb_u32 s30, s83, s30
	s_sub_u32 s34, s31, s70
	s_cselect_b64 s[8:9], -1, 0
	s_cmp_lg_u64 s[8:9], 0
	s_subb_u32 s35, s30, 0
	;; [unrolled: 4-line block ×3, first 2 shown]
	s_cmp_ge_u32 s34, s70
	s_cselect_b32 s9, -1, 0
	s_cmp_eq_u32 s35, 0
	s_cselect_b32 s9, s9, -1
	s_cmp_lg_u32 s9, 0
	s_cselect_b32 s8, s8, s35
	s_cselect_b32 s34, s40, s34
	s_cmp_ge_u32 s31, s70
	s_cselect_b32 s9, -1, 0
	s_cmp_eq_u32 s30, 0
	s_cselect_b32 s9, s9, -1
	s_cmp_lg_u32 s9, 0
	s_cselect_b32 s9, s8, s30
	s_cselect_b32 s8, s34, s31
	s_cbranch_execnz .LBB108_240
.LBB108_239:                            ;   in Loop: Header=BB108_9 Depth=1
	v_cvt_f32_u32_e32 v4, s70
	s_sub_i32 s8, 0, s70
	v_readlane_b32 s30, v66, 21
	v_rcp_iflag_f32_e32 v4, v4
	s_nop 0
	v_mul_f32_e32 v4, 0x4f7ffffe, v4
	v_cvt_u32_f32_e32 v4, v4
	s_nop 0
	v_readfirstlane_b32 s9, v4
	s_mul_i32 s8, s8, s9
	s_mul_hi_u32 s8, s9, s8
	s_add_i32 s9, s9, s8
	s_mul_hi_u32 s8, s30, s9
	s_mul_i32 s8, s8, s70
	s_sub_i32 s8, s30, s8
	s_sub_i32 s9, s8, s70
	s_cmp_ge_u32 s8, s70
	s_cselect_b32 s8, s9, s8
	s_sub_i32 s9, s8, s70
	s_cmp_ge_u32 s8, s70
	s_cselect_b32 s74, s9, s8
	s_mov_b64 s[8:9], s[74:75]
.LBB108_240:                            ;   in Loop: Header=BB108_9 Depth=1
	v_readlane_b32 s30, v66, 21
	s_sub_u32 s30, s30, s8
	s_subb_u32 s31, s83, s9
	v_cmp_gt_u64_e32 vcc, s[30:31], v[0:1]
                                        ; implicit-def: $vgpr45
	s_and_saveexec_b64 s[8:9], vcc
	s_cbranch_execz .LBB108_249
; %bb.241:                              ;   in Loop: Header=BB108_9 Depth=1
	s_mov_b64 s[34:35], 0
	v_mov_b64_e32 v[4:5], v[12:13]
	v_mov_b64_e32 v[8:9], v[0:1]
                                        ; implicit-def: $sgpr40_sgpr41
	s_branch .LBB108_244
.LBB108_242:                            ;   in Loop: Header=BB108_244 Depth=2
	s_or_b64 exec, exec, s[42:43]
	s_waitcnt lgkmcnt(0)
	s_barrier
	ds_read_b32 v10, v3 offset:3072
	s_mov_b64 s[42:43], -1
	s_waitcnt lgkmcnt(0)
	s_barrier
	v_cmp_eq_u32_sdwa s[44:45], v10, v3 src0_sel:WORD_0 src1_sel:DWORD
	s_and_b64 vcc, exec, s[44:45]
	s_mov_b64 s[44:45], -1
	s_cbranch_vccnz .LBB108_247
.LBB108_243:                            ;   in Loop: Header=BB108_244 Depth=2
	s_and_b64 s[42:43], exec, s[42:43]
	s_or_b64 s[34:35], s[42:43], s[34:35]
	s_andn2_b64 s[40:41], s[40:41], exec
	s_and_b64 s[42:43], s[44:45], exec
	s_or_b64 s[40:41], s[40:41], s[42:43]
	s_andn2_b64 exec, exec, s[34:35]
	s_cbranch_execz .LBB108_248
.LBB108_244:                            ;   Parent Loop BB108_9 Depth=1
                                        ; =>  This Inner Loop Header: Depth=2
	v_cmp_gt_u64_e32 vcc, s[56:57], v[8:9]
	s_and_saveexec_b64 s[42:43], vcc
	s_cbranch_execz .LBB108_242
; %bb.245:                              ;   in Loop: Header=BB108_244 Depth=2
	global_load_ushort v10, v[4:5], off
	s_waitcnt vmcnt(0)
	v_add_u32_sdwa v11, sext(v10), s85 dst_sel:DWORD dst_unused:UNUSED_PAD src0_sel:WORD_0 src1_sel:DWORD
	v_and_b32_e32 v11, v11, v44
	v_cmp_eq_u32_e32 vcc, v11, v41
	s_and_b64 exec, exec, vcc
	s_cbranch_execz .LBB108_242
; %bb.246:                              ;   in Loop: Header=BB108_244 Depth=2
	v_perm_b32 v10, v10, 1, v43
	ds_write_b32 v3, v10 offset:3072
	s_branch .LBB108_242
.LBB108_247:                            ;   in Loop: Header=BB108_244 Depth=2
	v_lshl_add_u64 v[8:9], v[8:9], 0, s[70:71]
	v_cmp_le_u64_e32 vcc, s[30:31], v[8:9]
	v_lshl_add_u64 v[4:5], v[4:5], 0, s[78:79]
	s_mov_b64 s[44:45], 0
	s_orn2_b64 s[42:43], vcc, exec
	s_branch .LBB108_243
.LBB108_248:                            ;   in Loop: Header=BB108_9 Depth=1
	s_or_b64 exec, exec, s[34:35]
	s_andn2_b64 s[6:7], s[6:7], exec
	s_and_b64 s[30:31], s[40:41], exec
	v_lshrrev_b32_e32 v45, 16, v10
	s_or_b64 s[6:7], s[6:7], s[30:31]
.LBB108_249:                            ;   in Loop: Header=BB108_9 Depth=1
	s_or_b64 exec, exec, s[8:9]
	s_mov_b64 s[34:35], 0
	s_mov_b64 s[40:41], -1
.LBB108_250:                            ;   in Loop: Header=BB108_9 Depth=1
	s_orn2_b64 s[8:9], s[6:7], exec
.LBB108_251:                            ;   in Loop: Header=BB108_9 Depth=1
	s_or_b64 exec, exec, s[38:39]
	s_mov_b64 s[30:31], 0
	s_and_saveexec_b64 s[6:7], s[8:9]
	s_cbranch_execz .LBB108_262
; %bb.252:                              ;   in Loop: Header=BB108_9 Depth=1
	s_xor_b64 s[20:21], s[20:21], -1
	v_mov_b64_e32 v[4:5], 1
	v_mov_b32_e32 v2, 1
	s_and_saveexec_b64 s[8:9], s[20:21]
	s_cbranch_execz .LBB108_261
; %bb.253:                              ;   in Loop: Header=BB108_9 Depth=1
	v_cmp_ge_u64_e32 vcc, s[2:3], v[6:7]
	s_and_saveexec_b64 s[20:21], vcc
	s_xor_b64 s[20:21], exec, s[20:21]
	s_cbranch_execz .LBB108_258
; %bb.254:                              ;   in Loop: Header=BB108_9 Depth=1
	ds_read_b64 v[4:5], v3 offset:5120
	v_or_b32_e32 v41, s52, v41
	v_or_b32_e32 v44, s52, v44
	s_waitcnt lgkmcnt(0)
	v_cmp_ne_u64_e32 vcc, 0, v[4:5]
	s_cbranch_vccnz .LBB108_258
; %bb.255:                              ;   in Loop: Header=BB108_9 Depth=1
	s_mov_b64 s[30:31], exec
	v_readlane_b32 s38, v66, 0
	v_readlane_b32 s39, v66, 1
	s_and_b64 s[38:39], s[30:31], s[38:39]
	s_mov_b64 exec, s[38:39]
; %bb.256:                              ;   in Loop: Header=BB108_9 Depth=1
	v_mov_b64_e32 v[4:5], s[2:3]
	ds_write_b64 v3, v[4:5] offset:5128
; %bb.257:                              ;   in Loop: Header=BB108_9 Depth=1
	s_or_b64 exec, exec, s[30:31]
	s_waitcnt lgkmcnt(0)
	s_barrier
.LBB108_258:                            ;   in Loop: Header=BB108_9 Depth=1
	s_andn2_saveexec_b64 s[20:21], s[20:21]
; %bb.259:                              ;   in Loop: Header=BB108_9 Depth=1
	v_mov_b32_e32 v2, s3
	v_subrev_co_u32_e32 v6, vcc, s2, v6
	s_nop 1
	v_subb_co_u32_e32 v7, vcc, v7, v2, vcc
; %bb.260:                              ;   in Loop: Header=BB108_9 Depth=1
	s_or_b64 exec, exec, s[20:21]
	v_mov_b32_e32 v2, 8
	v_mov_b64_e32 v[4:5], v[6:7]
.LBB108_261:                            ;   in Loop: Header=BB108_9 Depth=1
	s_or_b64 exec, exec, s[8:9]
	s_mov_b64 s[30:31], exec
	v_mov_b64_e32 v[6:7], v[4:5]
.LBB108_262:                            ;   in Loop: Header=BB108_9 Depth=1
	s_or_b64 exec, exec, s[6:7]
	s_orn2_b64 s[6:7], s[30:31], exec
.LBB108_263:                            ;   in Loop: Header=BB108_9 Depth=1
	s_or_b64 exec, exec, s[10:11]
	s_andn2_b64 s[2:3], s[36:37], exec
	s_and_b64 s[8:9], s[40:41], exec
	s_or_b64 s[36:37], s[2:3], s[8:9]
	s_andn2_b64 s[2:3], s[28:29], exec
	s_and_b64 s[8:9], s[34:35], exec
	s_or_b64 s[28:29], s[2:3], s[8:9]
	s_and_b64 s[8:9], s[6:7], exec
	v_mov_b64_e32 v[4:5], v[6:7]
.LBB108_264:                            ;   in Loop: Header=BB108_9 Depth=1
	s_or_b64 exec, exec, s[12:13]
	s_orn2_b64 s[6:7], s[8:9], exec
.LBB108_265:                            ;   in Loop: Header=BB108_9 Depth=1
	s_or_b64 exec, exec, s[26:27]
	s_andn2_b64 s[2:3], s[22:23], exec
	s_and_b64 s[8:9], s[36:37], exec
	s_or_b64 s[22:23], s[2:3], s[8:9]
	s_andn2_b64 s[0:1], s[0:1], exec
	s_and_b64 s[2:3], s[28:29], exec
	s_or_b64 s[0:1], s[0:1], s[2:3]
	s_and_b64 s[8:9], s[6:7], exec
	v_mov_b64_e32 v[8:9], v[4:5]
.LBB108_266:                            ;   in Loop: Header=BB108_9 Depth=1
	s_or_b64 exec, exec, s[24:25]
	s_orn2_b64 s[6:7], s[8:9], exec
.LBB108_267:                            ;   in Loop: Header=BB108_9 Depth=1
	s_or_b64 exec, exec, s[18:19]
	s_mov_b64 s[8:9], 0
	s_and_saveexec_b64 s[2:3], s[6:7]
	s_xor_b64 s[2:3], exec, s[2:3]
	s_cbranch_execz .LBB108_7
; %bb.268:                              ;   in Loop: Header=BB108_9 Depth=1
	v_and_b32_e32 v2, 7, v2
	v_cmp_eq_u32_e32 vcc, 0, v2
	s_mov_b64 s[6:7], -1
	s_mov_b64 s[8:9], -1
	s_and_saveexec_b64 s[10:11], vcc
	s_cbranch_execz .LBB108_6
; %bb.269:                              ;   in Loop: Header=BB108_9 Depth=1
	s_xor_b32 s90, s90, 1
	s_add_i32 s12, s33, -2
	s_cmp_eq_u32 s33, 0
	s_cselect_b64 s[6:7], -1, 0
	s_xor_b64 s[8:9], exec, -1
	s_orn2_b64 s[6:7], s[6:7], exec
	s_mov_b32 s33, s12
	s_branch .LBB108_6
.LBB108_270:                            ;   in Loop: Header=BB108_9 Depth=1
                                        ; implicit-def: $sgpr30_sgpr31
	s_branch .LBB108_223
.LBB108_271:                            ;   in Loop: Header=BB108_9 Depth=1
                                        ; implicit-def: $sgpr8_sgpr9
	s_branch .LBB108_239
.LBB108_272:
	s_or_b64 exec, exec, s[94:95]
	s_xor_b64 s[6:7], s[58:59], -1
	s_xor_b64 s[0:1], s[96:97], -1
	;; [unrolled: 1-line block ×3, first 2 shown]
	s_mov_b64 s[2:3], 0
	s_and_saveexec_b64 s[8:9], s[0:1]
	s_xor_b64 s[0:1], exec, s[8:9]
	s_cbranch_execnz .LBB108_277
; %bb.273:
	s_andn2_saveexec_b64 s[0:1], s[0:1]
	s_cbranch_execnz .LBB108_290
.LBB108_274:
	s_or_b64 exec, exec, s[0:1]
	s_and_saveexec_b64 s[0:1], s[2:3]
.LBB108_275:
	; divergent unreachable
.LBB108_276:
	s_endpgm
.LBB108_277:
	s_and_saveexec_b64 s[2:3], s[6:7]
	s_xor_b64 s[2:3], exec, s[2:3]
	s_cbranch_execz .LBB108_288
; %bb.278:
	s_and_saveexec_b64 s[6:7], s[4:5]
	s_xor_b64 s[4:5], exec, s[6:7]
; %bb.279:
	v_xor_b32_e32 v45, 0xffff8000, v41
; %bb.280:
	s_or_b64 exec, exec, s[4:5]
	v_readlane_b32 s6, v66, 6
	v_readlane_b32 s18, v66, 10
	;; [unrolled: 1-line block ×3, first 2 shown]
	s_mul_i32 s4, s7, s18
	s_mul_hi_u32 s5, s6, s18
	s_add_i32 s5, s5, s4
	s_mul_i32 s4, s6, s18
	s_lshl_b64 s[4:5], s[4:5], 1
	v_readlane_b32 s6, v66, 8
	v_readlane_b32 s7, v66, 9
	s_add_u32 s4, s6, s4
	s_addc_u32 s5, s7, s5
	v_mov_b32_e32 v2, 0
	v_readlane_b32 s19, v66, 11
	global_store_short v2, v45, s[4:5]
	s_mov_b64 s[4:5], exec
	v_readlane_b32 s6, v66, 12
	v_readlane_b32 s7, v66, 13
	s_and_b64 s[6:7], s[4:5], s[6:7]
	s_mov_b64 exec, s[6:7]
	s_cbranch_execz .LBB108_287
; %bb.281:
	s_mov_b64 s[6:7], 0
                                        ; implicit-def: $sgpr8_sgpr9
                                        ; implicit-def: $sgpr12_sgpr13
                                        ; implicit-def: $sgpr10_sgpr11
	s_branch .LBB108_283
.LBB108_282:                            ;   in Loop: Header=BB108_283 Depth=1
	s_or_b64 exec, exec, s[14:15]
	s_and_b64 s[14:15], exec, s[12:13]
	s_or_b64 s[6:7], s[14:15], s[6:7]
	s_andn2_b64 s[8:9], s[8:9], exec
	s_and_b64 s[14:15], s[10:11], exec
	s_or_b64 s[8:9], s[8:9], s[14:15]
	s_andn2_b64 exec, exec, s[6:7]
	s_cbranch_execz .LBB108_285
.LBB108_283:                            ; =>This Inner Loop Header: Depth=1
	global_load_ushort v4, v[12:13], off
	v_mov_b64_e32 v[2:3], v[0:1]
	s_or_b64 s[10:11], s[10:11], exec
	s_or_b64 s[12:13], s[12:13], exec
                                        ; implicit-def: $vgpr0_vgpr1
	s_waitcnt vmcnt(0)
	v_cmp_ne_u16_e32 vcc, v4, v45
	s_and_saveexec_b64 s[14:15], vcc
	s_cbranch_execz .LBB108_282
; %bb.284:                              ;   in Loop: Header=BB108_283 Depth=1
	v_lshl_add_u64 v[0:1], v[2:3], 0, s[70:71]
	v_cmp_le_u64_e32 vcc, s[56:57], v[0:1]
	s_andn2_b64 s[12:13], s[12:13], exec
	s_and_b64 s[16:17], vcc, exec
	v_lshl_add_u64 v[12:13], v[12:13], 0, s[78:79]
	s_andn2_b64 s[10:11], s[10:11], exec
	s_or_b64 s[12:13], s[12:13], s[16:17]
	s_branch .LBB108_282
.LBB108_285:
	s_or_b64 exec, exec, s[6:7]
	s_and_saveexec_b64 s[6:7], s[8:9]
	s_xor_b64 s[6:7], exec, s[6:7]
	s_cbranch_execz .LBB108_287
; %bb.286:
	v_readlane_b32 s8, v66, 2
	v_readlane_b32 s9, v66, 3
	s_mul_i32 s6, s9, s18
	s_mul_hi_u32 s7, s8, s18
	s_add_i32 s7, s7, s6
	s_mul_i32 s6, s8, s18
	s_lshl_b64 s[6:7], s[6:7], 3
	v_readlane_b32 s8, v66, 4
	v_readlane_b32 s9, v66, 5
	s_add_u32 s6, s8, s6
	s_addc_u32 s7, s9, s7
	v_mov_b32_e32 v0, 0
	global_store_dwordx2 v0, v[2:3], s[6:7]
.LBB108_287:
	s_or_b64 exec, exec, s[4:5]
.LBB108_288:
	s_or_saveexec_b64 s[2:3], s[2:3]
	s_mov_b64 s[4:5], 0
	s_xor_b64 exec, exec, s[2:3]
	s_cbranch_execnz .LBB108_291
.LBB108_289:
	s_or_b64 exec, exec, s[2:3]
	s_and_b64 s[2:3], s[4:5], exec
	s_andn2_saveexec_b64 s[0:1], s[0:1]
	s_cbranch_execz .LBB108_274
.LBB108_290:
	s_or_b64 s[2:3], s[2:3], exec
	s_trap 2
	s_or_b64 exec, exec, s[0:1]
	s_and_saveexec_b64 s[0:1], s[2:3]
	s_cbranch_execnz .LBB108_275
	s_branch .LBB108_276
.LBB108_291:
	s_mov_b64 s[4:5], exec
	s_trap 2
	s_branch .LBB108_289
	.section	.rodata,"a",@progbits
	.p2align	6, 0x0
	.amdhsa_kernel _ZN2at6native12_GLOBAL__N_112gatherMedianIsmLi1EEEvNS_4cuda6detail10TensorInfoIT_T0_EENS5_IlS7_EENS5_IKS6_S7_EES7_S7_S7_b
		.amdhsa_group_segment_fixed_size 5152
		.amdhsa_private_segment_fixed_size 0
		.amdhsa_kernarg_size 1536
		.amdhsa_user_sgpr_count 2
		.amdhsa_user_sgpr_dispatch_ptr 0
		.amdhsa_user_sgpr_queue_ptr 0
		.amdhsa_user_sgpr_kernarg_segment_ptr 1
		.amdhsa_user_sgpr_dispatch_id 0
		.amdhsa_user_sgpr_kernarg_preload_length 0
		.amdhsa_user_sgpr_kernarg_preload_offset 0
		.amdhsa_user_sgpr_private_segment_size 0
		.amdhsa_uses_dynamic_stack 0
		.amdhsa_enable_private_segment 0
		.amdhsa_system_sgpr_workgroup_id_x 1
		.amdhsa_system_sgpr_workgroup_id_y 1
		.amdhsa_system_sgpr_workgroup_id_z 1
		.amdhsa_system_sgpr_workgroup_info 0
		.amdhsa_system_vgpr_workitem_id 0
		.amdhsa_next_free_vgpr 67
		.amdhsa_next_free_sgpr 100
		.amdhsa_accum_offset 68
		.amdhsa_reserve_vcc 1
		.amdhsa_float_round_mode_32 0
		.amdhsa_float_round_mode_16_64 0
		.amdhsa_float_denorm_mode_32 3
		.amdhsa_float_denorm_mode_16_64 3
		.amdhsa_dx10_clamp 1
		.amdhsa_ieee_mode 1
		.amdhsa_fp16_overflow 0
		.amdhsa_tg_split 0
		.amdhsa_exception_fp_ieee_invalid_op 0
		.amdhsa_exception_fp_denorm_src 0
		.amdhsa_exception_fp_ieee_div_zero 0
		.amdhsa_exception_fp_ieee_overflow 0
		.amdhsa_exception_fp_ieee_underflow 0
		.amdhsa_exception_fp_ieee_inexact 0
		.amdhsa_exception_int_div_zero 0
	.end_amdhsa_kernel
	.section	.text._ZN2at6native12_GLOBAL__N_112gatherMedianIsmLi1EEEvNS_4cuda6detail10TensorInfoIT_T0_EENS5_IlS7_EENS5_IKS6_S7_EES7_S7_S7_b,"axG",@progbits,_ZN2at6native12_GLOBAL__N_112gatherMedianIsmLi1EEEvNS_4cuda6detail10TensorInfoIT_T0_EENS5_IlS7_EENS5_IKS6_S7_EES7_S7_S7_b,comdat
.Lfunc_end108:
	.size	_ZN2at6native12_GLOBAL__N_112gatherMedianIsmLi1EEEvNS_4cuda6detail10TensorInfoIT_T0_EENS5_IlS7_EENS5_IKS6_S7_EES7_S7_S7_b, .Lfunc_end108-_ZN2at6native12_GLOBAL__N_112gatherMedianIsmLi1EEEvNS_4cuda6detail10TensorInfoIT_T0_EENS5_IlS7_EENS5_IKS6_S7_EES7_S7_S7_b
                                        ; -- End function
	.set _ZN2at6native12_GLOBAL__N_112gatherMedianIsmLi1EEEvNS_4cuda6detail10TensorInfoIT_T0_EENS5_IlS7_EENS5_IKS6_S7_EES7_S7_S7_b.num_vgpr, 67
	.set _ZN2at6native12_GLOBAL__N_112gatherMedianIsmLi1EEEvNS_4cuda6detail10TensorInfoIT_T0_EENS5_IlS7_EENS5_IKS6_S7_EES7_S7_S7_b.num_agpr, 0
	.set _ZN2at6native12_GLOBAL__N_112gatherMedianIsmLi1EEEvNS_4cuda6detail10TensorInfoIT_T0_EENS5_IlS7_EENS5_IKS6_S7_EES7_S7_S7_b.numbered_sgpr, 100
	.set _ZN2at6native12_GLOBAL__N_112gatherMedianIsmLi1EEEvNS_4cuda6detail10TensorInfoIT_T0_EENS5_IlS7_EENS5_IKS6_S7_EES7_S7_S7_b.num_named_barrier, 0
	.set _ZN2at6native12_GLOBAL__N_112gatherMedianIsmLi1EEEvNS_4cuda6detail10TensorInfoIT_T0_EENS5_IlS7_EENS5_IKS6_S7_EES7_S7_S7_b.private_seg_size, 0
	.set _ZN2at6native12_GLOBAL__N_112gatherMedianIsmLi1EEEvNS_4cuda6detail10TensorInfoIT_T0_EENS5_IlS7_EENS5_IKS6_S7_EES7_S7_S7_b.uses_vcc, 1
	.set _ZN2at6native12_GLOBAL__N_112gatherMedianIsmLi1EEEvNS_4cuda6detail10TensorInfoIT_T0_EENS5_IlS7_EENS5_IKS6_S7_EES7_S7_S7_b.uses_flat_scratch, 0
	.set _ZN2at6native12_GLOBAL__N_112gatherMedianIsmLi1EEEvNS_4cuda6detail10TensorInfoIT_T0_EENS5_IlS7_EENS5_IKS6_S7_EES7_S7_S7_b.has_dyn_sized_stack, 0
	.set _ZN2at6native12_GLOBAL__N_112gatherMedianIsmLi1EEEvNS_4cuda6detail10TensorInfoIT_T0_EENS5_IlS7_EENS5_IKS6_S7_EES7_S7_S7_b.has_recursion, 0
	.set _ZN2at6native12_GLOBAL__N_112gatherMedianIsmLi1EEEvNS_4cuda6detail10TensorInfoIT_T0_EENS5_IlS7_EENS5_IKS6_S7_EES7_S7_S7_b.has_indirect_call, 0
	.section	.AMDGPU.csdata,"",@progbits
; Kernel info:
; codeLenInByte = 15308
; TotalNumSgprs: 106
; NumVgprs: 67
; NumAgprs: 0
; TotalNumVgprs: 67
; ScratchSize: 0
; MemoryBound: 0
; FloatMode: 240
; IeeeMode: 1
; LDSByteSize: 5152 bytes/workgroup (compile time only)
; SGPRBlocks: 13
; VGPRBlocks: 8
; NumSGPRsForWavesPerEU: 106
; NumVGPRsForWavesPerEU: 67
; AccumOffset: 68
; Occupancy: 7
; WaveLimiterHint : 1
; COMPUTE_PGM_RSRC2:SCRATCH_EN: 0
; COMPUTE_PGM_RSRC2:USER_SGPR: 2
; COMPUTE_PGM_RSRC2:TRAP_HANDLER: 0
; COMPUTE_PGM_RSRC2:TGID_X_EN: 1
; COMPUTE_PGM_RSRC2:TGID_Y_EN: 1
; COMPUTE_PGM_RSRC2:TGID_Z_EN: 1
; COMPUTE_PGM_RSRC2:TIDIG_COMP_CNT: 0
; COMPUTE_PGM_RSRC3_GFX90A:ACCUM_OFFSET: 16
; COMPUTE_PGM_RSRC3_GFX90A:TG_SPLIT: 0
	.section	.text._ZN2at6native12_GLOBAL__N_112gatherMedianIsmLi2EEEvNS_4cuda6detail10TensorInfoIT_T0_EENS5_IlS7_EENS5_IKS6_S7_EES7_S7_S7_b,"axG",@progbits,_ZN2at6native12_GLOBAL__N_112gatherMedianIsmLi2EEEvNS_4cuda6detail10TensorInfoIT_T0_EENS5_IlS7_EENS5_IKS6_S7_EES7_S7_S7_b,comdat
	.globl	_ZN2at6native12_GLOBAL__N_112gatherMedianIsmLi2EEEvNS_4cuda6detail10TensorInfoIT_T0_EENS5_IlS7_EENS5_IKS6_S7_EES7_S7_S7_b ; -- Begin function _ZN2at6native12_GLOBAL__N_112gatherMedianIsmLi2EEEvNS_4cuda6detail10TensorInfoIT_T0_EENS5_IlS7_EENS5_IKS6_S7_EES7_S7_S7_b
	.p2align	8
	.type	_ZN2at6native12_GLOBAL__N_112gatherMedianIsmLi2EEEvNS_4cuda6detail10TensorInfoIT_T0_EENS5_IlS7_EENS5_IKS6_S7_EES7_S7_S7_b,@function
_ZN2at6native12_GLOBAL__N_112gatherMedianIsmLi2EEEvNS_4cuda6detail10TensorInfoIT_T0_EENS5_IlS7_EENS5_IKS6_S7_EES7_S7_S7_b: ; @_ZN2at6native12_GLOBAL__N_112gatherMedianIsmLi2EEEvNS_4cuda6detail10TensorInfoIT_T0_EENS5_IlS7_EENS5_IKS6_S7_EES7_S7_S7_b
; %bb.0:
	s_load_dwordx2 s[8:9], s[0:1], 0x500
	s_load_dwordx4 s[56:59], s[0:1], 0x4e0
	s_add_u32 s10, s0, 0x500
	s_addc_u32 s11, s1, 0
	s_mov_b32 s25, 0
	s_waitcnt lgkmcnt(0)
	s_mul_i32 s4, s9, s4
	s_add_i32 s3, s4, s3
	s_mul_i32 s3, s3, s8
	s_add_i32 s24, s3, s2
	v_mov_b64_e32 v[2:3], s[24:25]
	v_cmp_le_u64_e32 vcc, s[58:59], v[2:3]
	s_cbranch_vccnz .LBB109_286
; %bb.1:
	s_load_dwordx2 s[16:17], s[0:1], 0x10
	s_load_dwordx2 s[12:13], s[0:1], 0x350
	;; [unrolled: 1-line block ×3, first 2 shown]
	s_mov_b64 s[4:5], 0
                                        ; implicit-def: $vgpr58 : SGPR spill to VGPR lane
	v_writelane_b32 v58, s4, 0
	s_waitcnt lgkmcnt(0)
	v_mov_b64_e32 v[2:3], s[16:17]
	v_cmp_lt_u64_e32 vcc, s[24:25], v[2:3]
	v_writelane_b32 v58, s5, 1
	s_mov_b64 s[4:5], 0
	s_cbranch_vccnz .LBB109_3
; %bb.2:
	v_cvt_f32_u32_e32 v1, s16
	s_sub_i32 s3, 0, s16
	v_rcp_iflag_f32_e32 v1, v1
	s_nop 0
	v_mul_f32_e32 v1, 0x4f7ffffe, v1
	v_cvt_u32_f32_e32 v1, v1
	s_nop 0
	v_readfirstlane_b32 s4, v1
	s_mul_i32 s3, s3, s4
	s_mul_hi_u32 s3, s4, s3
	s_add_i32 s4, s4, s3
	s_mul_hi_u32 s3, s24, s4
	s_mul_i32 s5, s3, s16
	s_sub_i32 s5, s24, s5
	s_add_i32 s4, s3, 1
	s_sub_i32 s6, s5, s16
	s_cmp_ge_u32 s5, s16
	s_cselect_b32 s3, s4, s3
	s_cselect_b32 s5, s6, s5
	s_add_i32 s4, s3, 1
	s_cmp_ge_u32 s5, s16
	s_cselect_b32 s4, s4, s3
.LBB109_3:
	s_load_dwordx2 s[72:73], s[0:1], 0x4f0
	v_writelane_b32 v58, s4, 2
	v_mov_b64_e32 v[2:3], s[14:15]
	v_cmp_lt_u64_e32 vcc, s[24:25], v[2:3]
	v_writelane_b32 v58, s5, 3
	v_writelane_b32 v58, s16, 4
	s_nop 1
	v_writelane_b32 v58, s17, 5
	s_cbranch_vccnz .LBB109_5
; %bb.4:
	v_cvt_f32_u32_e32 v1, s14
	s_sub_i32 s3, 0, s14
	v_rcp_iflag_f32_e32 v1, v1
	s_nop 0
	v_mul_f32_e32 v1, 0x4f7ffffe, v1
	v_cvt_u32_f32_e32 v1, v1
	s_nop 0
	v_readfirstlane_b32 s4, v1
	s_mul_i32 s3, s3, s4
	s_mul_hi_u32 s3, s4, s3
	s_add_i32 s4, s4, s3
	s_mul_hi_u32 s3, s24, s4
	s_mul_i32 s5, s3, s14
	s_sub_i32 s5, s24, s5
	s_add_i32 s4, s3, 1
	s_sub_i32 s6, s5, s14
	s_cmp_ge_u32 s5, s14
	s_cselect_b32 s3, s4, s3
	s_cselect_b32 s5, s6, s5
	s_add_i32 s4, s3, 1
	s_cmp_ge_u32 s5, s14
	s_cselect_b32 s4, s4, s3
	v_writelane_b32 v58, s4, 0
	s_nop 1
	v_writelane_b32 v58, s5, 1
.LBB109_5:
	v_mov_b64_e32 v[2:3], s[12:13]
	v_cmp_lt_u64_e32 vcc, s[24:25], v[2:3]
	v_writelane_b32 v58, s14, 6
	s_mov_b64 s[18:19], 0
	s_nop 0
	v_writelane_b32 v58, s15, 7
	s_cbranch_vccnz .LBB109_7
; %bb.6:
	v_cvt_f32_u32_e32 v1, s12
	s_sub_i32 s3, 0, s12
	v_rcp_iflag_f32_e32 v1, v1
	s_nop 0
	v_mul_f32_e32 v1, 0x4f7ffffe, v1
	v_cvt_u32_f32_e32 v1, v1
	s_nop 0
	v_readfirstlane_b32 s4, v1
	s_mul_i32 s3, s3, s4
	s_mul_hi_u32 s3, s4, s3
	s_add_i32 s4, s4, s3
	s_mul_hi_u32 s3, s24, s4
	s_mul_i32 s5, s3, s12
	s_sub_i32 s5, s24, s5
	s_add_i32 s4, s3, 1
	s_sub_i32 s6, s5, s12
	s_cmp_ge_u32 s5, s12
	s_cselect_b32 s3, s4, s3
	s_cselect_b32 s5, s6, s5
	s_add_i32 s4, s3, 1
	s_cmp_ge_u32 s5, s12
	s_cselect_b32 s18, s4, s3
.LBB109_7:
	s_load_dwordx2 s[20:21], s[0:1], 0x340
	v_cmp_eq_u32_e64 s[6:7], 0, v0
	s_mov_b64 s[4:5], exec
	s_nop 0
	v_writelane_b32 v58, s6, 8
	s_nop 1
	v_writelane_b32 v58, s7, 9
	s_and_b64 s[6:7], s[4:5], s[6:7]
	s_mov_b64 exec, s[6:7]
; %bb.8:
	v_mov_b32_e32 v2, 0
	v_mov_b32_e32 v3, v2
	ds_write_b64 v2, v[2:3] offset:5136
; %bb.9:
	s_or_b64 exec, exec, s[4:5]
	s_load_dwordx2 s[4:5], s[0:1], 0x1a0
	v_mov_b32_e32 v3, 0
	s_waitcnt lgkmcnt(0)
	s_barrier
	v_writelane_b32 v58, s4, 10
	s_barrier
	s_nop 0
	v_writelane_b32 v58, s5, 11
	s_load_dwordx2 s[4:5], s[0:1], 0x0
	s_waitcnt lgkmcnt(0)
	ds_read_b64 v[4:5], v3 offset:5136
	v_writelane_b32 v58, s4, 12
	s_nop 1
	v_writelane_b32 v58, s5, 13
	s_load_dwordx4 s[4:7], s[0:1], 0x410
	s_waitcnt lgkmcnt(0)
	v_readfirstlane_b32 s16, v4
	v_readfirstlane_b32 s17, v5
	s_mov_b64 s[22:23], exec
	v_readlane_b32 s14, v58, 8
	v_readlane_b32 s15, v58, 9
	s_and_b64 s[14:15], s[22:23], s[14:15]
	s_mov_b64 exec, s[14:15]
	s_cbranch_execz .LBB109_11
; %bb.10:
	v_mov_b32_e32 v4, 0
	v_mov_b32_e32 v6, s56
	;; [unrolled: 1-line block ×4, first 2 shown]
	ds_write_b32 v4, v4 offset:5144
	ds_write_b128 v4, v[4:7] offset:5120
.LBB109_11:
	s_or_b64 exec, exec, s[22:23]
	s_load_dword s3, s[0:1], 0x4f8
	s_load_dwordx4 s[28:31], s[0:1], 0x270
                                        ; kill: killed $sgpr0 killed $sgpr1
	v_mov_b32_e32 v1, v3
	v_mbcnt_lo_u32_b32 v2, -1, 0
	v_mbcnt_hi_u32_b32 v26, -1, v2
	s_waitcnt lgkmcnt(0)
	s_bitcmp1_b32 s3, 0
	v_writelane_b32 v58, s28, 14
	s_cselect_b64 s[14:15], -1, 0
	v_cmp_gt_u32_e32 vcc, 64, v0
	v_writelane_b32 v58, s29, 15
	v_writelane_b32 v58, s30, 16
	;; [unrolled: 1-line block ×3, first 2 shown]
	s_load_dwordx4 s[28:31], s[0:1], 0xd0
	v_cmp_lt_i64_e64 s[0:1], s[16:17], 1
	s_not_b64 s[16:17], s[16:17]
	s_or_b64 s[0:1], s[14:15], s[0:1]
	s_add_u32 s14, s56, s16
	s_addc_u32 s15, s57, s17
	s_lshr_b64 s[14:15], s[14:15], 1
	s_add_u32 s3, s14, 1
	s_addc_u32 s9, s15, 0
	s_and_b64 s[0:1], s[0:1], exec
	s_mul_i32 s0, s18, s13
	s_mul_hi_u32 s1, s18, s12
	s_cselect_b32 s17, s9, s57
	s_cselect_b32 s16, s3, s56
	s_add_i32 s1, s1, s0
	s_mul_i32 s0, s18, s12
	s_sub_u32 s0, s24, s0
	s_subb_u32 s1, 0, s1
	s_mul_i32 s3, s0, s7
	s_mul_hi_u32 s7, s0, s6
	s_add_i32 s3, s7, s3
	s_mul_i32 s1, s1, s6
	s_add_i32 s1, s3, s1
	s_mul_i32 s3, s18, s5
	s_mul_hi_u32 s5, s18, s4
	s_waitcnt lgkmcnt(0)
	v_writelane_b32 v58, s28, 18
	s_add_i32 s5, s5, s3
	s_mul_i32 s4, s18, s4
	v_writelane_b32 v58, s29, 19
	s_lshl_b64 s[4:5], s[4:5], 1
	v_writelane_b32 v58, s30, 20
	s_mul_i32 s0, s0, s6
	s_add_u32 s3, s20, s4
	v_writelane_b32 v58, s31, 21
	s_mov_b32 s12, s24
	s_addc_u32 s4, s21, s5
	s_lshl_b64 s[0:1], s[0:1], 1
	v_writelane_b32 v58, s12, 22
	s_add_u32 s80, s3, s0
	s_addc_u32 s81, s4, s1
	v_writelane_b32 v58, s13, 23
	v_cmp_gt_u64_e64 s[0:1], s[56:57], v[0:1]
	v_mov_b64_e32 v[4:5], 0x600
	s_nop 0
	v_writelane_b32 v58, s0, 24
	s_barrier
	s_nop 0
	v_writelane_b32 v58, s1, 25
	v_cmp_gt_i32_e64 s[0:1], 4, v26
	s_and_b64 s[74:75], vcc, s[0:1]
	v_cmp_gt_u64_e64 s[0:1], s[56:57], v[4:5]
	s_mov_b32 s92, s73
	s_mov_b32 s87, 0
	v_writelane_b32 v58, s0, 26
	v_lshlrev_b32_e32 v27, 1, v0
	s_mov_b32 s88, s73
	v_writelane_b32 v58, s1, 27
	v_mad_u64_u32 v[4:5], s[0:1], s72, v0, 0
	v_mov_b32_e32 v2, v5
	v_mad_u64_u32 v[6:7], s[0:1], s73, v0, v[2:3]
	s_load_dword s0, s[10:11], 0xc
	v_lshlrev_b32_e32 v2, 2, v26
	v_and_b32_e32 v29, 0x100, v2
	v_lshrrev_b32_e32 v2, 1, v0
	v_mov_b32_e32 v5, v6
	s_waitcnt lgkmcnt(0)
	s_and_b32 s84, s0, 0xffff
	s_bfe_u32 s0, s0, 0xa0006
	v_and_b32_e32 v2, 0x1e0, v2
	v_lshl_add_u64 v[12:13], v[4:5], 1, s[80:81]
	v_lshlrev_b64 v[4:5], v26, -1
	s_cmp_gt_u32 s84, 63
	v_or_b32_e32 v30, 0xc00, v2
	v_add_u32_e32 v2, 2, v0
	v_not_b32_e32 v16, v4
	s_cselect_b64 s[6:7], -1, 0
	s_add_u32 s1, s84, -1
	v_mov_b32_e32 v4, s57
	v_cmp_gt_u64_e32 vcc, s[56:57], v[2:3]
	v_not_b32_e32 v17, v5
	v_writelane_b32 v58, s6, 28
	s_addc_u32 s3, 0, -1
	v_cndmask_b32_e32 v5, 0, v4, vcc
	v_mov_b32_e32 v4, s56
	v_writelane_b32 v58, s7, 29
	s_add_u32 s14, s1, s56
	v_cndmask_b32_e32 v4, v2, v4, vcc
	v_mov_b32_e32 v7, -1
	v_not_b32_e32 v6, v0
	v_writelane_b32 v58, s1, 30
	s_addc_u32 s93, s3, s57
	v_lshl_add_u64 v[4:5], v[4:5], 0, v[6:7]
	v_writelane_b32 v58, s3, 31
	s_cmp_lt_u32 s2, s8
	v_cmp_lt_u64_e64 s[2:3], 3, v[4:5]
	s_cselect_b32 s1, 12, 18
	v_and_b32_e32 v18, -4, v4
	v_writelane_b32 v58, s2, 32
	v_mov_b32_e32 v19, v5
	s_add_u32 s94, s10, s1
	v_writelane_b32 v58, s3, 33
	v_cmp_ne_u64_e64 s[2:3], v[4:5], v[18:19]
	s_addc_u32 s95, s11, 0
	s_add_i32 s1, s0, -1
	v_writelane_b32 v58, s2, 34
	s_and_b32 s1, s1, 0xffff
	v_mov_b32_e32 v2, 0xc00
	v_writelane_b32 v58, s3, 35
	s_bfe_u32 s2, s84, 0x30006
	s_cmp_gt_u32 s1, 6
	s_cselect_b64 s[6:7], -1, 0
	v_writelane_b32 v58, s6, 36
	v_cmp_eq_u32_e64 s[4:5], 0, v26
	v_cmp_gt_u32_e64 s[98:99], 2, v0
	v_writelane_b32 v58, s7, 37
	s_and_b32 s6, s0, 0x3f8
	s_cmp_lg_u32 s2, 0
	v_writelane_b32 v58, s2, 38
	s_cselect_b64 s[0:1], -1, 0
	v_writelane_b32 v58, s0, 39
	v_add_u32_e32 v28, 0xc00, v27
	v_lshlrev_b32_e32 v14, 2, v0
	v_writelane_b32 v58, s1, 40
	v_writelane_b32 v58, s74, 41
	v_mov_b32_e32 v15, v3
	s_mov_b32 s85, s87
	v_writelane_b32 v58, s75, 42
	v_writelane_b32 v58, s92, 43
	v_lshl_add_u64 v[20:21], v[18:19], 0, v[0:1]
	s_mov_b32 s15, s72
	s_mov_b32 s33, s72
	;; [unrolled: 1-line block ×4, first 2 shown]
	v_lshlrev_b32_e32 v32, 3, v0
	v_lshl_or_b32 v33, v26, 3, v2
	s_lshl_b32 s7, s84, 1
	s_mov_b32 s69, 14
	s_mov_b64 s[76:77], 0
	v_mov_b64_e32 v[22:23], s[16:17]
	s_mov_b32 s68, 0x8000
	s_mov_b32 s96, 0x5040100
	v_mov_b64_e32 v[42:43], s[56:57]
	v_mov_b32_e32 v34, 0x4f800000
	v_mov_b32_e32 v35, 0x5040100
	;; [unrolled: 1-line block ×3, first 2 shown]
	s_mov_b32 s91, 0
	v_mov_b32_e32 v31, 0
	v_mov_b32_e32 v36, 0
	v_writelane_b32 v58, s88, 44
                                        ; implicit-def: $sgpr60_sgpr61
                                        ; implicit-def: $sgpr82_sgpr83
                                        ; implicit-def: $sgpr62_sgpr63
                                        ; implicit-def: $sgpr70_sgpr71
                                        ; implicit-def: $sgpr12_sgpr13
                                        ; implicit-def: $sgpr10_sgpr11
	v_writelane_b32 v58, s89, 45
	s_branch .LBB109_15
.LBB109_12:                             ;   in Loop: Header=BB109_15 Depth=1
	s_or_b64 exec, exec, s[20:21]
	s_and_b64 s[20:21], s[18:19], exec
	s_andn2_b64 s[24:25], s[24:25], exec
	s_andn2_b64 s[0:1], s[0:1], exec
	s_orn2_b64 s[18:19], s[8:9], exec
.LBB109_13:                             ;   in Loop: Header=BB109_15 Depth=1
	s_or_b64 exec, exec, s[2:3]
	s_andn2_b64 s[2:3], s[10:11], exec
	s_and_b64 s[8:9], s[20:21], exec
	s_or_b64 s[10:11], s[2:3], s[8:9]
	s_andn2_b64 s[2:3], s[12:13], exec
	s_and_b64 s[8:9], s[24:25], exec
	s_or_b64 s[12:13], s[2:3], s[8:9]
	s_andn2_b64 s[2:3], s[70:71], exec
	s_and_b64 s[0:1], s[0:1], exec
	s_or_b64 s[70:71], s[2:3], s[0:1]
	s_orn2_b64 s[0:1], s[18:19], exec
.LBB109_14:                             ;   in Loop: Header=BB109_15 Depth=1
	s_or_b64 exec, exec, s[16:17]
	s_and_b64 s[0:1], exec, s[0:1]
	s_or_b64 s[76:77], s[0:1], s[76:77]
	s_andn2_b64 s[0:1], s[62:63], exec
	s_and_b64 s[2:3], s[10:11], exec
	s_or_b64 s[62:63], s[0:1], s[2:3]
	s_andn2_b64 s[0:1], s[82:83], exec
	s_and_b64 s[2:3], s[12:13], exec
	;; [unrolled: 3-line block ×3, first 2 shown]
	s_or_b64 s[60:61], s[0:1], s[2:3]
	v_mov_b64_e32 v[22:23], v[8:9]
	s_andn2_b64 exec, exec, s[76:77]
	s_cbranch_execz .LBB109_282
.LBB109_15:                             ; =>This Loop Header: Depth=1
                                        ;     Child Loop BB109_20 Depth 2
                                        ;     Child Loop BB109_34 Depth 2
	;; [unrolled: 1-line block ×17, first 2 shown]
	ds_read_b128 v[4:7], v3 offset:5120
	s_waitcnt lgkmcnt(0)
	v_readfirstlane_b32 s65, v5
	v_readfirstlane_b32 s64, v4
	s_cmp_lg_u64 s[64:65], 0
	s_cbranch_scc1 .LBB109_47
; %bb.16:                               ;   in Loop: Header=BB109_15 Depth=1
	v_readlane_b32 s0, v58, 26
	v_readlane_b32 s1, v58, 27
	s_and_b64 vcc, exec, s[0:1]
	s_cbranch_vccz .LBB109_28
; %bb.17:                               ;   in Loop: Header=BB109_15 Depth=1
	s_mov_b64 s[0:1], 0x601
	v_cmp_gt_u64_e32 vcc, s[0:1], v[6:7]
	s_mov_b64 s[8:9], 0
	s_mov_b64 s[0:1], 0
	s_cbranch_vccz .LBB109_29
; %bb.18:                               ;   in Loop: Header=BB109_15 Depth=1
	global_load_ushort v2, v3, s[94:95]
	global_load_ushort v6, v[12:13], off
	s_mov_b64 s[16:17], 0
	v_mov_b64_e32 v[4:5], v[0:1]
	s_waitcnt vmcnt(1)
	v_and_b32_e32 v2, 0xffff, v2
	s_branch .LBB109_20
.LBB109_19:                             ;   in Loop: Header=BB109_20 Depth=2
	s_or_b64 exec, exec, s[2:3]
	v_mov_b32_e32 v6, v7
	s_andn2_b64 exec, exec, s[16:17]
	s_cbranch_execz .LBB109_107
.LBB109_20:                             ;   Parent Loop BB109_15 Depth=1
                                        ; =>  This Inner Loop Header: Depth=2
	v_lshl_add_u64 v[4:5], v[4:5], 0, v[2:3]
	v_cmp_gt_u64_e64 s[0:1], s[56:57], v[4:5]
	v_cmp_le_u64_e32 vcc, s[56:57], v[4:5]
	s_waitcnt lgkmcnt(0)
	v_mov_b32_e32 v8, 0
	v_mov_b32_e32 v7, 0
	s_and_saveexec_b64 s[2:3], s[0:1]
	s_cbranch_execz .LBB109_22
; %bb.21:                               ;   in Loop: Header=BB109_20 Depth=2
	v_mul_lo_u32 v7, v5, s72
	v_mul_lo_u32 v9, v4, s73
	v_mad_u64_u32 v[10:11], s[0:1], v4, s72, 0
	v_add3_u32 v11, v11, v9, v7
	v_lshl_add_u64 v[10:11], v[10:11], 1, s[80:81]
	global_load_ushort v7, v[10:11], off
.LBB109_22:                             ;   in Loop: Header=BB109_20 Depth=2
	s_or_b64 exec, exec, s[2:3]
	s_waitcnt vmcnt(0)
	v_add_u32_sdwa v9, sext(v6), s68 dst_sel:DWORD dst_unused:UNUSED_PAD src0_sel:WORD_0 src1_sel:DWORD
	v_and_b32_e32 v9, v9, v36
	v_cmp_eq_u32_e64 s[0:1], v9, v31
	s_cmp_lg_u64 s[0:1], 0
	s_cselect_b64 s[2:3], -1, 0
	s_and_b64 s[2:3], s[4:5], s[2:3]
	s_and_saveexec_b64 s[18:19], s[2:3]
	s_cbranch_execz .LBB109_26
; %bb.23:                               ;   in Loop: Header=BB109_20 Depth=2
	s_mov_b64 s[22:23], exec
	v_mbcnt_lo_u32_b32 v8, s22, 0
	v_mbcnt_hi_u32_b32 v8, s23, v8
	s_bcnt1_i32_b64 s24, s[0:1]
	v_cmp_eq_u32_e64 s[2:3], 0, v8
                                        ; implicit-def: $vgpr9
	s_and_saveexec_b64 s[20:21], s[2:3]
; %bb.24:                               ;   in Loop: Header=BB109_20 Depth=2
	s_bcnt1_i32_b64 s2, s[22:23]
	s_mul_i32 s2, s24, s2
	v_mov_b32_e32 v9, s2
	ds_add_rtn_u32 v9, v3, v9 offset:5144
; %bb.25:                               ;   in Loop: Header=BB109_20 Depth=2
	s_or_b64 exec, exec, s[20:21]
	s_waitcnt lgkmcnt(0)
	v_readfirstlane_b32 s2, v9
	s_nop 1
	v_mov_b32_e32 v9, s2
	v_mad_u32_u24 v8, s24, v8, v9
.LBB109_26:                             ;   in Loop: Header=BB109_20 Depth=2
	s_or_b64 exec, exec, s[18:19]
	ds_bpermute_b32 v8, v29, v8
	s_and_b64 s[2:3], exec, vcc
	s_or_b64 s[16:17], s[2:3], s[16:17]
	s_and_saveexec_b64 s[2:3], s[0:1]
	s_cbranch_execz .LBB109_19
; %bb.27:                               ;   in Loop: Header=BB109_20 Depth=2
	v_and_b32_e32 v10, s0, v16
	v_and_b32_e32 v9, s1, v17
	v_bcnt_u32_b32 v10, v10, 0
	v_bcnt_u32_b32 v9, v9, v10
	v_lshlrev_b32_e32 v9, 1, v9
	s_waitcnt lgkmcnt(0)
	v_lshl_add_u32 v8, v8, 1, v9
	ds_write_b16 v8, v6
	s_branch .LBB109_19
.LBB109_28:                             ;   in Loop: Header=BB109_15 Depth=1
	s_mov_b64 s[8:9], -1
	s_mov_b64 s[0:1], 0
.LBB109_29:                             ;   in Loop: Header=BB109_15 Depth=1
	s_and_b64 vcc, exec, s[8:9]
	s_cbranch_vccz .LBB109_45
.LBB109_30:                             ;   in Loop: Header=BB109_15 Depth=1
	s_mov_b64 s[0:1], exec
	v_readlane_b32 s2, v58, 24
	v_readlane_b32 s3, v58, 25
	s_and_b64 s[2:3], s[0:1], s[2:3]
	s_mov_b64 exec, s[2:3]
	s_cbranch_execz .LBB109_42
; %bb.31:                               ;   in Loop: Header=BB109_15 Depth=1
	global_load_ushort v2, v3, s[94:95]
	global_load_ushort v38, v[12:13], off
	v_mov_b32_e32 v4, v0
	s_waitcnt vmcnt(1)
	v_readfirstlane_b32 s8, v2
	v_add_u32_sdwa v2, v2, v0 dst_sel:DWORD dst_unused:UNUSED_PAD src0_sel:WORD_0 src1_sel:DWORD
	v_cmp_gt_u64_e32 vcc, s[56:57], v[2:3]
	s_and_saveexec_b64 s[2:3], vcc
	s_cbranch_execz .LBB109_41
; %bb.32:                               ;   in Loop: Header=BB109_15 Depth=1
	s_and_b32 s86, s8, 0xffff
	s_cmp_eq_u32 s86, 1
	v_readlane_b32 s16, v58, 32
	s_cselect_b64 s[8:9], -1, 0
	v_readlane_b32 s17, v58, 33
	s_and_b64 s[18:19], s[16:17], s[8:9]
	s_mov_b64 s[16:17], -1
	v_mov_b64_e32 v[8:9], v[0:1]
	v_mov_b64_e32 v[6:7], v[2:3]
                                        ; implicit-def: $vgpr4_vgpr5
	s_and_saveexec_b64 s[8:9], s[18:19]
	s_cbranch_execz .LBB109_36
; %bb.33:                               ;   in Loop: Header=BB109_15 Depth=1
	v_lshl_add_u64 v[8:9], v[2:3], 0, 3
	v_lshl_add_u64 v[6:7], v[2:3], 0, 2
	v_lshl_add_u64 v[4:5], v[2:3], 0, 1
	v_mov_b64_e32 v[10:11], v[8:9]
	s_waitcnt vmcnt(0)
	v_lshlrev_b32_e32 v40, 16, v38
	s_mov_b64 s[16:17], 0
	v_mov_b64_e32 v[24:25], v[18:19]
	v_mov_b32_e32 v39, v27
	v_mov_b64_e32 v[8:9], v[6:7]
	v_mov_b64_e32 v[6:7], v[4:5]
	;; [unrolled: 1-line block ×3, first 2 shown]
.LBB109_34:                             ;   Parent Loop BB109_15 Depth=1
                                        ; =>  This Inner Loop Header: Depth=2
	v_mul_lo_u32 v38, v11, s90
	v_mul_lo_u32 v41, v10, s89
	v_mad_u64_u32 v[44:45], s[18:19], v10, s90, 0
	v_mul_lo_u32 v52, v9, s33
	v_mul_lo_u32 v53, v8, s88
	v_mad_u64_u32 v[46:47], s[18:19], v8, s33, 0
	;; [unrolled: 3-line block ×4, first 2 shown]
	v_add3_u32 v45, v45, v41, v38
	v_add3_u32 v47, v47, v53, v52
	;; [unrolled: 1-line block ×4, first 2 shown]
	v_lshl_add_u64 v[46:47], v[46:47], 1, s[80:81]
	v_lshl_add_u64 v[44:45], v[44:45], 1, s[80:81]
	;; [unrolled: 1-line block ×4, first 2 shown]
	global_load_ushort v41, v[46:47], off
	global_load_ushort v38, v[44:45], off
	s_nop 0
	global_load_ushort v44, v[48:49], off
	global_load_ushort v45, v[50:51], off
	v_lshl_add_u64 v[24:25], v[24:25], 0, -4
	v_cmp_eq_u64_e32 vcc, 0, v[24:25]
	v_lshl_add_u64 v[10:11], v[10:11], 0, 4
	v_lshl_add_u64 v[8:9], v[8:9], 0, 4
	;; [unrolled: 1-line block ×4, first 2 shown]
	s_or_b64 s[16:17], vcc, s[16:17]
	s_waitcnt vmcnt(2)
	v_perm_b32 v46, v38, v41, s96
	s_waitcnt vmcnt(1)
	v_perm_b32 v41, v41, v44, s96
	s_waitcnt vmcnt(0)
	v_alignbit_b32 v40, v45, v40, 16
	ds_write_b64 v39, v[40:41]
	v_add_u32_e32 v39, 8, v39
	v_mov_b32_e32 v40, v46
	s_andn2_b64 exec, exec, s[16:17]
	s_cbranch_execnz .LBB109_34
; %bb.35:                               ;   in Loop: Header=BB109_15 Depth=1
	s_or_b64 exec, exec, s[16:17]
	v_readlane_b32 s16, v58, 34
	v_lshl_add_u64 v[6:7], v[2:3], 0, v[18:19]
	v_readlane_b32 s17, v58, 35
	v_lshl_add_u64 v[4:5], v[6:7], 0, -1
	s_orn2_b64 s[16:17], s[16:17], exec
	v_mov_b64_e32 v[8:9], v[20:21]
.LBB109_36:                             ;   in Loop: Header=BB109_15 Depth=1
	s_or_b64 exec, exec, s[8:9]
	s_and_saveexec_b64 s[8:9], s[16:17]
	s_cbranch_execz .LBB109_40
; %bb.37:                               ;   in Loop: Header=BB109_15 Depth=1
	s_sub_u32 s16, 0, s86
	s_mov_b64 s[18:19], 0
	s_subb_u32 s17, 0, 0
.LBB109_38:                             ;   Parent Loop BB109_15 Depth=1
                                        ; =>  This Inner Loop Header: Depth=2
	v_mov_b64_e32 v[4:5], v[6:7]
	v_mul_lo_u32 v2, v5, s72
	v_mul_lo_u32 v9, v4, s73
	v_mad_u64_u32 v[6:7], s[20:21], v4, s72, 0
	v_add3_u32 v7, v7, v9, v2
	v_lshl_add_u64 v[6:7], v[6:7], 1, s[80:81]
	global_load_ushort v2, v[6:7], off
	v_lshlrev_b32_e32 v6, 1, v8
	s_waitcnt vmcnt(1)
	ds_write_b16 v6, v38
	v_lshl_add_u64 v[6:7], v[4:5], 0, s[86:87]
	v_cmp_le_u64_e32 vcc, s[56:57], v[6:7]
	v_mov_b64_e32 v[8:9], v[4:5]
	s_or_b64 s[18:19], vcc, s[18:19]
	s_waitcnt vmcnt(0)
	v_mov_b32_e32 v38, v2
	s_andn2_b64 exec, exec, s[18:19]
	s_cbranch_execnz .LBB109_38
; %bb.39:                               ;   in Loop: Header=BB109_15 Depth=1
	s_or_b64 exec, exec, s[18:19]
	v_lshl_add_u64 v[4:5], s[16:17], 0, v[6:7]
	v_mov_b32_e32 v38, v2
.LBB109_40:                             ;   in Loop: Header=BB109_15 Depth=1
	s_or_b64 exec, exec, s[8:9]
.LBB109_41:                             ;   in Loop: Header=BB109_15 Depth=1
	s_or_b64 exec, exec, s[2:3]
	v_lshlrev_b32_e32 v2, 1, v4
	s_waitcnt vmcnt(0)
	ds_write_b16 v2, v38
.LBB109_42:                             ;   in Loop: Header=BB109_15 Depth=1
	s_or_b64 exec, exec, s[0:1]
	s_waitcnt lgkmcnt(0)
	s_barrier
	s_mov_b64 s[0:1], exec
	v_readlane_b32 s2, v58, 8
	v_readlane_b32 s3, v58, 9
	s_and_b64 s[2:3], s[0:1], s[2:3]
	s_mov_b64 exec, s[2:3]
; %bb.43:                               ;   in Loop: Header=BB109_15 Depth=1
	ds_write_b64 v3, v[42:43] offset:5120
; %bb.44:                               ;   in Loop: Header=BB109_15 Depth=1
	s_or_b64 exec, exec, s[0:1]
	s_mov_b64 s[0:1], -1
	s_waitcnt lgkmcnt(0)
	s_barrier
.LBB109_45:                             ;   in Loop: Header=BB109_15 Depth=1
	s_mov_b64 s[64:65], 0
	s_and_b64 vcc, exec, s[0:1]
	s_cbranch_vccz .LBB109_47
; %bb.46:                               ;   in Loop: Header=BB109_15 Depth=1
	ds_read_b64 v[4:5], v3 offset:5120
	s_waitcnt lgkmcnt(0)
	v_readfirstlane_b32 s64, v4
.LBB109_47:                             ;   in Loop: Header=BB109_15 Depth=1
	s_cmp_lt_i32 s64, 1
	s_mov_b64 s[0:1], -1
                                        ; implicit-def: $vgpr4_vgpr5
                                        ; implicit-def: $vgpr8_vgpr9
	s_cbranch_scc1 .LBB109_57
; %bb.48:                               ;   in Loop: Header=BB109_15 Depth=1
	s_and_b64 vcc, exec, s[0:1]
	s_cbranch_vccnz .LBB109_71
.LBB109_49:                             ;   in Loop: Header=BB109_15 Depth=1
	s_lshl_b32 s2, s91, 6
	s_and_saveexec_b64 s[0:1], s[4:5]
	s_cbranch_execz .LBB109_51
.LBB109_50:                             ;   in Loop: Header=BB109_15 Depth=1
	v_lshl_add_u32 v2, s2, 3, v30
	ds_write_b128 v2, v[4:7]
	ds_write_b128 v2, v[8:11] offset:16
.LBB109_51:                             ;   in Loop: Header=BB109_15 Depth=1
	s_or_b64 exec, exec, s[0:1]
	s_waitcnt lgkmcnt(0)
	s_barrier
	s_and_saveexec_b64 s[0:1], s[74:75]
	s_cbranch_execz .LBB109_86
; %bb.52:                               ;   in Loop: Header=BB109_15 Depth=1
	v_readlane_b32 s8, v58, 28
	v_readlane_b32 s9, v58, 29
	s_andn2_b64 vcc, exec, s[8:9]
	v_mov_b64_e32 v[4:5], 0
	s_cbranch_vccnz .LBB109_85
; %bb.53:                               ;   in Loop: Header=BB109_15 Depth=1
	v_readlane_b32 s8, v58, 36
	v_readlane_b32 s9, v58, 37
	s_andn2_b64 vcc, exec, s[8:9]
	s_cbranch_vccnz .LBB109_81
; %bb.54:                               ;   in Loop: Header=BB109_15 Depth=1
	v_lshl_add_u32 v2, s91, 9, v33
	v_mov_b64_e32 v[4:5], 0
	s_mov_b32 s3, 0
.LBB109_55:                             ;   Parent Loop BB109_15 Depth=1
                                        ; =>  This Inner Loop Header: Depth=2
	ds_read2_b64 v[6:9], v2 offset1:4
	ds_read2_b64 v[38:41], v2 offset0:8 offset1:12
	ds_read2_b64 v[44:47], v2 offset0:16 offset1:20
	;; [unrolled: 1-line block ×3, first 2 shown]
	s_add_i32 s3, s3, 8
	s_waitcnt lgkmcnt(3)
	v_lshl_add_u64 v[4:5], v[6:7], 0, v[4:5]
	v_lshl_add_u64 v[4:5], v[8:9], 0, v[4:5]
	s_waitcnt lgkmcnt(2)
	v_lshl_add_u64 v[4:5], v[38:39], 0, v[4:5]
	v_lshl_add_u64 v[4:5], v[40:41], 0, v[4:5]
	;; [unrolled: 3-line block ×3, first 2 shown]
	s_waitcnt lgkmcnt(0)
	v_lshl_add_u64 v[4:5], v[48:49], 0, v[4:5]
	v_add_u32_e32 v2, 0x100, v2
	s_cmp_eq_u32 s6, s3
	v_lshl_add_u64 v[4:5], v[50:51], 0, v[4:5]
	s_cbranch_scc0 .LBB109_55
; %bb.56:                               ;   in Loop: Header=BB109_15 Depth=1
	s_mov_b32 s3, s6
	s_branch .LBB109_82
.LBB109_57:                             ;   in Loop: Header=BB109_15 Depth=1
	global_load_ushort v2, v3, s[94:95]
	s_mov_b32 s0, s87
	s_waitcnt vmcnt(0)
	v_readfirstlane_b32 s1, v2
	s_and_b32 s1, 0xffff, s1
	s_lshl_b32 s86, s1, 2
	s_mov_b32 s1, s57
	s_cmp_lg_u64 s[0:1], 0
	s_cbranch_scc0 .LBB109_80
; %bb.58:                               ;   in Loop: Header=BB109_15 Depth=1
	v_cvt_f32_u32_e32 v4, s86
	s_sub_u32 s2, 0, s86
	s_subb_u32 s3, 0, 0
	v_fmac_f32_e32 v4, 0, v34
	v_rcp_f32_e32 v4, v4
	s_nop 0
	v_mul_f32_e32 v4, 0x5f7ffffc, v4
	v_mul_f32_e32 v5, 0x2f800000, v4
	v_trunc_f32_e32 v5, v5
	v_fmac_f32_e32 v4, 0xcf800000, v5
	v_cvt_u32_f32_e32 v5, v5
	v_cvt_u32_f32_e32 v4, v4
	v_readfirstlane_b32 s8, v5
	v_readfirstlane_b32 s0, v4
	s_mul_i32 s1, s2, s8
	s_mul_hi_u32 s16, s2, s0
	s_mul_i32 s9, s3, s0
	s_add_i32 s1, s16, s1
	s_mul_i32 s17, s2, s0
	s_add_i32 s1, s1, s9
	s_mul_hi_u32 s16, s0, s17
	s_mul_i32 s18, s0, s1
	s_mul_hi_u32 s9, s0, s1
	s_add_u32 s16, s16, s18
	s_addc_u32 s9, 0, s9
	s_mul_hi_u32 s19, s8, s17
	s_mul_i32 s17, s8, s17
	s_add_u32 s16, s16, s17
	s_mul_hi_u32 s18, s8, s1
	s_addc_u32 s9, s9, s19
	s_addc_u32 s16, s18, 0
	s_mul_i32 s1, s8, s1
	s_add_u32 s1, s9, s1
	s_addc_u32 s9, 0, s16
	s_add_u32 s16, s0, s1
	s_cselect_b64 s[0:1], -1, 0
	s_cmp_lg_u64 s[0:1], 0
	s_addc_u32 s8, s8, s9
	s_mul_i32 s0, s2, s8
	s_mul_hi_u32 s1, s2, s16
	s_add_i32 s0, s1, s0
	s_mul_i32 s3, s3, s16
	s_add_i32 s0, s0, s3
	s_mul_i32 s2, s2, s16
	s_mul_hi_u32 s3, s8, s2
	s_mul_i32 s9, s8, s2
	s_mul_i32 s18, s16, s0
	s_mul_hi_u32 s2, s16, s2
	s_mul_hi_u32 s17, s16, s0
	s_add_u32 s2, s2, s18
	s_addc_u32 s17, 0, s17
	s_add_u32 s2, s2, s9
	s_mul_hi_u32 s1, s8, s0
	s_addc_u32 s2, s17, s3
	s_addc_u32 s1, s1, 0
	s_mul_i32 s0, s8, s0
	s_add_u32 s0, s2, s0
	s_addc_u32 s2, 0, s1
	s_add_u32 s3, s16, s0
	s_cselect_b64 s[0:1], -1, 0
	s_cmp_lg_u64 s[0:1], 0
	s_addc_u32 s0, s8, s2
	s_mul_i32 s2, s56, s0
	s_mul_hi_u32 s8, s56, s3
	s_mul_hi_u32 s1, s56, s0
	s_add_u32 s2, s8, s2
	s_addc_u32 s1, 0, s1
	s_mul_hi_u32 s9, s57, s3
	s_mul_i32 s3, s57, s3
	s_add_u32 s2, s2, s3
	s_mul_hi_u32 s8, s57, s0
	s_addc_u32 s1, s1, s9
	s_addc_u32 s2, s8, 0
	s_mul_i32 s0, s57, s0
	s_add_u32 s0, s1, s0
	s_addc_u32 s1, 0, s2
	s_mul_i32 s1, s86, s1
	s_mul_hi_u32 s2, s86, s0
	s_add_i32 s2, s2, s1
	s_mul_i32 s0, s86, s0
	s_sub_u32 s3, s56, s0
	s_cselect_b64 s[0:1], -1, 0
	s_cmp_lg_u64 s[0:1], 0
	s_subb_u32 s2, s57, s2
	s_sub_u32 s8, s3, s86
	s_cselect_b64 s[0:1], -1, 0
	s_cmp_lg_u64 s[0:1], 0
	s_subb_u32 s9, s2, 0
	;; [unrolled: 4-line block ×3, first 2 shown]
	s_cmp_ge_u32 s8, s86
	s_cselect_b32 s1, -1, 0
	s_cmp_eq_u32 s9, 0
	s_cselect_b32 s1, s1, -1
	s_cmp_lg_u32 s1, 0
	s_cselect_b32 s0, s0, s9
	s_cselect_b32 s8, s16, s8
	s_cmp_ge_u32 s3, s86
	s_cselect_b32 s1, -1, 0
	s_cmp_eq_u32 s2, 0
	s_cselect_b32 s1, s1, -1
	s_cmp_lg_u32 s1, 0
	s_cselect_b32 s1, s0, s2
	s_cselect_b32 s0, s8, s3
	s_cbranch_execnz .LBB109_60
.LBB109_59:                             ;   in Loop: Header=BB109_15 Depth=1
	v_cvt_f32_u32_e32 v4, s86
	s_sub_i32 s0, 0, s86
	v_rcp_iflag_f32_e32 v4, v4
	s_nop 0
	v_mul_f32_e32 v4, 0x4f7ffffe, v4
	v_cvt_u32_f32_e32 v4, v4
	s_nop 0
	v_readfirstlane_b32 s1, v4
	s_mul_i32 s0, s0, s1
	s_mul_hi_u32 s0, s1, s0
	s_add_i32 s1, s1, s0
	s_mul_hi_u32 s0, s56, s1
	s_mul_i32 s0, s0, s86
	s_sub_i32 s0, s56, s0
	s_sub_i32 s1, s0, s86
	s_cmp_ge_u32 s0, s86
	s_cselect_b32 s0, s1, s0
	s_sub_i32 s1, s0, s86
	s_cmp_ge_u32 s0, s86
	s_cselect_b32 s0, s1, s0
	s_mov_b32 s1, s87
.LBB109_60:                             ;   in Loop: Header=BB109_15 Depth=1
	s_sub_u32 s54, s56, s0
	s_subb_u32 s55, s57, s1
	v_cmp_gt_u64_e32 vcc, s[54:55], v[14:15]
	v_mov_b64_e32 v[4:5], 0
	v_mov_b64_e32 v[6:7], 0
	;; [unrolled: 1-line block ×4, first 2 shown]
	s_and_saveexec_b64 s[66:67], vcc
	s_cbranch_execz .LBB109_64
; %bb.61:                               ;   in Loop: Header=BB109_15 Depth=1
	s_mov_b64 s[78:79], 0
	s_mov_b64 s[58:59], 0
	s_mov_b64 s[74:75], 0
	s_mov_b64 s[30:31], 0
	s_mov_b64 s[96:97], 0
	v_mov_b64_e32 v[24:25], v[14:15]
.LBB109_62:                             ;   Parent Loop BB109_15 Depth=1
                                        ; =>  This Inner Loop Header: Depth=2
	v_mul_lo_u32 v6, v25, s72
	v_mul_lo_u32 v7, v24, s73
	v_mad_u64_u32 v[4:5], s[0:1], v24, s72, 0
	v_add3_u32 v5, v5, v7, v6
	s_lshl_b64 s[0:1], s[72:73], 1
	v_lshl_add_u64 v[4:5], v[4:5], 1, s[80:81]
	v_lshl_add_u64 v[6:7], v[4:5], 0, s[0:1]
	global_load_sshort v8, v[4:5], off
	global_load_sshort v9, v[6:7], off
	v_lshl_add_u64 v[4:5], v[6:7], 0, s[0:1]
	global_load_sshort v6, v[4:5], off
	v_lshl_add_u64 v[4:5], v[4:5], 0, s[0:1]
	;; [unrolled: 2-line block ×3, first 2 shown]
	v_cmp_le_u64_e32 vcc, s[54:55], v[24:25]
	s_waitcnt vmcnt(3)
	v_add_u32_e32 v5, 0x8000, v8
	v_and_b32_e32 v8, v5, v36
	v_bfe_u32 v5, v5, s69, 2
	s_waitcnt vmcnt(2)
	v_add_u32_e32 v7, 0x8000, v9
	s_waitcnt vmcnt(1)
	v_add_u32_e32 v6, 0x8000, v6
	v_cmp_eq_u32_e64 s[0:1], v8, v31
	v_cmp_eq_u32_e64 s[2:3], 0, v5
	v_and_b32_e32 v8, v7, v36
	v_bfe_u32 v7, v7, s69, 2
	v_cmp_eq_u32_e64 s[34:35], 1, v5
	v_cmp_eq_u32_e64 s[36:37], 2, v5
	;; [unrolled: 1-line block ×3, first 2 shown]
	s_waitcnt vmcnt(0)
	v_add_u32_e32 v4, 0x8000, v4
	v_and_b32_e32 v5, v6, v36
	v_bfe_u32 v6, v6, s69, 2
	s_and_b64 s[2:3], s[0:1], s[2:3]
	v_cmp_eq_u32_e64 s[16:17], v8, v31
	v_cmp_eq_u32_e64 s[26:27], 0, v7
	;; [unrolled: 1-line block ×5, first 2 shown]
	v_cndmask_b32_e64 v7, 0, 1, s[2:3]
	v_cmp_eq_u32_e64 s[22:23], v5, v31
	v_and_b32_e32 v5, v4, v36
	v_bfe_u32 v4, v4, s69, 2
	v_cmp_eq_u32_e64 s[2:3], 0, v6
	s_and_b64 s[8:9], s[16:17], s[26:27]
	v_cmp_eq_u32_e64 s[26:27], v5, v31
	v_cmp_eq_u32_e64 s[48:49], 0, v4
	s_and_b64 s[2:3], s[22:23], s[2:3]
	v_cmp_eq_u32_e64 s[42:43], 1, v6
	v_cmp_eq_u32_e64 s[44:45], 2, v6
	;; [unrolled: 1-line block ×3, first 2 shown]
	v_cndmask_b32_e64 v6, 0, 1, s[8:9]
	v_cmp_eq_u32_e64 s[50:51], 1, v4
	v_cmp_eq_u32_e64 s[52:53], 2, v4
	;; [unrolled: 1-line block ×3, first 2 shown]
	v_cndmask_b32_e64 v4, 0, 1, s[2:3]
	s_and_b64 s[8:9], s[26:27], s[48:49]
	v_cmp_ne_u32_e64 s[46:47], 0, v7
	v_cmp_ne_u32_e64 s[2:3], 0, v4
	v_cndmask_b32_e64 v4, 0, 1, s[8:9]
	s_bcnt1_i32_b64 s65, s[46:47]
	v_cmp_ne_u32_e64 s[46:47], 0, v6
	s_bcnt1_i32_b64 s8, s[2:3]
	v_cmp_ne_u32_e64 s[2:3], 0, v4
	s_bcnt1_i32_b64 s46, s[46:47]
	s_bcnt1_i32_b64 s2, s[2:3]
	s_add_u32 s3, s65, s96
	s_addc_u32 s9, 0, s97
	s_add_u32 s3, s3, s46
	s_addc_u32 s9, s9, 0
	s_add_u32 s3, s3, s8
	s_addc_u32 s8, s9, 0
	s_add_u32 s96, s3, s2
	s_addc_u32 s97, s8, 0
	s_and_b64 s[2:3], s[0:1], s[34:35]
	v_cndmask_b32_e64 v6, 0, 1, s[2:3]
	s_and_b64 s[2:3], s[16:17], s[38:39]
	v_cndmask_b32_e64 v7, 0, 1, s[2:3]
	s_and_b64 s[2:3], s[22:23], s[42:43]
	v_cndmask_b32_e64 v8, 0, 1, s[2:3]
	s_and_b64 s[2:3], s[26:27], s[50:51]
	v_cndmask_b32_e64 v9, 0, 1, s[2:3]
	v_cmp_ne_u32_e64 s[2:3], 0, v6
	v_cmp_ne_u32_e64 s[34:35], 0, v7
	v_cmp_ne_u32_e64 s[38:39], 0, v8
	v_cmp_ne_u32_e64 s[42:43], 0, v9
	s_bcnt1_i32_b64 s2, s[2:3]
	s_bcnt1_i32_b64 s3, s[34:35]
	s_bcnt1_i32_b64 s8, s[38:39]
	s_bcnt1_i32_b64 s9, s[42:43]
	s_add_u32 s2, s2, s30
	s_addc_u32 s30, 0, s31
	s_add_u32 s2, s2, s3
	s_addc_u32 s3, s30, 0
	s_add_u32 s2, s2, s8
	s_addc_u32 s3, s3, 0
	s_add_u32 s30, s2, s9
	s_addc_u32 s31, s3, 0
	s_and_b64 s[2:3], s[0:1], s[36:37]
	v_cndmask_b32_e64 v8, 0, 1, s[2:3]
	s_and_b64 s[2:3], s[16:17], s[40:41]
	v_cndmask_b32_e64 v9, 0, 1, s[2:3]
	s_and_b64 s[2:3], s[22:23], s[44:45]
	v_cndmask_b32_e64 v10, 0, 1, s[2:3]
	s_and_b64 s[2:3], s[26:27], s[52:53]
	v_cndmask_b32_e64 v11, 0, 1, s[2:3]
	v_cmp_ne_u32_e64 s[2:3], 0, v8
	v_cmp_ne_u32_e64 s[34:35], 0, v9
	v_cmp_ne_u32_e64 s[36:37], 0, v10
	v_cmp_ne_u32_e64 s[38:39], 0, v11
	s_bcnt1_i32_b64 s2, s[2:3]
	s_bcnt1_i32_b64 s3, s[34:35]
	;; [unrolled: 24-line block ×3, first 2 shown]
	s_bcnt1_i32_b64 s2, s[16:17]
	s_bcnt1_i32_b64 s3, s[18:19]
	s_add_u32 s0, s0, s58
	s_addc_u32 s8, 0, s59
	s_add_u32 s0, s0, s1
	s_addc_u32 s1, s8, 0
	;; [unrolled: 2-line block ×4, first 2 shown]
	v_mov_b64_e32 v[4:5], s[96:97]
	v_mov_b64_e32 v[6:7], s[30:31]
	;; [unrolled: 1-line block ×3, first 2 shown]
	s_or_b64 s[78:79], vcc, s[78:79]
	v_mov_b64_e32 v[10:11], s[58:59]
	s_andn2_b64 exec, exec, s[78:79]
	s_cbranch_execnz .LBB109_62
; %bb.63:                               ;   in Loop: Header=BB109_15 Depth=1
	s_or_b64 exec, exec, s[78:79]
	v_readlane_b32 s74, v58, 41
	v_readlane_b32 s75, v58, 42
	;; [unrolled: 1-line block ×4, first 2 shown]
	s_mov_b32 s96, 0x5040100
.LBB109_64:                             ;   in Loop: Header=BB109_15 Depth=1
	s_or_b64 exec, exec, s[66:67]
	v_lshl_add_u64 v[24:25], s[54:55], 0, v[0:1]
	v_and_b32_e32 v2, 0xffff, v2
	v_cmp_gt_u64_e32 vcc, s[56:57], v[24:25]
	s_and_saveexec_b64 s[2:3], vcc
	s_cbranch_execz .LBB109_70
; %bb.65:                               ;   in Loop: Header=BB109_15 Depth=1
	v_mul_lo_u32 v40, v25, s72
	v_mul_lo_u32 v41, v24, s73
	v_mad_u64_u32 v[38:39], s[0:1], v24, s72, 0
	v_add3_u32 v39, v39, v41, v40
	v_lshl_add_u64 v[38:39], v[38:39], 1, s[80:81]
	global_load_ushort v39, v[38:39], off
	s_mov_b64 s[8:9], 0
	s_branch .LBB109_67
.LBB109_66:                             ;   in Loop: Header=BB109_67 Depth=2
	s_or_b64 exec, exec, s[16:17]
	s_waitcnt vmcnt(0)
	v_add_u32_sdwa v39, sext(v39), s68 dst_sel:DWORD dst_unused:UNUSED_PAD src0_sel:WORD_0 src1_sel:DWORD
	s_and_b64 s[0:1], exec, vcc
	v_and_b32_e32 v40, v39, v36
	v_bfe_u32 v39, v39, s69, 2
	s_or_b64 s[8:9], s[0:1], s[8:9]
	v_cmp_eq_u32_e32 vcc, v40, v31
	v_cmp_eq_u32_e64 s[0:1], 0, v39
	s_and_b64 s[0:1], vcc, s[0:1]
	s_nop 0
	v_cndmask_b32_e64 v40, 0, 1, s[0:1]
	v_cmp_ne_u32_e64 s[0:1], 0, v40
	s_bcnt1_i32_b64 s86, s[0:1]
	v_cmp_eq_u32_e64 s[0:1], 1, v39
	s_and_b64 s[0:1], vcc, s[0:1]
	v_lshl_add_u64 v[4:5], s[86:87], 0, v[4:5]
	v_cndmask_b32_e64 v40, 0, 1, s[0:1]
	v_cmp_ne_u32_e64 s[0:1], 0, v40
	s_bcnt1_i32_b64 s86, s[0:1]
	v_cmp_eq_u32_e64 s[0:1], 2, v39
	s_and_b64 s[0:1], vcc, s[0:1]
	v_lshl_add_u64 v[6:7], s[86:87], 0, v[6:7]
	;; [unrolled: 6-line block ×3, first 2 shown]
	v_cndmask_b32_e64 v39, 0, 1, s[0:1]
	v_cmp_ne_u32_e32 vcc, 0, v39
	s_bcnt1_i32_b64 s86, vcc
	v_lshl_add_u64 v[10:11], s[86:87], 0, v[10:11]
	v_mov_b32_e32 v39, v38
	s_andn2_b64 exec, exec, s[8:9]
	s_cbranch_execz .LBB109_69
.LBB109_67:                             ;   Parent Loop BB109_15 Depth=1
                                        ; =>  This Inner Loop Header: Depth=2
	v_lshl_add_u64 v[24:25], v[24:25], 0, v[2:3]
	v_cmp_gt_u64_e64 s[0:1], s[56:57], v[24:25]
	v_cmp_le_u64_e32 vcc, s[56:57], v[24:25]
	v_mov_b32_e32 v38, 0
	s_and_saveexec_b64 s[16:17], s[0:1]
	s_cbranch_execz .LBB109_66
; %bb.68:                               ;   in Loop: Header=BB109_67 Depth=2
	v_mul_lo_u32 v38, v25, s72
	v_mul_lo_u32 v44, v24, s73
	v_mad_u64_u32 v[40:41], s[0:1], v24, s72, 0
	v_add3_u32 v41, v41, v44, v38
	v_lshl_add_u64 v[40:41], v[40:41], 1, s[80:81]
	global_load_ushort v38, v[40:41], off
	s_branch .LBB109_66
.LBB109_69:                             ;   in Loop: Header=BB109_15 Depth=1
	s_or_b64 exec, exec, s[8:9]
.LBB109_70:                             ;   in Loop: Header=BB109_15 Depth=1
	s_or_b64 exec, exec, s[2:3]
	s_branch .LBB109_49
.LBB109_71:                             ;   in Loop: Header=BB109_15 Depth=1
	global_load_ushort v2, v3, s[94:95]
	v_mov_b64_e32 v[8:9], 0
	s_waitcnt vmcnt(0)
	v_readfirstlane_b32 s0, v2
	s_and_b32 s65, 0xffff, s0
	s_lshl_b32 s86, s65, 2
	v_cvt_f32_u32_e32 v4, s86
	s_sub_i32 s0, 0, s86
	v_rcp_iflag_f32_e32 v6, v4
	v_mov_b64_e32 v[4:5], 0
	v_mul_f32_e32 v6, 0x4f7ffffe, v6
	v_cvt_u32_f32_e32 v10, v6
	v_mov_b64_e32 v[6:7], 0
	v_readfirstlane_b32 s1, v10
	s_mul_i32 s0, s0, s1
	s_mul_hi_u32 s0, s1, s0
	s_add_i32 s1, s1, s0
	s_mul_hi_u32 s0, s64, s1
	s_mul_i32 s1, s0, s86
	s_sub_i32 s1, s64, s1
	s_add_i32 s2, s0, 1
	s_sub_i32 s3, s1, s86
	s_cmp_ge_u32 s1, s86
	s_cselect_b32 s0, s2, s0
	s_cselect_b32 s1, s3, s1
	s_add_i32 s2, s0, 1
	s_cmp_ge_u32 s1, s86
	s_cselect_b32 s0, s2, s0
	s_mul_hi_u32 s67, s65, s0
	s_mul_i32 s66, s65, s0
	s_lshl_b64 s[78:79], s[66:67], 2
	v_cmp_gt_u64_e32 vcc, s[78:79], v[14:15]
	v_mov_b64_e32 v[10:11], 0
	s_and_saveexec_b64 s[58:59], vcc
	s_cbranch_execz .LBB109_75
; %bb.72:                               ;   in Loop: Header=BB109_15 Depth=1
	s_mov_b64 s[88:89], s[98:99]
	s_lshl_b32 s67, s65, 3
	s_mov_b64 s[30:31], 0
	v_mov_b32_e32 v38, v32
	s_mov_b64 s[74:75], 0
	s_mov_b64 s[96:97], 0
	;; [unrolled: 1-line block ×4, first 2 shown]
	v_mov_b64_e32 v[24:25], v[14:15]
.LBB109_73:                             ;   Parent Loop BB109_15 Depth=1
                                        ; =>  This Inner Loop Header: Depth=2
	ds_read_b64 v[4:5], v38
	v_lshl_add_u64 v[24:25], v[24:25], 0, s[86:87]
	v_cmp_le_u64_e32 vcc, s[78:79], v[24:25]
	v_add_u32_e32 v38, s67, v38
	s_waitcnt lgkmcnt(0)
	v_add_u32_sdwa v6, sext(v4), s68 dst_sel:DWORD dst_unused:UNUSED_PAD src0_sel:WORD_0 src1_sel:DWORD
	v_add_u32_sdwa v4, sext(v4), s68 dst_sel:DWORD dst_unused:UNUSED_PAD src0_sel:WORD_1 src1_sel:DWORD
	v_and_b32_e32 v8, v6, v36
	v_bfe_u32 v6, v6, s69, 2
	v_add_u32_sdwa v7, sext(v5), s68 dst_sel:DWORD dst_unused:UNUSED_PAD src0_sel:WORD_0 src1_sel:DWORD
	v_and_b32_e32 v9, v4, v36
	v_bfe_u32 v4, v4, s69, 2
	v_cmp_eq_u32_e64 s[20:21], v8, v31
	v_cmp_eq_u32_e64 s[2:3], 0, v6
	v_add_u32_sdwa v5, sext(v5), s68 dst_sel:DWORD dst_unused:UNUSED_PAD src0_sel:WORD_1 src1_sel:DWORD
	v_and_b32_e32 v10, v7, v36
	v_bfe_u32 v7, v7, s69, 2
	v_cmp_eq_u32_e64 s[18:19], v9, v31
	v_cmp_eq_u32_e64 s[34:35], 0, v4
	s_and_b64 s[2:3], s[20:21], s[2:3]
	v_and_b32_e32 v11, v5, v36
	v_bfe_u32 v5, v5, s69, 2
	v_cmp_eq_u32_e64 s[16:17], v10, v31
	v_cmp_eq_u32_e64 s[36:37], 0, v7
	;; [unrolled: 1-line block ×5, first 2 shown]
	v_cndmask_b32_e64 v4, 0, 1, s[2:3]
	s_and_b64 s[2:3], s[18:19], s[34:35]
	v_cmp_eq_u32_e64 s[0:1], v11, v31
	v_cmp_eq_u32_e64 s[38:39], 0, v5
	;; [unrolled: 1-line block ×5, first 2 shown]
	v_cndmask_b32_e64 v5, 0, 1, s[2:3]
	s_and_b64 s[2:3], s[16:17], s[36:37]
	v_cmp_eq_u32_e64 s[40:41], 1, v6
	v_cmp_eq_u32_e64 s[48:49], 2, v6
	;; [unrolled: 1-line block ×3, first 2 shown]
	v_cndmask_b32_e64 v6, 0, 1, s[2:3]
	s_and_b64 s[2:3], s[0:1], s[38:39]
	v_cmp_eq_u32_e64 s[44:45], 1, v7
	v_cmp_eq_u32_e64 s[52:53], 2, v7
	;; [unrolled: 1-line block ×3, first 2 shown]
	v_cndmask_b32_e64 v7, 0, 1, s[2:3]
	v_cmp_ne_u32_e64 s[2:3], 0, v4
	v_cmp_ne_u32_e64 s[34:35], 0, v5
	;; [unrolled: 1-line block ×4, first 2 shown]
	s_bcnt1_i32_b64 s2, s[2:3]
	s_bcnt1_i32_b64 s3, s[34:35]
	;; [unrolled: 1-line block ×4, first 2 shown]
	s_add_u32 s2, s2, s8
	s_addc_u32 s8, 0, s9
	s_add_u32 s2, s2, s3
	s_addc_u32 s3, s8, 0
	;; [unrolled: 2-line block ×4, first 2 shown]
	s_and_b64 s[2:3], s[20:21], s[40:41]
	v_cndmask_b32_e64 v6, 0, 1, s[2:3]
	s_and_b64 s[2:3], s[18:19], s[42:43]
	v_cndmask_b32_e64 v7, 0, 1, s[2:3]
	s_and_b64 s[2:3], s[16:17], s[44:45]
	v_cndmask_b32_e64 v8, 0, 1, s[2:3]
	s_and_b64 s[2:3], s[0:1], s[46:47]
	v_cndmask_b32_e64 v9, 0, 1, s[2:3]
	v_cmp_ne_u32_e64 s[2:3], 0, v6
	v_cmp_ne_u32_e64 s[34:35], 0, v7
	v_cmp_ne_u32_e64 s[36:37], 0, v8
	v_cmp_ne_u32_e64 s[38:39], 0, v9
	s_bcnt1_i32_b64 s2, s[2:3]
	s_bcnt1_i32_b64 s3, s[34:35]
	;; [unrolled: 1-line block ×4, first 2 shown]
	s_add_u32 s2, s2, s98
	s_addc_u32 s36, 0, s99
	s_add_u32 s2, s2, s3
	s_addc_u32 s3, s36, 0
	;; [unrolled: 2-line block ×4, first 2 shown]
	s_and_b64 s[2:3], s[20:21], s[48:49]
	v_cndmask_b32_e64 v8, 0, 1, s[2:3]
	s_and_b64 s[2:3], s[18:19], s[50:51]
	v_cndmask_b32_e64 v9, 0, 1, s[2:3]
	;; [unrolled: 2-line block ×4, first 2 shown]
	v_cmp_ne_u32_e64 s[2:3], 0, v8
	v_cmp_ne_u32_e64 s[34:35], 0, v9
	;; [unrolled: 1-line block ×4, first 2 shown]
	s_bcnt1_i32_b64 s2, s[2:3]
	s_bcnt1_i32_b64 s3, s[34:35]
	;; [unrolled: 1-line block ×4, first 2 shown]
	s_add_u32 s2, s2, s96
	s_addc_u32 s36, 0, s97
	s_add_u32 s2, s2, s3
	s_addc_u32 s3, s36, 0
	;; [unrolled: 2-line block ×4, first 2 shown]
	s_and_b64 s[2:3], s[20:21], s[28:29]
	v_cndmask_b32_e64 v10, 0, 1, s[2:3]
	s_and_b64 s[2:3], s[18:19], s[26:27]
	v_cndmask_b32_e64 v11, 0, 1, s[2:3]
	s_and_b64 s[2:3], s[16:17], s[24:25]
	s_and_b64 s[0:1], s[0:1], s[22:23]
	v_cndmask_b32_e64 v39, 0, 1, s[2:3]
	v_cndmask_b32_e64 v40, 0, 1, s[0:1]
	v_cmp_ne_u32_e64 s[0:1], 0, v10
	v_cmp_ne_u32_e64 s[2:3], 0, v11
	;; [unrolled: 1-line block ×4, first 2 shown]
	s_bcnt1_i32_b64 s0, s[0:1]
	s_bcnt1_i32_b64 s1, s[2:3]
	;; [unrolled: 1-line block ×4, first 2 shown]
	s_add_u32 s0, s0, s74
	s_addc_u32 s16, 0, s75
	s_add_u32 s0, s0, s1
	s_addc_u32 s1, s16, 0
	;; [unrolled: 2-line block ×4, first 2 shown]
	v_mov_b64_e32 v[4:5], s[8:9]
	v_mov_b64_e32 v[6:7], s[98:99]
	;; [unrolled: 1-line block ×3, first 2 shown]
	s_or_b64 s[30:31], vcc, s[30:31]
	v_mov_b64_e32 v[10:11], s[74:75]
	s_andn2_b64 exec, exec, s[30:31]
	s_cbranch_execnz .LBB109_73
; %bb.74:                               ;   in Loop: Header=BB109_15 Depth=1
	s_or_b64 exec, exec, s[30:31]
	v_readlane_b32 s74, v58, 41
	s_mov_b64 s[98:99], s[88:89]
	v_readlane_b32 s75, v58, 42
	v_readlane_b32 s88, v58, 44
	;; [unrolled: 1-line block ×3, first 2 shown]
	s_mov_b32 s96, 0x5040100
.LBB109_75:                             ;   in Loop: Header=BB109_15 Depth=1
	s_or_b64 exec, exec, s[58:59]
	s_and_b32 s8, s64, 0x7fffffff
	s_mov_b32 s9, s87
	v_lshl_add_u64 v[24:25], s[78:79], 0, v[0:1]
	v_and_b32_e32 v2, 0xffff, v2
	v_cmp_gt_u64_e32 vcc, s[8:9], v[24:25]
	s_and_saveexec_b64 s[22:23], vcc
	s_cbranch_execz .LBB109_79
; %bb.76:                               ;   in Loop: Header=BB109_15 Depth=1
	v_lshl_add_u32 v38, s66, 3, v27
	s_lshl_b32 s26, s65, 1
	s_mov_b64 s[24:25], 0
.LBB109_77:                             ;   Parent Loop BB109_15 Depth=1
                                        ; =>  This Inner Loop Header: Depth=2
	ds_read_i16 v39, v38
	v_lshl_add_u64 v[24:25], v[24:25], 0, v[2:3]
	v_cmp_le_u64_e32 vcc, s[8:9], v[24:25]
	v_add_u32_e32 v38, s26, v38
	s_waitcnt lgkmcnt(0)
	v_add_u32_e32 v39, 0x8000, v39
	v_and_b32_e32 v40, v39, v36
	v_bfe_u32 v39, v39, s69, 2
	v_cmp_eq_u32_e64 s[0:1], v40, v31
	v_cmp_eq_u32_e64 s[2:3], 0, v39
	;; [unrolled: 1-line block ×3, first 2 shown]
	s_and_b64 s[2:3], s[0:1], s[2:3]
	v_cmp_eq_u32_e64 s[18:19], 2, v39
	v_cmp_eq_u32_e64 s[20:21], 3, v39
	v_cndmask_b32_e64 v39, 0, 1, s[2:3]
	s_and_b64 s[2:3], s[0:1], s[16:17]
	v_cndmask_b32_e64 v40, 0, 1, s[2:3]
	s_and_b64 s[2:3], s[0:1], s[18:19]
	s_and_b64 s[0:1], s[0:1], s[20:21]
	v_cndmask_b32_e64 v44, 0, 1, s[0:1]
	v_cmp_ne_u32_e64 s[0:1], 0, v39
	v_cndmask_b32_e64 v41, 0, 1, s[2:3]
	v_cmp_ne_u32_e64 s[2:3], 0, v40
	s_bcnt1_i32_b64 s86, s[0:1]
	v_cmp_ne_u32_e64 s[16:17], 0, v41
	v_lshl_add_u64 v[4:5], s[86:87], 0, v[4:5]
	s_bcnt1_i32_b64 s86, s[2:3]
	v_cmp_ne_u32_e64 s[18:19], 0, v44
	v_lshl_add_u64 v[6:7], s[86:87], 0, v[6:7]
	s_bcnt1_i32_b64 s86, s[16:17]
	v_lshl_add_u64 v[8:9], s[86:87], 0, v[8:9]
	s_bcnt1_i32_b64 s86, s[18:19]
	s_or_b64 s[24:25], vcc, s[24:25]
	v_lshl_add_u64 v[10:11], s[86:87], 0, v[10:11]
	s_andn2_b64 exec, exec, s[24:25]
	s_cbranch_execnz .LBB109_77
; %bb.78:                               ;   in Loop: Header=BB109_15 Depth=1
	s_or_b64 exec, exec, s[24:25]
.LBB109_79:                             ;   in Loop: Header=BB109_15 Depth=1
	s_or_b64 exec, exec, s[22:23]
	s_lshl_b32 s2, s91, 6
	s_and_saveexec_b64 s[0:1], s[4:5]
	s_cbranch_execnz .LBB109_50
	s_branch .LBB109_51
.LBB109_80:                             ;   in Loop: Header=BB109_15 Depth=1
                                        ; implicit-def: $sgpr0_sgpr1
	s_branch .LBB109_59
.LBB109_81:                             ;   in Loop: Header=BB109_15 Depth=1
	s_mov_b32 s3, 0
	v_mov_b64_e32 v[4:5], 0
.LBB109_82:                             ;   in Loop: Header=BB109_15 Depth=1
	v_readlane_b32 s8, v58, 39
	v_readlane_b32 s9, v58, 40
	s_andn2_b64 vcc, exec, s[8:9]
	s_cbranch_vccnz .LBB109_85
; %bb.83:                               ;   in Loop: Header=BB109_15 Depth=1
	s_lshl_b32 s8, s91, 9
	s_lshl_b32 s3, s3, 5
	s_add_i32 s8, s8, s3
	v_add_u32_e32 v2, s8, v33
	v_readlane_b32 s3, v58, 38
.LBB109_84:                             ;   Parent Loop BB109_15 Depth=1
                                        ; =>  This Inner Loop Header: Depth=2
	ds_read_b64 v[6:7], v2
	s_add_i32 s3, s3, -1
	v_add_u32_e32 v2, 32, v2
	s_cmp_lg_u32 s3, 0
	s_waitcnt lgkmcnt(0)
	v_lshl_add_u64 v[4:5], v[6:7], 0, v[4:5]
	s_cbranch_scc1 .LBB109_84
.LBB109_85:                             ;   in Loop: Header=BB109_15 Depth=1
	v_add_lshl_u32 v2, s2, v26, 3
	ds_write_b64 v2, v[4:5] offset:3072
.LBB109_86:                             ;   in Loop: Header=BB109_15 Depth=1
	s_or_b64 exec, exec, s[0:1]
	s_lshl_b32 s0, s2, 3
	v_mov_b32_e32 v2, s0
	s_waitcnt lgkmcnt(0)
	s_barrier
	ds_read_b128 v[8:11], v2 offset:3088
	ds_read_b128 v[4:7], v2 offset:3072
	s_lshl_b32 s66, 3, s69
	v_cmp_eq_u64_e64 s[0:1], 1, v[22:23]
	s_not_b32 s54, s66
	s_waitcnt lgkmcnt(1)
	v_readfirstlane_b32 s22, v8
	s_waitcnt lgkmcnt(0)
	v_cmp_eq_u64_e32 vcc, 1, v[4:5]
	v_readfirstlane_b32 s23, v9
	v_readfirstlane_b32 s2, v10
	;; [unrolled: 1-line block ×3, first 2 shown]
	s_and_b64 s[18:19], vcc, s[0:1]
	s_mov_b64 s[0:1], -1
	s_mov_b64 s[8:9], -1
                                        ; implicit-def: $sgpr24_sgpr25
                                        ; implicit-def: $sgpr20_sgpr21
	s_and_saveexec_b64 s[16:17], s[18:19]
	s_cbranch_execz .LBB109_124
; %bb.87:                               ;   in Loop: Header=BB109_15 Depth=1
	ds_read_b64 v[8:9], v3 offset:5120
	s_waitcnt lgkmcnt(0)
	s_barrier
	v_readfirstlane_b32 s26, v8
	v_readfirstlane_b32 s27, v9
	s_and_saveexec_b64 s[8:9], s[98:99]
; %bb.88:                               ;   in Loop: Header=BB109_15 Depth=1
	ds_write_b16 v28, v3
; %bb.89:                               ;   in Loop: Header=BB109_15 Depth=1
	s_or_b64 exec, exec, s[8:9]
	v_and_b32_e32 v31, s54, v31
	v_or_b32_e32 v36, s66, v36
	s_mov_b64 s[20:21], -1
	s_mov_b64 s[24:25], 0
	s_cmp_eq_u64 s[26:27], 0
	s_mov_b64 s[8:9], 0
	s_mov_b64 s[28:29], -1
	s_waitcnt lgkmcnt(0)
	s_barrier
                                        ; implicit-def: $vgpr37
	s_cbranch_scc1 .LBB109_103
; %bb.90:                               ;   in Loop: Header=BB109_15 Depth=1
	v_readlane_b32 s8, v58, 30
	s_add_u32 s34, s26, s8
	v_readlane_b32 s8, v58, 31
	s_addc_u32 s9, s27, s8
	s_mov_b32 s8, s87
	s_cmp_lg_u64 s[8:9], 0
	s_cbranch_scc0 .LBB109_106
; %bb.91:                               ;   in Loop: Header=BB109_15 Depth=1
	v_cvt_f32_u32_e32 v2, s84
	s_sub_u32 s8, 0, s84
	s_subb_u32 s30, 0, 0
	v_fmac_f32_e32 v2, 0, v34
	v_rcp_f32_e32 v2, v2
	s_nop 0
	v_mul_f32_e32 v2, 0x5f7ffffc, v2
	v_mul_f32_e32 v8, 0x2f800000, v2
	v_trunc_f32_e32 v8, v8
	v_fmac_f32_e32 v2, 0xcf800000, v8
	v_cvt_u32_f32_e32 v8, v8
	v_cvt_u32_f32_e32 v2, v2
	v_readfirstlane_b32 s31, v8
	v_readfirstlane_b32 s28, v2
	s_mul_i32 s29, s8, s31
	s_mul_hi_u32 s36, s8, s28
	s_mul_i32 s35, s30, s28
	s_add_i32 s29, s36, s29
	s_mul_i32 s37, s8, s28
	s_add_i32 s29, s29, s35
	s_mul_hi_u32 s36, s28, s37
	s_mul_i32 s38, s28, s29
	s_mul_hi_u32 s35, s28, s29
	s_add_u32 s36, s36, s38
	s_addc_u32 s35, 0, s35
	s_mul_hi_u32 s39, s31, s37
	s_mul_i32 s37, s31, s37
	s_add_u32 s36, s36, s37
	s_mul_hi_u32 s38, s31, s29
	s_addc_u32 s35, s35, s39
	s_addc_u32 s36, s38, 0
	s_mul_i32 s29, s31, s29
	s_add_u32 s29, s35, s29
	s_addc_u32 s35, 0, s36
	s_add_u32 s36, s28, s29
	s_cselect_b64 s[28:29], -1, 0
	s_cmp_lg_u64 s[28:29], 0
	s_addc_u32 s31, s31, s35
	s_mul_i32 s28, s8, s31
	s_mul_hi_u32 s29, s8, s36
	s_add_i32 s28, s29, s28
	s_mul_i32 s30, s30, s36
	s_add_i32 s28, s28, s30
	s_mul_i32 s8, s8, s36
	s_mul_hi_u32 s30, s31, s8
	s_mul_i32 s35, s31, s8
	s_mul_i32 s38, s36, s28
	s_mul_hi_u32 s8, s36, s8
	s_mul_hi_u32 s37, s36, s28
	s_add_u32 s8, s8, s38
	s_addc_u32 s37, 0, s37
	s_add_u32 s8, s8, s35
	s_mul_hi_u32 s29, s31, s28
	s_addc_u32 s8, s37, s30
	s_addc_u32 s29, s29, 0
	s_mul_i32 s28, s31, s28
	s_add_u32 s8, s8, s28
	s_addc_u32 s30, 0, s29
	s_add_u32 s8, s36, s8
	s_cselect_b64 s[28:29], -1, 0
	s_cmp_lg_u64 s[28:29], 0
	s_addc_u32 s28, s31, s30
	s_mul_i32 s30, s34, s28
	s_mul_hi_u32 s31, s34, s8
	s_mul_hi_u32 s29, s34, s28
	s_add_u32 s30, s31, s30
	s_addc_u32 s29, 0, s29
	s_mul_hi_u32 s35, s9, s8
	s_mul_i32 s8, s9, s8
	s_add_u32 s8, s30, s8
	s_mul_hi_u32 s31, s9, s28
	s_addc_u32 s8, s29, s35
	s_addc_u32 s29, s31, 0
	s_mul_i32 s28, s9, s28
	s_add_u32 s8, s8, s28
	s_addc_u32 s28, 0, s29
	s_mul_i32 s28, s84, s28
	s_mul_hi_u32 s29, s84, s8
	s_add_i32 s30, s29, s28
	s_mul_i32 s8, s84, s8
	s_sub_u32 s8, s34, s8
	s_cselect_b64 s[28:29], -1, 0
	s_cmp_lg_u64 s[28:29], 0
	s_subb_u32 s30, s9, s30
	s_sub_u32 s31, s8, s84
	s_cselect_b64 s[28:29], -1, 0
	s_cmp_lg_u64 s[28:29], 0
	s_subb_u32 s35, s30, 0
	;; [unrolled: 4-line block ×3, first 2 shown]
	s_cmp_ge_u32 s31, s84
	s_cselect_b32 s29, -1, 0
	s_cmp_eq_u32 s35, 0
	s_cselect_b32 s29, s29, -1
	s_cmp_lg_u32 s29, 0
	s_cselect_b32 s28, s28, s35
	s_cselect_b32 s31, s36, s31
	s_cmp_ge_u32 s8, s84
	s_cselect_b32 s29, -1, 0
	s_cmp_eq_u32 s30, 0
	s_cselect_b32 s29, s29, -1
	s_cmp_lg_u32 s29, 0
	s_cselect_b32 s29, s28, s30
	s_cselect_b32 s28, s31, s8
	s_cbranch_execnz .LBB109_93
.LBB109_92:                             ;   in Loop: Header=BB109_15 Depth=1
	v_cvt_f32_u32_e32 v2, s84
	s_sub_i32 s8, 0, s84
	v_rcp_iflag_f32_e32 v2, v2
	s_nop 0
	v_mul_f32_e32 v2, 0x4f7ffffe, v2
	v_cvt_u32_f32_e32 v2, v2
	s_nop 0
	v_readfirstlane_b32 s28, v2
	s_mul_i32 s8, s8, s28
	s_mul_hi_u32 s8, s28, s8
	s_add_i32 s28, s28, s8
	s_mul_hi_u32 s8, s34, s28
	s_mul_i32 s8, s8, s84
	s_sub_i32 s8, s34, s8
	s_sub_i32 s28, s8, s84
	s_cmp_ge_u32 s8, s84
	s_cselect_b32 s8, s28, s8
	s_sub_i32 s28, s8, s84
	s_cmp_ge_u32 s8, s84
	s_cselect_b32 s86, s28, s8
	s_mov_b64 s[28:29], s[86:87]
.LBB109_93:                             ;   in Loop: Header=BB109_15 Depth=1
	s_sub_u32 s34, s34, s28
	s_subb_u32 s35, s9, s29
	v_cmp_gt_u64_e32 vcc, s[34:35], v[0:1]
	s_mov_b64 s[28:29], 0
	s_mov_b64 s[8:9], 0
                                        ; implicit-def: $vgpr37
	s_and_saveexec_b64 s[30:31], vcc
	s_cbranch_execz .LBB109_102
; %bb.94:                               ;   in Loop: Header=BB109_15 Depth=1
	v_mov_b32_e32 v2, v27
	v_mov_b64_e32 v[8:9], v[0:1]
                                        ; implicit-def: $sgpr36_sgpr37
	s_branch .LBB109_97
.LBB109_95:                             ;   in Loop: Header=BB109_97 Depth=2
	s_or_b64 exec, exec, s[38:39]
	s_waitcnt lgkmcnt(0)
	s_barrier
	ds_read_b32 v10, v3 offset:3072
	s_mov_b64 s[38:39], -1
	s_waitcnt lgkmcnt(0)
	s_barrier
	v_cmp_ne_u32_sdwa s[40:41], v10, v3 src0_sel:WORD_0 src1_sel:DWORD
	s_and_b64 vcc, exec, s[40:41]
	s_mov_b64 s[40:41], -1
	s_cbranch_vccz .LBB109_100
.LBB109_96:                             ;   in Loop: Header=BB109_97 Depth=2
	s_and_b64 s[38:39], exec, s[38:39]
	s_or_b64 s[8:9], s[38:39], s[8:9]
	s_andn2_b64 s[36:37], s[36:37], exec
	s_and_b64 s[38:39], s[40:41], exec
	s_or_b64 s[36:37], s[36:37], s[38:39]
	s_andn2_b64 exec, exec, s[8:9]
	s_cbranch_execz .LBB109_101
.LBB109_97:                             ;   Parent Loop BB109_15 Depth=1
                                        ; =>  This Inner Loop Header: Depth=2
	v_cmp_gt_u64_e32 vcc, s[26:27], v[8:9]
	s_and_saveexec_b64 s[38:39], vcc
	s_cbranch_execz .LBB109_95
; %bb.98:                               ;   in Loop: Header=BB109_97 Depth=2
	ds_read_u16 v10, v2
	s_waitcnt lgkmcnt(0)
	v_add_u32_sdwa v11, sext(v10), s68 dst_sel:DWORD dst_unused:UNUSED_PAD src0_sel:WORD_0 src1_sel:DWORD
	v_and_b32_e32 v11, v11, v36
	v_cmp_eq_u32_e32 vcc, v11, v31
	s_and_b64 exec, exec, vcc
	s_cbranch_execz .LBB109_95
; %bb.99:                               ;   in Loop: Header=BB109_97 Depth=2
	v_perm_b32 v10, v10, 1, v35
	ds_write_b32 v3, v10 offset:3072
	s_branch .LBB109_95
.LBB109_100:                            ;   in Loop: Header=BB109_97 Depth=2
	v_lshl_add_u64 v[8:9], v[8:9], 0, s[84:85]
	v_cmp_le_u64_e32 vcc, s[34:35], v[8:9]
	v_add_u32_e32 v2, s7, v2
	s_mov_b64 s[40:41], 0
	s_orn2_b64 s[38:39], vcc, exec
	s_branch .LBB109_96
.LBB109_101:                            ;   in Loop: Header=BB109_15 Depth=1
	s_or_b64 exec, exec, s[8:9]
	v_lshrrev_b32_e32 v37, 16, v10
	s_and_b64 s[8:9], s[36:37], exec
.LBB109_102:                            ;   in Loop: Header=BB109_15 Depth=1
	s_or_b64 exec, exec, s[30:31]
.LBB109_103:                            ;   in Loop: Header=BB109_15 Depth=1
	s_and_b64 vcc, exec, s[28:29]
	s_cbranch_vccz .LBB109_123
; %bb.104:                              ;   in Loop: Header=BB109_15 Depth=1
	s_mov_b32 s92, s87
	s_cmp_lg_u64 s[92:93], 0
	s_cbranch_scc0 .LBB109_110
; %bb.105:                              ;   in Loop: Header=BB109_15 Depth=1
	v_cvt_f32_u32_e32 v2, s84
	s_sub_u32 s24, 0, s84
	s_subb_u32 s25, 0, 0
	v_fmac_f32_e32 v2, 0, v34
	v_rcp_f32_e32 v2, v2
	s_nop 0
	v_mul_f32_e32 v2, 0x5f7ffffc, v2
	v_mul_f32_e32 v8, 0x2f800000, v2
	v_trunc_f32_e32 v8, v8
	v_fmac_f32_e32 v2, 0xcf800000, v8
	v_cvt_u32_f32_e32 v8, v8
	v_cvt_u32_f32_e32 v2, v2
	v_readfirstlane_b32 s26, v8
	v_readfirstlane_b32 s20, v2
	s_mul_i32 s21, s24, s26
	s_mul_hi_u32 s28, s24, s20
	s_mul_i32 s27, s25, s20
	s_add_i32 s21, s28, s21
	s_mul_i32 s29, s24, s20
	s_add_i32 s21, s21, s27
	s_mul_hi_u32 s28, s20, s29
	s_mul_i32 s30, s20, s21
	s_mul_hi_u32 s27, s20, s21
	s_add_u32 s28, s28, s30
	s_addc_u32 s27, 0, s27
	s_mul_hi_u32 s31, s26, s29
	s_mul_i32 s29, s26, s29
	s_add_u32 s28, s28, s29
	s_mul_hi_u32 s30, s26, s21
	s_addc_u32 s27, s27, s31
	s_addc_u32 s28, s30, 0
	s_mul_i32 s21, s26, s21
	s_add_u32 s21, s27, s21
	s_addc_u32 s27, 0, s28
	s_add_u32 s28, s20, s21
	s_cselect_b64 s[20:21], -1, 0
	s_cmp_lg_u64 s[20:21], 0
	s_addc_u32 s26, s26, s27
	s_mul_i32 s20, s24, s26
	s_mul_hi_u32 s21, s24, s28
	s_add_i32 s20, s21, s20
	s_mul_i32 s25, s25, s28
	s_add_i32 s20, s20, s25
	s_mul_i32 s24, s24, s28
	s_mul_hi_u32 s25, s26, s24
	s_mul_i32 s27, s26, s24
	s_mul_i32 s30, s28, s20
	s_mul_hi_u32 s24, s28, s24
	s_mul_hi_u32 s29, s28, s20
	s_add_u32 s24, s24, s30
	s_addc_u32 s29, 0, s29
	s_add_u32 s24, s24, s27
	s_mul_hi_u32 s21, s26, s20
	s_addc_u32 s24, s29, s25
	s_addc_u32 s21, s21, 0
	s_mul_i32 s20, s26, s20
	s_add_u32 s20, s24, s20
	s_addc_u32 s24, 0, s21
	s_add_u32 s25, s28, s20
	s_cselect_b64 s[20:21], -1, 0
	s_cmp_lg_u64 s[20:21], 0
	s_addc_u32 s20, s26, s24
	s_mul_i32 s24, s14, s20
	s_mul_hi_u32 s26, s14, s25
	s_mul_hi_u32 s21, s14, s20
	s_add_u32 s24, s26, s24
	s_addc_u32 s21, 0, s21
	s_mul_hi_u32 s27, s93, s25
	s_mul_i32 s25, s93, s25
	s_add_u32 s24, s24, s25
	s_mul_hi_u32 s26, s93, s20
	s_addc_u32 s21, s21, s27
	s_addc_u32 s24, s26, 0
	s_mul_i32 s20, s93, s20
	s_add_u32 s20, s21, s20
	s_addc_u32 s21, 0, s24
	s_mul_i32 s21, s84, s21
	s_mul_hi_u32 s24, s84, s20
	s_add_i32 s24, s24, s21
	s_mul_i32 s20, s84, s20
	s_sub_u32 s25, s14, s20
	s_cselect_b64 s[20:21], -1, 0
	s_cmp_lg_u64 s[20:21], 0
	s_subb_u32 s24, s93, s24
	s_sub_u32 s26, s25, s84
	s_cselect_b64 s[20:21], -1, 0
	s_cmp_lg_u64 s[20:21], 0
	s_subb_u32 s27, s24, 0
	;; [unrolled: 4-line block ×3, first 2 shown]
	s_cmp_ge_u32 s26, s84
	s_cselect_b32 s21, -1, 0
	s_cmp_eq_u32 s27, 0
	s_cselect_b32 s21, s21, -1
	s_cmp_lg_u32 s21, 0
	s_cselect_b32 s20, s20, s27
	s_cselect_b32 s26, s28, s26
	s_cmp_ge_u32 s25, s84
	s_cselect_b32 s21, -1, 0
	s_cmp_eq_u32 s24, 0
	s_cselect_b32 s21, s21, -1
	s_cmp_lg_u32 s21, 0
	s_cselect_b32 s21, s20, s24
	s_cselect_b32 s20, s26, s25
	s_mov_b64 s[24:25], 0
	s_branch .LBB109_111
.LBB109_106:                            ;   in Loop: Header=BB109_15 Depth=1
                                        ; implicit-def: $sgpr28_sgpr29
	s_branch .LBB109_92
.LBB109_107:                            ;   in Loop: Header=BB109_15 Depth=1
	s_or_b64 exec, exec, s[16:17]
	s_waitcnt lgkmcnt(0)
	s_barrier
	s_mov_b64 s[0:1], exec
	v_readlane_b32 s2, v58, 8
	v_readlane_b32 s3, v58, 9
	s_and_b64 s[2:3], s[0:1], s[2:3]
	s_mov_b64 exec, s[2:3]
	s_cbranch_execz .LBB109_109
; %bb.108:                              ;   in Loop: Header=BB109_15 Depth=1
	ds_read_b32 v4, v3 offset:5144
	s_waitcnt lgkmcnt(0)
	v_ashrrev_i32_e32 v5, 31, v4
	ds_write_b64 v3, v[4:5] offset:5120
.LBB109_109:                            ;   in Loop: Header=BB109_15 Depth=1
	s_or_b64 exec, exec, s[0:1]
	s_waitcnt lgkmcnt(0)
	s_barrier
	s_mov_b64 s[0:1], -1
	s_and_b64 vcc, exec, s[8:9]
	s_cbranch_vccnz .LBB109_30
	s_branch .LBB109_45
.LBB109_110:                            ;   in Loop: Header=BB109_15 Depth=1
	s_mov_b64 s[24:25], -1
                                        ; implicit-def: $sgpr20_sgpr21
.LBB109_111:                            ;   in Loop: Header=BB109_15 Depth=1
	s_andn2_b64 vcc, exec, s[24:25]
	v_readlane_b32 s92, v58, 43
	s_cbranch_vccnz .LBB109_113
; %bb.112:                              ;   in Loop: Header=BB109_15 Depth=1
	v_cvt_f32_u32_e32 v2, s84
	s_sub_i32 s20, 0, s84
	v_rcp_iflag_f32_e32 v2, v2
	s_nop 0
	v_mul_f32_e32 v2, 0x4f7ffffe, v2
	v_cvt_u32_f32_e32 v2, v2
	s_nop 0
	v_readfirstlane_b32 s21, v2
	s_mul_i32 s20, s20, s21
	s_mul_hi_u32 s20, s21, s20
	s_add_i32 s21, s21, s20
	s_mul_hi_u32 s20, s14, s21
	s_mul_i32 s20, s20, s84
	s_sub_i32 s20, s14, s20
	s_sub_i32 s21, s20, s84
	s_cmp_ge_u32 s20, s84
	s_cselect_b32 s20, s21, s20
	s_sub_i32 s21, s20, s84
	s_cmp_ge_u32 s20, s84
	s_cselect_b32 s86, s21, s20
	s_mov_b64 s[20:21], s[86:87]
.LBB109_113:                            ;   in Loop: Header=BB109_15 Depth=1
	s_sub_u32 s24, s14, s20
	s_subb_u32 s25, s93, s21
	v_cmp_gt_u64_e32 vcc, s[24:25], v[0:1]
                                        ; implicit-def: $vgpr37
	s_and_saveexec_b64 s[20:21], vcc
	s_cbranch_execz .LBB109_122
; %bb.114:                              ;   in Loop: Header=BB109_15 Depth=1
	s_mov_b64 s[26:27], 0
	v_mov_b64_e32 v[8:9], v[0:1]
                                        ; implicit-def: $sgpr28_sgpr29
	s_branch .LBB109_117
.LBB109_115:                            ;   in Loop: Header=BB109_117 Depth=2
	s_or_b64 exec, exec, s[30:31]
	s_waitcnt lgkmcnt(0)
	s_barrier
	ds_read_b32 v2, v3 offset:3072
	s_mov_b64 s[30:31], -1
	s_waitcnt lgkmcnt(0)
	s_barrier
	v_cmp_ne_u32_sdwa s[34:35], v2, v3 src0_sel:WORD_0 src1_sel:DWORD
	s_and_b64 vcc, exec, s[34:35]
	s_mov_b64 s[34:35], -1
	s_cbranch_vccz .LBB109_120
.LBB109_116:                            ;   in Loop: Header=BB109_117 Depth=2
	s_and_b64 s[30:31], exec, s[30:31]
	s_or_b64 s[26:27], s[30:31], s[26:27]
	s_andn2_b64 s[28:29], s[28:29], exec
	s_and_b64 s[30:31], s[34:35], exec
	s_or_b64 s[28:29], s[28:29], s[30:31]
	s_andn2_b64 exec, exec, s[26:27]
	s_cbranch_execz .LBB109_121
.LBB109_117:                            ;   Parent Loop BB109_15 Depth=1
                                        ; =>  This Inner Loop Header: Depth=2
	v_cmp_gt_u64_e32 vcc, s[56:57], v[8:9]
	s_and_saveexec_b64 s[30:31], vcc
	s_cbranch_execz .LBB109_115
; %bb.118:                              ;   in Loop: Header=BB109_117 Depth=2
	v_mul_lo_u32 v2, v9, s72
	v_mul_lo_u32 v24, v8, s73
	v_mad_u64_u32 v[10:11], s[34:35], v8, s72, 0
	v_add3_u32 v11, v11, v24, v2
	v_lshl_add_u64 v[10:11], v[10:11], 1, s[80:81]
	global_load_ushort v2, v[10:11], off
	s_waitcnt vmcnt(0)
	v_add_u32_sdwa v10, sext(v2), s68 dst_sel:DWORD dst_unused:UNUSED_PAD src0_sel:WORD_0 src1_sel:DWORD
	v_and_b32_e32 v10, v10, v36
	v_cmp_eq_u32_e32 vcc, v10, v31
	s_and_b64 exec, exec, vcc
	s_cbranch_execz .LBB109_115
; %bb.119:                              ;   in Loop: Header=BB109_117 Depth=2
	v_perm_b32 v2, v2, 1, v35
	ds_write_b32 v3, v2 offset:3072
	s_branch .LBB109_115
.LBB109_120:                            ;   in Loop: Header=BB109_117 Depth=2
	v_lshl_add_u64 v[8:9], v[8:9], 0, s[84:85]
	v_cmp_le_u64_e32 vcc, s[24:25], v[8:9]
	s_mov_b64 s[34:35], 0
	s_orn2_b64 s[30:31], vcc, exec
	s_branch .LBB109_116
.LBB109_121:                            ;   in Loop: Header=BB109_15 Depth=1
	s_or_b64 exec, exec, s[26:27]
	s_andn2_b64 s[8:9], s[8:9], exec
	s_and_b64 s[24:25], s[28:29], exec
	v_lshrrev_b32_e32 v37, 16, v2
	s_or_b64 s[8:9], s[8:9], s[24:25]
.LBB109_122:                            ;   in Loop: Header=BB109_15 Depth=1
	s_or_b64 exec, exec, s[20:21]
	s_mov_b64 s[20:21], 0
	s_mov_b64 s[24:25], -1
.LBB109_123:                            ;   in Loop: Header=BB109_15 Depth=1
	s_orn2_b64 s[8:9], s[8:9], exec
.LBB109_124:                            ;   in Loop: Header=BB109_15 Depth=1
	s_or_b64 exec, exec, s[16:17]
	s_andn2_b64 s[12:13], s[12:13], exec
	s_and_b64 s[16:17], s[24:25], exec
	s_or_b64 s[12:13], s[12:13], s[16:17]
	s_andn2_b64 s[16:17], s[70:71], exec
	s_and_b64 s[20:21], s[20:21], exec
	s_andn2_b64 s[10:11], s[10:11], exec
	s_or_b64 s[70:71], s[16:17], s[20:21]
                                        ; implicit-def: $vgpr8_vgpr9
	s_and_saveexec_b64 s[16:17], s[8:9]
	s_cbranch_execz .LBB109_14
; %bb.125:                              ;   in Loop: Header=BB109_15 Depth=1
	s_xor_b64 s[8:9], s[18:19], -1
	v_mov_b32_e32 v2, 1
	s_mov_b64 s[20:21], 0
	v_mov_b64_e32 v[8:9], 1
	s_and_saveexec_b64 s[0:1], s[8:9]
	s_cbranch_execz .LBB109_134
; %bb.126:                              ;   in Loop: Header=BB109_15 Depth=1
	v_cmp_le_u64_e32 vcc, v[22:23], v[4:5]
	s_and_saveexec_b64 s[8:9], vcc
	s_xor_b64 s[8:9], exec, s[8:9]
	s_cbranch_execz .LBB109_131
; %bb.127:                              ;   in Loop: Header=BB109_15 Depth=1
	ds_read_b64 v[8:9], v3 offset:5120
	v_and_b32_e32 v31, s54, v31
	v_or_b32_e32 v36, s66, v36
	s_waitcnt lgkmcnt(0)
	v_cmp_ne_u64_e32 vcc, 0, v[8:9]
	s_cbranch_vccnz .LBB109_131
; %bb.128:                              ;   in Loop: Header=BB109_15 Depth=1
	s_mov_b64 s[18:19], exec
	v_readlane_b32 s20, v58, 8
	v_readlane_b32 s21, v58, 9
	s_and_b64 s[20:21], s[18:19], s[20:21]
	s_mov_b64 exec, s[20:21]
; %bb.129:                              ;   in Loop: Header=BB109_15 Depth=1
	ds_write_b64 v3, v[4:5] offset:5128
; %bb.130:                              ;   in Loop: Header=BB109_15 Depth=1
	s_or_b64 exec, exec, s[18:19]
	s_waitcnt lgkmcnt(0)
	s_barrier
.LBB109_131:                            ;   in Loop: Header=BB109_15 Depth=1
	s_or_saveexec_b64 s[8:9], s[8:9]
	s_mov_b64 s[18:19], 0
	v_mov_b32_e32 v2, 8
	s_xor_b64 exec, exec, s[8:9]
; %bb.132:                              ;   in Loop: Header=BB109_15 Depth=1
	v_sub_co_u32_e32 v22, vcc, v22, v4
	s_mov_b64 s[18:19], exec
	s_nop 0
	v_subb_co_u32_e32 v23, vcc, v23, v5, vcc
	v_mov_b32_e32 v2, 0
; %bb.133:                              ;   in Loop: Header=BB109_15 Depth=1
	s_or_b64 exec, exec, s[8:9]
	s_and_b64 s[20:21], s[18:19], exec
	v_mov_b64_e32 v[8:9], v[22:23]
.LBB109_134:                            ;   in Loop: Header=BB109_15 Depth=1
	s_or_b64 exec, exec, s[0:1]
	s_mov_b64 s[18:19], -1
	s_mov_b64 s[8:9], -1
                                        ; implicit-def: $sgpr0_sgpr1
                                        ; implicit-def: $sgpr24_sgpr25
	s_and_saveexec_b64 s[26:27], s[20:21]
	s_xor_b64 s[20:21], exec, s[26:27]
	s_cbranch_execz .LBB109_279
; %bb.135:                              ;   in Loop: Header=BB109_15 Depth=1
	v_cmp_eq_u64_e32 vcc, 1, v[6:7]
	v_cmp_eq_u64_e64 s[0:1], 1, v[8:9]
	s_and_b64 s[28:29], vcc, s[0:1]
                                        ; implicit-def: $sgpr24_sgpr25
                                        ; implicit-def: $sgpr0_sgpr1
	s_and_saveexec_b64 s[26:27], s[28:29]
	s_cbranch_execz .LBB109_170
; %bb.136:                              ;   in Loop: Header=BB109_15 Depth=1
	ds_read_b64 v[4:5], v3 offset:5120
	s_waitcnt lgkmcnt(0)
	s_barrier
	v_readfirstlane_b32 s30, v4
	v_readfirstlane_b32 s31, v5
	s_and_saveexec_b64 s[0:1], s[98:99]
; %bb.137:                              ;   in Loop: Header=BB109_15 Depth=1
	ds_write_b16 v28, v3
; %bb.138:                              ;   in Loop: Header=BB109_15 Depth=1
	s_or_b64 exec, exec, s[0:1]
	v_and_b32_e32 v4, s54, v31
	v_lshl_or_b32 v31, 1, s69, v4
	v_or_b32_e32 v36, s66, v36
	s_mov_b64 s[0:1], -1
	s_mov_b64 s[24:25], 0
	s_cmp_eq_u64 s[30:31], 0
	s_mov_b64 s[8:9], 0
	s_mov_b64 s[34:35], -1
	s_waitcnt lgkmcnt(0)
	s_barrier
                                        ; implicit-def: $vgpr37
	s_cbranch_scc1 .LBB109_152
; %bb.139:                              ;   in Loop: Header=BB109_15 Depth=1
	v_readlane_b32 s8, v58, 30
	s_add_u32 s38, s30, s8
	v_readlane_b32 s8, v58, 31
	s_addc_u32 s9, s31, s8
	s_mov_b32 s8, s87
	s_cmp_lg_u64 s[8:9], 0
	s_cbranch_scc0 .LBB109_155
; %bb.140:                              ;   in Loop: Header=BB109_15 Depth=1
	v_cvt_f32_u32_e32 v4, s84
	s_sub_u32 s8, 0, s84
	s_subb_u32 s36, 0, 0
	v_fmac_f32_e32 v4, 0, v34
	v_rcp_f32_e32 v4, v4
	s_nop 0
	v_mul_f32_e32 v4, 0x5f7ffffc, v4
	v_mul_f32_e32 v5, 0x2f800000, v4
	v_trunc_f32_e32 v5, v5
	v_fmac_f32_e32 v4, 0xcf800000, v5
	v_cvt_u32_f32_e32 v5, v5
	v_cvt_u32_f32_e32 v4, v4
	v_readfirstlane_b32 s37, v5
	v_readfirstlane_b32 s34, v4
	s_mul_i32 s35, s8, s37
	s_mul_hi_u32 s40, s8, s34
	s_mul_i32 s39, s36, s34
	s_add_i32 s35, s40, s35
	s_mul_i32 s41, s8, s34
	s_add_i32 s35, s35, s39
	s_mul_hi_u32 s40, s34, s41
	s_mul_i32 s42, s34, s35
	s_mul_hi_u32 s39, s34, s35
	s_add_u32 s40, s40, s42
	s_addc_u32 s39, 0, s39
	s_mul_hi_u32 s43, s37, s41
	s_mul_i32 s41, s37, s41
	s_add_u32 s40, s40, s41
	s_mul_hi_u32 s42, s37, s35
	s_addc_u32 s39, s39, s43
	s_addc_u32 s40, s42, 0
	s_mul_i32 s35, s37, s35
	s_add_u32 s35, s39, s35
	s_addc_u32 s39, 0, s40
	s_add_u32 s40, s34, s35
	s_cselect_b64 s[34:35], -1, 0
	s_cmp_lg_u64 s[34:35], 0
	s_addc_u32 s37, s37, s39
	s_mul_i32 s34, s8, s37
	s_mul_hi_u32 s35, s8, s40
	s_add_i32 s34, s35, s34
	s_mul_i32 s36, s36, s40
	s_add_i32 s34, s34, s36
	s_mul_i32 s8, s8, s40
	s_mul_hi_u32 s36, s37, s8
	s_mul_i32 s39, s37, s8
	s_mul_i32 s42, s40, s34
	s_mul_hi_u32 s8, s40, s8
	s_mul_hi_u32 s41, s40, s34
	s_add_u32 s8, s8, s42
	s_addc_u32 s41, 0, s41
	s_add_u32 s8, s8, s39
	s_mul_hi_u32 s35, s37, s34
	s_addc_u32 s8, s41, s36
	s_addc_u32 s35, s35, 0
	s_mul_i32 s34, s37, s34
	s_add_u32 s8, s8, s34
	s_addc_u32 s36, 0, s35
	s_add_u32 s8, s40, s8
	s_cselect_b64 s[34:35], -1, 0
	s_cmp_lg_u64 s[34:35], 0
	s_addc_u32 s34, s37, s36
	s_mul_i32 s36, s38, s34
	s_mul_hi_u32 s37, s38, s8
	s_mul_hi_u32 s35, s38, s34
	s_add_u32 s36, s37, s36
	s_addc_u32 s35, 0, s35
	s_mul_hi_u32 s39, s9, s8
	s_mul_i32 s8, s9, s8
	s_add_u32 s8, s36, s8
	s_mul_hi_u32 s37, s9, s34
	s_addc_u32 s8, s35, s39
	s_addc_u32 s35, s37, 0
	s_mul_i32 s34, s9, s34
	s_add_u32 s8, s8, s34
	s_addc_u32 s34, 0, s35
	s_mul_i32 s34, s84, s34
	s_mul_hi_u32 s35, s84, s8
	s_add_i32 s36, s35, s34
	s_mul_i32 s8, s84, s8
	s_sub_u32 s8, s38, s8
	s_cselect_b64 s[34:35], -1, 0
	s_cmp_lg_u64 s[34:35], 0
	s_subb_u32 s36, s9, s36
	s_sub_u32 s37, s8, s84
	s_cselect_b64 s[34:35], -1, 0
	s_cmp_lg_u64 s[34:35], 0
	s_subb_u32 s39, s36, 0
	;; [unrolled: 4-line block ×3, first 2 shown]
	s_cmp_ge_u32 s37, s84
	s_cselect_b32 s35, -1, 0
	s_cmp_eq_u32 s39, 0
	s_cselect_b32 s35, s35, -1
	s_cmp_lg_u32 s35, 0
	s_cselect_b32 s34, s34, s39
	s_cselect_b32 s37, s40, s37
	s_cmp_ge_u32 s8, s84
	s_cselect_b32 s35, -1, 0
	s_cmp_eq_u32 s36, 0
	s_cselect_b32 s35, s35, -1
	s_cmp_lg_u32 s35, 0
	s_cselect_b32 s35, s34, s36
	s_cselect_b32 s34, s37, s8
	s_cbranch_execnz .LBB109_142
.LBB109_141:                            ;   in Loop: Header=BB109_15 Depth=1
	v_cvt_f32_u32_e32 v4, s84
	s_sub_i32 s8, 0, s84
	v_rcp_iflag_f32_e32 v4, v4
	s_nop 0
	v_mul_f32_e32 v4, 0x4f7ffffe, v4
	v_cvt_u32_f32_e32 v4, v4
	s_nop 0
	v_readfirstlane_b32 s34, v4
	s_mul_i32 s8, s8, s34
	s_mul_hi_u32 s8, s34, s8
	s_add_i32 s34, s34, s8
	s_mul_hi_u32 s8, s38, s34
	s_mul_i32 s8, s8, s84
	s_sub_i32 s8, s38, s8
	s_sub_i32 s34, s8, s84
	s_cmp_ge_u32 s8, s84
	s_cselect_b32 s8, s34, s8
	s_sub_i32 s34, s8, s84
	s_cmp_ge_u32 s8, s84
	s_cselect_b32 s86, s34, s8
	s_mov_b64 s[34:35], s[86:87]
.LBB109_142:                            ;   in Loop: Header=BB109_15 Depth=1
	s_sub_u32 s38, s38, s34
	s_subb_u32 s39, s9, s35
	v_cmp_gt_u64_e32 vcc, s[38:39], v[0:1]
	s_mov_b64 s[34:35], 0
	s_mov_b64 s[8:9], 0
                                        ; implicit-def: $vgpr37
	s_and_saveexec_b64 s[36:37], vcc
	s_cbranch_execz .LBB109_151
; %bb.143:                              ;   in Loop: Header=BB109_15 Depth=1
	v_mov_b32_e32 v10, v27
	v_mov_b64_e32 v[4:5], v[0:1]
                                        ; implicit-def: $sgpr40_sgpr41
	s_branch .LBB109_146
.LBB109_144:                            ;   in Loop: Header=BB109_146 Depth=2
	s_or_b64 exec, exec, s[42:43]
	s_waitcnt lgkmcnt(0)
	s_barrier
	ds_read_b32 v11, v3 offset:3072
	s_mov_b64 s[42:43], -1
	s_waitcnt lgkmcnt(0)
	s_barrier
	v_cmp_ne_u32_sdwa s[44:45], v11, v3 src0_sel:WORD_0 src1_sel:DWORD
	s_and_b64 vcc, exec, s[44:45]
	s_mov_b64 s[44:45], -1
	s_cbranch_vccz .LBB109_149
.LBB109_145:                            ;   in Loop: Header=BB109_146 Depth=2
	s_and_b64 s[42:43], exec, s[42:43]
	s_or_b64 s[8:9], s[42:43], s[8:9]
	s_andn2_b64 s[40:41], s[40:41], exec
	s_and_b64 s[42:43], s[44:45], exec
	s_or_b64 s[40:41], s[40:41], s[42:43]
	s_andn2_b64 exec, exec, s[8:9]
	s_cbranch_execz .LBB109_150
.LBB109_146:                            ;   Parent Loop BB109_15 Depth=1
                                        ; =>  This Inner Loop Header: Depth=2
	v_cmp_gt_u64_e32 vcc, s[30:31], v[4:5]
	s_and_saveexec_b64 s[42:43], vcc
	s_cbranch_execz .LBB109_144
; %bb.147:                              ;   in Loop: Header=BB109_146 Depth=2
	ds_read_u16 v11, v10
	s_waitcnt lgkmcnt(0)
	v_add_u32_sdwa v22, sext(v11), s68 dst_sel:DWORD dst_unused:UNUSED_PAD src0_sel:WORD_0 src1_sel:DWORD
	v_and_b32_e32 v22, v22, v36
	v_cmp_eq_u32_e32 vcc, v22, v31
	s_and_b64 exec, exec, vcc
	s_cbranch_execz .LBB109_144
; %bb.148:                              ;   in Loop: Header=BB109_146 Depth=2
	v_perm_b32 v11, v11, 1, v35
	ds_write_b32 v3, v11 offset:3072
	s_branch .LBB109_144
.LBB109_149:                            ;   in Loop: Header=BB109_146 Depth=2
	v_lshl_add_u64 v[4:5], v[4:5], 0, s[84:85]
	v_cmp_le_u64_e32 vcc, s[38:39], v[4:5]
	v_add_u32_e32 v10, s7, v10
	s_mov_b64 s[44:45], 0
	s_orn2_b64 s[42:43], vcc, exec
	s_branch .LBB109_145
.LBB109_150:                            ;   in Loop: Header=BB109_15 Depth=1
	s_or_b64 exec, exec, s[8:9]
	v_lshrrev_b32_e32 v37, 16, v11
	s_and_b64 s[8:9], s[40:41], exec
.LBB109_151:                            ;   in Loop: Header=BB109_15 Depth=1
	s_or_b64 exec, exec, s[36:37]
.LBB109_152:                            ;   in Loop: Header=BB109_15 Depth=1
	s_and_b64 vcc, exec, s[34:35]
	s_cbranch_vccz .LBB109_169
; %bb.153:                              ;   in Loop: Header=BB109_15 Depth=1
	s_mov_b32 s92, s87
	s_cmp_lg_u64 s[92:93], 0
	s_cbranch_scc0 .LBB109_156
; %bb.154:                              ;   in Loop: Header=BB109_15 Depth=1
	v_cvt_f32_u32_e32 v4, s84
	s_sub_u32 s24, 0, s84
	s_subb_u32 s25, 0, 0
	v_fmac_f32_e32 v4, 0, v34
	v_rcp_f32_e32 v4, v4
	s_nop 0
	v_mul_f32_e32 v4, 0x5f7ffffc, v4
	v_mul_f32_e32 v5, 0x2f800000, v4
	v_trunc_f32_e32 v5, v5
	v_fmac_f32_e32 v4, 0xcf800000, v5
	v_cvt_u32_f32_e32 v5, v5
	v_cvt_u32_f32_e32 v4, v4
	v_readfirstlane_b32 s30, v5
	v_readfirstlane_b32 s0, v4
	s_mul_i32 s1, s24, s30
	s_mul_hi_u32 s34, s24, s0
	s_mul_i32 s31, s25, s0
	s_add_i32 s1, s34, s1
	s_mul_i32 s35, s24, s0
	s_add_i32 s1, s1, s31
	s_mul_hi_u32 s34, s0, s35
	s_mul_i32 s36, s0, s1
	s_mul_hi_u32 s31, s0, s1
	s_add_u32 s34, s34, s36
	s_addc_u32 s31, 0, s31
	s_mul_hi_u32 s37, s30, s35
	s_mul_i32 s35, s30, s35
	s_add_u32 s34, s34, s35
	s_mul_hi_u32 s36, s30, s1
	s_addc_u32 s31, s31, s37
	s_addc_u32 s34, s36, 0
	s_mul_i32 s1, s30, s1
	s_add_u32 s1, s31, s1
	s_addc_u32 s31, 0, s34
	s_add_u32 s34, s0, s1
	s_cselect_b64 s[0:1], -1, 0
	s_cmp_lg_u64 s[0:1], 0
	s_addc_u32 s30, s30, s31
	s_mul_i32 s0, s24, s30
	s_mul_hi_u32 s1, s24, s34
	s_add_i32 s0, s1, s0
	s_mul_i32 s25, s25, s34
	s_add_i32 s0, s0, s25
	s_mul_i32 s24, s24, s34
	s_mul_hi_u32 s25, s30, s24
	s_mul_i32 s31, s30, s24
	s_mul_i32 s36, s34, s0
	s_mul_hi_u32 s24, s34, s24
	s_mul_hi_u32 s35, s34, s0
	s_add_u32 s24, s24, s36
	s_addc_u32 s35, 0, s35
	s_add_u32 s24, s24, s31
	s_mul_hi_u32 s1, s30, s0
	s_addc_u32 s24, s35, s25
	s_addc_u32 s1, s1, 0
	s_mul_i32 s0, s30, s0
	s_add_u32 s0, s24, s0
	s_addc_u32 s24, 0, s1
	s_add_u32 s25, s34, s0
	s_cselect_b64 s[0:1], -1, 0
	s_cmp_lg_u64 s[0:1], 0
	s_addc_u32 s0, s30, s24
	s_mul_i32 s24, s14, s0
	s_mul_hi_u32 s30, s14, s25
	s_mul_hi_u32 s1, s14, s0
	s_add_u32 s24, s30, s24
	s_addc_u32 s1, 0, s1
	s_mul_hi_u32 s31, s93, s25
	s_mul_i32 s25, s93, s25
	s_add_u32 s24, s24, s25
	s_mul_hi_u32 s30, s93, s0
	s_addc_u32 s1, s1, s31
	s_addc_u32 s24, s30, 0
	s_mul_i32 s0, s93, s0
	s_add_u32 s0, s1, s0
	s_addc_u32 s1, 0, s24
	s_mul_i32 s1, s84, s1
	s_mul_hi_u32 s24, s84, s0
	s_add_i32 s24, s24, s1
	s_mul_i32 s0, s84, s0
	s_sub_u32 s25, s14, s0
	s_cselect_b64 s[0:1], -1, 0
	s_cmp_lg_u64 s[0:1], 0
	s_subb_u32 s24, s93, s24
	s_sub_u32 s30, s25, s84
	s_cselect_b64 s[0:1], -1, 0
	s_cmp_lg_u64 s[0:1], 0
	s_subb_u32 s31, s24, 0
	;; [unrolled: 4-line block ×3, first 2 shown]
	s_cmp_ge_u32 s30, s84
	s_cselect_b32 s1, -1, 0
	s_cmp_eq_u32 s31, 0
	s_cselect_b32 s1, s1, -1
	s_cmp_lg_u32 s1, 0
	s_cselect_b32 s0, s0, s31
	s_cselect_b32 s30, s34, s30
	s_cmp_ge_u32 s25, s84
	s_cselect_b32 s1, -1, 0
	s_cmp_eq_u32 s24, 0
	s_cselect_b32 s1, s1, -1
	s_cmp_lg_u32 s1, 0
	s_cselect_b32 s1, s0, s24
	s_cselect_b32 s0, s30, s25
	s_mov_b64 s[24:25], 0
	s_branch .LBB109_157
.LBB109_155:                            ;   in Loop: Header=BB109_15 Depth=1
                                        ; implicit-def: $sgpr34_sgpr35
	s_branch .LBB109_141
.LBB109_156:                            ;   in Loop: Header=BB109_15 Depth=1
	s_mov_b64 s[24:25], -1
                                        ; implicit-def: $sgpr0_sgpr1
.LBB109_157:                            ;   in Loop: Header=BB109_15 Depth=1
	s_andn2_b64 vcc, exec, s[24:25]
	v_readlane_b32 s92, v58, 43
	s_cbranch_vccnz .LBB109_159
; %bb.158:                              ;   in Loop: Header=BB109_15 Depth=1
	v_cvt_f32_u32_e32 v4, s84
	s_sub_i32 s0, 0, s84
	v_rcp_iflag_f32_e32 v4, v4
	s_nop 0
	v_mul_f32_e32 v4, 0x4f7ffffe, v4
	v_cvt_u32_f32_e32 v4, v4
	s_nop 0
	v_readfirstlane_b32 s1, v4
	s_mul_i32 s0, s0, s1
	s_mul_hi_u32 s0, s1, s0
	s_add_i32 s1, s1, s0
	s_mul_hi_u32 s0, s14, s1
	s_mul_i32 s0, s0, s84
	s_sub_i32 s0, s14, s0
	s_sub_i32 s1, s0, s84
	s_cmp_ge_u32 s0, s84
	s_cselect_b32 s0, s1, s0
	s_sub_i32 s1, s0, s84
	s_cmp_ge_u32 s0, s84
	s_cselect_b32 s86, s1, s0
	s_mov_b64 s[0:1], s[86:87]
.LBB109_159:                            ;   in Loop: Header=BB109_15 Depth=1
	s_sub_u32 s24, s14, s0
	s_subb_u32 s25, s93, s1
	v_cmp_gt_u64_e32 vcc, s[24:25], v[0:1]
                                        ; implicit-def: $vgpr37
	s_and_saveexec_b64 s[0:1], vcc
	s_cbranch_execz .LBB109_168
; %bb.160:                              ;   in Loop: Header=BB109_15 Depth=1
	s_mov_b64 s[30:31], 0
	v_mov_b64_e32 v[4:5], v[0:1]
                                        ; implicit-def: $sgpr34_sgpr35
	s_branch .LBB109_163
.LBB109_161:                            ;   in Loop: Header=BB109_163 Depth=2
	s_or_b64 exec, exec, s[36:37]
	s_waitcnt lgkmcnt(0)
	s_barrier
	ds_read_b32 v10, v3 offset:3072
	s_mov_b64 s[36:37], -1
	s_waitcnt lgkmcnt(0)
	s_barrier
	v_cmp_eq_u32_sdwa s[38:39], v10, v3 src0_sel:WORD_0 src1_sel:DWORD
	s_and_b64 vcc, exec, s[38:39]
	s_mov_b64 s[38:39], -1
	s_cbranch_vccnz .LBB109_166
.LBB109_162:                            ;   in Loop: Header=BB109_163 Depth=2
	s_and_b64 s[36:37], exec, s[36:37]
	s_or_b64 s[30:31], s[36:37], s[30:31]
	s_andn2_b64 s[34:35], s[34:35], exec
	s_and_b64 s[36:37], s[38:39], exec
	s_or_b64 s[34:35], s[34:35], s[36:37]
	s_andn2_b64 exec, exec, s[30:31]
	s_cbranch_execz .LBB109_167
.LBB109_163:                            ;   Parent Loop BB109_15 Depth=1
                                        ; =>  This Inner Loop Header: Depth=2
	v_cmp_gt_u64_e32 vcc, s[56:57], v[4:5]
	s_and_saveexec_b64 s[36:37], vcc
	s_cbranch_execz .LBB109_161
; %bb.164:                              ;   in Loop: Header=BB109_163 Depth=2
	v_mul_lo_u32 v22, v5, s72
	v_mul_lo_u32 v23, v4, s73
	v_mad_u64_u32 v[10:11], s[38:39], v4, s72, 0
	v_add3_u32 v11, v11, v23, v22
	v_lshl_add_u64 v[10:11], v[10:11], 1, s[80:81]
	global_load_ushort v10, v[10:11], off
	s_waitcnt vmcnt(0)
	v_add_u32_sdwa v11, sext(v10), s68 dst_sel:DWORD dst_unused:UNUSED_PAD src0_sel:WORD_0 src1_sel:DWORD
	v_and_b32_e32 v11, v11, v36
	v_cmp_eq_u32_e32 vcc, v11, v31
	s_and_b64 exec, exec, vcc
	s_cbranch_execz .LBB109_161
; %bb.165:                              ;   in Loop: Header=BB109_163 Depth=2
	v_perm_b32 v10, v10, 1, v35
	ds_write_b32 v3, v10 offset:3072
	s_branch .LBB109_161
.LBB109_166:                            ;   in Loop: Header=BB109_163 Depth=2
	v_lshl_add_u64 v[4:5], v[4:5], 0, s[84:85]
	v_cmp_le_u64_e32 vcc, s[24:25], v[4:5]
	s_mov_b64 s[38:39], 0
	s_orn2_b64 s[36:37], vcc, exec
	s_branch .LBB109_162
.LBB109_167:                            ;   in Loop: Header=BB109_15 Depth=1
	s_or_b64 exec, exec, s[30:31]
	s_andn2_b64 s[8:9], s[8:9], exec
	s_and_b64 s[24:25], s[34:35], exec
	v_lshrrev_b32_e32 v37, 16, v10
	s_or_b64 s[8:9], s[8:9], s[24:25]
.LBB109_168:                            ;   in Loop: Header=BB109_15 Depth=1
	s_or_b64 exec, exec, s[0:1]
	s_mov_b64 s[0:1], 0
	s_mov_b64 s[24:25], -1
.LBB109_169:                            ;   in Loop: Header=BB109_15 Depth=1
	s_orn2_b64 s[8:9], s[8:9], exec
.LBB109_170:                            ;   in Loop: Header=BB109_15 Depth=1
	s_or_b64 exec, exec, s[26:27]
	s_mov_b64 s[30:31], 0
	s_and_saveexec_b64 s[26:27], s[8:9]
	s_cbranch_execz .LBB109_278
; %bb.171:                              ;   in Loop: Header=BB109_15 Depth=1
	s_xor_b64 s[28:29], s[28:29], -1
	v_mov_b32_e32 v2, 1
	v_mov_b64_e32 v[4:5], 1
	s_and_saveexec_b64 s[8:9], s[28:29]
	s_cbranch_execz .LBB109_181
; %bb.172:                              ;   in Loop: Header=BB109_15 Depth=1
	v_cmp_le_u64_e32 vcc, v[8:9], v[6:7]
	s_and_saveexec_b64 s[28:29], vcc
	s_xor_b64 s[28:29], exec, s[28:29]
	s_cbranch_execz .LBB109_178
; %bb.173:                              ;   in Loop: Header=BB109_15 Depth=1
	ds_read_b64 v[4:5], v3 offset:5120
	v_and_b32_e32 v2, s54, v31
	v_lshl_or_b32 v31, 1, s69, v2
	v_or_b32_e32 v36, s66, v36
	s_waitcnt lgkmcnt(0)
	v_cmp_ne_u64_e32 vcc, 0, v[4:5]
	s_cbranch_vccnz .LBB109_177
; %bb.174:                              ;   in Loop: Header=BB109_15 Depth=1
	s_mov_b64 s[30:31], exec
	v_readlane_b32 s34, v58, 8
	v_readlane_b32 s35, v58, 9
	s_and_b64 s[34:35], s[30:31], s[34:35]
	s_mov_b64 exec, s[34:35]
; %bb.175:                              ;   in Loop: Header=BB109_15 Depth=1
	ds_write_b64 v3, v[6:7] offset:5128
; %bb.176:                              ;   in Loop: Header=BB109_15 Depth=1
	s_or_b64 exec, exec, s[30:31]
	s_waitcnt lgkmcnt(0)
	s_barrier
.LBB109_177:                            ;   in Loop: Header=BB109_15 Depth=1
                                        ; implicit-def: $vgpr4_vgpr5_vgpr6_vgpr7
.LBB109_178:                            ;   in Loop: Header=BB109_15 Depth=1
	s_or_saveexec_b64 s[28:29], s[28:29]
	s_mov_b64 s[30:31], 0
	v_mov_b32_e32 v2, 8
	s_xor_b64 exec, exec, s[28:29]
; %bb.179:                              ;   in Loop: Header=BB109_15 Depth=1
	v_sub_co_u32_e32 v8, vcc, v8, v6
	s_mov_b64 s[30:31], exec
	s_nop 0
	v_subb_co_u32_e32 v9, vcc, v9, v7, vcc
	v_mov_b32_e32 v2, 0
; %bb.180:                              ;   in Loop: Header=BB109_15 Depth=1
	s_or_b64 exec, exec, s[28:29]
	s_and_b64 s[30:31], s[30:31], exec
	v_mov_b64_e32 v[4:5], v[8:9]
.LBB109_181:                            ;   in Loop: Header=BB109_15 Depth=1
	s_or_b64 exec, exec, s[8:9]
	s_mov_b64 s[8:9], -1
                                        ; implicit-def: $sgpr34_sgpr35
                                        ; implicit-def: $sgpr36_sgpr37
	s_and_saveexec_b64 s[28:29], s[30:31]
	s_cbranch_execz .LBB109_277
; %bb.182:                              ;   in Loop: Header=BB109_15 Depth=1
	s_cmp_eq_u64 s[22:23], 1
	s_cselect_b64 s[8:9], -1, 0
	v_cmp_eq_u64_e32 vcc, 1, v[4:5]
	s_and_b64 s[40:41], s[8:9], vcc
	s_mov_b64 s[8:9], -1
                                        ; implicit-def: $sgpr36_sgpr37
                                        ; implicit-def: $sgpr34_sgpr35
	s_and_saveexec_b64 s[38:39], s[40:41]
	s_cbranch_execz .LBB109_217
; %bb.183:                              ;   in Loop: Header=BB109_15 Depth=1
	ds_read_b64 v[6:7], v3 offset:5120
	s_waitcnt lgkmcnt(0)
	s_barrier
	v_readfirstlane_b32 s30, v6
	v_readfirstlane_b32 s31, v7
	s_and_saveexec_b64 s[8:9], s[98:99]
; %bb.184:                              ;   in Loop: Header=BB109_15 Depth=1
	ds_write_b16 v28, v3
; %bb.185:                              ;   in Loop: Header=BB109_15 Depth=1
	s_or_b64 exec, exec, s[8:9]
	v_and_b32_e32 v6, s54, v31
	v_lshl_or_b32 v31, 2, s69, v6
	v_or_b32_e32 v36, s66, v36
	s_mov_b64 s[34:35], -1
	s_mov_b64 s[36:37], 0
	s_cmp_eq_u64 s[30:31], 0
	s_mov_b64 s[8:9], 0
	s_mov_b64 s[42:43], -1
	s_waitcnt lgkmcnt(0)
	s_barrier
                                        ; implicit-def: $vgpr37
	s_cbranch_scc1 .LBB109_199
; %bb.186:                              ;   in Loop: Header=BB109_15 Depth=1
	v_readlane_b32 s8, v58, 30
	s_add_u32 s46, s30, s8
	v_readlane_b32 s8, v58, 31
	s_addc_u32 s9, s31, s8
	s_mov_b32 s8, s87
	s_cmp_lg_u64 s[8:9], 0
	s_cbranch_scc0 .LBB109_202
; %bb.187:                              ;   in Loop: Header=BB109_15 Depth=1
	v_cvt_f32_u32_e32 v6, s84
	s_sub_u32 s8, 0, s84
	s_subb_u32 s44, 0, 0
	v_fmac_f32_e32 v6, 0, v34
	v_rcp_f32_e32 v6, v6
	s_nop 0
	v_mul_f32_e32 v6, 0x5f7ffffc, v6
	v_mul_f32_e32 v7, 0x2f800000, v6
	v_trunc_f32_e32 v7, v7
	v_fmac_f32_e32 v6, 0xcf800000, v7
	v_cvt_u32_f32_e32 v7, v7
	v_cvt_u32_f32_e32 v6, v6
	v_readfirstlane_b32 s45, v7
	v_readfirstlane_b32 s42, v6
	s_mul_i32 s43, s8, s45
	s_mul_hi_u32 s48, s8, s42
	s_mul_i32 s47, s44, s42
	s_add_i32 s43, s48, s43
	s_mul_i32 s49, s8, s42
	s_add_i32 s43, s43, s47
	s_mul_hi_u32 s48, s42, s49
	s_mul_i32 s50, s42, s43
	s_mul_hi_u32 s47, s42, s43
	s_add_u32 s48, s48, s50
	s_addc_u32 s47, 0, s47
	s_mul_hi_u32 s51, s45, s49
	s_mul_i32 s49, s45, s49
	s_add_u32 s48, s48, s49
	s_mul_hi_u32 s50, s45, s43
	s_addc_u32 s47, s47, s51
	s_addc_u32 s48, s50, 0
	s_mul_i32 s43, s45, s43
	s_add_u32 s43, s47, s43
	s_addc_u32 s47, 0, s48
	s_add_u32 s48, s42, s43
	s_cselect_b64 s[42:43], -1, 0
	s_cmp_lg_u64 s[42:43], 0
	s_addc_u32 s45, s45, s47
	s_mul_i32 s42, s8, s45
	s_mul_hi_u32 s43, s8, s48
	s_add_i32 s42, s43, s42
	s_mul_i32 s44, s44, s48
	s_add_i32 s42, s42, s44
	s_mul_i32 s8, s8, s48
	s_mul_hi_u32 s44, s45, s8
	s_mul_i32 s47, s45, s8
	s_mul_i32 s50, s48, s42
	s_mul_hi_u32 s8, s48, s8
	s_mul_hi_u32 s49, s48, s42
	s_add_u32 s8, s8, s50
	s_addc_u32 s49, 0, s49
	s_add_u32 s8, s8, s47
	s_mul_hi_u32 s43, s45, s42
	s_addc_u32 s8, s49, s44
	s_addc_u32 s43, s43, 0
	s_mul_i32 s42, s45, s42
	s_add_u32 s8, s8, s42
	s_addc_u32 s44, 0, s43
	s_add_u32 s8, s48, s8
	s_cselect_b64 s[42:43], -1, 0
	s_cmp_lg_u64 s[42:43], 0
	s_addc_u32 s42, s45, s44
	s_mul_i32 s44, s46, s42
	s_mul_hi_u32 s45, s46, s8
	s_mul_hi_u32 s43, s46, s42
	s_add_u32 s44, s45, s44
	s_addc_u32 s43, 0, s43
	s_mul_hi_u32 s47, s9, s8
	s_mul_i32 s8, s9, s8
	s_add_u32 s8, s44, s8
	s_mul_hi_u32 s45, s9, s42
	s_addc_u32 s8, s43, s47
	s_addc_u32 s43, s45, 0
	s_mul_i32 s42, s9, s42
	s_add_u32 s8, s8, s42
	s_addc_u32 s42, 0, s43
	s_mul_i32 s42, s84, s42
	s_mul_hi_u32 s43, s84, s8
	s_add_i32 s44, s43, s42
	s_mul_i32 s8, s84, s8
	s_sub_u32 s8, s46, s8
	s_cselect_b64 s[42:43], -1, 0
	s_cmp_lg_u64 s[42:43], 0
	s_subb_u32 s44, s9, s44
	s_sub_u32 s45, s8, s84
	s_cselect_b64 s[42:43], -1, 0
	s_cmp_lg_u64 s[42:43], 0
	s_subb_u32 s47, s44, 0
	;; [unrolled: 4-line block ×3, first 2 shown]
	s_cmp_ge_u32 s45, s84
	s_cselect_b32 s43, -1, 0
	s_cmp_eq_u32 s47, 0
	s_cselect_b32 s43, s43, -1
	s_cmp_lg_u32 s43, 0
	s_cselect_b32 s42, s42, s47
	s_cselect_b32 s45, s48, s45
	s_cmp_ge_u32 s8, s84
	s_cselect_b32 s43, -1, 0
	s_cmp_eq_u32 s44, 0
	s_cselect_b32 s43, s43, -1
	s_cmp_lg_u32 s43, 0
	s_cselect_b32 s43, s42, s44
	s_cselect_b32 s42, s45, s8
	s_cbranch_execnz .LBB109_189
.LBB109_188:                            ;   in Loop: Header=BB109_15 Depth=1
	v_cvt_f32_u32_e32 v6, s84
	s_sub_i32 s8, 0, s84
	v_rcp_iflag_f32_e32 v6, v6
	s_nop 0
	v_mul_f32_e32 v6, 0x4f7ffffe, v6
	v_cvt_u32_f32_e32 v6, v6
	s_nop 0
	v_readfirstlane_b32 s42, v6
	s_mul_i32 s8, s8, s42
	s_mul_hi_u32 s8, s42, s8
	s_add_i32 s42, s42, s8
	s_mul_hi_u32 s8, s46, s42
	s_mul_i32 s8, s8, s84
	s_sub_i32 s8, s46, s8
	s_sub_i32 s42, s8, s84
	s_cmp_ge_u32 s8, s84
	s_cselect_b32 s8, s42, s8
	s_sub_i32 s42, s8, s84
	s_cmp_ge_u32 s8, s84
	s_cselect_b32 s86, s42, s8
	s_mov_b64 s[42:43], s[86:87]
.LBB109_189:                            ;   in Loop: Header=BB109_15 Depth=1
	s_sub_u32 s46, s46, s42
	s_subb_u32 s47, s9, s43
	v_cmp_gt_u64_e32 vcc, s[46:47], v[0:1]
	s_mov_b64 s[42:43], 0
	s_mov_b64 s[8:9], 0
                                        ; implicit-def: $vgpr37
	s_and_saveexec_b64 s[44:45], vcc
	s_cbranch_execz .LBB109_198
; %bb.190:                              ;   in Loop: Header=BB109_15 Depth=1
	v_mov_b32_e32 v8, v27
	v_mov_b64_e32 v[6:7], v[0:1]
                                        ; implicit-def: $sgpr48_sgpr49
	s_branch .LBB109_193
.LBB109_191:                            ;   in Loop: Header=BB109_193 Depth=2
	s_or_b64 exec, exec, s[50:51]
	s_waitcnt lgkmcnt(0)
	s_barrier
	ds_read_b32 v9, v3 offset:3072
	s_mov_b64 s[50:51], -1
	s_waitcnt lgkmcnt(0)
	s_barrier
	v_cmp_ne_u32_sdwa s[52:53], v9, v3 src0_sel:WORD_0 src1_sel:DWORD
	s_and_b64 vcc, exec, s[52:53]
	s_mov_b64 s[52:53], -1
	s_cbranch_vccz .LBB109_196
.LBB109_192:                            ;   in Loop: Header=BB109_193 Depth=2
	s_and_b64 s[50:51], exec, s[50:51]
	s_or_b64 s[8:9], s[50:51], s[8:9]
	s_andn2_b64 s[48:49], s[48:49], exec
	s_and_b64 s[50:51], s[52:53], exec
	s_or_b64 s[48:49], s[48:49], s[50:51]
	s_andn2_b64 exec, exec, s[8:9]
	s_cbranch_execz .LBB109_197
.LBB109_193:                            ;   Parent Loop BB109_15 Depth=1
                                        ; =>  This Inner Loop Header: Depth=2
	v_cmp_gt_u64_e32 vcc, s[30:31], v[6:7]
	s_and_saveexec_b64 s[50:51], vcc
	s_cbranch_execz .LBB109_191
; %bb.194:                              ;   in Loop: Header=BB109_193 Depth=2
	ds_read_u16 v9, v8
	s_waitcnt lgkmcnt(0)
	v_add_u32_sdwa v10, sext(v9), s68 dst_sel:DWORD dst_unused:UNUSED_PAD src0_sel:WORD_0 src1_sel:DWORD
	v_and_b32_e32 v10, v10, v36
	v_cmp_eq_u32_e32 vcc, v10, v31
	s_and_b64 exec, exec, vcc
	s_cbranch_execz .LBB109_191
; %bb.195:                              ;   in Loop: Header=BB109_193 Depth=2
	v_perm_b32 v9, v9, 1, v35
	ds_write_b32 v3, v9 offset:3072
	s_branch .LBB109_191
.LBB109_196:                            ;   in Loop: Header=BB109_193 Depth=2
	v_lshl_add_u64 v[6:7], v[6:7], 0, s[84:85]
	v_cmp_le_u64_e32 vcc, s[46:47], v[6:7]
	v_add_u32_e32 v8, s7, v8
	s_mov_b64 s[52:53], 0
	s_orn2_b64 s[50:51], vcc, exec
	s_branch .LBB109_192
.LBB109_197:                            ;   in Loop: Header=BB109_15 Depth=1
	s_or_b64 exec, exec, s[8:9]
	v_lshrrev_b32_e32 v37, 16, v9
	s_and_b64 s[8:9], s[48:49], exec
.LBB109_198:                            ;   in Loop: Header=BB109_15 Depth=1
	s_or_b64 exec, exec, s[44:45]
.LBB109_199:                            ;   in Loop: Header=BB109_15 Depth=1
	s_and_b64 vcc, exec, s[42:43]
	s_cbranch_vccz .LBB109_216
; %bb.200:                              ;   in Loop: Header=BB109_15 Depth=1
	s_mov_b32 s92, s87
	s_cmp_lg_u64 s[92:93], 0
	s_cbranch_scc0 .LBB109_203
; %bb.201:                              ;   in Loop: Header=BB109_15 Depth=1
	v_cvt_f32_u32_e32 v6, s84
	s_sub_u32 s34, 0, s84
	s_subb_u32 s35, 0, 0
	v_fmac_f32_e32 v6, 0, v34
	v_rcp_f32_e32 v6, v6
	s_nop 0
	v_mul_f32_e32 v6, 0x5f7ffffc, v6
	v_mul_f32_e32 v7, 0x2f800000, v6
	v_trunc_f32_e32 v7, v7
	v_fmac_f32_e32 v6, 0xcf800000, v7
	v_cvt_u32_f32_e32 v7, v7
	v_cvt_u32_f32_e32 v6, v6
	v_readfirstlane_b32 s36, v7
	v_readfirstlane_b32 s30, v6
	s_mul_i32 s31, s34, s36
	s_mul_hi_u32 s42, s34, s30
	s_mul_i32 s37, s35, s30
	s_add_i32 s31, s42, s31
	s_mul_i32 s43, s34, s30
	s_add_i32 s31, s31, s37
	s_mul_hi_u32 s42, s30, s43
	s_mul_i32 s44, s30, s31
	s_mul_hi_u32 s37, s30, s31
	s_add_u32 s42, s42, s44
	s_addc_u32 s37, 0, s37
	s_mul_hi_u32 s45, s36, s43
	s_mul_i32 s43, s36, s43
	s_add_u32 s42, s42, s43
	s_mul_hi_u32 s44, s36, s31
	s_addc_u32 s37, s37, s45
	s_addc_u32 s42, s44, 0
	s_mul_i32 s31, s36, s31
	s_add_u32 s31, s37, s31
	s_addc_u32 s37, 0, s42
	s_add_u32 s42, s30, s31
	s_cselect_b64 s[30:31], -1, 0
	s_cmp_lg_u64 s[30:31], 0
	s_addc_u32 s36, s36, s37
	s_mul_i32 s30, s34, s36
	s_mul_hi_u32 s31, s34, s42
	s_add_i32 s30, s31, s30
	s_mul_i32 s35, s35, s42
	s_add_i32 s30, s30, s35
	s_mul_i32 s34, s34, s42
	s_mul_hi_u32 s35, s36, s34
	s_mul_i32 s37, s36, s34
	s_mul_i32 s44, s42, s30
	s_mul_hi_u32 s34, s42, s34
	s_mul_hi_u32 s43, s42, s30
	s_add_u32 s34, s34, s44
	s_addc_u32 s43, 0, s43
	s_add_u32 s34, s34, s37
	s_mul_hi_u32 s31, s36, s30
	s_addc_u32 s34, s43, s35
	s_addc_u32 s31, s31, 0
	s_mul_i32 s30, s36, s30
	s_add_u32 s30, s34, s30
	s_addc_u32 s34, 0, s31
	s_add_u32 s35, s42, s30
	s_cselect_b64 s[30:31], -1, 0
	s_cmp_lg_u64 s[30:31], 0
	s_addc_u32 s30, s36, s34
	s_mul_i32 s34, s14, s30
	s_mul_hi_u32 s36, s14, s35
	s_mul_hi_u32 s31, s14, s30
	s_add_u32 s34, s36, s34
	s_addc_u32 s31, 0, s31
	s_mul_hi_u32 s37, s93, s35
	s_mul_i32 s35, s93, s35
	s_add_u32 s34, s34, s35
	s_mul_hi_u32 s36, s93, s30
	s_addc_u32 s31, s31, s37
	s_addc_u32 s34, s36, 0
	s_mul_i32 s30, s93, s30
	s_add_u32 s30, s31, s30
	s_addc_u32 s31, 0, s34
	s_mul_i32 s31, s84, s31
	s_mul_hi_u32 s34, s84, s30
	s_add_i32 s34, s34, s31
	s_mul_i32 s30, s84, s30
	s_sub_u32 s35, s14, s30
	s_cselect_b64 s[30:31], -1, 0
	s_cmp_lg_u64 s[30:31], 0
	s_subb_u32 s34, s93, s34
	s_sub_u32 s36, s35, s84
	s_cselect_b64 s[30:31], -1, 0
	s_cmp_lg_u64 s[30:31], 0
	s_subb_u32 s37, s34, 0
	;; [unrolled: 4-line block ×3, first 2 shown]
	s_cmp_ge_u32 s36, s84
	s_cselect_b32 s31, -1, 0
	s_cmp_eq_u32 s37, 0
	s_cselect_b32 s31, s31, -1
	s_cmp_lg_u32 s31, 0
	s_cselect_b32 s30, s30, s37
	s_cselect_b32 s36, s42, s36
	s_cmp_ge_u32 s35, s84
	s_cselect_b32 s31, -1, 0
	s_cmp_eq_u32 s34, 0
	s_cselect_b32 s31, s31, -1
	s_cmp_lg_u32 s31, 0
	s_cselect_b32 s31, s30, s34
	s_cselect_b32 s30, s36, s35
	s_mov_b64 s[34:35], 0
	s_branch .LBB109_204
.LBB109_202:                            ;   in Loop: Header=BB109_15 Depth=1
                                        ; implicit-def: $sgpr42_sgpr43
	s_branch .LBB109_188
.LBB109_203:                            ;   in Loop: Header=BB109_15 Depth=1
	s_mov_b64 s[34:35], -1
                                        ; implicit-def: $sgpr30_sgpr31
.LBB109_204:                            ;   in Loop: Header=BB109_15 Depth=1
	s_andn2_b64 vcc, exec, s[34:35]
	v_readlane_b32 s92, v58, 43
	s_cbranch_vccnz .LBB109_206
; %bb.205:                              ;   in Loop: Header=BB109_15 Depth=1
	v_cvt_f32_u32_e32 v6, s84
	s_sub_i32 s30, 0, s84
	v_rcp_iflag_f32_e32 v6, v6
	s_nop 0
	v_mul_f32_e32 v6, 0x4f7ffffe, v6
	v_cvt_u32_f32_e32 v6, v6
	s_nop 0
	v_readfirstlane_b32 s31, v6
	s_mul_i32 s30, s30, s31
	s_mul_hi_u32 s30, s31, s30
	s_add_i32 s31, s31, s30
	s_mul_hi_u32 s30, s14, s31
	s_mul_i32 s30, s30, s84
	s_sub_i32 s30, s14, s30
	s_sub_i32 s31, s30, s84
	s_cmp_ge_u32 s30, s84
	s_cselect_b32 s30, s31, s30
	s_sub_i32 s31, s30, s84
	s_cmp_ge_u32 s30, s84
	s_cselect_b32 s86, s31, s30
	s_mov_b64 s[30:31], s[86:87]
.LBB109_206:                            ;   in Loop: Header=BB109_15 Depth=1
	s_sub_u32 s34, s14, s30
	s_subb_u32 s35, s93, s31
	v_cmp_gt_u64_e32 vcc, s[34:35], v[0:1]
                                        ; implicit-def: $vgpr37
	s_and_saveexec_b64 s[30:31], vcc
	s_cbranch_execz .LBB109_215
; %bb.207:                              ;   in Loop: Header=BB109_15 Depth=1
	s_mov_b64 s[36:37], 0
	v_mov_b64_e32 v[6:7], v[0:1]
                                        ; implicit-def: $sgpr42_sgpr43
	s_branch .LBB109_210
.LBB109_208:                            ;   in Loop: Header=BB109_210 Depth=2
	s_or_b64 exec, exec, s[44:45]
	s_waitcnt lgkmcnt(0)
	s_barrier
	ds_read_b32 v8, v3 offset:3072
	s_mov_b64 s[44:45], -1
	s_waitcnt lgkmcnt(0)
	s_barrier
	v_cmp_eq_u32_sdwa s[46:47], v8, v3 src0_sel:WORD_0 src1_sel:DWORD
	s_and_b64 vcc, exec, s[46:47]
	s_mov_b64 s[46:47], -1
	s_cbranch_vccnz .LBB109_213
.LBB109_209:                            ;   in Loop: Header=BB109_210 Depth=2
	s_and_b64 s[44:45], exec, s[44:45]
	s_or_b64 s[36:37], s[44:45], s[36:37]
	s_andn2_b64 s[42:43], s[42:43], exec
	s_and_b64 s[44:45], s[46:47], exec
	s_or_b64 s[42:43], s[42:43], s[44:45]
	s_andn2_b64 exec, exec, s[36:37]
	s_cbranch_execz .LBB109_214
.LBB109_210:                            ;   Parent Loop BB109_15 Depth=1
                                        ; =>  This Inner Loop Header: Depth=2
	v_cmp_gt_u64_e32 vcc, s[56:57], v[6:7]
	s_and_saveexec_b64 s[44:45], vcc
	s_cbranch_execz .LBB109_208
; %bb.211:                              ;   in Loop: Header=BB109_210 Depth=2
	v_mul_lo_u32 v10, v7, s72
	v_mul_lo_u32 v11, v6, s73
	v_mad_u64_u32 v[8:9], s[46:47], v6, s72, 0
	v_add3_u32 v9, v9, v11, v10
	v_lshl_add_u64 v[8:9], v[8:9], 1, s[80:81]
	global_load_ushort v8, v[8:9], off
	s_waitcnt vmcnt(0)
	v_add_u32_sdwa v9, sext(v8), s68 dst_sel:DWORD dst_unused:UNUSED_PAD src0_sel:WORD_0 src1_sel:DWORD
	v_and_b32_e32 v9, v9, v36
	v_cmp_eq_u32_e32 vcc, v9, v31
	s_and_b64 exec, exec, vcc
	s_cbranch_execz .LBB109_208
; %bb.212:                              ;   in Loop: Header=BB109_210 Depth=2
	v_perm_b32 v8, v8, 1, v35
	ds_write_b32 v3, v8 offset:3072
	s_branch .LBB109_208
.LBB109_213:                            ;   in Loop: Header=BB109_210 Depth=2
	v_lshl_add_u64 v[6:7], v[6:7], 0, s[84:85]
	v_cmp_le_u64_e32 vcc, s[34:35], v[6:7]
	s_mov_b64 s[46:47], 0
	s_orn2_b64 s[44:45], vcc, exec
	s_branch .LBB109_209
.LBB109_214:                            ;   in Loop: Header=BB109_15 Depth=1
	s_or_b64 exec, exec, s[36:37]
	s_andn2_b64 s[8:9], s[8:9], exec
	s_and_b64 s[34:35], s[42:43], exec
	v_lshrrev_b32_e32 v37, 16, v8
	s_or_b64 s[8:9], s[8:9], s[34:35]
.LBB109_215:                            ;   in Loop: Header=BB109_15 Depth=1
	s_or_b64 exec, exec, s[30:31]
	s_mov_b64 s[34:35], 0
	s_mov_b64 s[36:37], -1
.LBB109_216:                            ;   in Loop: Header=BB109_15 Depth=1
	s_orn2_b64 s[8:9], s[8:9], exec
.LBB109_217:                            ;   in Loop: Header=BB109_15 Depth=1
	s_or_b64 exec, exec, s[38:39]
	s_mov_b64 s[30:31], 0
	s_and_saveexec_b64 s[38:39], s[8:9]
	s_cbranch_execz .LBB109_276
; %bb.218:                              ;   in Loop: Header=BB109_15 Depth=1
	s_xor_b64 s[40:41], s[40:41], -1
	v_mov_b32_e32 v2, 1
	v_mov_b64_e32 v[6:7], 1
	s_and_saveexec_b64 s[8:9], s[40:41]
	s_cbranch_execz .LBB109_227
; %bb.219:                              ;   in Loop: Header=BB109_15 Depth=1
	v_cmp_ge_u64_e32 vcc, s[22:23], v[4:5]
	s_and_saveexec_b64 s[30:31], vcc
	s_xor_b64 s[30:31], exec, s[30:31]
	s_cbranch_execz .LBB109_224
; %bb.220:                              ;   in Loop: Header=BB109_15 Depth=1
	ds_read_b64 v[6:7], v3 offset:5120
	v_and_b32_e32 v2, s54, v31
	v_lshl_or_b32 v31, 2, s69, v2
	v_or_b32_e32 v36, s66, v36
	s_waitcnt lgkmcnt(0)
	v_cmp_ne_u64_e32 vcc, 0, v[6:7]
	s_cbranch_vccnz .LBB109_224
; %bb.221:                              ;   in Loop: Header=BB109_15 Depth=1
	s_mov_b64 s[40:41], exec
	v_readlane_b32 s42, v58, 8
	v_readlane_b32 s43, v58, 9
	s_and_b64 s[42:43], s[40:41], s[42:43]
	s_mov_b64 exec, s[42:43]
; %bb.222:                              ;   in Loop: Header=BB109_15 Depth=1
	v_mov_b64_e32 v[6:7], s[22:23]
	ds_write_b64 v3, v[6:7] offset:5128
; %bb.223:                              ;   in Loop: Header=BB109_15 Depth=1
	s_or_b64 exec, exec, s[40:41]
	s_waitcnt lgkmcnt(0)
	s_barrier
.LBB109_224:                            ;   in Loop: Header=BB109_15 Depth=1
	s_or_saveexec_b64 s[30:31], s[30:31]
	s_mov_b64 s[40:41], 0
	v_mov_b32_e32 v2, 8
	s_xor_b64 exec, exec, s[30:31]
; %bb.225:                              ;   in Loop: Header=BB109_15 Depth=1
	v_mov_b32_e32 v2, s23
	v_subrev_co_u32_e32 v4, vcc, s22, v4
	s_mov_b64 s[40:41], exec
	s_nop 0
	v_subb_co_u32_e32 v5, vcc, v5, v2, vcc
	v_mov_b32_e32 v2, 0
; %bb.226:                              ;   in Loop: Header=BB109_15 Depth=1
	s_or_b64 exec, exec, s[30:31]
	s_and_b64 s[30:31], s[40:41], exec
	v_mov_b64_e32 v[6:7], v[4:5]
.LBB109_227:                            ;   in Loop: Header=BB109_15 Depth=1
	s_or_b64 exec, exec, s[8:9]
	s_mov_b64 s[8:9], -1
                                        ; implicit-def: $sgpr46_sgpr47
                                        ; implicit-def: $sgpr44_sgpr45
	s_and_saveexec_b64 s[22:23], s[30:31]
	s_cbranch_execz .LBB109_275
; %bb.228:                              ;   in Loop: Header=BB109_15 Depth=1
	s_cmp_eq_u64 s[2:3], 1
	s_cselect_b64 s[8:9], -1, 0
	v_cmp_eq_u64_e32 vcc, 1, v[6:7]
	s_and_b64 s[40:41], s[8:9], vcc
	s_mov_b64 s[30:31], -1
                                        ; implicit-def: $sgpr46_sgpr47
                                        ; implicit-def: $sgpr44_sgpr45
	s_and_saveexec_b64 s[42:43], s[40:41]
	s_cbranch_execz .LBB109_263
; %bb.229:                              ;   in Loop: Header=BB109_15 Depth=1
	ds_read_b64 v[4:5], v3 offset:5120
	s_waitcnt lgkmcnt(0)
	s_barrier
	v_readfirstlane_b32 s30, v4
	v_readfirstlane_b32 s31, v5
	s_and_saveexec_b64 s[8:9], s[98:99]
; %bb.230:                              ;   in Loop: Header=BB109_15 Depth=1
	ds_write_b16 v28, v3
; %bb.231:                              ;   in Loop: Header=BB109_15 Depth=1
	s_or_b64 exec, exec, s[8:9]
	v_or_b32_e32 v31, s66, v31
	v_or_b32_e32 v36, s66, v36
	s_mov_b64 s[44:45], -1
	s_mov_b64 s[46:47], 0
	s_cmp_eq_u64 s[30:31], 0
	s_mov_b64 s[8:9], 0
	s_mov_b64 s[48:49], -1
	s_waitcnt lgkmcnt(0)
	s_barrier
                                        ; implicit-def: $vgpr37
	s_cbranch_scc1 .LBB109_245
; %bb.232:                              ;   in Loop: Header=BB109_15 Depth=1
	v_readlane_b32 s8, v58, 30
	s_add_u32 s52, s30, s8
	v_readlane_b32 s8, v58, 31
	s_addc_u32 s9, s31, s8
	s_mov_b32 s8, s87
	s_cmp_lg_u64 s[8:9], 0
	s_cbranch_scc0 .LBB109_248
; %bb.233:                              ;   in Loop: Header=BB109_15 Depth=1
	v_cvt_f32_u32_e32 v4, s84
	s_sub_u32 s8, 0, s84
	s_subb_u32 s50, 0, 0
	v_fmac_f32_e32 v4, 0, v34
	v_rcp_f32_e32 v4, v4
	s_nop 0
	v_mul_f32_e32 v4, 0x5f7ffffc, v4
	v_mul_f32_e32 v5, 0x2f800000, v4
	v_trunc_f32_e32 v5, v5
	v_fmac_f32_e32 v4, 0xcf800000, v5
	v_cvt_u32_f32_e32 v5, v5
	v_cvt_u32_f32_e32 v4, v4
	v_readfirstlane_b32 s51, v5
	v_readfirstlane_b32 s48, v4
	s_mul_i32 s49, s8, s51
	s_mul_hi_u32 s54, s8, s48
	s_mul_i32 s53, s50, s48
	s_add_i32 s49, s54, s49
	s_mul_i32 s55, s8, s48
	s_add_i32 s49, s49, s53
	s_mul_hi_u32 s54, s48, s55
	s_mul_i32 s58, s48, s49
	s_mul_hi_u32 s53, s48, s49
	s_add_u32 s54, s54, s58
	s_addc_u32 s53, 0, s53
	s_mul_hi_u32 s59, s51, s55
	s_mul_i32 s55, s51, s55
	s_add_u32 s54, s54, s55
	s_mul_hi_u32 s58, s51, s49
	s_addc_u32 s53, s53, s59
	s_addc_u32 s54, s58, 0
	s_mul_i32 s49, s51, s49
	s_add_u32 s49, s53, s49
	s_addc_u32 s53, 0, s54
	s_add_u32 s54, s48, s49
	s_cselect_b64 s[48:49], -1, 0
	s_cmp_lg_u64 s[48:49], 0
	s_addc_u32 s51, s51, s53
	s_mul_i32 s48, s8, s51
	s_mul_hi_u32 s49, s8, s54
	s_add_i32 s48, s49, s48
	s_mul_i32 s50, s50, s54
	s_add_i32 s48, s48, s50
	s_mul_i32 s8, s8, s54
	s_mul_hi_u32 s50, s51, s8
	s_mul_i32 s53, s51, s8
	s_mul_i32 s58, s54, s48
	s_mul_hi_u32 s8, s54, s8
	s_mul_hi_u32 s55, s54, s48
	s_add_u32 s8, s8, s58
	s_addc_u32 s55, 0, s55
	s_add_u32 s8, s8, s53
	s_mul_hi_u32 s49, s51, s48
	s_addc_u32 s8, s55, s50
	s_addc_u32 s49, s49, 0
	s_mul_i32 s48, s51, s48
	s_add_u32 s8, s8, s48
	s_addc_u32 s50, 0, s49
	s_add_u32 s8, s54, s8
	s_cselect_b64 s[48:49], -1, 0
	s_cmp_lg_u64 s[48:49], 0
	s_addc_u32 s48, s51, s50
	s_mul_i32 s50, s52, s48
	s_mul_hi_u32 s51, s52, s8
	s_mul_hi_u32 s49, s52, s48
	s_add_u32 s50, s51, s50
	s_addc_u32 s49, 0, s49
	s_mul_hi_u32 s53, s9, s8
	s_mul_i32 s8, s9, s8
	s_add_u32 s8, s50, s8
	s_mul_hi_u32 s51, s9, s48
	s_addc_u32 s8, s49, s53
	s_addc_u32 s49, s51, 0
	s_mul_i32 s48, s9, s48
	s_add_u32 s8, s8, s48
	s_addc_u32 s48, 0, s49
	s_mul_i32 s48, s84, s48
	s_mul_hi_u32 s49, s84, s8
	s_add_i32 s50, s49, s48
	s_mul_i32 s8, s84, s8
	s_sub_u32 s8, s52, s8
	s_cselect_b64 s[48:49], -1, 0
	s_cmp_lg_u64 s[48:49], 0
	s_subb_u32 s50, s9, s50
	s_sub_u32 s51, s8, s84
	s_cselect_b64 s[48:49], -1, 0
	s_cmp_lg_u64 s[48:49], 0
	s_subb_u32 s53, s50, 0
	;; [unrolled: 4-line block ×3, first 2 shown]
	s_cmp_ge_u32 s51, s84
	s_cselect_b32 s49, -1, 0
	s_cmp_eq_u32 s53, 0
	s_cselect_b32 s49, s49, -1
	s_cmp_lg_u32 s49, 0
	s_cselect_b32 s48, s48, s53
	s_cselect_b32 s51, s54, s51
	s_cmp_ge_u32 s8, s84
	s_cselect_b32 s49, -1, 0
	s_cmp_eq_u32 s50, 0
	s_cselect_b32 s49, s49, -1
	s_cmp_lg_u32 s49, 0
	s_cselect_b32 s49, s48, s50
	s_cselect_b32 s48, s51, s8
	s_cbranch_execnz .LBB109_235
.LBB109_234:                            ;   in Loop: Header=BB109_15 Depth=1
	v_cvt_f32_u32_e32 v4, s84
	s_sub_i32 s8, 0, s84
	v_rcp_iflag_f32_e32 v4, v4
	s_nop 0
	v_mul_f32_e32 v4, 0x4f7ffffe, v4
	v_cvt_u32_f32_e32 v4, v4
	s_nop 0
	v_readfirstlane_b32 s48, v4
	s_mul_i32 s8, s8, s48
	s_mul_hi_u32 s8, s48, s8
	s_add_i32 s48, s48, s8
	s_mul_hi_u32 s8, s52, s48
	s_mul_i32 s8, s8, s84
	s_sub_i32 s8, s52, s8
	s_sub_i32 s48, s8, s84
	s_cmp_ge_u32 s8, s84
	s_cselect_b32 s8, s48, s8
	s_sub_i32 s48, s8, s84
	s_cmp_ge_u32 s8, s84
	s_cselect_b32 s86, s48, s8
	s_mov_b64 s[48:49], s[86:87]
.LBB109_235:                            ;   in Loop: Header=BB109_15 Depth=1
	s_sub_u32 s52, s52, s48
	s_subb_u32 s53, s9, s49
	v_cmp_gt_u64_e32 vcc, s[52:53], v[0:1]
	s_mov_b64 s[48:49], 0
	s_mov_b64 s[8:9], 0
                                        ; implicit-def: $vgpr37
	s_and_saveexec_b64 s[50:51], vcc
	s_cbranch_execz .LBB109_244
; %bb.236:                              ;   in Loop: Header=BB109_15 Depth=1
	v_mov_b32_e32 v8, v27
	v_mov_b64_e32 v[4:5], v[0:1]
                                        ; implicit-def: $sgpr54_sgpr55
	s_branch .LBB109_239
.LBB109_237:                            ;   in Loop: Header=BB109_239 Depth=2
	s_or_b64 exec, exec, s[58:59]
	s_waitcnt lgkmcnt(0)
	s_barrier
	ds_read_b32 v9, v3 offset:3072
	s_mov_b64 s[58:59], -1
	s_waitcnt lgkmcnt(0)
	s_barrier
	v_cmp_ne_u32_sdwa s[64:65], v9, v3 src0_sel:WORD_0 src1_sel:DWORD
	s_and_b64 vcc, exec, s[64:65]
	s_mov_b64 s[64:65], -1
	s_cbranch_vccz .LBB109_242
.LBB109_238:                            ;   in Loop: Header=BB109_239 Depth=2
	s_and_b64 s[58:59], exec, s[58:59]
	s_or_b64 s[8:9], s[58:59], s[8:9]
	s_andn2_b64 s[54:55], s[54:55], exec
	s_and_b64 s[58:59], s[64:65], exec
	s_or_b64 s[54:55], s[54:55], s[58:59]
	s_andn2_b64 exec, exec, s[8:9]
	s_cbranch_execz .LBB109_243
.LBB109_239:                            ;   Parent Loop BB109_15 Depth=1
                                        ; =>  This Inner Loop Header: Depth=2
	v_cmp_gt_u64_e32 vcc, s[30:31], v[4:5]
	s_and_saveexec_b64 s[58:59], vcc
	s_cbranch_execz .LBB109_237
; %bb.240:                              ;   in Loop: Header=BB109_239 Depth=2
	ds_read_u16 v9, v8
	s_waitcnt lgkmcnt(0)
	v_add_u32_sdwa v10, sext(v9), s68 dst_sel:DWORD dst_unused:UNUSED_PAD src0_sel:WORD_0 src1_sel:DWORD
	v_and_b32_e32 v10, v10, v36
	v_cmp_eq_u32_e32 vcc, v10, v31
	s_and_b64 exec, exec, vcc
	s_cbranch_execz .LBB109_237
; %bb.241:                              ;   in Loop: Header=BB109_239 Depth=2
	v_perm_b32 v9, v9, 1, v35
	ds_write_b32 v3, v9 offset:3072
	s_branch .LBB109_237
.LBB109_242:                            ;   in Loop: Header=BB109_239 Depth=2
	v_lshl_add_u64 v[4:5], v[4:5], 0, s[84:85]
	v_cmp_le_u64_e32 vcc, s[52:53], v[4:5]
	v_add_u32_e32 v8, s7, v8
	s_mov_b64 s[64:65], 0
	s_orn2_b64 s[58:59], vcc, exec
	s_branch .LBB109_238
.LBB109_243:                            ;   in Loop: Header=BB109_15 Depth=1
	s_or_b64 exec, exec, s[8:9]
	v_lshrrev_b32_e32 v37, 16, v9
	s_and_b64 s[8:9], s[54:55], exec
.LBB109_244:                            ;   in Loop: Header=BB109_15 Depth=1
	s_or_b64 exec, exec, s[50:51]
.LBB109_245:                            ;   in Loop: Header=BB109_15 Depth=1
	s_and_b64 vcc, exec, s[48:49]
	s_cbranch_vccz .LBB109_262
; %bb.246:                              ;   in Loop: Header=BB109_15 Depth=1
	s_mov_b32 s92, s87
	s_cmp_lg_u64 s[92:93], 0
	s_cbranch_scc0 .LBB109_249
; %bb.247:                              ;   in Loop: Header=BB109_15 Depth=1
	v_cvt_f32_u32_e32 v4, s84
	s_sub_u32 s44, 0, s84
	s_subb_u32 s45, 0, 0
	v_fmac_f32_e32 v4, 0, v34
	v_rcp_f32_e32 v4, v4
	s_nop 0
	v_mul_f32_e32 v4, 0x5f7ffffc, v4
	v_mul_f32_e32 v5, 0x2f800000, v4
	v_trunc_f32_e32 v5, v5
	v_fmac_f32_e32 v4, 0xcf800000, v5
	v_cvt_u32_f32_e32 v5, v5
	v_cvt_u32_f32_e32 v4, v4
	v_readfirstlane_b32 s46, v5
	v_readfirstlane_b32 s30, v4
	s_mul_i32 s31, s44, s46
	s_mul_hi_u32 s48, s44, s30
	s_mul_i32 s47, s45, s30
	s_add_i32 s31, s48, s31
	s_mul_i32 s49, s44, s30
	s_add_i32 s31, s31, s47
	s_mul_hi_u32 s48, s30, s49
	s_mul_i32 s50, s30, s31
	s_mul_hi_u32 s47, s30, s31
	s_add_u32 s48, s48, s50
	s_addc_u32 s47, 0, s47
	s_mul_hi_u32 s51, s46, s49
	s_mul_i32 s49, s46, s49
	s_add_u32 s48, s48, s49
	s_mul_hi_u32 s50, s46, s31
	s_addc_u32 s47, s47, s51
	s_addc_u32 s48, s50, 0
	s_mul_i32 s31, s46, s31
	s_add_u32 s31, s47, s31
	s_addc_u32 s47, 0, s48
	s_add_u32 s48, s30, s31
	s_cselect_b64 s[30:31], -1, 0
	s_cmp_lg_u64 s[30:31], 0
	s_addc_u32 s46, s46, s47
	s_mul_i32 s30, s44, s46
	s_mul_hi_u32 s31, s44, s48
	s_add_i32 s30, s31, s30
	s_mul_i32 s45, s45, s48
	s_add_i32 s30, s30, s45
	s_mul_i32 s44, s44, s48
	s_mul_hi_u32 s45, s46, s44
	s_mul_i32 s47, s46, s44
	s_mul_i32 s50, s48, s30
	s_mul_hi_u32 s44, s48, s44
	s_mul_hi_u32 s49, s48, s30
	s_add_u32 s44, s44, s50
	s_addc_u32 s49, 0, s49
	s_add_u32 s44, s44, s47
	s_mul_hi_u32 s31, s46, s30
	s_addc_u32 s44, s49, s45
	s_addc_u32 s31, s31, 0
	s_mul_i32 s30, s46, s30
	s_add_u32 s30, s44, s30
	s_addc_u32 s44, 0, s31
	s_add_u32 s45, s48, s30
	s_cselect_b64 s[30:31], -1, 0
	s_cmp_lg_u64 s[30:31], 0
	s_addc_u32 s30, s46, s44
	s_mul_i32 s44, s14, s30
	s_mul_hi_u32 s46, s14, s45
	s_mul_hi_u32 s31, s14, s30
	s_add_u32 s44, s46, s44
	s_addc_u32 s31, 0, s31
	s_mul_hi_u32 s47, s93, s45
	s_mul_i32 s45, s93, s45
	s_add_u32 s44, s44, s45
	s_mul_hi_u32 s46, s93, s30
	s_addc_u32 s31, s31, s47
	s_addc_u32 s44, s46, 0
	s_mul_i32 s30, s93, s30
	s_add_u32 s30, s31, s30
	s_addc_u32 s31, 0, s44
	s_mul_i32 s31, s84, s31
	s_mul_hi_u32 s44, s84, s30
	s_add_i32 s44, s44, s31
	s_mul_i32 s30, s84, s30
	s_sub_u32 s45, s14, s30
	s_cselect_b64 s[30:31], -1, 0
	s_cmp_lg_u64 s[30:31], 0
	s_subb_u32 s44, s93, s44
	s_sub_u32 s46, s45, s84
	s_cselect_b64 s[30:31], -1, 0
	s_cmp_lg_u64 s[30:31], 0
	s_subb_u32 s47, s44, 0
	;; [unrolled: 4-line block ×3, first 2 shown]
	s_cmp_ge_u32 s46, s84
	s_cselect_b32 s31, -1, 0
	s_cmp_eq_u32 s47, 0
	s_cselect_b32 s31, s31, -1
	s_cmp_lg_u32 s31, 0
	s_cselect_b32 s30, s30, s47
	s_cselect_b32 s46, s48, s46
	s_cmp_ge_u32 s45, s84
	s_cselect_b32 s31, -1, 0
	s_cmp_eq_u32 s44, 0
	s_cselect_b32 s31, s31, -1
	s_cmp_lg_u32 s31, 0
	s_cselect_b32 s31, s30, s44
	s_cselect_b32 s30, s46, s45
	s_mov_b64 s[44:45], 0
	s_branch .LBB109_250
.LBB109_248:                            ;   in Loop: Header=BB109_15 Depth=1
                                        ; implicit-def: $sgpr48_sgpr49
	s_branch .LBB109_234
.LBB109_249:                            ;   in Loop: Header=BB109_15 Depth=1
	s_mov_b64 s[44:45], -1
                                        ; implicit-def: $sgpr30_sgpr31
.LBB109_250:                            ;   in Loop: Header=BB109_15 Depth=1
	s_andn2_b64 vcc, exec, s[44:45]
	v_readlane_b32 s92, v58, 43
	s_cbranch_vccnz .LBB109_252
; %bb.251:                              ;   in Loop: Header=BB109_15 Depth=1
	v_cvt_f32_u32_e32 v4, s84
	s_sub_i32 s30, 0, s84
	v_rcp_iflag_f32_e32 v4, v4
	s_nop 0
	v_mul_f32_e32 v4, 0x4f7ffffe, v4
	v_cvt_u32_f32_e32 v4, v4
	s_nop 0
	v_readfirstlane_b32 s31, v4
	s_mul_i32 s30, s30, s31
	s_mul_hi_u32 s30, s31, s30
	s_add_i32 s31, s31, s30
	s_mul_hi_u32 s30, s14, s31
	s_mul_i32 s30, s30, s84
	s_sub_i32 s30, s14, s30
	s_sub_i32 s31, s30, s84
	s_cmp_ge_u32 s30, s84
	s_cselect_b32 s30, s31, s30
	s_sub_i32 s31, s30, s84
	s_cmp_ge_u32 s30, s84
	s_cselect_b32 s86, s31, s30
	s_mov_b64 s[30:31], s[86:87]
.LBB109_252:                            ;   in Loop: Header=BB109_15 Depth=1
	s_sub_u32 s44, s14, s30
	s_subb_u32 s45, s93, s31
	v_cmp_gt_u64_e32 vcc, s[44:45], v[0:1]
                                        ; implicit-def: $vgpr37
	s_and_saveexec_b64 s[30:31], vcc
	s_cbranch_execz .LBB109_261
; %bb.253:                              ;   in Loop: Header=BB109_15 Depth=1
	s_mov_b64 s[46:47], 0
	v_mov_b64_e32 v[4:5], v[0:1]
                                        ; implicit-def: $sgpr48_sgpr49
	s_branch .LBB109_256
.LBB109_254:                            ;   in Loop: Header=BB109_256 Depth=2
	s_or_b64 exec, exec, s[50:51]
	s_waitcnt lgkmcnt(0)
	s_barrier
	ds_read_b32 v8, v3 offset:3072
	s_mov_b64 s[50:51], -1
	s_waitcnt lgkmcnt(0)
	s_barrier
	v_cmp_eq_u32_sdwa s[52:53], v8, v3 src0_sel:WORD_0 src1_sel:DWORD
	s_and_b64 vcc, exec, s[52:53]
	s_mov_b64 s[52:53], -1
	s_cbranch_vccnz .LBB109_259
.LBB109_255:                            ;   in Loop: Header=BB109_256 Depth=2
	s_and_b64 s[50:51], exec, s[50:51]
	s_or_b64 s[46:47], s[50:51], s[46:47]
	s_andn2_b64 s[48:49], s[48:49], exec
	s_and_b64 s[50:51], s[52:53], exec
	s_or_b64 s[48:49], s[48:49], s[50:51]
	s_andn2_b64 exec, exec, s[46:47]
	s_cbranch_execz .LBB109_260
.LBB109_256:                            ;   Parent Loop BB109_15 Depth=1
                                        ; =>  This Inner Loop Header: Depth=2
	v_cmp_gt_u64_e32 vcc, s[56:57], v[4:5]
	s_and_saveexec_b64 s[50:51], vcc
	s_cbranch_execz .LBB109_254
; %bb.257:                              ;   in Loop: Header=BB109_256 Depth=2
	v_mul_lo_u32 v10, v5, s72
	v_mul_lo_u32 v11, v4, s73
	v_mad_u64_u32 v[8:9], s[52:53], v4, s72, 0
	v_add3_u32 v9, v9, v11, v10
	v_lshl_add_u64 v[8:9], v[8:9], 1, s[80:81]
	global_load_ushort v8, v[8:9], off
	s_waitcnt vmcnt(0)
	v_add_u32_sdwa v9, sext(v8), s68 dst_sel:DWORD dst_unused:UNUSED_PAD src0_sel:WORD_0 src1_sel:DWORD
	v_and_b32_e32 v9, v9, v36
	v_cmp_eq_u32_e32 vcc, v9, v31
	s_and_b64 exec, exec, vcc
	s_cbranch_execz .LBB109_254
; %bb.258:                              ;   in Loop: Header=BB109_256 Depth=2
	v_perm_b32 v8, v8, 1, v35
	ds_write_b32 v3, v8 offset:3072
	s_branch .LBB109_254
.LBB109_259:                            ;   in Loop: Header=BB109_256 Depth=2
	v_lshl_add_u64 v[4:5], v[4:5], 0, s[84:85]
	v_cmp_le_u64_e32 vcc, s[44:45], v[4:5]
	s_mov_b64 s[52:53], 0
	s_orn2_b64 s[50:51], vcc, exec
	s_branch .LBB109_255
.LBB109_260:                            ;   in Loop: Header=BB109_15 Depth=1
	s_or_b64 exec, exec, s[46:47]
	s_andn2_b64 s[8:9], s[8:9], exec
	s_and_b64 s[44:45], s[48:49], exec
	v_lshrrev_b32_e32 v37, 16, v8
	s_or_b64 s[8:9], s[8:9], s[44:45]
.LBB109_261:                            ;   in Loop: Header=BB109_15 Depth=1
	s_or_b64 exec, exec, s[30:31]
	s_mov_b64 s[44:45], 0
	s_mov_b64 s[46:47], -1
.LBB109_262:                            ;   in Loop: Header=BB109_15 Depth=1
	s_orn2_b64 s[30:31], s[8:9], exec
.LBB109_263:                            ;   in Loop: Header=BB109_15 Depth=1
	s_or_b64 exec, exec, s[42:43]
	s_mov_b64 s[42:43], 0
	s_and_saveexec_b64 s[8:9], s[30:31]
	s_cbranch_execz .LBB109_274
; %bb.264:                              ;   in Loop: Header=BB109_15 Depth=1
	s_xor_b64 s[40:41], s[40:41], -1
	v_mov_b64_e32 v[4:5], 1
	v_mov_b32_e32 v2, 1
	s_and_saveexec_b64 s[30:31], s[40:41]
	s_cbranch_execz .LBB109_273
; %bb.265:                              ;   in Loop: Header=BB109_15 Depth=1
	v_cmp_ge_u64_e32 vcc, s[2:3], v[6:7]
	s_and_saveexec_b64 s[40:41], vcc
	s_xor_b64 s[40:41], exec, s[40:41]
	s_cbranch_execz .LBB109_270
; %bb.266:                              ;   in Loop: Header=BB109_15 Depth=1
	ds_read_b64 v[4:5], v3 offset:5120
	v_or_b32_e32 v31, s66, v31
	v_or_b32_e32 v36, s66, v36
	s_waitcnt lgkmcnt(0)
	v_cmp_ne_u64_e32 vcc, 0, v[4:5]
	s_cbranch_vccnz .LBB109_270
; %bb.267:                              ;   in Loop: Header=BB109_15 Depth=1
	s_mov_b64 s[42:43], exec
	v_readlane_b32 s48, v58, 8
	v_readlane_b32 s49, v58, 9
	s_and_b64 s[48:49], s[42:43], s[48:49]
	s_mov_b64 exec, s[48:49]
; %bb.268:                              ;   in Loop: Header=BB109_15 Depth=1
	v_mov_b64_e32 v[4:5], s[2:3]
	ds_write_b64 v3, v[4:5] offset:5128
; %bb.269:                              ;   in Loop: Header=BB109_15 Depth=1
	s_or_b64 exec, exec, s[42:43]
	s_waitcnt lgkmcnt(0)
	s_barrier
.LBB109_270:                            ;   in Loop: Header=BB109_15 Depth=1
	s_andn2_saveexec_b64 s[40:41], s[40:41]
; %bb.271:                              ;   in Loop: Header=BB109_15 Depth=1
	v_mov_b32_e32 v2, s3
	v_subrev_co_u32_e32 v6, vcc, s2, v6
	s_nop 1
	v_subb_co_u32_e32 v7, vcc, v7, v2, vcc
; %bb.272:                              ;   in Loop: Header=BB109_15 Depth=1
	s_or_b64 exec, exec, s[40:41]
	v_mov_b32_e32 v2, 8
	v_mov_b64_e32 v[4:5], v[6:7]
.LBB109_273:                            ;   in Loop: Header=BB109_15 Depth=1
	s_or_b64 exec, exec, s[30:31]
	s_mov_b64 s[42:43], exec
	v_mov_b64_e32 v[6:7], v[4:5]
.LBB109_274:                            ;   in Loop: Header=BB109_15 Depth=1
	s_or_b64 exec, exec, s[8:9]
	s_orn2_b64 s[8:9], s[42:43], exec
.LBB109_275:                            ;   in Loop: Header=BB109_15 Depth=1
	s_or_b64 exec, exec, s[22:23]
	s_andn2_b64 s[2:3], s[36:37], exec
	s_and_b64 s[22:23], s[46:47], exec
	s_or_b64 s[36:37], s[2:3], s[22:23]
	s_andn2_b64 s[2:3], s[34:35], exec
	s_and_b64 s[22:23], s[44:45], exec
	s_or_b64 s[34:35], s[2:3], s[22:23]
	s_and_b64 s[30:31], s[8:9], exec
	v_mov_b64_e32 v[4:5], v[6:7]
.LBB109_276:                            ;   in Loop: Header=BB109_15 Depth=1
	s_or_b64 exec, exec, s[38:39]
	s_orn2_b64 s[8:9], s[30:31], exec
.LBB109_277:                            ;   in Loop: Header=BB109_15 Depth=1
	s_or_b64 exec, exec, s[28:29]
	s_andn2_b64 s[2:3], s[24:25], exec
	s_and_b64 s[22:23], s[36:37], exec
	s_or_b64 s[24:25], s[2:3], s[22:23]
	s_andn2_b64 s[0:1], s[0:1], exec
	s_and_b64 s[2:3], s[34:35], exec
	s_or_b64 s[0:1], s[0:1], s[2:3]
	s_and_b64 s[30:31], s[8:9], exec
	v_mov_b64_e32 v[8:9], v[4:5]
.LBB109_278:                            ;   in Loop: Header=BB109_15 Depth=1
	s_or_b64 exec, exec, s[26:27]
	s_orn2_b64 s[8:9], s[30:31], exec
.LBB109_279:                            ;   in Loop: Header=BB109_15 Depth=1
	s_or_b64 exec, exec, s[20:21]
	s_mov_b64 s[20:21], 0
	s_and_saveexec_b64 s[2:3], s[8:9]
	s_xor_b64 s[2:3], exec, s[2:3]
	s_cbranch_execz .LBB109_13
; %bb.280:                              ;   in Loop: Header=BB109_15 Depth=1
	v_and_b32_e32 v2, 7, v2
	v_cmp_eq_u32_e32 vcc, 0, v2
	s_mov_b64 s[8:9], -1
	s_mov_b64 s[18:19], -1
	s_and_saveexec_b64 s[20:21], vcc
	s_cbranch_execz .LBB109_12
; %bb.281:                              ;   in Loop: Header=BB109_15 Depth=1
	s_xor_b32 s91, s91, 1
	s_add_i32 s22, s69, -2
	s_cmp_eq_u32 s69, 0
	s_cselect_b64 s[8:9], -1, 0
	s_xor_b64 s[18:19], exec, -1
	s_orn2_b64 s[8:9], s[8:9], exec
	s_mov_b32 s69, s22
	s_branch .LBB109_12
.LBB109_282:
	s_or_b64 exec, exec, s[76:77]
	s_xor_b64 s[6:7], s[82:83], -1
	s_xor_b64 s[0:1], s[60:61], -1
	;; [unrolled: 1-line block ×3, first 2 shown]
	s_mov_b64 s[2:3], 0
	s_and_saveexec_b64 s[8:9], s[0:1]
	s_xor_b64 s[0:1], exec, s[8:9]
	s_cbranch_execnz .LBB109_287
; %bb.283:
	s_andn2_saveexec_b64 s[0:1], s[0:1]
	s_cbranch_execnz .LBB109_300
.LBB109_284:
	s_or_b64 exec, exec, s[0:1]
	s_and_saveexec_b64 s[0:1], s[2:3]
.LBB109_285:
	; divergent unreachable
.LBB109_286:
	s_endpgm
.LBB109_287:
	s_and_saveexec_b64 s[2:3], s[6:7]
	s_xor_b64 s[2:3], exec, s[2:3]
	s_cbranch_execz .LBB109_298
; %bb.288:
	s_and_saveexec_b64 s[6:7], s[4:5]
	s_xor_b64 s[4:5], exec, s[6:7]
; %bb.289:
	v_xor_b32_e32 v37, 0xffff8000, v31
; %bb.290:
	s_or_b64 exec, exec, s[4:5]
	v_readlane_b32 s6, v58, 4
	v_readlane_b32 s4, v58, 2
	;; [unrolled: 1-line block ×4, first 2 shown]
	s_mov_b32 s8, s4
	s_mul_i32 s4, s4, s7
	s_mul_hi_u32 s5, s8, s6
	s_add_i32 s5, s5, s4
	s_mul_i32 s4, s8, s6
	v_readlane_b32 s18, v58, 22
	v_readlane_b32 s12, v58, 18
	s_sub_u32 s4, s18, s4
	v_readlane_b32 s14, v58, 20
	v_readlane_b32 s15, v58, 21
	s_subb_u32 s5, 0, s5
	s_mul_i32 s6, s4, s15
	s_mul_hi_u32 s7, s4, s14
	v_readlane_b32 s13, v58, 19
	s_add_i32 s6, s7, s6
	s_mul_i32 s5, s5, s14
	s_add_i32 s5, s6, s5
	s_mul_i32 s6, s8, s13
	s_mul_hi_u32 s7, s8, s12
	s_add_i32 s7, s7, s6
	s_mul_i32 s6, s8, s12
	s_lshl_b64 s[6:7], s[6:7], 1
	v_readlane_b32 s8, v58, 12
	s_mul_i32 s4, s4, s14
	v_readlane_b32 s9, v58, 13
	s_add_u32 s6, s8, s6
	s_addc_u32 s7, s9, s7
	s_lshl_b64 s[4:5], s[4:5], 1
	s_add_u32 s4, s6, s4
	s_addc_u32 s5, s7, s5
	v_mov_b32_e32 v2, 0
	v_readlane_b32 s19, v58, 23
	global_store_short v2, v37, s[4:5]
	s_mov_b64 s[4:5], exec
	v_readlane_b32 s6, v58, 24
	v_readlane_b32 s7, v58, 25
	s_and_b64 s[6:7], s[4:5], s[6:7]
	s_mov_b64 exec, s[6:7]
	s_cbranch_execz .LBB109_297
; %bb.291:
	s_mov_b64 s[6:7], 0
                                        ; implicit-def: $sgpr8_sgpr9
                                        ; implicit-def: $sgpr12_sgpr13
                                        ; implicit-def: $sgpr10_sgpr11
	s_branch .LBB109_293
.LBB109_292:                            ;   in Loop: Header=BB109_293 Depth=1
	s_or_b64 exec, exec, s[14:15]
	s_and_b64 s[14:15], exec, s[12:13]
	s_or_b64 s[6:7], s[14:15], s[6:7]
	s_andn2_b64 s[8:9], s[8:9], exec
	s_and_b64 s[14:15], s[10:11], exec
	s_or_b64 s[8:9], s[8:9], s[14:15]
	s_andn2_b64 exec, exec, s[6:7]
	s_cbranch_execz .LBB109_295
.LBB109_293:                            ; =>This Inner Loop Header: Depth=1
	v_mov_b64_e32 v[2:3], v[0:1]
	v_mul_lo_u32 v4, v3, s72
	v_mul_lo_u32 v5, v2, s73
	v_mad_u64_u32 v[0:1], s[14:15], v2, s72, 0
	v_add3_u32 v1, v1, v5, v4
	v_lshl_add_u64 v[0:1], v[0:1], 1, s[80:81]
	global_load_ushort v0, v[0:1], off
	s_or_b64 s[10:11], s[10:11], exec
	s_or_b64 s[12:13], s[12:13], exec
	s_waitcnt vmcnt(0)
	v_cmp_ne_u16_e32 vcc, v0, v37
                                        ; implicit-def: $vgpr0_vgpr1
	s_and_saveexec_b64 s[14:15], vcc
	s_cbranch_execz .LBB109_292
; %bb.294:                              ;   in Loop: Header=BB109_293 Depth=1
	v_lshl_add_u64 v[0:1], v[2:3], 0, s[84:85]
	v_cmp_le_u64_e32 vcc, s[56:57], v[0:1]
	s_andn2_b64 s[12:13], s[12:13], exec
	s_and_b64 s[16:17], vcc, exec
	s_andn2_b64 s[10:11], s[10:11], exec
	s_or_b64 s[12:13], s[12:13], s[16:17]
	s_branch .LBB109_292
.LBB109_295:
	s_or_b64 exec, exec, s[6:7]
	s_and_saveexec_b64 s[6:7], s[8:9]
	s_xor_b64 s[6:7], exec, s[6:7]
	s_cbranch_execz .LBB109_297
; %bb.296:
	v_readlane_b32 s8, v58, 6
	v_readlane_b32 s6, v58, 0
	;; [unrolled: 1-line block ×4, first 2 shown]
	s_mov_b32 s10, s6
	s_mul_i32 s6, s6, s9
	s_mul_hi_u32 s7, s10, s8
	s_add_i32 s7, s7, s6
	s_mul_i32 s6, s10, s8
	v_readlane_b32 s12, v58, 14
	s_sub_u32 s6, s18, s6
	v_readlane_b32 s14, v58, 16
	v_readlane_b32 s15, v58, 17
	s_subb_u32 s7, 0, s7
	s_mul_i32 s8, s6, s15
	s_mul_hi_u32 s9, s6, s14
	v_readlane_b32 s13, v58, 15
	s_add_i32 s8, s9, s8
	s_mul_i32 s7, s7, s14
	s_add_i32 s7, s8, s7
	s_mul_i32 s8, s10, s13
	s_mul_hi_u32 s9, s10, s12
	s_add_i32 s9, s9, s8
	s_mul_i32 s8, s10, s12
	s_lshl_b64 s[8:9], s[8:9], 3
	v_readlane_b32 s10, v58, 10
	s_mul_i32 s6, s6, s14
	v_readlane_b32 s11, v58, 11
	s_add_u32 s8, s10, s8
	s_addc_u32 s9, s11, s9
	s_lshl_b64 s[6:7], s[6:7], 3
	s_add_u32 s6, s8, s6
	s_addc_u32 s7, s9, s7
	v_mov_b32_e32 v0, 0
	global_store_dwordx2 v0, v[2:3], s[6:7]
.LBB109_297:
	s_or_b64 exec, exec, s[4:5]
.LBB109_298:
	s_or_saveexec_b64 s[2:3], s[2:3]
	s_mov_b64 s[4:5], 0
	s_xor_b64 exec, exec, s[2:3]
	s_cbranch_execnz .LBB109_301
.LBB109_299:
	s_or_b64 exec, exec, s[2:3]
	s_and_b64 s[2:3], s[4:5], exec
	s_andn2_saveexec_b64 s[0:1], s[0:1]
	s_cbranch_execz .LBB109_284
.LBB109_300:
	s_or_b64 s[2:3], s[2:3], exec
	s_trap 2
	s_or_b64 exec, exec, s[0:1]
	s_and_saveexec_b64 s[0:1], s[2:3]
	s_cbranch_execnz .LBB109_285
	s_branch .LBB109_286
.LBB109_301:
	s_mov_b64 s[4:5], exec
	s_trap 2
	s_branch .LBB109_299
	.section	.rodata,"a",@progbits
	.p2align	6, 0x0
	.amdhsa_kernel _ZN2at6native12_GLOBAL__N_112gatherMedianIsmLi2EEEvNS_4cuda6detail10TensorInfoIT_T0_EENS5_IlS7_EENS5_IKS6_S7_EES7_S7_S7_b
		.amdhsa_group_segment_fixed_size 5152
		.amdhsa_private_segment_fixed_size 0
		.amdhsa_kernarg_size 1536
		.amdhsa_user_sgpr_count 2
		.amdhsa_user_sgpr_dispatch_ptr 0
		.amdhsa_user_sgpr_queue_ptr 0
		.amdhsa_user_sgpr_kernarg_segment_ptr 1
		.amdhsa_user_sgpr_dispatch_id 0
		.amdhsa_user_sgpr_kernarg_preload_length 0
		.amdhsa_user_sgpr_kernarg_preload_offset 0
		.amdhsa_user_sgpr_private_segment_size 0
		.amdhsa_uses_dynamic_stack 0
		.amdhsa_enable_private_segment 0
		.amdhsa_system_sgpr_workgroup_id_x 1
		.amdhsa_system_sgpr_workgroup_id_y 1
		.amdhsa_system_sgpr_workgroup_id_z 1
		.amdhsa_system_sgpr_workgroup_info 0
		.amdhsa_system_vgpr_workitem_id 0
		.amdhsa_next_free_vgpr 59
		.amdhsa_next_free_sgpr 100
		.amdhsa_accum_offset 60
		.amdhsa_reserve_vcc 1
		.amdhsa_float_round_mode_32 0
		.amdhsa_float_round_mode_16_64 0
		.amdhsa_float_denorm_mode_32 3
		.amdhsa_float_denorm_mode_16_64 3
		.amdhsa_dx10_clamp 1
		.amdhsa_ieee_mode 1
		.amdhsa_fp16_overflow 0
		.amdhsa_tg_split 0
		.amdhsa_exception_fp_ieee_invalid_op 0
		.amdhsa_exception_fp_denorm_src 0
		.amdhsa_exception_fp_ieee_div_zero 0
		.amdhsa_exception_fp_ieee_overflow 0
		.amdhsa_exception_fp_ieee_underflow 0
		.amdhsa_exception_fp_ieee_inexact 0
		.amdhsa_exception_int_div_zero 0
	.end_amdhsa_kernel
	.section	.text._ZN2at6native12_GLOBAL__N_112gatherMedianIsmLi2EEEvNS_4cuda6detail10TensorInfoIT_T0_EENS5_IlS7_EENS5_IKS6_S7_EES7_S7_S7_b,"axG",@progbits,_ZN2at6native12_GLOBAL__N_112gatherMedianIsmLi2EEEvNS_4cuda6detail10TensorInfoIT_T0_EENS5_IlS7_EENS5_IKS6_S7_EES7_S7_S7_b,comdat
.Lfunc_end109:
	.size	_ZN2at6native12_GLOBAL__N_112gatherMedianIsmLi2EEEvNS_4cuda6detail10TensorInfoIT_T0_EENS5_IlS7_EENS5_IKS6_S7_EES7_S7_S7_b, .Lfunc_end109-_ZN2at6native12_GLOBAL__N_112gatherMedianIsmLi2EEEvNS_4cuda6detail10TensorInfoIT_T0_EENS5_IlS7_EENS5_IKS6_S7_EES7_S7_S7_b
                                        ; -- End function
	.set _ZN2at6native12_GLOBAL__N_112gatherMedianIsmLi2EEEvNS_4cuda6detail10TensorInfoIT_T0_EENS5_IlS7_EENS5_IKS6_S7_EES7_S7_S7_b.num_vgpr, 59
	.set _ZN2at6native12_GLOBAL__N_112gatherMedianIsmLi2EEEvNS_4cuda6detail10TensorInfoIT_T0_EENS5_IlS7_EENS5_IKS6_S7_EES7_S7_S7_b.num_agpr, 0
	.set _ZN2at6native12_GLOBAL__N_112gatherMedianIsmLi2EEEvNS_4cuda6detail10TensorInfoIT_T0_EENS5_IlS7_EENS5_IKS6_S7_EES7_S7_S7_b.numbered_sgpr, 100
	.set _ZN2at6native12_GLOBAL__N_112gatherMedianIsmLi2EEEvNS_4cuda6detail10TensorInfoIT_T0_EENS5_IlS7_EENS5_IKS6_S7_EES7_S7_S7_b.num_named_barrier, 0
	.set _ZN2at6native12_GLOBAL__N_112gatherMedianIsmLi2EEEvNS_4cuda6detail10TensorInfoIT_T0_EENS5_IlS7_EENS5_IKS6_S7_EES7_S7_S7_b.private_seg_size, 0
	.set _ZN2at6native12_GLOBAL__N_112gatherMedianIsmLi2EEEvNS_4cuda6detail10TensorInfoIT_T0_EENS5_IlS7_EENS5_IKS6_S7_EES7_S7_S7_b.uses_vcc, 1
	.set _ZN2at6native12_GLOBAL__N_112gatherMedianIsmLi2EEEvNS_4cuda6detail10TensorInfoIT_T0_EENS5_IlS7_EENS5_IKS6_S7_EES7_S7_S7_b.uses_flat_scratch, 0
	.set _ZN2at6native12_GLOBAL__N_112gatherMedianIsmLi2EEEvNS_4cuda6detail10TensorInfoIT_T0_EENS5_IlS7_EENS5_IKS6_S7_EES7_S7_S7_b.has_dyn_sized_stack, 0
	.set _ZN2at6native12_GLOBAL__N_112gatherMedianIsmLi2EEEvNS_4cuda6detail10TensorInfoIT_T0_EENS5_IlS7_EENS5_IKS6_S7_EES7_S7_S7_b.has_recursion, 0
	.set _ZN2at6native12_GLOBAL__N_112gatherMedianIsmLi2EEEvNS_4cuda6detail10TensorInfoIT_T0_EENS5_IlS7_EENS5_IKS6_S7_EES7_S7_S7_b.has_indirect_call, 0
	.section	.AMDGPU.csdata,"",@progbits
; Kernel info:
; codeLenInByte = 15740
; TotalNumSgprs: 106
; NumVgprs: 59
; NumAgprs: 0
; TotalNumVgprs: 59
; ScratchSize: 0
; MemoryBound: 0
; FloatMode: 240
; IeeeMode: 1
; LDSByteSize: 5152 bytes/workgroup (compile time only)
; SGPRBlocks: 13
; VGPRBlocks: 7
; NumSGPRsForWavesPerEU: 106
; NumVGPRsForWavesPerEU: 59
; AccumOffset: 60
; Occupancy: 7
; WaveLimiterHint : 1
; COMPUTE_PGM_RSRC2:SCRATCH_EN: 0
; COMPUTE_PGM_RSRC2:USER_SGPR: 2
; COMPUTE_PGM_RSRC2:TRAP_HANDLER: 0
; COMPUTE_PGM_RSRC2:TGID_X_EN: 1
; COMPUTE_PGM_RSRC2:TGID_Y_EN: 1
; COMPUTE_PGM_RSRC2:TGID_Z_EN: 1
; COMPUTE_PGM_RSRC2:TIDIG_COMP_CNT: 0
; COMPUTE_PGM_RSRC3_GFX90A:ACCUM_OFFSET: 14
; COMPUTE_PGM_RSRC3_GFX90A:TG_SPLIT: 0
	.section	.text._ZN2at6native12_GLOBAL__N_112gatherMedianIsmLi3EEEvNS_4cuda6detail10TensorInfoIT_T0_EENS5_IlS7_EENS5_IKS6_S7_EES7_S7_S7_b,"axG",@progbits,_ZN2at6native12_GLOBAL__N_112gatherMedianIsmLi3EEEvNS_4cuda6detail10TensorInfoIT_T0_EENS5_IlS7_EENS5_IKS6_S7_EES7_S7_S7_b,comdat
	.globl	_ZN2at6native12_GLOBAL__N_112gatherMedianIsmLi3EEEvNS_4cuda6detail10TensorInfoIT_T0_EENS5_IlS7_EENS5_IKS6_S7_EES7_S7_S7_b ; -- Begin function _ZN2at6native12_GLOBAL__N_112gatherMedianIsmLi3EEEvNS_4cuda6detail10TensorInfoIT_T0_EENS5_IlS7_EENS5_IKS6_S7_EES7_S7_S7_b
	.p2align	8
	.type	_ZN2at6native12_GLOBAL__N_112gatherMedianIsmLi3EEEvNS_4cuda6detail10TensorInfoIT_T0_EENS5_IlS7_EENS5_IKS6_S7_EES7_S7_S7_b,@function
_ZN2at6native12_GLOBAL__N_112gatherMedianIsmLi3EEEvNS_4cuda6detail10TensorInfoIT_T0_EENS5_IlS7_EENS5_IKS6_S7_EES7_S7_S7_b: ; @_ZN2at6native12_GLOBAL__N_112gatherMedianIsmLi3EEEvNS_4cuda6detail10TensorInfoIT_T0_EENS5_IlS7_EENS5_IKS6_S7_EES7_S7_S7_b
; %bb.0:
	s_load_dwordx2 s[12:13], s[0:1], 0x500
	s_load_dwordx4 s[56:59], s[0:1], 0x4e0
	s_add_u32 s16, s0, 0x500
	s_addc_u32 s17, s1, 0
	s_mov_b32 s31, 0
	s_waitcnt lgkmcnt(0)
	s_mul_i32 s4, s13, s4
	s_add_i32 s3, s4, s3
	s_mul_i32 s3, s3, s12
	s_add_i32 s30, s3, s2
	v_mov_b64_e32 v[2:3], s[30:31]
	v_cmp_le_u64_e32 vcc, s[58:59], v[2:3]
	s_cbranch_vccnz .LBB110_288
; %bb.1:
	s_load_dwordx4 s[4:7], s[0:1], 0x10
	s_mov_b64 s[8:9], 0
                                        ; implicit-def: $vgpr58 : SGPR spill to VGPR lane
	v_writelane_b32 v58, s8, 0
	s_waitcnt lgkmcnt(0)
	v_mov_b64_e32 v[2:3], s[6:7]
	v_writelane_b32 v58, s9, 1
	v_writelane_b32 v58, s4, 2
	v_cmp_lt_u64_e32 vcc, s[30:31], v[2:3]
	s_and_b64 vcc, exec, vcc
	v_writelane_b32 v58, s5, 3
	s_mov_b64 s[8:9], 0
	v_writelane_b32 v58, s6, 4
	v_writelane_b32 v58, s7, 5
	s_cbranch_vccnz .LBB110_3
; %bb.2:
	v_cvt_f32_u32_e32 v1, s6
	s_sub_i32 s3, 0, s6
	s_load_dwordx4 s[8:11], s[0:1], 0x10
	v_rcp_iflag_f32_e32 v1, v1
	s_nop 0
	v_mul_f32_e32 v1, 0x4f7ffffe, v1
	v_cvt_u32_f32_e32 v1, v1
	s_nop 0
	v_readfirstlane_b32 s4, v1
	s_mul_i32 s3, s3, s4
	s_mul_hi_u32 s3, s4, s3
	s_add_i32 s4, s4, s3
	s_mul_hi_u32 s3, s30, s4
	s_waitcnt lgkmcnt(0)
	s_mul_i32 s5, s3, s10
	s_load_dwordx4 s[8:11], s[0:1], 0x10
	s_sub_i32 s5, s30, s5
	s_add_i32 s4, s3, 1
	s_waitcnt lgkmcnt(0)
	s_sub_i32 s6, s5, s10
	s_load_dwordx4 s[8:11], s[0:1], 0x10
	s_waitcnt lgkmcnt(0)
	s_cmp_ge_u32 s5, s10
	s_load_dwordx4 s[8:11], s[0:1], 0x10
	s_cselect_b32 s3, s4, s3
	s_cselect_b32 s5, s6, s5
	s_add_i32 s4, s3, 1
	s_waitcnt lgkmcnt(0)
	s_mov_b32 s9, 0
	s_cmp_ge_u32 s5, s10
	s_cselect_b32 s8, s4, s3
	s_load_dwordx4 s[4:7], s[0:1], 0x10
.LBB110_3:
	s_waitcnt lgkmcnt(0)
	s_mov_b64 s[6:7], s[8:9]
	s_load_dwordx4 s[8:11], s[0:1], 0x1b0
	v_writelane_b32 v58, s6, 6
	v_mov_b64_e32 v[2:3], s[4:5]
	s_nop 0
	v_writelane_b32 v58, s7, 7
	s_waitcnt lgkmcnt(0)
	v_writelane_b32 v58, s8, 8
	v_cmp_lt_u64_e32 vcc, s[6:7], v[2:3]
	s_nop 0
	v_writelane_b32 v58, s9, 9
	v_writelane_b32 v58, s10, 10
	;; [unrolled: 1-line block ×3, first 2 shown]
	s_cbranch_vccnz .LBB110_5
; %bb.4:
	s_load_dwordx4 s[4:7], s[0:1], 0x10
	s_waitcnt lgkmcnt(0)
	s_mov_b64 s[10:11], s[6:7]
	s_mov_b64 s[8:9], s[4:5]
	v_cvt_f32_u32_e32 v1, s8
	s_sub_i32 s3, 0, s8
	v_readlane_b32 s6, v58, 6
	v_readlane_b32 s7, v58, 7
	v_rcp_iflag_f32_e32 v1, v1
	s_nop 0
	v_mul_f32_e32 v1, 0x4f7ffffe, v1
	v_cvt_u32_f32_e32 v1, v1
	s_nop 0
	v_readfirstlane_b32 s4, v1
	s_mul_i32 s3, s3, s4
	s_mul_hi_u32 s3, s4, s3
	s_add_i32 s4, s4, s3
	s_mul_hi_u32 s3, s6, s4
	s_mul_i32 s5, s3, s8
	s_sub_i32 s5, s6, s5
	s_add_i32 s4, s3, 1
	s_sub_i32 s6, s5, s8
	s_cmp_ge_u32 s5, s8
	s_cselect_b32 s3, s4, s3
	s_cselect_b32 s5, s6, s5
	s_add_i32 s4, s3, 1
	s_cmp_ge_u32 s5, s8
	s_load_dwordx4 s[8:11], s[0:1], 0x1b0
	s_cselect_b32 s4, s4, s3
	v_writelane_b32 v58, s4, 0
	s_nop 1
	v_writelane_b32 v58, s5, 1
.LBB110_5:
	s_waitcnt lgkmcnt(0)
	v_mov_b64_e32 v[2:3], s[10:11]
	v_cmp_lt_u64_e32 vcc, s[30:31], v[2:3]
	s_mov_b64 s[4:5], 0
	v_writelane_b32 v58, s4, 12
	s_mov_b64 s[14:15], 0
	s_nop 0
	v_writelane_b32 v58, s5, 13
	s_cbranch_vccnz .LBB110_7
; %bb.6:
	v_cvt_f32_u32_e32 v1, s10
	s_sub_i32 s3, 0, s10
	s_mov_b32 s15, 0
	v_rcp_iflag_f32_e32 v1, v1
	s_nop 0
	v_mul_f32_e32 v1, 0x4f7ffffe, v1
	v_cvt_u32_f32_e32 v1, v1
	s_nop 0
	v_readfirstlane_b32 s4, v1
	s_mul_i32 s3, s3, s4
	s_mul_hi_u32 s3, s4, s3
	s_add_i32 s4, s4, s3
	s_mul_hi_u32 s3, s30, s4
	s_mul_i32 s5, s3, s10
	s_sub_i32 s5, s30, s5
	s_add_i32 s4, s3, 1
	s_sub_i32 s6, s5, s10
	s_cmp_ge_u32 s5, s10
	s_cselect_b32 s3, s4, s3
	s_cselect_b32 s5, s6, s5
	s_add_i32 s4, s3, 1
	s_cmp_ge_u32 s5, s10
	s_cselect_b32 s14, s4, s3
.LBB110_7:
	s_load_dwordx4 s[4:7], s[0:1], 0x350
	v_mov_b64_e32 v[2:3], s[8:9]
	v_cmp_lt_u64_e32 vcc, s[14:15], v[2:3]
	s_cbranch_vccnz .LBB110_9
; %bb.8:
	s_load_dwordx4 s[8:11], s[0:1], 0x1b0
	s_waitcnt lgkmcnt(0)
	s_mov_b64 s[22:23], s[10:11]
	s_mov_b64 s[20:21], s[8:9]
	v_cvt_f32_u32_e32 v1, s20
	s_sub_i32 s3, 0, s20
	v_rcp_iflag_f32_e32 v1, v1
	s_nop 0
	v_mul_f32_e32 v1, 0x4f7ffffe, v1
	v_cvt_u32_f32_e32 v1, v1
	s_nop 0
	v_readfirstlane_b32 s8, v1
	s_mul_i32 s3, s3, s8
	s_mul_hi_u32 s3, s8, s3
	s_add_i32 s8, s8, s3
	s_mul_hi_u32 s3, s14, s8
	s_mul_i32 s9, s3, s20
	s_sub_i32 s9, s14, s9
	s_add_i32 s8, s3, 1
	s_sub_i32 s10, s9, s20
	s_cmp_ge_u32 s9, s20
	s_cselect_b32 s3, s8, s3
	s_cselect_b32 s9, s10, s9
	s_add_i32 s8, s3, 1
	s_cmp_ge_u32 s9, s20
	s_cselect_b32 s8, s8, s3
	v_writelane_b32 v58, s8, 12
	s_nop 1
	v_writelane_b32 v58, s9, 13
.LBB110_9:
	s_load_dwordx2 s[84:85], s[0:1], 0x4f0
	s_waitcnt lgkmcnt(0)
	v_mov_b64_e32 v[2:3], s[6:7]
	v_cmp_lt_u64_e32 vcc, s[30:31], v[2:3]
	v_writelane_b32 v58, s14, 14
	s_mov_b64 s[18:19], 0
	s_mov_b64 s[20:21], 0
	v_writelane_b32 v58, s15, 15
	s_cbranch_vccnz .LBB110_11
; %bb.10:
	v_cvt_f32_u32_e32 v1, s6
	s_sub_i32 s3, 0, s6
	s_mov_b32 s21, 0
	v_rcp_iflag_f32_e32 v1, v1
	s_nop 0
	v_mul_f32_e32 v1, 0x4f7ffffe, v1
	v_cvt_u32_f32_e32 v1, v1
	s_nop 0
	v_readfirstlane_b32 s8, v1
	s_mul_i32 s3, s3, s8
	s_mul_hi_u32 s3, s8, s3
	s_add_i32 s8, s8, s3
	s_mul_hi_u32 s3, s30, s8
	s_mul_i32 s9, s3, s6
	s_sub_i32 s9, s30, s9
	s_add_i32 s8, s3, 1
	s_sub_i32 s10, s9, s6
	s_cmp_ge_u32 s9, s6
	s_cselect_b32 s3, s8, s3
	s_cselect_b32 s9, s10, s9
	s_add_i32 s8, s3, 1
	s_cmp_ge_u32 s9, s6
	s_cselect_b32 s20, s8, s3
.LBB110_11:
	s_load_dwordx2 s[24:25], s[0:1], 0x420
	s_load_dwordx4 s[8:11], s[0:1], 0x410
	v_mov_b64_e32 v[2:3], s[4:5]
	v_cmp_lt_u64_e32 vcc, s[20:21], v[2:3]
	s_cbranch_vccnz .LBB110_13
; %bb.12:
	v_cvt_f32_u32_e32 v1, s4
	s_sub_i32 s3, 0, s4
	v_rcp_iflag_f32_e32 v1, v1
	s_nop 0
	v_mul_f32_e32 v1, 0x4f7ffffe, v1
	v_cvt_u32_f32_e32 v1, v1
	s_nop 0
	v_readfirstlane_b32 s13, v1
	s_mul_i32 s3, s3, s13
	s_mul_hi_u32 s3, s13, s3
	s_add_i32 s13, s13, s3
	s_mul_hi_u32 s3, s20, s13
	s_mul_i32 s14, s3, s4
	s_sub_i32 s14, s20, s14
	s_add_i32 s13, s3, 1
	s_sub_i32 s15, s14, s4
	s_cmp_ge_u32 s14, s4
	s_cselect_b32 s3, s13, s3
	s_cselect_b32 s14, s15, s14
	s_add_i32 s13, s3, 1
	s_cmp_ge_u32 s14, s4
	s_cselect_b32 s18, s13, s3
.LBB110_13:
	s_load_dwordx2 s[14:15], s[0:1], 0x280
	s_load_dwordx4 s[36:39], s[0:1], 0x270
	s_load_dwordx2 s[26:27], s[0:1], 0x340
	s_waitcnt lgkmcnt(0)
	v_writelane_b32 v58, s14, 16
	s_nop 1
	v_writelane_b32 v58, s15, 17
	v_writelane_b32 v58, s36, 18
	s_load_dwordx2 s[14:15], s[0:1], 0xe0
	s_nop 0
	v_writelane_b32 v58, s37, 19
	v_writelane_b32 v58, s38, 20
	;; [unrolled: 1-line block ×3, first 2 shown]
	s_load_dwordx4 s[36:39], s[0:1], 0xd0
	s_waitcnt lgkmcnt(0)
	v_writelane_b32 v58, s14, 22
	s_nop 1
	v_writelane_b32 v58, s15, 23
	v_writelane_b32 v58, s36, 24
	v_cmp_eq_u32_e64 s[14:15], 0, v0
	s_nop 0
	v_writelane_b32 v58, s37, 25
	v_writelane_b32 v58, s38, 26
	;; [unrolled: 1-line block ×3, first 2 shown]
	s_mov_b64 s[22:23], exec
	v_writelane_b32 v58, s14, 28
	s_nop 1
	v_writelane_b32 v58, s15, 29
	s_and_b64 s[14:15], s[22:23], s[14:15]
	s_mov_b64 exec, s[14:15]
; %bb.14:
	v_mov_b32_e32 v2, 0
	v_mov_b32_e32 v3, v2
	ds_write_b64 v2, v[2:3] offset:5136
; %bb.15:
	s_or_b64 exec, exec, s[22:23]
	s_load_dwordx2 s[14:15], s[0:1], 0x1a0
	v_mov_b32_e32 v3, 0
	s_waitcnt lgkmcnt(0)
	s_barrier
	v_writelane_b32 v58, s14, 30
	s_barrier
	ds_read_b64 v[4:5], v3 offset:5136
	v_writelane_b32 v58, s15, 31
	s_load_dwordx2 s[14:15], s[0:1], 0x0
	s_waitcnt lgkmcnt(0)
	v_readfirstlane_b32 s22, v4
	v_readfirstlane_b32 s23, v5
	v_writelane_b32 v58, s14, 32
	s_nop 1
	v_writelane_b32 v58, s15, 33
	s_mov_b64 s[28:29], exec
	v_readlane_b32 s14, v58, 28
	v_readlane_b32 s15, v58, 29
	s_and_b64 s[14:15], s[28:29], s[14:15]
	s_mov_b64 exec, s[14:15]
	s_cbranch_execz .LBB110_17
; %bb.16:
	v_mov_b32_e32 v4, 0
	v_mov_b32_e32 v6, s56
	;; [unrolled: 1-line block ×4, first 2 shown]
	ds_write_b32 v4, v4 offset:5144
	ds_write_b128 v4, v[4:7] offset:5120
.LBB110_17:
	s_or_b64 exec, exec, s[28:29]
	s_load_dword s3, s[0:1], 0x4f8
	v_cmp_lt_i64_e64 s[0:1], s[22:23], 1
	s_mul_i32 s7, s20, s7
	v_mov_b32_e32 v1, v3
	v_mbcnt_lo_u32_b32 v2, -1, 0
	s_waitcnt lgkmcnt(0)
	s_bitcmp1_b32 s3, 0
	s_cselect_b64 s[14:15], -1, 0
	s_not_b64 s[22:23], s[22:23]
	s_or_b64 s[0:1], s[14:15], s[0:1]
	s_add_u32 s14, s56, s22
	s_addc_u32 s15, s57, s23
	s_lshr_b64 s[14:15], s[14:15], 1
	s_add_u32 s3, s14, 1
	s_addc_u32 s13, s15, 0
	s_and_b64 s[0:1], s[0:1], exec
	s_mul_hi_u32 s0, s20, s6
	s_cselect_b32 s23, s13, s57
	s_cselect_b32 s22, s3, s56
	s_add_i32 s0, s0, s7
	s_mul_i32 s1, s20, s6
	s_mov_b32 s6, s30
	v_writelane_b32 v58, s6, 34
	s_sub_u32 s3, s30, s1
	s_subb_u32 s0, 0, s0
	v_writelane_b32 v58, s7, 35
	s_mul_i32 s1, s3, s25
	s_mul_hi_u32 s6, s3, s24
	s_add_i32 s1, s6, s1
	s_mul_i32 s0, s0, s24
	s_add_i32 s1, s1, s0
	s_mul_i32 s0, s3, s24
	s_mul_i32 s3, s18, s5
	s_mul_hi_u32 s5, s18, s4
	s_add_i32 s5, s5, s3
	s_mul_i32 s3, s18, s4
	s_sub_u32 s3, s20, s3
	s_subb_u32 s4, s21, s5
	s_mul_i32 s5, s3, s11
	s_mul_hi_u32 s6, s3, s10
	s_add_i32 s5, s6, s5
	s_mul_i32 s4, s4, s10
	s_add_i32 s5, s5, s4
	s_mul_i32 s4, s3, s10
	s_mul_i32 s3, s18, s9
	s_mul_hi_u32 s6, s18, s8
	s_add_i32 s7, s6, s3
	s_mul_i32 s6, s18, s8
	s_lshl_b64 s[6:7], s[6:7], 1
	s_add_u32 s3, s26, s6
	s_addc_u32 s6, s27, s7
	s_lshl_b64 s[4:5], s[4:5], 1
	s_add_u32 s3, s3, s4
	s_addc_u32 s4, s6, s5
	;; [unrolled: 3-line block ×3, first 2 shown]
	v_cmp_gt_u64_e64 s[0:1], s[56:57], v[0:1]
	v_mbcnt_hi_u32_b32 v26, -1, v2
	v_cmp_gt_u32_e32 vcc, 64, v0
	v_writelane_b32 v58, s0, 36
	v_mov_b64_e32 v[4:5], 0x600
	s_nop 0
	v_writelane_b32 v58, s1, 37
	v_cmp_gt_i32_e64 s[0:1], 4, v26
	s_and_b64 s[88:89], vcc, s[0:1]
	v_cmp_gt_u32_e64 s[0:1], 2, v0
	s_barrier
	s_nop 0
	v_writelane_b32 v58, s0, 38
	s_mov_b32 s99, 0
	v_lshlrev_b32_e32 v27, 1, v0
	v_writelane_b32 v58, s1, 39
	v_cmp_gt_u64_e64 s[0:1], s[56:57], v[4:5]
	s_mov_b32 s65, s85
	v_cmp_eq_u32_e64 s[4:5], 0, v26
	v_writelane_b32 v58, s0, 40
	v_add_u32_e32 v28, 0xc00, v27
	v_lshlrev_b32_e32 v14, 2, v0
	v_writelane_b32 v58, s1, 41
	v_mad_u64_u32 v[4:5], s[0:1], s84, v0, 0
	v_mov_b32_e32 v2, v5
	v_mad_u64_u32 v[6:7], s[0:1], s85, v0, v[2:3]
	s_load_dword s0, s[16:17], 0xc
	v_lshlrev_b32_e32 v2, 2, v26
	v_and_b32_e32 v29, 0x100, v2
	v_lshrrev_b32_e32 v2, 1, v0
	v_mov_b32_e32 v5, v6
	s_waitcnt lgkmcnt(0)
	s_and_b32 s96, s0, 0xffff
	s_bfe_u32 s0, s0, 0xa0006
	v_and_b32_e32 v2, 0x1e0, v2
	v_lshl_add_u64 v[12:13], v[4:5], 1, s[94:95]
	v_lshlrev_b64 v[4:5], v26, -1
	s_cmp_gt_u32 s96, 63
	v_or_b32_e32 v30, 0xc00, v2
	v_add_u32_e32 v2, 2, v0
	v_not_b32_e32 v16, v4
	s_cselect_b64 s[6:7], -1, 0
	s_add_u32 s1, s96, -1
	v_mov_b32_e32 v4, s57
	v_cmp_gt_u64_e32 vcc, s[56:57], v[2:3]
	v_not_b32_e32 v17, v5
	v_writelane_b32 v58, s6, 42
	s_addc_u32 s3, 0, -1
	v_cndmask_b32_e32 v5, 0, v4, vcc
	v_mov_b32_e32 v4, s56
	v_writelane_b32 v58, s7, 43
	s_add_u32 s14, s1, s56
	v_cndmask_b32_e32 v4, v2, v4, vcc
	v_mov_b32_e32 v7, -1
	v_not_b32_e32 v6, v0
	v_writelane_b32 v58, s1, 44
	s_addc_u32 s69, s3, s57
	v_lshl_add_u64 v[4:5], v[4:5], 0, v[6:7]
	v_writelane_b32 v58, s3, 45
	s_cmp_lt_u32 s2, s12
	v_cmp_lt_u64_e64 s[2:3], 3, v[4:5]
	s_cselect_b32 s1, 12, 18
	v_and_b32_e32 v18, -4, v4
	v_writelane_b32 v58, s2, 46
	v_mov_b32_e32 v19, v5
	s_add_u32 s70, s16, s1
	v_writelane_b32 v58, s3, 47
	v_cmp_ne_u64_e64 s[2:3], v[4:5], v[18:19]
	s_addc_u32 s71, s17, 0
	s_add_i32 s1, s0, -1
	v_writelane_b32 v58, s2, 48
	s_and_b32 s1, s1, 0xffff
	v_mov_b32_e32 v2, 0xc00
	v_writelane_b32 v58, s3, 49
	s_bfe_u32 s2, s96, 0x30006
	s_cmp_gt_u32 s1, 6
	s_cselect_b64 s[6:7], -1, 0
	v_writelane_b32 v58, s6, 50
	v_mov_b32_e32 v15, v3
	s_mov_b32 s97, s99
	v_writelane_b32 v58, s7, 51
	s_and_b32 s6, s0, 0x3f8
	s_cmp_lg_u32 s2, 0
	v_writelane_b32 v58, s2, 52
	s_cselect_b64 s[0:1], -1, 0
	v_writelane_b32 v58, s0, 53
	v_lshl_add_u64 v[20:21], v[18:19], 0, v[0:1]
	s_mov_b32 s15, s84
	v_writelane_b32 v58, s1, 54
	s_mov_b32 s67, s85
	s_mov_b32 s33, s84
	;; [unrolled: 1-line block ×4, first 2 shown]
	v_lshlrev_b32_e32 v32, 3, v0
	v_lshl_or_b32 v33, v26, 3, v2
	s_lshl_b32 s7, s96, 1
	s_mov_b32 s77, 14
	s_mov_b64 s[12:13], 0
	v_mov_b64_e32 v[22:23], s[22:23]
	s_mov_b32 s76, 0x8000
	s_mov_b32 s78, 0x5040100
	v_mov_b64_e32 v[42:43], s[56:57]
	v_mov_b32_e32 v34, 0x4f800000
	v_mov_b32_e32 v35, 0x5040100
	;; [unrolled: 1-line block ×3, first 2 shown]
	s_mov_b32 s87, 0
	v_mov_b32_e32 v31, 0
	v_mov_b32_e32 v36, 0
	v_writelane_b32 v58, s65, 55
                                        ; implicit-def: $sgpr90_sgpr91
                                        ; implicit-def: $sgpr72_sgpr73
                                        ; implicit-def: $sgpr10_sgpr11
                                        ; implicit-def: $sgpr82_sgpr83
                                        ; implicit-def: $sgpr58_sgpr59
                                        ; implicit-def: $sgpr74_sgpr75
	v_writelane_b32 v58, s66, 56
	s_branch .LBB110_21
.LBB110_18:                             ;   in Loop: Header=BB110_21 Depth=1
	s_or_b64 exec, exec, s[20:21]
	s_and_b64 s[20:21], s[18:19], exec
	s_andn2_b64 s[24:25], s[24:25], exec
	s_andn2_b64 s[0:1], s[0:1], exec
	s_orn2_b64 s[18:19], s[8:9], exec
.LBB110_19:                             ;   in Loop: Header=BB110_21 Depth=1
	s_or_b64 exec, exec, s[2:3]
	s_andn2_b64 s[2:3], s[74:75], exec
	s_and_b64 s[8:9], s[20:21], exec
	s_or_b64 s[74:75], s[2:3], s[8:9]
	s_andn2_b64 s[2:3], s[58:59], exec
	s_and_b64 s[8:9], s[24:25], exec
	s_or_b64 s[58:59], s[2:3], s[8:9]
	;; [unrolled: 3-line block ×3, first 2 shown]
	s_orn2_b64 s[0:1], s[18:19], exec
.LBB110_20:                             ;   in Loop: Header=BB110_21 Depth=1
	s_or_b64 exec, exec, s[16:17]
	s_and_b64 s[0:1], exec, s[0:1]
	s_or_b64 s[12:13], s[0:1], s[12:13]
	s_andn2_b64 s[0:1], s[10:11], exec
	s_and_b64 s[2:3], s[74:75], exec
	s_or_b64 s[10:11], s[0:1], s[2:3]
	s_andn2_b64 s[0:1], s[72:73], exec
	s_and_b64 s[2:3], s[58:59], exec
	;; [unrolled: 3-line block ×3, first 2 shown]
	s_or_b64 s[90:91], s[0:1], s[2:3]
	v_mov_b64_e32 v[22:23], v[8:9]
	s_andn2_b64 exec, exec, s[12:13]
	s_cbranch_execz .LBB110_284
.LBB110_21:                             ; =>This Loop Header: Depth=1
                                        ;     Child Loop BB110_26 Depth 2
                                        ;     Child Loop BB110_40 Depth 2
	;; [unrolled: 1-line block ×17, first 2 shown]
	ds_read_b128 v[4:7], v3 offset:5120
	s_waitcnt lgkmcnt(0)
	v_readfirstlane_b32 s81, v5
	v_readfirstlane_b32 s80, v4
	s_cmp_lg_u64 s[80:81], 0
	s_cbranch_scc1 .LBB110_53
; %bb.22:                               ;   in Loop: Header=BB110_21 Depth=1
	v_readlane_b32 s0, v58, 40
	v_readlane_b32 s1, v58, 41
	s_and_b64 vcc, exec, s[0:1]
	s_cbranch_vccz .LBB110_34
; %bb.23:                               ;   in Loop: Header=BB110_21 Depth=1
	s_mov_b64 s[0:1], 0x601
	v_cmp_gt_u64_e32 vcc, s[0:1], v[6:7]
	s_mov_b64 s[8:9], 0
	s_mov_b64 s[0:1], 0
	s_cbranch_vccz .LBB110_35
; %bb.24:                               ;   in Loop: Header=BB110_21 Depth=1
	global_load_ushort v2, v3, s[70:71]
	global_load_ushort v6, v[12:13], off
	s_mov_b64 s[16:17], 0
	v_mov_b64_e32 v[4:5], v[0:1]
	s_waitcnt vmcnt(1)
	v_and_b32_e32 v2, 0xffff, v2
	s_branch .LBB110_26
.LBB110_25:                             ;   in Loop: Header=BB110_26 Depth=2
	s_or_b64 exec, exec, s[2:3]
	v_mov_b32_e32 v6, v7
	s_andn2_b64 exec, exec, s[16:17]
	s_cbranch_execz .LBB110_151
.LBB110_26:                             ;   Parent Loop BB110_21 Depth=1
                                        ; =>  This Inner Loop Header: Depth=2
	v_lshl_add_u64 v[4:5], v[4:5], 0, v[2:3]
	v_cmp_gt_u64_e64 s[0:1], s[56:57], v[4:5]
	v_cmp_le_u64_e32 vcc, s[56:57], v[4:5]
	s_waitcnt lgkmcnt(0)
	v_mov_b32_e32 v8, 0
	v_mov_b32_e32 v7, 0
	s_and_saveexec_b64 s[2:3], s[0:1]
	s_cbranch_execz .LBB110_28
; %bb.27:                               ;   in Loop: Header=BB110_26 Depth=2
	v_mul_lo_u32 v7, v5, s84
	v_mul_lo_u32 v9, v4, s85
	v_mad_u64_u32 v[10:11], s[0:1], v4, s84, 0
	v_add3_u32 v11, v11, v9, v7
	v_lshl_add_u64 v[10:11], v[10:11], 1, s[94:95]
	global_load_ushort v7, v[10:11], off
.LBB110_28:                             ;   in Loop: Header=BB110_26 Depth=2
	s_or_b64 exec, exec, s[2:3]
	s_waitcnt vmcnt(0)
	v_add_u32_sdwa v9, sext(v6), s76 dst_sel:DWORD dst_unused:UNUSED_PAD src0_sel:WORD_0 src1_sel:DWORD
	v_and_b32_e32 v9, v9, v36
	v_cmp_eq_u32_e64 s[0:1], v9, v31
	s_cmp_lg_u64 s[0:1], 0
	s_cselect_b64 s[2:3], -1, 0
	s_and_b64 s[2:3], s[4:5], s[2:3]
	s_and_saveexec_b64 s[18:19], s[2:3]
	s_cbranch_execz .LBB110_32
; %bb.29:                               ;   in Loop: Header=BB110_26 Depth=2
	s_mov_b64 s[22:23], exec
	v_mbcnt_lo_u32_b32 v8, s22, 0
	v_mbcnt_hi_u32_b32 v8, s23, v8
	s_bcnt1_i32_b64 s24, s[0:1]
	v_cmp_eq_u32_e64 s[2:3], 0, v8
                                        ; implicit-def: $vgpr9
	s_and_saveexec_b64 s[20:21], s[2:3]
; %bb.30:                               ;   in Loop: Header=BB110_26 Depth=2
	s_bcnt1_i32_b64 s2, s[22:23]
	s_mul_i32 s2, s24, s2
	v_mov_b32_e32 v9, s2
	ds_add_rtn_u32 v9, v3, v9 offset:5144
; %bb.31:                               ;   in Loop: Header=BB110_26 Depth=2
	s_or_b64 exec, exec, s[20:21]
	s_waitcnt lgkmcnt(0)
	v_readfirstlane_b32 s2, v9
	s_nop 1
	v_mov_b32_e32 v9, s2
	v_mad_u32_u24 v8, s24, v8, v9
.LBB110_32:                             ;   in Loop: Header=BB110_26 Depth=2
	s_or_b64 exec, exec, s[18:19]
	ds_bpermute_b32 v8, v29, v8
	s_and_b64 s[2:3], exec, vcc
	s_or_b64 s[16:17], s[2:3], s[16:17]
	s_and_saveexec_b64 s[2:3], s[0:1]
	s_cbranch_execz .LBB110_25
; %bb.33:                               ;   in Loop: Header=BB110_26 Depth=2
	v_and_b32_e32 v10, s0, v16
	v_and_b32_e32 v9, s1, v17
	v_bcnt_u32_b32 v10, v10, 0
	v_bcnt_u32_b32 v9, v9, v10
	v_lshlrev_b32_e32 v9, 1, v9
	s_waitcnt lgkmcnt(0)
	v_lshl_add_u32 v8, v8, 1, v9
	ds_write_b16 v8, v6
	s_branch .LBB110_25
.LBB110_34:                             ;   in Loop: Header=BB110_21 Depth=1
	s_mov_b64 s[8:9], -1
	s_mov_b64 s[0:1], 0
.LBB110_35:                             ;   in Loop: Header=BB110_21 Depth=1
	s_and_b64 vcc, exec, s[8:9]
	s_cbranch_vccz .LBB110_51
.LBB110_36:                             ;   in Loop: Header=BB110_21 Depth=1
	s_mov_b64 s[0:1], exec
	v_readlane_b32 s2, v58, 36
	v_readlane_b32 s3, v58, 37
	s_and_b64 s[2:3], s[0:1], s[2:3]
	s_mov_b64 exec, s[2:3]
	s_cbranch_execz .LBB110_48
; %bb.37:                               ;   in Loop: Header=BB110_21 Depth=1
	global_load_ushort v2, v3, s[70:71]
	global_load_ushort v38, v[12:13], off
	v_mov_b32_e32 v4, v0
	s_waitcnt vmcnt(1)
	v_readfirstlane_b32 s8, v2
	v_add_u32_sdwa v2, v2, v0 dst_sel:DWORD dst_unused:UNUSED_PAD src0_sel:WORD_0 src1_sel:DWORD
	v_cmp_gt_u64_e32 vcc, s[56:57], v[2:3]
	s_and_saveexec_b64 s[2:3], vcc
	s_cbranch_execz .LBB110_47
; %bb.38:                               ;   in Loop: Header=BB110_21 Depth=1
	s_and_b32 s98, s8, 0xffff
	s_cmp_eq_u32 s98, 1
	v_readlane_b32 s16, v58, 46
	s_cselect_b64 s[8:9], -1, 0
	v_readlane_b32 s17, v58, 47
	s_and_b64 s[18:19], s[16:17], s[8:9]
	s_mov_b64 s[16:17], -1
	v_mov_b64_e32 v[8:9], v[0:1]
	v_mov_b64_e32 v[6:7], v[2:3]
                                        ; implicit-def: $vgpr4_vgpr5
	s_and_saveexec_b64 s[8:9], s[18:19]
	s_cbranch_execz .LBB110_42
; %bb.39:                               ;   in Loop: Header=BB110_21 Depth=1
	v_lshl_add_u64 v[8:9], v[2:3], 0, 3
	v_lshl_add_u64 v[6:7], v[2:3], 0, 2
	;; [unrolled: 1-line block ×3, first 2 shown]
	v_mov_b64_e32 v[10:11], v[8:9]
	s_waitcnt vmcnt(0)
	v_lshlrev_b32_e32 v40, 16, v38
	s_mov_b64 s[16:17], 0
	v_mov_b64_e32 v[24:25], v[18:19]
	v_mov_b32_e32 v39, v27
	v_mov_b64_e32 v[8:9], v[6:7]
	v_mov_b64_e32 v[6:7], v[4:5]
	;; [unrolled: 1-line block ×3, first 2 shown]
.LBB110_40:                             ;   Parent Loop BB110_21 Depth=1
                                        ; =>  This Inner Loop Header: Depth=2
	v_mul_lo_u32 v38, v11, s86
	v_mul_lo_u32 v41, v10, s66
	v_mad_u64_u32 v[44:45], s[18:19], v10, s86, 0
	v_mul_lo_u32 v52, v9, s33
	v_mul_lo_u32 v53, v8, s65
	v_mad_u64_u32 v[46:47], s[18:19], v8, s33, 0
	;; [unrolled: 3-line block ×4, first 2 shown]
	v_add3_u32 v45, v45, v41, v38
	v_add3_u32 v47, v47, v53, v52
	;; [unrolled: 1-line block ×4, first 2 shown]
	v_lshl_add_u64 v[46:47], v[46:47], 1, s[94:95]
	v_lshl_add_u64 v[44:45], v[44:45], 1, s[94:95]
	;; [unrolled: 1-line block ×4, first 2 shown]
	global_load_ushort v41, v[46:47], off
	global_load_ushort v38, v[44:45], off
	s_nop 0
	global_load_ushort v44, v[48:49], off
	global_load_ushort v45, v[50:51], off
	v_lshl_add_u64 v[24:25], v[24:25], 0, -4
	v_cmp_eq_u64_e32 vcc, 0, v[24:25]
	v_lshl_add_u64 v[10:11], v[10:11], 0, 4
	v_lshl_add_u64 v[8:9], v[8:9], 0, 4
	;; [unrolled: 1-line block ×4, first 2 shown]
	s_or_b64 s[16:17], vcc, s[16:17]
	s_waitcnt vmcnt(2)
	v_perm_b32 v46, v38, v41, s78
	s_waitcnt vmcnt(1)
	v_perm_b32 v41, v41, v44, s78
	s_waitcnt vmcnt(0)
	v_alignbit_b32 v40, v45, v40, 16
	ds_write_b64 v39, v[40:41]
	v_add_u32_e32 v39, 8, v39
	v_mov_b32_e32 v40, v46
	s_andn2_b64 exec, exec, s[16:17]
	s_cbranch_execnz .LBB110_40
; %bb.41:                               ;   in Loop: Header=BB110_21 Depth=1
	s_or_b64 exec, exec, s[16:17]
	v_readlane_b32 s16, v58, 48
	v_lshl_add_u64 v[6:7], v[2:3], 0, v[18:19]
	v_readlane_b32 s17, v58, 49
	v_lshl_add_u64 v[4:5], v[6:7], 0, -1
	s_orn2_b64 s[16:17], s[16:17], exec
	v_mov_b64_e32 v[8:9], v[20:21]
.LBB110_42:                             ;   in Loop: Header=BB110_21 Depth=1
	s_or_b64 exec, exec, s[8:9]
	s_and_saveexec_b64 s[8:9], s[16:17]
	s_cbranch_execz .LBB110_46
; %bb.43:                               ;   in Loop: Header=BB110_21 Depth=1
	s_sub_u32 s16, 0, s98
	s_mov_b64 s[18:19], 0
	s_subb_u32 s17, 0, 0
.LBB110_44:                             ;   Parent Loop BB110_21 Depth=1
                                        ; =>  This Inner Loop Header: Depth=2
	v_mov_b64_e32 v[4:5], v[6:7]
	v_mul_lo_u32 v2, v5, s84
	v_mul_lo_u32 v9, v4, s85
	v_mad_u64_u32 v[6:7], s[20:21], v4, s84, 0
	v_add3_u32 v7, v7, v9, v2
	v_lshl_add_u64 v[6:7], v[6:7], 1, s[94:95]
	global_load_ushort v2, v[6:7], off
	v_lshlrev_b32_e32 v6, 1, v8
	s_waitcnt vmcnt(1)
	ds_write_b16 v6, v38
	v_lshl_add_u64 v[6:7], v[4:5], 0, s[98:99]
	v_cmp_le_u64_e32 vcc, s[56:57], v[6:7]
	v_mov_b64_e32 v[8:9], v[4:5]
	s_or_b64 s[18:19], vcc, s[18:19]
	s_waitcnt vmcnt(0)
	v_mov_b32_e32 v38, v2
	s_andn2_b64 exec, exec, s[18:19]
	s_cbranch_execnz .LBB110_44
; %bb.45:                               ;   in Loop: Header=BB110_21 Depth=1
	s_or_b64 exec, exec, s[18:19]
	v_lshl_add_u64 v[4:5], s[16:17], 0, v[6:7]
	v_mov_b32_e32 v38, v2
.LBB110_46:                             ;   in Loop: Header=BB110_21 Depth=1
	s_or_b64 exec, exec, s[8:9]
.LBB110_47:                             ;   in Loop: Header=BB110_21 Depth=1
	s_or_b64 exec, exec, s[2:3]
	v_lshlrev_b32_e32 v2, 1, v4
	s_waitcnt vmcnt(0)
	ds_write_b16 v2, v38
.LBB110_48:                             ;   in Loop: Header=BB110_21 Depth=1
	s_or_b64 exec, exec, s[0:1]
	s_waitcnt lgkmcnt(0)
	s_barrier
	s_mov_b64 s[0:1], exec
	v_readlane_b32 s2, v58, 28
	v_readlane_b32 s3, v58, 29
	s_and_b64 s[2:3], s[0:1], s[2:3]
	s_mov_b64 exec, s[2:3]
; %bb.49:                               ;   in Loop: Header=BB110_21 Depth=1
	ds_write_b64 v3, v[42:43] offset:5120
; %bb.50:                               ;   in Loop: Header=BB110_21 Depth=1
	s_or_b64 exec, exec, s[0:1]
	s_mov_b64 s[0:1], -1
	s_waitcnt lgkmcnt(0)
	s_barrier
.LBB110_51:                             ;   in Loop: Header=BB110_21 Depth=1
	s_mov_b64 s[80:81], 0
	s_and_b64 vcc, exec, s[0:1]
	s_cbranch_vccz .LBB110_53
; %bb.52:                               ;   in Loop: Header=BB110_21 Depth=1
	ds_read_b64 v[4:5], v3 offset:5120
	s_waitcnt lgkmcnt(0)
	v_readfirstlane_b32 s80, v4
.LBB110_53:                             ;   in Loop: Header=BB110_21 Depth=1
	s_cmp_lt_i32 s80, 1
	s_mov_b64 s[0:1], -1
                                        ; implicit-def: $vgpr4_vgpr5
                                        ; implicit-def: $vgpr8_vgpr9
	s_cbranch_scc1 .LBB110_63
; %bb.54:                               ;   in Loop: Header=BB110_21 Depth=1
	s_and_b64 vcc, exec, s[0:1]
	s_cbranch_vccnz .LBB110_77
.LBB110_55:                             ;   in Loop: Header=BB110_21 Depth=1
	s_lshl_b32 s2, s87, 6
	s_and_saveexec_b64 s[0:1], s[4:5]
	s_cbranch_execz .LBB110_57
.LBB110_56:                             ;   in Loop: Header=BB110_21 Depth=1
	v_lshl_add_u32 v2, s2, 3, v30
	ds_write_b128 v2, v[4:7]
	ds_write_b128 v2, v[8:11] offset:16
.LBB110_57:                             ;   in Loop: Header=BB110_21 Depth=1
	s_or_b64 exec, exec, s[0:1]
	s_waitcnt lgkmcnt(0)
	s_barrier
	s_and_saveexec_b64 s[0:1], s[88:89]
	s_cbranch_execz .LBB110_92
; %bb.58:                               ;   in Loop: Header=BB110_21 Depth=1
	v_readlane_b32 s8, v58, 42
	v_readlane_b32 s9, v58, 43
	s_andn2_b64 vcc, exec, s[8:9]
	v_mov_b64_e32 v[4:5], 0
	s_cbranch_vccnz .LBB110_91
; %bb.59:                               ;   in Loop: Header=BB110_21 Depth=1
	v_readlane_b32 s8, v58, 50
	v_readlane_b32 s9, v58, 51
	s_andn2_b64 vcc, exec, s[8:9]
	s_cbranch_vccnz .LBB110_87
; %bb.60:                               ;   in Loop: Header=BB110_21 Depth=1
	v_lshl_add_u32 v2, s87, 9, v33
	v_mov_b64_e32 v[4:5], 0
	s_mov_b32 s3, 0
.LBB110_61:                             ;   Parent Loop BB110_21 Depth=1
                                        ; =>  This Inner Loop Header: Depth=2
	ds_read2_b64 v[6:9], v2 offset1:4
	ds_read2_b64 v[38:41], v2 offset0:8 offset1:12
	ds_read2_b64 v[44:47], v2 offset0:16 offset1:20
	;; [unrolled: 1-line block ×3, first 2 shown]
	s_add_i32 s3, s3, 8
	s_waitcnt lgkmcnt(3)
	v_lshl_add_u64 v[4:5], v[6:7], 0, v[4:5]
	v_lshl_add_u64 v[4:5], v[8:9], 0, v[4:5]
	s_waitcnt lgkmcnt(2)
	v_lshl_add_u64 v[4:5], v[38:39], 0, v[4:5]
	v_lshl_add_u64 v[4:5], v[40:41], 0, v[4:5]
	;; [unrolled: 3-line block ×3, first 2 shown]
	s_waitcnt lgkmcnt(0)
	v_lshl_add_u64 v[4:5], v[48:49], 0, v[4:5]
	v_add_u32_e32 v2, 0x100, v2
	s_cmp_eq_u32 s6, s3
	v_lshl_add_u64 v[4:5], v[50:51], 0, v[4:5]
	s_cbranch_scc0 .LBB110_61
; %bb.62:                               ;   in Loop: Header=BB110_21 Depth=1
	s_mov_b32 s3, s6
	s_branch .LBB110_88
.LBB110_63:                             ;   in Loop: Header=BB110_21 Depth=1
	global_load_ushort v2, v3, s[70:71]
	s_mov_b32 s0, s99
	s_waitcnt vmcnt(0)
	v_readfirstlane_b32 s1, v2
	s_and_b32 s1, 0xffff, s1
	s_lshl_b32 s98, s1, 2
	s_mov_b32 s1, s57
	s_cmp_lg_u64 s[0:1], 0
	s_cbranch_scc0 .LBB110_86
; %bb.64:                               ;   in Loop: Header=BB110_21 Depth=1
	v_cvt_f32_u32_e32 v4, s98
	s_sub_u32 s2, 0, s98
	s_subb_u32 s3, 0, 0
	v_fmac_f32_e32 v4, 0, v34
	v_rcp_f32_e32 v4, v4
	s_nop 0
	v_mul_f32_e32 v4, 0x5f7ffffc, v4
	v_mul_f32_e32 v5, 0x2f800000, v4
	v_trunc_f32_e32 v5, v5
	v_fmac_f32_e32 v4, 0xcf800000, v5
	v_cvt_u32_f32_e32 v5, v5
	v_cvt_u32_f32_e32 v4, v4
	v_readfirstlane_b32 s8, v5
	v_readfirstlane_b32 s0, v4
	s_mul_i32 s1, s2, s8
	s_mul_hi_u32 s16, s2, s0
	s_mul_i32 s9, s3, s0
	s_add_i32 s1, s16, s1
	s_mul_i32 s17, s2, s0
	s_add_i32 s1, s1, s9
	s_mul_hi_u32 s16, s0, s17
	s_mul_i32 s18, s0, s1
	s_mul_hi_u32 s9, s0, s1
	s_add_u32 s16, s16, s18
	s_addc_u32 s9, 0, s9
	s_mul_hi_u32 s19, s8, s17
	s_mul_i32 s17, s8, s17
	s_add_u32 s16, s16, s17
	s_mul_hi_u32 s18, s8, s1
	s_addc_u32 s9, s9, s19
	s_addc_u32 s16, s18, 0
	s_mul_i32 s1, s8, s1
	s_add_u32 s1, s9, s1
	s_addc_u32 s9, 0, s16
	s_add_u32 s16, s0, s1
	s_cselect_b64 s[0:1], -1, 0
	s_cmp_lg_u64 s[0:1], 0
	s_addc_u32 s8, s8, s9
	s_mul_i32 s0, s2, s8
	s_mul_hi_u32 s1, s2, s16
	s_add_i32 s0, s1, s0
	s_mul_i32 s3, s3, s16
	s_add_i32 s0, s0, s3
	s_mul_i32 s2, s2, s16
	s_mul_hi_u32 s3, s8, s2
	s_mul_i32 s9, s8, s2
	s_mul_i32 s18, s16, s0
	s_mul_hi_u32 s2, s16, s2
	s_mul_hi_u32 s17, s16, s0
	s_add_u32 s2, s2, s18
	s_addc_u32 s17, 0, s17
	s_add_u32 s2, s2, s9
	s_mul_hi_u32 s1, s8, s0
	s_addc_u32 s2, s17, s3
	s_addc_u32 s1, s1, 0
	s_mul_i32 s0, s8, s0
	s_add_u32 s0, s2, s0
	s_addc_u32 s2, 0, s1
	s_add_u32 s3, s16, s0
	s_cselect_b64 s[0:1], -1, 0
	s_cmp_lg_u64 s[0:1], 0
	s_addc_u32 s0, s8, s2
	s_mul_i32 s2, s56, s0
	s_mul_hi_u32 s8, s56, s3
	s_mul_hi_u32 s1, s56, s0
	s_add_u32 s2, s8, s2
	s_addc_u32 s1, 0, s1
	s_mul_hi_u32 s9, s57, s3
	s_mul_i32 s3, s57, s3
	s_add_u32 s2, s2, s3
	s_mul_hi_u32 s8, s57, s0
	s_addc_u32 s1, s1, s9
	s_addc_u32 s2, s8, 0
	s_mul_i32 s0, s57, s0
	s_add_u32 s0, s1, s0
	s_addc_u32 s1, 0, s2
	s_mul_i32 s1, s98, s1
	s_mul_hi_u32 s2, s98, s0
	s_add_i32 s2, s2, s1
	s_mul_i32 s0, s98, s0
	s_sub_u32 s3, s56, s0
	s_cselect_b64 s[0:1], -1, 0
	s_cmp_lg_u64 s[0:1], 0
	s_subb_u32 s2, s57, s2
	s_sub_u32 s8, s3, s98
	s_cselect_b64 s[0:1], -1, 0
	s_cmp_lg_u64 s[0:1], 0
	s_subb_u32 s9, s2, 0
	;; [unrolled: 4-line block ×3, first 2 shown]
	s_cmp_ge_u32 s8, s98
	s_cselect_b32 s1, -1, 0
	s_cmp_eq_u32 s9, 0
	s_cselect_b32 s1, s1, -1
	s_cmp_lg_u32 s1, 0
	s_cselect_b32 s0, s0, s9
	s_cselect_b32 s8, s16, s8
	s_cmp_ge_u32 s3, s98
	s_cselect_b32 s1, -1, 0
	s_cmp_eq_u32 s2, 0
	s_cselect_b32 s1, s1, -1
	s_cmp_lg_u32 s1, 0
	s_cselect_b32 s1, s0, s2
	s_cselect_b32 s0, s8, s3
	s_cbranch_execnz .LBB110_66
.LBB110_65:                             ;   in Loop: Header=BB110_21 Depth=1
	v_cvt_f32_u32_e32 v4, s98
	s_sub_i32 s0, 0, s98
	v_rcp_iflag_f32_e32 v4, v4
	s_nop 0
	v_mul_f32_e32 v4, 0x4f7ffffe, v4
	v_cvt_u32_f32_e32 v4, v4
	s_nop 0
	v_readfirstlane_b32 s1, v4
	s_mul_i32 s0, s0, s1
	s_mul_hi_u32 s0, s1, s0
	s_add_i32 s1, s1, s0
	s_mul_hi_u32 s0, s56, s1
	s_mul_i32 s0, s0, s98
	s_sub_i32 s0, s56, s0
	s_sub_i32 s1, s0, s98
	s_cmp_ge_u32 s0, s98
	s_cselect_b32 s0, s1, s0
	s_sub_i32 s1, s0, s98
	s_cmp_ge_u32 s0, s98
	s_cselect_b32 s0, s1, s0
	s_mov_b32 s1, s99
.LBB110_66:                             ;   in Loop: Header=BB110_21 Depth=1
	s_sub_u32 s54, s56, s0
	s_subb_u32 s55, s57, s1
	v_cmp_gt_u64_e32 vcc, s[54:55], v[14:15]
	v_mov_b64_e32 v[4:5], 0
	v_mov_b64_e32 v[6:7], 0
	;; [unrolled: 1-line block ×4, first 2 shown]
	s_and_saveexec_b64 s[30:31], vcc
	s_cbranch_execz .LBB110_70
; %bb.67:                               ;   in Loop: Header=BB110_21 Depth=1
	s_mov_b64 s[60:61], 0
	s_mov_b64 s[62:63], 0
	;; [unrolled: 1-line block ×5, first 2 shown]
	v_mov_b64_e32 v[24:25], v[14:15]
.LBB110_68:                             ;   Parent Loop BB110_21 Depth=1
                                        ; =>  This Inner Loop Header: Depth=2
	v_mul_lo_u32 v6, v25, s84
	v_mul_lo_u32 v7, v24, s85
	v_mad_u64_u32 v[4:5], s[0:1], v24, s84, 0
	v_add3_u32 v5, v5, v7, v6
	s_lshl_b64 s[0:1], s[84:85], 1
	v_lshl_add_u64 v[4:5], v[4:5], 1, s[94:95]
	v_lshl_add_u64 v[6:7], v[4:5], 0, s[0:1]
	global_load_sshort v8, v[4:5], off
	global_load_sshort v9, v[6:7], off
	v_lshl_add_u64 v[4:5], v[6:7], 0, s[0:1]
	global_load_sshort v6, v[4:5], off
	v_lshl_add_u64 v[4:5], v[4:5], 0, s[0:1]
	;; [unrolled: 2-line block ×3, first 2 shown]
	v_cmp_le_u64_e32 vcc, s[54:55], v[24:25]
	s_waitcnt vmcnt(3)
	v_add_u32_e32 v5, 0x8000, v8
	v_and_b32_e32 v8, v5, v36
	v_bfe_u32 v5, v5, s77, 2
	s_waitcnt vmcnt(2)
	v_add_u32_e32 v7, 0x8000, v9
	s_waitcnt vmcnt(1)
	v_add_u32_e32 v6, 0x8000, v6
	v_cmp_eq_u32_e64 s[0:1], v8, v31
	v_cmp_eq_u32_e64 s[2:3], 0, v5
	v_and_b32_e32 v8, v7, v36
	v_bfe_u32 v7, v7, s77, 2
	v_cmp_eq_u32_e64 s[34:35], 1, v5
	v_cmp_eq_u32_e64 s[36:37], 2, v5
	;; [unrolled: 1-line block ×3, first 2 shown]
	s_waitcnt vmcnt(0)
	v_add_u32_e32 v4, 0x8000, v4
	v_and_b32_e32 v5, v6, v36
	v_bfe_u32 v6, v6, s77, 2
	s_and_b64 s[2:3], s[0:1], s[2:3]
	v_cmp_eq_u32_e64 s[16:17], v8, v31
	v_cmp_eq_u32_e64 s[26:27], 0, v7
	;; [unrolled: 1-line block ×5, first 2 shown]
	v_cndmask_b32_e64 v7, 0, 1, s[2:3]
	v_cmp_eq_u32_e64 s[22:23], v5, v31
	v_and_b32_e32 v5, v4, v36
	v_bfe_u32 v4, v4, s77, 2
	v_cmp_eq_u32_e64 s[2:3], 0, v6
	s_and_b64 s[8:9], s[16:17], s[26:27]
	v_cmp_eq_u32_e64 s[26:27], v5, v31
	v_cmp_eq_u32_e64 s[48:49], 0, v4
	s_and_b64 s[2:3], s[22:23], s[2:3]
	v_cmp_eq_u32_e64 s[42:43], 1, v6
	v_cmp_eq_u32_e64 s[44:45], 2, v6
	;; [unrolled: 1-line block ×3, first 2 shown]
	v_cndmask_b32_e64 v6, 0, 1, s[8:9]
	v_cmp_eq_u32_e64 s[50:51], 1, v4
	v_cmp_eq_u32_e64 s[52:53], 2, v4
	;; [unrolled: 1-line block ×3, first 2 shown]
	v_cndmask_b32_e64 v4, 0, 1, s[2:3]
	s_and_b64 s[8:9], s[26:27], s[48:49]
	v_cmp_ne_u32_e64 s[46:47], 0, v7
	v_cmp_ne_u32_e64 s[2:3], 0, v4
	v_cndmask_b32_e64 v4, 0, 1, s[8:9]
	s_bcnt1_i32_b64 s66, s[46:47]
	v_cmp_ne_u32_e64 s[46:47], 0, v6
	s_bcnt1_i32_b64 s8, s[2:3]
	v_cmp_ne_u32_e64 s[2:3], 0, v4
	s_bcnt1_i32_b64 s46, s[46:47]
	s_bcnt1_i32_b64 s2, s[2:3]
	s_add_u32 s3, s66, s64
	s_addc_u32 s9, 0, s65
	s_add_u32 s3, s3, s46
	s_addc_u32 s9, s9, 0
	s_add_u32 s3, s3, s8
	s_addc_u32 s8, s9, 0
	s_add_u32 s64, s3, s2
	s_addc_u32 s65, s8, 0
	s_and_b64 s[2:3], s[0:1], s[34:35]
	v_cndmask_b32_e64 v6, 0, 1, s[2:3]
	s_and_b64 s[2:3], s[16:17], s[38:39]
	v_cndmask_b32_e64 v7, 0, 1, s[2:3]
	s_and_b64 s[2:3], s[22:23], s[42:43]
	v_cndmask_b32_e64 v8, 0, 1, s[2:3]
	s_and_b64 s[2:3], s[26:27], s[50:51]
	v_cndmask_b32_e64 v9, 0, 1, s[2:3]
	v_cmp_ne_u32_e64 s[2:3], 0, v6
	v_cmp_ne_u32_e64 s[34:35], 0, v7
	v_cmp_ne_u32_e64 s[38:39], 0, v8
	v_cmp_ne_u32_e64 s[42:43], 0, v9
	s_bcnt1_i32_b64 s2, s[2:3]
	s_bcnt1_i32_b64 s3, s[34:35]
	s_bcnt1_i32_b64 s8, s[38:39]
	s_bcnt1_i32_b64 s9, s[42:43]
	s_add_u32 s2, s2, s78
	s_addc_u32 s34, 0, s79
	s_add_u32 s2, s2, s3
	s_addc_u32 s3, s34, 0
	s_add_u32 s2, s2, s8
	s_addc_u32 s3, s3, 0
	s_add_u32 s78, s2, s9
	s_addc_u32 s79, s3, 0
	s_and_b64 s[2:3], s[0:1], s[36:37]
	v_cndmask_b32_e64 v8, 0, 1, s[2:3]
	s_and_b64 s[2:3], s[16:17], s[40:41]
	v_cndmask_b32_e64 v9, 0, 1, s[2:3]
	s_and_b64 s[2:3], s[22:23], s[44:45]
	v_cndmask_b32_e64 v10, 0, 1, s[2:3]
	s_and_b64 s[2:3], s[26:27], s[52:53]
	v_cndmask_b32_e64 v11, 0, 1, s[2:3]
	v_cmp_ne_u32_e64 s[2:3], 0, v8
	v_cmp_ne_u32_e64 s[34:35], 0, v9
	v_cmp_ne_u32_e64 s[36:37], 0, v10
	v_cmp_ne_u32_e64 s[38:39], 0, v11
	s_bcnt1_i32_b64 s2, s[2:3]
	s_bcnt1_i32_b64 s3, s[34:35]
	;; [unrolled: 24-line block ×3, first 2 shown]
	s_bcnt1_i32_b64 s2, s[16:17]
	s_bcnt1_i32_b64 s3, s[18:19]
	s_add_u32 s0, s0, s62
	s_addc_u32 s8, 0, s63
	s_add_u32 s0, s0, s1
	s_addc_u32 s1, s8, 0
	s_add_u32 s0, s0, s2
	s_addc_u32 s1, s1, 0
	s_add_u32 s62, s0, s3
	s_addc_u32 s63, s1, 0
	v_mov_b64_e32 v[4:5], s[64:65]
	v_mov_b64_e32 v[6:7], s[78:79]
	;; [unrolled: 1-line block ×3, first 2 shown]
	s_or_b64 s[60:61], vcc, s[60:61]
	v_mov_b64_e32 v[10:11], s[62:63]
	s_andn2_b64 exec, exec, s[60:61]
	s_cbranch_execnz .LBB110_68
; %bb.69:                               ;   in Loop: Header=BB110_21 Depth=1
	s_or_b64 exec, exec, s[60:61]
	v_readlane_b32 s65, v58, 55
	v_readlane_b32 s66, v58, 56
	s_mov_b32 s78, 0x5040100
.LBB110_70:                             ;   in Loop: Header=BB110_21 Depth=1
	s_or_b64 exec, exec, s[30:31]
	v_lshl_add_u64 v[24:25], s[54:55], 0, v[0:1]
	v_and_b32_e32 v2, 0xffff, v2
	v_cmp_gt_u64_e32 vcc, s[56:57], v[24:25]
	s_and_saveexec_b64 s[2:3], vcc
	s_cbranch_execz .LBB110_76
; %bb.71:                               ;   in Loop: Header=BB110_21 Depth=1
	v_mul_lo_u32 v40, v25, s84
	v_mul_lo_u32 v41, v24, s85
	v_mad_u64_u32 v[38:39], s[0:1], v24, s84, 0
	v_add3_u32 v39, v39, v41, v40
	v_lshl_add_u64 v[38:39], v[38:39], 1, s[94:95]
	global_load_ushort v39, v[38:39], off
	s_mov_b64 s[8:9], 0
	s_branch .LBB110_73
.LBB110_72:                             ;   in Loop: Header=BB110_73 Depth=2
	s_or_b64 exec, exec, s[16:17]
	s_waitcnt vmcnt(0)
	v_add_u32_sdwa v39, sext(v39), s76 dst_sel:DWORD dst_unused:UNUSED_PAD src0_sel:WORD_0 src1_sel:DWORD
	s_and_b64 s[0:1], exec, vcc
	v_and_b32_e32 v40, v39, v36
	v_bfe_u32 v39, v39, s77, 2
	s_or_b64 s[8:9], s[0:1], s[8:9]
	v_cmp_eq_u32_e32 vcc, v40, v31
	v_cmp_eq_u32_e64 s[0:1], 0, v39
	s_and_b64 s[0:1], vcc, s[0:1]
	s_nop 0
	v_cndmask_b32_e64 v40, 0, 1, s[0:1]
	v_cmp_ne_u32_e64 s[0:1], 0, v40
	s_bcnt1_i32_b64 s98, s[0:1]
	v_cmp_eq_u32_e64 s[0:1], 1, v39
	s_and_b64 s[0:1], vcc, s[0:1]
	v_lshl_add_u64 v[4:5], s[98:99], 0, v[4:5]
	v_cndmask_b32_e64 v40, 0, 1, s[0:1]
	v_cmp_ne_u32_e64 s[0:1], 0, v40
	s_bcnt1_i32_b64 s98, s[0:1]
	v_cmp_eq_u32_e64 s[0:1], 2, v39
	s_and_b64 s[0:1], vcc, s[0:1]
	v_lshl_add_u64 v[6:7], s[98:99], 0, v[6:7]
	v_cndmask_b32_e64 v40, 0, 1, s[0:1]
	v_cmp_ne_u32_e64 s[0:1], 0, v40
	s_bcnt1_i32_b64 s98, s[0:1]
	v_cmp_eq_u32_e64 s[0:1], 3, v39
	s_and_b64 s[0:1], vcc, s[0:1]
	v_lshl_add_u64 v[8:9], s[98:99], 0, v[8:9]
	v_cndmask_b32_e64 v39, 0, 1, s[0:1]
	v_cmp_ne_u32_e32 vcc, 0, v39
	s_bcnt1_i32_b64 s98, vcc
	v_lshl_add_u64 v[10:11], s[98:99], 0, v[10:11]
	v_mov_b32_e32 v39, v38
	s_andn2_b64 exec, exec, s[8:9]
	s_cbranch_execz .LBB110_75
.LBB110_73:                             ;   Parent Loop BB110_21 Depth=1
                                        ; =>  This Inner Loop Header: Depth=2
	v_lshl_add_u64 v[24:25], v[24:25], 0, v[2:3]
	v_cmp_gt_u64_e64 s[0:1], s[56:57], v[24:25]
	v_cmp_le_u64_e32 vcc, s[56:57], v[24:25]
	v_mov_b32_e32 v38, 0
	s_and_saveexec_b64 s[16:17], s[0:1]
	s_cbranch_execz .LBB110_72
; %bb.74:                               ;   in Loop: Header=BB110_73 Depth=2
	v_mul_lo_u32 v38, v25, s84
	v_mul_lo_u32 v44, v24, s85
	v_mad_u64_u32 v[40:41], s[0:1], v24, s84, 0
	v_add3_u32 v41, v41, v44, v38
	v_lshl_add_u64 v[40:41], v[40:41], 1, s[94:95]
	global_load_ushort v38, v[40:41], off
	s_branch .LBB110_72
.LBB110_75:                             ;   in Loop: Header=BB110_21 Depth=1
	s_or_b64 exec, exec, s[8:9]
.LBB110_76:                             ;   in Loop: Header=BB110_21 Depth=1
	s_or_b64 exec, exec, s[2:3]
	s_branch .LBB110_55
.LBB110_77:                             ;   in Loop: Header=BB110_21 Depth=1
	global_load_ushort v2, v3, s[70:71]
	v_mov_b64_e32 v[8:9], 0
	s_waitcnt vmcnt(0)
	v_readfirstlane_b32 s0, v2
	s_and_b32 s68, 0xffff, s0
	s_lshl_b32 s98, s68, 2
	v_cvt_f32_u32_e32 v4, s98
	s_sub_i32 s0, 0, s98
	v_rcp_iflag_f32_e32 v6, v4
	v_mov_b64_e32 v[4:5], 0
	v_mul_f32_e32 v6, 0x4f7ffffe, v6
	v_cvt_u32_f32_e32 v10, v6
	v_mov_b64_e32 v[6:7], 0
	v_readfirstlane_b32 s1, v10
	s_mul_i32 s0, s0, s1
	s_mul_hi_u32 s0, s1, s0
	s_add_i32 s1, s1, s0
	s_mul_hi_u32 s0, s80, s1
	s_mul_i32 s1, s0, s98
	s_sub_i32 s1, s80, s1
	s_add_i32 s2, s0, 1
	s_sub_i32 s3, s1, s98
	s_cmp_ge_u32 s1, s98
	s_cselect_b32 s0, s2, s0
	s_cselect_b32 s1, s3, s1
	s_add_i32 s2, s0, 1
	s_cmp_ge_u32 s1, s98
	s_cselect_b32 s0, s2, s0
	s_mul_hi_u32 s31, s68, s0
	s_mul_i32 s30, s68, s0
	s_lshl_b64 s[60:61], s[30:31], 2
	v_cmp_gt_u64_e32 vcc, s[60:61], v[14:15]
	v_mov_b64_e32 v[10:11], 0
	s_and_saveexec_b64 s[62:63], vcc
	s_cbranch_execz .LBB110_81
; %bb.78:                               ;   in Loop: Header=BB110_21 Depth=1
	s_mov_b32 s81, s67
	s_lshl_b32 s31, s68, 3
	s_mov_b64 s[64:65], 0
	v_mov_b32_e32 v38, v32
	s_mov_b64 s[66:67], 0
	s_mov_b64 s[78:79], 0
	;; [unrolled: 1-line block ×4, first 2 shown]
	v_mov_b64_e32 v[24:25], v[14:15]
.LBB110_79:                             ;   Parent Loop BB110_21 Depth=1
                                        ; =>  This Inner Loop Header: Depth=2
	ds_read_b64 v[4:5], v38
	v_lshl_add_u64 v[24:25], v[24:25], 0, s[98:99]
	v_cmp_le_u64_e32 vcc, s[60:61], v[24:25]
	v_add_u32_e32 v38, s31, v38
	s_waitcnt lgkmcnt(0)
	v_add_u32_sdwa v6, sext(v4), s76 dst_sel:DWORD dst_unused:UNUSED_PAD src0_sel:WORD_0 src1_sel:DWORD
	v_add_u32_sdwa v4, sext(v4), s76 dst_sel:DWORD dst_unused:UNUSED_PAD src0_sel:WORD_1 src1_sel:DWORD
	v_and_b32_e32 v8, v6, v36
	v_bfe_u32 v6, v6, s77, 2
	v_add_u32_sdwa v7, sext(v5), s76 dst_sel:DWORD dst_unused:UNUSED_PAD src0_sel:WORD_0 src1_sel:DWORD
	v_and_b32_e32 v9, v4, v36
	v_bfe_u32 v4, v4, s77, 2
	v_cmp_eq_u32_e64 s[20:21], v8, v31
	v_cmp_eq_u32_e64 s[2:3], 0, v6
	v_add_u32_sdwa v5, sext(v5), s76 dst_sel:DWORD dst_unused:UNUSED_PAD src0_sel:WORD_1 src1_sel:DWORD
	v_and_b32_e32 v10, v7, v36
	v_bfe_u32 v7, v7, s77, 2
	v_cmp_eq_u32_e64 s[18:19], v9, v31
	v_cmp_eq_u32_e64 s[34:35], 0, v4
	s_and_b64 s[2:3], s[20:21], s[2:3]
	v_and_b32_e32 v11, v5, v36
	v_bfe_u32 v5, v5, s77, 2
	v_cmp_eq_u32_e64 s[16:17], v10, v31
	v_cmp_eq_u32_e64 s[36:37], 0, v7
	;; [unrolled: 1-line block ×5, first 2 shown]
	v_cndmask_b32_e64 v4, 0, 1, s[2:3]
	s_and_b64 s[2:3], s[18:19], s[34:35]
	v_cmp_eq_u32_e64 s[0:1], v11, v31
	v_cmp_eq_u32_e64 s[38:39], 0, v5
	;; [unrolled: 1-line block ×5, first 2 shown]
	v_cndmask_b32_e64 v5, 0, 1, s[2:3]
	s_and_b64 s[2:3], s[16:17], s[36:37]
	v_cmp_eq_u32_e64 s[40:41], 1, v6
	v_cmp_eq_u32_e64 s[48:49], 2, v6
	;; [unrolled: 1-line block ×3, first 2 shown]
	v_cndmask_b32_e64 v6, 0, 1, s[2:3]
	s_and_b64 s[2:3], s[0:1], s[38:39]
	v_cmp_eq_u32_e64 s[44:45], 1, v7
	v_cmp_eq_u32_e64 s[52:53], 2, v7
	;; [unrolled: 1-line block ×3, first 2 shown]
	v_cndmask_b32_e64 v7, 0, 1, s[2:3]
	v_cmp_ne_u32_e64 s[2:3], 0, v4
	v_cmp_ne_u32_e64 s[34:35], 0, v5
	;; [unrolled: 1-line block ×4, first 2 shown]
	s_bcnt1_i32_b64 s2, s[2:3]
	s_bcnt1_i32_b64 s3, s[34:35]
	;; [unrolled: 1-line block ×4, first 2 shown]
	s_add_u32 s2, s2, s8
	s_addc_u32 s8, 0, s9
	s_add_u32 s2, s2, s3
	s_addc_u32 s3, s8, 0
	;; [unrolled: 2-line block ×4, first 2 shown]
	s_and_b64 s[2:3], s[20:21], s[40:41]
	v_cndmask_b32_e64 v6, 0, 1, s[2:3]
	s_and_b64 s[2:3], s[18:19], s[42:43]
	v_cndmask_b32_e64 v7, 0, 1, s[2:3]
	;; [unrolled: 2-line block ×4, first 2 shown]
	v_cmp_ne_u32_e64 s[2:3], 0, v6
	v_cmp_ne_u32_e64 s[34:35], 0, v7
	;; [unrolled: 1-line block ×4, first 2 shown]
	s_bcnt1_i32_b64 s2, s[2:3]
	s_bcnt1_i32_b64 s3, s[34:35]
	s_bcnt1_i32_b64 s34, s[36:37]
	s_bcnt1_i32_b64 s35, s[38:39]
	s_add_u32 s2, s2, s92
	s_addc_u32 s36, 0, s93
	s_add_u32 s2, s2, s3
	s_addc_u32 s3, s36, 0
	;; [unrolled: 2-line block ×4, first 2 shown]
	s_and_b64 s[2:3], s[20:21], s[48:49]
	v_cndmask_b32_e64 v8, 0, 1, s[2:3]
	s_and_b64 s[2:3], s[18:19], s[50:51]
	v_cndmask_b32_e64 v9, 0, 1, s[2:3]
	;; [unrolled: 2-line block ×4, first 2 shown]
	v_cmp_ne_u32_e64 s[2:3], 0, v8
	v_cmp_ne_u32_e64 s[34:35], 0, v9
	v_cmp_ne_u32_e64 s[36:37], 0, v10
	v_cmp_ne_u32_e64 s[38:39], 0, v11
	s_bcnt1_i32_b64 s2, s[2:3]
	s_bcnt1_i32_b64 s3, s[34:35]
	;; [unrolled: 1-line block ×4, first 2 shown]
	s_add_u32 s2, s2, s78
	s_addc_u32 s36, 0, s79
	s_add_u32 s2, s2, s3
	s_addc_u32 s3, s36, 0
	;; [unrolled: 2-line block ×4, first 2 shown]
	s_and_b64 s[2:3], s[20:21], s[28:29]
	v_cndmask_b32_e64 v10, 0, 1, s[2:3]
	s_and_b64 s[2:3], s[18:19], s[26:27]
	v_cndmask_b32_e64 v11, 0, 1, s[2:3]
	s_and_b64 s[2:3], s[16:17], s[24:25]
	s_and_b64 s[0:1], s[0:1], s[22:23]
	v_cndmask_b32_e64 v39, 0, 1, s[2:3]
	v_cndmask_b32_e64 v40, 0, 1, s[0:1]
	v_cmp_ne_u32_e64 s[0:1], 0, v10
	v_cmp_ne_u32_e64 s[2:3], 0, v11
	;; [unrolled: 1-line block ×4, first 2 shown]
	s_bcnt1_i32_b64 s0, s[0:1]
	s_bcnt1_i32_b64 s1, s[2:3]
	;; [unrolled: 1-line block ×4, first 2 shown]
	s_add_u32 s0, s0, s66
	s_addc_u32 s16, 0, s67
	s_add_u32 s0, s0, s1
	s_addc_u32 s1, s16, 0
	;; [unrolled: 2-line block ×4, first 2 shown]
	v_mov_b64_e32 v[4:5], s[8:9]
	v_mov_b64_e32 v[6:7], s[92:93]
	;; [unrolled: 1-line block ×3, first 2 shown]
	s_or_b64 s[64:65], vcc, s[64:65]
	v_mov_b64_e32 v[10:11], s[66:67]
	s_andn2_b64 exec, exec, s[64:65]
	s_cbranch_execnz .LBB110_79
; %bb.80:                               ;   in Loop: Header=BB110_21 Depth=1
	s_or_b64 exec, exec, s[64:65]
	s_mov_b32 s67, s81
	v_readlane_b32 s65, v58, 55
	v_readlane_b32 s66, v58, 56
	s_mov_b32 s78, 0x5040100
.LBB110_81:                             ;   in Loop: Header=BB110_21 Depth=1
	s_or_b64 exec, exec, s[62:63]
	s_and_b32 s8, s80, 0x7fffffff
	s_mov_b32 s9, s99
	v_lshl_add_u64 v[24:25], s[60:61], 0, v[0:1]
	v_and_b32_e32 v2, 0xffff, v2
	v_cmp_gt_u64_e32 vcc, s[8:9], v[24:25]
	s_and_saveexec_b64 s[22:23], vcc
	s_cbranch_execz .LBB110_85
; %bb.82:                               ;   in Loop: Header=BB110_21 Depth=1
	v_lshl_add_u32 v38, s30, 3, v27
	s_lshl_b32 s26, s68, 1
	s_mov_b64 s[24:25], 0
.LBB110_83:                             ;   Parent Loop BB110_21 Depth=1
                                        ; =>  This Inner Loop Header: Depth=2
	ds_read_i16 v39, v38
	v_lshl_add_u64 v[24:25], v[24:25], 0, v[2:3]
	v_cmp_le_u64_e32 vcc, s[8:9], v[24:25]
	v_add_u32_e32 v38, s26, v38
	s_waitcnt lgkmcnt(0)
	v_add_u32_e32 v39, 0x8000, v39
	v_and_b32_e32 v40, v39, v36
	v_bfe_u32 v39, v39, s77, 2
	v_cmp_eq_u32_e64 s[0:1], v40, v31
	v_cmp_eq_u32_e64 s[2:3], 0, v39
	;; [unrolled: 1-line block ×3, first 2 shown]
	s_and_b64 s[2:3], s[0:1], s[2:3]
	v_cmp_eq_u32_e64 s[18:19], 2, v39
	v_cmp_eq_u32_e64 s[20:21], 3, v39
	v_cndmask_b32_e64 v39, 0, 1, s[2:3]
	s_and_b64 s[2:3], s[0:1], s[16:17]
	v_cndmask_b32_e64 v40, 0, 1, s[2:3]
	s_and_b64 s[2:3], s[0:1], s[18:19]
	s_and_b64 s[0:1], s[0:1], s[20:21]
	v_cndmask_b32_e64 v44, 0, 1, s[0:1]
	v_cmp_ne_u32_e64 s[0:1], 0, v39
	v_cndmask_b32_e64 v41, 0, 1, s[2:3]
	v_cmp_ne_u32_e64 s[2:3], 0, v40
	s_bcnt1_i32_b64 s98, s[0:1]
	v_cmp_ne_u32_e64 s[16:17], 0, v41
	v_lshl_add_u64 v[4:5], s[98:99], 0, v[4:5]
	s_bcnt1_i32_b64 s98, s[2:3]
	v_cmp_ne_u32_e64 s[18:19], 0, v44
	v_lshl_add_u64 v[6:7], s[98:99], 0, v[6:7]
	s_bcnt1_i32_b64 s98, s[16:17]
	v_lshl_add_u64 v[8:9], s[98:99], 0, v[8:9]
	s_bcnt1_i32_b64 s98, s[18:19]
	s_or_b64 s[24:25], vcc, s[24:25]
	v_lshl_add_u64 v[10:11], s[98:99], 0, v[10:11]
	s_andn2_b64 exec, exec, s[24:25]
	s_cbranch_execnz .LBB110_83
; %bb.84:                               ;   in Loop: Header=BB110_21 Depth=1
	s_or_b64 exec, exec, s[24:25]
.LBB110_85:                             ;   in Loop: Header=BB110_21 Depth=1
	s_or_b64 exec, exec, s[22:23]
	s_lshl_b32 s2, s87, 6
	s_and_saveexec_b64 s[0:1], s[4:5]
	s_cbranch_execnz .LBB110_56
	s_branch .LBB110_57
.LBB110_86:                             ;   in Loop: Header=BB110_21 Depth=1
                                        ; implicit-def: $sgpr0_sgpr1
	s_branch .LBB110_65
.LBB110_87:                             ;   in Loop: Header=BB110_21 Depth=1
	s_mov_b32 s3, 0
	v_mov_b64_e32 v[4:5], 0
.LBB110_88:                             ;   in Loop: Header=BB110_21 Depth=1
	v_readlane_b32 s8, v58, 53
	v_readlane_b32 s9, v58, 54
	s_andn2_b64 vcc, exec, s[8:9]
	s_cbranch_vccnz .LBB110_91
; %bb.89:                               ;   in Loop: Header=BB110_21 Depth=1
	s_lshl_b32 s8, s87, 9
	s_lshl_b32 s3, s3, 5
	s_add_i32 s8, s8, s3
	v_add_u32_e32 v2, s8, v33
	v_readlane_b32 s3, v58, 52
.LBB110_90:                             ;   Parent Loop BB110_21 Depth=1
                                        ; =>  This Inner Loop Header: Depth=2
	ds_read_b64 v[6:7], v2
	s_add_i32 s3, s3, -1
	v_add_u32_e32 v2, 32, v2
	s_cmp_lg_u32 s3, 0
	s_waitcnt lgkmcnt(0)
	v_lshl_add_u64 v[4:5], v[6:7], 0, v[4:5]
	s_cbranch_scc1 .LBB110_90
.LBB110_91:                             ;   in Loop: Header=BB110_21 Depth=1
	v_add_lshl_u32 v2, s2, v26, 3
	ds_write_b64 v2, v[4:5] offset:3072
.LBB110_92:                             ;   in Loop: Header=BB110_21 Depth=1
	s_or_b64 exec, exec, s[0:1]
	s_lshl_b32 s0, s2, 3
	v_mov_b32_e32 v2, s0
	s_waitcnt lgkmcnt(0)
	s_barrier
	ds_read_b128 v[8:11], v2 offset:3088
	ds_read_b128 v[4:7], v2 offset:3072
	s_lshl_b32 s64, 3, s77
	v_cmp_eq_u64_e64 s[0:1], 1, v[22:23]
	s_not_b32 s54, s64
	s_waitcnt lgkmcnt(1)
	v_readfirstlane_b32 s22, v8
	s_waitcnt lgkmcnt(0)
	v_cmp_eq_u64_e32 vcc, 1, v[4:5]
	v_readfirstlane_b32 s23, v9
	v_readfirstlane_b32 s2, v10
	;; [unrolled: 1-line block ×3, first 2 shown]
	s_and_b64 s[18:19], vcc, s[0:1]
	s_mov_b64 s[0:1], -1
	s_mov_b64 s[8:9], -1
                                        ; implicit-def: $sgpr24_sgpr25
                                        ; implicit-def: $sgpr20_sgpr21
	s_and_saveexec_b64 s[16:17], s[18:19]
	s_cbranch_execz .LBB110_124
; %bb.93:                               ;   in Loop: Header=BB110_21 Depth=1
	ds_read_b64 v[8:9], v3 offset:5120
	s_waitcnt lgkmcnt(0)
	s_barrier
	v_readfirstlane_b32 s26, v8
	v_readfirstlane_b32 s27, v9
	s_mov_b64 s[8:9], exec
	v_readlane_b32 s20, v58, 38
	v_readlane_b32 s21, v58, 39
	s_and_b64 s[20:21], s[8:9], s[20:21]
	s_mov_b64 exec, s[20:21]
; %bb.94:                               ;   in Loop: Header=BB110_21 Depth=1
	ds_write_b16 v28, v3
; %bb.95:                               ;   in Loop: Header=BB110_21 Depth=1
	s_or_b64 exec, exec, s[8:9]
	v_and_b32_e32 v31, s54, v31
	v_or_b32_e32 v36, s64, v36
	s_mov_b64 s[20:21], -1
	s_mov_b64 s[24:25], 0
	s_cmp_eq_u64 s[26:27], 0
	s_mov_b64 s[8:9], 0
	s_mov_b64 s[28:29], -1
	s_waitcnt lgkmcnt(0)
	s_barrier
                                        ; implicit-def: $vgpr37
	s_cbranch_scc1 .LBB110_109
; %bb.96:                               ;   in Loop: Header=BB110_21 Depth=1
	v_readlane_b32 s8, v58, 44
	s_add_u32 s34, s26, s8
	v_readlane_b32 s8, v58, 45
	s_addc_u32 s9, s27, s8
	s_mov_b32 s8, s99
	s_cmp_lg_u64 s[8:9], 0
	s_cbranch_scc0 .LBB110_150
; %bb.97:                               ;   in Loop: Header=BB110_21 Depth=1
	v_cvt_f32_u32_e32 v2, s96
	s_sub_u32 s8, 0, s96
	s_subb_u32 s30, 0, 0
	v_fmac_f32_e32 v2, 0, v34
	v_rcp_f32_e32 v2, v2
	s_nop 0
	v_mul_f32_e32 v2, 0x5f7ffffc, v2
	v_mul_f32_e32 v8, 0x2f800000, v2
	v_trunc_f32_e32 v8, v8
	v_fmac_f32_e32 v2, 0xcf800000, v8
	v_cvt_u32_f32_e32 v8, v8
	v_cvt_u32_f32_e32 v2, v2
	v_readfirstlane_b32 s31, v8
	v_readfirstlane_b32 s28, v2
	s_mul_i32 s29, s8, s31
	s_mul_hi_u32 s36, s8, s28
	s_mul_i32 s35, s30, s28
	s_add_i32 s29, s36, s29
	s_mul_i32 s37, s8, s28
	s_add_i32 s29, s29, s35
	s_mul_hi_u32 s36, s28, s37
	s_mul_i32 s38, s28, s29
	s_mul_hi_u32 s35, s28, s29
	s_add_u32 s36, s36, s38
	s_addc_u32 s35, 0, s35
	s_mul_hi_u32 s39, s31, s37
	s_mul_i32 s37, s31, s37
	s_add_u32 s36, s36, s37
	s_mul_hi_u32 s38, s31, s29
	s_addc_u32 s35, s35, s39
	s_addc_u32 s36, s38, 0
	s_mul_i32 s29, s31, s29
	s_add_u32 s29, s35, s29
	s_addc_u32 s35, 0, s36
	s_add_u32 s36, s28, s29
	s_cselect_b64 s[28:29], -1, 0
	s_cmp_lg_u64 s[28:29], 0
	s_addc_u32 s31, s31, s35
	s_mul_i32 s28, s8, s31
	s_mul_hi_u32 s29, s8, s36
	s_add_i32 s28, s29, s28
	s_mul_i32 s30, s30, s36
	s_add_i32 s28, s28, s30
	s_mul_i32 s8, s8, s36
	s_mul_hi_u32 s30, s31, s8
	s_mul_i32 s35, s31, s8
	s_mul_i32 s38, s36, s28
	s_mul_hi_u32 s8, s36, s8
	s_mul_hi_u32 s37, s36, s28
	s_add_u32 s8, s8, s38
	s_addc_u32 s37, 0, s37
	s_add_u32 s8, s8, s35
	s_mul_hi_u32 s29, s31, s28
	s_addc_u32 s8, s37, s30
	s_addc_u32 s29, s29, 0
	s_mul_i32 s28, s31, s28
	s_add_u32 s8, s8, s28
	s_addc_u32 s30, 0, s29
	s_add_u32 s8, s36, s8
	s_cselect_b64 s[28:29], -1, 0
	s_cmp_lg_u64 s[28:29], 0
	s_addc_u32 s28, s31, s30
	s_mul_i32 s30, s34, s28
	s_mul_hi_u32 s31, s34, s8
	s_mul_hi_u32 s29, s34, s28
	s_add_u32 s30, s31, s30
	s_addc_u32 s29, 0, s29
	s_mul_hi_u32 s35, s9, s8
	s_mul_i32 s8, s9, s8
	s_add_u32 s8, s30, s8
	s_mul_hi_u32 s31, s9, s28
	s_addc_u32 s8, s29, s35
	s_addc_u32 s29, s31, 0
	s_mul_i32 s28, s9, s28
	s_add_u32 s8, s8, s28
	s_addc_u32 s28, 0, s29
	s_mul_i32 s28, s96, s28
	s_mul_hi_u32 s29, s96, s8
	s_add_i32 s30, s29, s28
	s_mul_i32 s8, s96, s8
	s_sub_u32 s8, s34, s8
	s_cselect_b64 s[28:29], -1, 0
	s_cmp_lg_u64 s[28:29], 0
	s_subb_u32 s30, s9, s30
	s_sub_u32 s31, s8, s96
	s_cselect_b64 s[28:29], -1, 0
	s_cmp_lg_u64 s[28:29], 0
	s_subb_u32 s35, s30, 0
	s_sub_u32 s36, s31, s96
	s_cselect_b64 s[28:29], -1, 0
	s_cmp_lg_u64 s[28:29], 0
	s_subb_u32 s28, s35, 0
	s_cmp_ge_u32 s31, s96
	s_cselect_b32 s29, -1, 0
	s_cmp_eq_u32 s35, 0
	s_cselect_b32 s29, s29, -1
	s_cmp_lg_u32 s29, 0
	s_cselect_b32 s28, s28, s35
	s_cselect_b32 s31, s36, s31
	s_cmp_ge_u32 s8, s96
	s_cselect_b32 s29, -1, 0
	s_cmp_eq_u32 s30, 0
	s_cselect_b32 s29, s29, -1
	s_cmp_lg_u32 s29, 0
	s_cselect_b32 s29, s28, s30
	s_cselect_b32 s28, s31, s8
	s_cbranch_execnz .LBB110_99
.LBB110_98:                             ;   in Loop: Header=BB110_21 Depth=1
	v_cvt_f32_u32_e32 v2, s96
	s_sub_i32 s8, 0, s96
	v_rcp_iflag_f32_e32 v2, v2
	s_nop 0
	v_mul_f32_e32 v2, 0x4f7ffffe, v2
	v_cvt_u32_f32_e32 v2, v2
	s_nop 0
	v_readfirstlane_b32 s28, v2
	s_mul_i32 s8, s8, s28
	s_mul_hi_u32 s8, s28, s8
	s_add_i32 s28, s28, s8
	s_mul_hi_u32 s8, s34, s28
	s_mul_i32 s8, s8, s96
	s_sub_i32 s8, s34, s8
	s_sub_i32 s28, s8, s96
	s_cmp_ge_u32 s8, s96
	s_cselect_b32 s8, s28, s8
	s_sub_i32 s28, s8, s96
	s_cmp_ge_u32 s8, s96
	s_cselect_b32 s98, s28, s8
	s_mov_b64 s[28:29], s[98:99]
.LBB110_99:                             ;   in Loop: Header=BB110_21 Depth=1
	s_sub_u32 s34, s34, s28
	s_subb_u32 s35, s9, s29
	v_cmp_gt_u64_e32 vcc, s[34:35], v[0:1]
	s_mov_b64 s[28:29], 0
	s_mov_b64 s[8:9], 0
                                        ; implicit-def: $vgpr37
	s_and_saveexec_b64 s[30:31], vcc
	s_cbranch_execz .LBB110_108
; %bb.100:                              ;   in Loop: Header=BB110_21 Depth=1
	v_mov_b32_e32 v2, v27
	v_mov_b64_e32 v[8:9], v[0:1]
                                        ; implicit-def: $sgpr36_sgpr37
	s_branch .LBB110_103
.LBB110_101:                            ;   in Loop: Header=BB110_103 Depth=2
	s_or_b64 exec, exec, s[38:39]
	s_waitcnt lgkmcnt(0)
	s_barrier
	ds_read_b32 v10, v3 offset:3072
	s_mov_b64 s[38:39], -1
	s_waitcnt lgkmcnt(0)
	s_barrier
	v_cmp_ne_u32_sdwa s[40:41], v10, v3 src0_sel:WORD_0 src1_sel:DWORD
	s_and_b64 vcc, exec, s[40:41]
	s_mov_b64 s[40:41], -1
	s_cbranch_vccz .LBB110_106
.LBB110_102:                            ;   in Loop: Header=BB110_103 Depth=2
	s_and_b64 s[38:39], exec, s[38:39]
	s_or_b64 s[8:9], s[38:39], s[8:9]
	s_andn2_b64 s[36:37], s[36:37], exec
	s_and_b64 s[38:39], s[40:41], exec
	s_or_b64 s[36:37], s[36:37], s[38:39]
	s_andn2_b64 exec, exec, s[8:9]
	s_cbranch_execz .LBB110_107
.LBB110_103:                            ;   Parent Loop BB110_21 Depth=1
                                        ; =>  This Inner Loop Header: Depth=2
	v_cmp_gt_u64_e32 vcc, s[26:27], v[8:9]
	s_and_saveexec_b64 s[38:39], vcc
	s_cbranch_execz .LBB110_101
; %bb.104:                              ;   in Loop: Header=BB110_103 Depth=2
	ds_read_u16 v10, v2
	s_waitcnt lgkmcnt(0)
	v_add_u32_sdwa v11, sext(v10), s76 dst_sel:DWORD dst_unused:UNUSED_PAD src0_sel:WORD_0 src1_sel:DWORD
	v_and_b32_e32 v11, v11, v36
	v_cmp_eq_u32_e32 vcc, v11, v31
	s_and_b64 exec, exec, vcc
	s_cbranch_execz .LBB110_101
; %bb.105:                              ;   in Loop: Header=BB110_103 Depth=2
	v_perm_b32 v10, v10, 1, v35
	ds_write_b32 v3, v10 offset:3072
	s_branch .LBB110_101
.LBB110_106:                            ;   in Loop: Header=BB110_103 Depth=2
	v_lshl_add_u64 v[8:9], v[8:9], 0, s[96:97]
	v_cmp_le_u64_e32 vcc, s[34:35], v[8:9]
	v_add_u32_e32 v2, s7, v2
	s_mov_b64 s[40:41], 0
	s_orn2_b64 s[38:39], vcc, exec
	s_branch .LBB110_102
.LBB110_107:                            ;   in Loop: Header=BB110_21 Depth=1
	s_or_b64 exec, exec, s[8:9]
	v_lshrrev_b32_e32 v37, 16, v10
	s_and_b64 s[8:9], s[36:37], exec
.LBB110_108:                            ;   in Loop: Header=BB110_21 Depth=1
	s_or_b64 exec, exec, s[30:31]
.LBB110_109:                            ;   in Loop: Header=BB110_21 Depth=1
	s_and_b64 vcc, exec, s[28:29]
	s_cbranch_vccz .LBB110_123
; %bb.110:                              ;   in Loop: Header=BB110_21 Depth=1
	s_mov_b32 s68, s99
	s_cmp_lg_u64 s[68:69], 0
	s_cbranch_scc0 .LBB110_154
; %bb.111:                              ;   in Loop: Header=BB110_21 Depth=1
	v_cvt_f32_u32_e32 v2, s96
	s_sub_u32 s24, 0, s96
	s_subb_u32 s25, 0, 0
	v_fmac_f32_e32 v2, 0, v34
	v_rcp_f32_e32 v2, v2
	s_nop 0
	v_mul_f32_e32 v2, 0x5f7ffffc, v2
	v_mul_f32_e32 v8, 0x2f800000, v2
	v_trunc_f32_e32 v8, v8
	v_fmac_f32_e32 v2, 0xcf800000, v8
	v_cvt_u32_f32_e32 v8, v8
	v_cvt_u32_f32_e32 v2, v2
	v_readfirstlane_b32 s26, v8
	v_readfirstlane_b32 s20, v2
	s_mul_i32 s21, s24, s26
	s_mul_hi_u32 s28, s24, s20
	s_mul_i32 s27, s25, s20
	s_add_i32 s21, s28, s21
	s_mul_i32 s29, s24, s20
	s_add_i32 s21, s21, s27
	s_mul_hi_u32 s28, s20, s29
	s_mul_i32 s30, s20, s21
	s_mul_hi_u32 s27, s20, s21
	s_add_u32 s28, s28, s30
	s_addc_u32 s27, 0, s27
	s_mul_hi_u32 s31, s26, s29
	s_mul_i32 s29, s26, s29
	s_add_u32 s28, s28, s29
	s_mul_hi_u32 s30, s26, s21
	s_addc_u32 s27, s27, s31
	s_addc_u32 s28, s30, 0
	s_mul_i32 s21, s26, s21
	s_add_u32 s21, s27, s21
	s_addc_u32 s27, 0, s28
	s_add_u32 s28, s20, s21
	s_cselect_b64 s[20:21], -1, 0
	s_cmp_lg_u64 s[20:21], 0
	s_addc_u32 s26, s26, s27
	s_mul_i32 s20, s24, s26
	s_mul_hi_u32 s21, s24, s28
	s_add_i32 s20, s21, s20
	s_mul_i32 s25, s25, s28
	s_add_i32 s20, s20, s25
	s_mul_i32 s24, s24, s28
	s_mul_hi_u32 s25, s26, s24
	s_mul_i32 s27, s26, s24
	s_mul_i32 s30, s28, s20
	s_mul_hi_u32 s24, s28, s24
	s_mul_hi_u32 s29, s28, s20
	s_add_u32 s24, s24, s30
	s_addc_u32 s29, 0, s29
	s_add_u32 s24, s24, s27
	s_mul_hi_u32 s21, s26, s20
	s_addc_u32 s24, s29, s25
	s_addc_u32 s21, s21, 0
	s_mul_i32 s20, s26, s20
	s_add_u32 s20, s24, s20
	s_addc_u32 s24, 0, s21
	s_add_u32 s25, s28, s20
	s_cselect_b64 s[20:21], -1, 0
	s_cmp_lg_u64 s[20:21], 0
	s_addc_u32 s20, s26, s24
	s_mul_i32 s24, s14, s20
	s_mul_hi_u32 s26, s14, s25
	s_mul_hi_u32 s21, s14, s20
	s_add_u32 s24, s26, s24
	s_addc_u32 s21, 0, s21
	s_mul_hi_u32 s27, s69, s25
	s_mul_i32 s25, s69, s25
	s_add_u32 s24, s24, s25
	s_mul_hi_u32 s26, s69, s20
	s_addc_u32 s21, s21, s27
	s_addc_u32 s24, s26, 0
	s_mul_i32 s20, s69, s20
	s_add_u32 s20, s21, s20
	s_addc_u32 s21, 0, s24
	s_mul_i32 s21, s96, s21
	s_mul_hi_u32 s24, s96, s20
	s_add_i32 s24, s24, s21
	s_mul_i32 s20, s96, s20
	s_sub_u32 s25, s14, s20
	s_cselect_b64 s[20:21], -1, 0
	s_cmp_lg_u64 s[20:21], 0
	s_subb_u32 s24, s69, s24
	s_sub_u32 s26, s25, s96
	s_cselect_b64 s[20:21], -1, 0
	s_cmp_lg_u64 s[20:21], 0
	s_subb_u32 s27, s24, 0
	;; [unrolled: 4-line block ×3, first 2 shown]
	s_cmp_ge_u32 s26, s96
	s_cselect_b32 s21, -1, 0
	s_cmp_eq_u32 s27, 0
	s_cselect_b32 s21, s21, -1
	s_cmp_lg_u32 s21, 0
	s_cselect_b32 s20, s20, s27
	s_cselect_b32 s26, s28, s26
	s_cmp_ge_u32 s25, s96
	s_cselect_b32 s21, -1, 0
	s_cmp_eq_u32 s24, 0
	s_cselect_b32 s21, s21, -1
	s_cmp_lg_u32 s21, 0
	s_cselect_b32 s21, s20, s24
	s_cselect_b32 s20, s26, s25
	s_cbranch_execnz .LBB110_113
.LBB110_112:                            ;   in Loop: Header=BB110_21 Depth=1
	v_cvt_f32_u32_e32 v2, s96
	s_sub_i32 s20, 0, s96
	v_rcp_iflag_f32_e32 v2, v2
	s_nop 0
	v_mul_f32_e32 v2, 0x4f7ffffe, v2
	v_cvt_u32_f32_e32 v2, v2
	s_nop 0
	v_readfirstlane_b32 s21, v2
	s_mul_i32 s20, s20, s21
	s_mul_hi_u32 s20, s21, s20
	s_add_i32 s21, s21, s20
	s_mul_hi_u32 s20, s14, s21
	s_mul_i32 s20, s20, s96
	s_sub_i32 s20, s14, s20
	s_sub_i32 s21, s20, s96
	s_cmp_ge_u32 s20, s96
	s_cselect_b32 s20, s21, s20
	s_sub_i32 s21, s20, s96
	s_cmp_ge_u32 s20, s96
	s_cselect_b32 s98, s21, s20
	s_mov_b64 s[20:21], s[98:99]
.LBB110_113:                            ;   in Loop: Header=BB110_21 Depth=1
	s_sub_u32 s24, s14, s20
	s_subb_u32 s25, s69, s21
	v_cmp_gt_u64_e32 vcc, s[24:25], v[0:1]
                                        ; implicit-def: $vgpr37
	s_and_saveexec_b64 s[20:21], vcc
	s_cbranch_execz .LBB110_122
; %bb.114:                              ;   in Loop: Header=BB110_21 Depth=1
	s_mov_b64 s[26:27], 0
	v_mov_b64_e32 v[8:9], v[0:1]
                                        ; implicit-def: $sgpr28_sgpr29
	s_branch .LBB110_117
.LBB110_115:                            ;   in Loop: Header=BB110_117 Depth=2
	s_or_b64 exec, exec, s[30:31]
	s_waitcnt lgkmcnt(0)
	s_barrier
	ds_read_b32 v2, v3 offset:3072
	s_mov_b64 s[30:31], -1
	s_waitcnt lgkmcnt(0)
	s_barrier
	v_cmp_ne_u32_sdwa s[34:35], v2, v3 src0_sel:WORD_0 src1_sel:DWORD
	s_and_b64 vcc, exec, s[34:35]
	s_mov_b64 s[34:35], -1
	s_cbranch_vccz .LBB110_120
.LBB110_116:                            ;   in Loop: Header=BB110_117 Depth=2
	s_and_b64 s[30:31], exec, s[30:31]
	s_or_b64 s[26:27], s[30:31], s[26:27]
	s_andn2_b64 s[28:29], s[28:29], exec
	s_and_b64 s[30:31], s[34:35], exec
	s_or_b64 s[28:29], s[28:29], s[30:31]
	s_andn2_b64 exec, exec, s[26:27]
	s_cbranch_execz .LBB110_121
.LBB110_117:                            ;   Parent Loop BB110_21 Depth=1
                                        ; =>  This Inner Loop Header: Depth=2
	v_cmp_gt_u64_e32 vcc, s[56:57], v[8:9]
	s_and_saveexec_b64 s[30:31], vcc
	s_cbranch_execz .LBB110_115
; %bb.118:                              ;   in Loop: Header=BB110_117 Depth=2
	v_mul_lo_u32 v2, v9, s84
	v_mul_lo_u32 v24, v8, s85
	v_mad_u64_u32 v[10:11], s[34:35], v8, s84, 0
	v_add3_u32 v11, v11, v24, v2
	v_lshl_add_u64 v[10:11], v[10:11], 1, s[94:95]
	global_load_ushort v2, v[10:11], off
	s_waitcnt vmcnt(0)
	v_add_u32_sdwa v10, sext(v2), s76 dst_sel:DWORD dst_unused:UNUSED_PAD src0_sel:WORD_0 src1_sel:DWORD
	v_and_b32_e32 v10, v10, v36
	v_cmp_eq_u32_e32 vcc, v10, v31
	s_and_b64 exec, exec, vcc
	s_cbranch_execz .LBB110_115
; %bb.119:                              ;   in Loop: Header=BB110_117 Depth=2
	v_perm_b32 v2, v2, 1, v35
	ds_write_b32 v3, v2 offset:3072
	s_branch .LBB110_115
.LBB110_120:                            ;   in Loop: Header=BB110_117 Depth=2
	v_lshl_add_u64 v[8:9], v[8:9], 0, s[96:97]
	v_cmp_le_u64_e32 vcc, s[24:25], v[8:9]
	s_mov_b64 s[34:35], 0
	s_orn2_b64 s[30:31], vcc, exec
	s_branch .LBB110_116
.LBB110_121:                            ;   in Loop: Header=BB110_21 Depth=1
	s_or_b64 exec, exec, s[26:27]
	s_andn2_b64 s[8:9], s[8:9], exec
	s_and_b64 s[24:25], s[28:29], exec
	v_lshrrev_b32_e32 v37, 16, v2
	s_or_b64 s[8:9], s[8:9], s[24:25]
.LBB110_122:                            ;   in Loop: Header=BB110_21 Depth=1
	s_or_b64 exec, exec, s[20:21]
	s_mov_b64 s[20:21], 0
	s_mov_b64 s[24:25], -1
.LBB110_123:                            ;   in Loop: Header=BB110_21 Depth=1
	s_orn2_b64 s[8:9], s[8:9], exec
.LBB110_124:                            ;   in Loop: Header=BB110_21 Depth=1
	s_or_b64 exec, exec, s[16:17]
	s_andn2_b64 s[16:17], s[58:59], exec
	s_and_b64 s[24:25], s[24:25], exec
	s_or_b64 s[58:59], s[16:17], s[24:25]
	s_andn2_b64 s[16:17], s[82:83], exec
	s_and_b64 s[20:21], s[20:21], exec
	s_andn2_b64 s[74:75], s[74:75], exec
	s_or_b64 s[82:83], s[16:17], s[20:21]
                                        ; implicit-def: $vgpr8_vgpr9
	s_and_saveexec_b64 s[16:17], s[8:9]
	s_cbranch_execz .LBB110_20
; %bb.125:                              ;   in Loop: Header=BB110_21 Depth=1
	s_xor_b64 s[8:9], s[18:19], -1
	v_mov_b32_e32 v2, 1
	s_mov_b64 s[20:21], 0
	v_mov_b64_e32 v[8:9], 1
	s_and_saveexec_b64 s[0:1], s[8:9]
	s_cbranch_execz .LBB110_134
; %bb.126:                              ;   in Loop: Header=BB110_21 Depth=1
	v_cmp_le_u64_e32 vcc, v[22:23], v[4:5]
	s_and_saveexec_b64 s[8:9], vcc
	s_xor_b64 s[8:9], exec, s[8:9]
	s_cbranch_execz .LBB110_131
; %bb.127:                              ;   in Loop: Header=BB110_21 Depth=1
	ds_read_b64 v[8:9], v3 offset:5120
	v_and_b32_e32 v31, s54, v31
	v_or_b32_e32 v36, s64, v36
	s_waitcnt lgkmcnt(0)
	v_cmp_ne_u64_e32 vcc, 0, v[8:9]
	s_cbranch_vccnz .LBB110_131
; %bb.128:                              ;   in Loop: Header=BB110_21 Depth=1
	s_mov_b64 s[18:19], exec
	v_readlane_b32 s20, v58, 28
	v_readlane_b32 s21, v58, 29
	s_and_b64 s[20:21], s[18:19], s[20:21]
	s_mov_b64 exec, s[20:21]
; %bb.129:                              ;   in Loop: Header=BB110_21 Depth=1
	ds_write_b64 v3, v[4:5] offset:5128
; %bb.130:                              ;   in Loop: Header=BB110_21 Depth=1
	s_or_b64 exec, exec, s[18:19]
	s_waitcnt lgkmcnt(0)
	s_barrier
.LBB110_131:                            ;   in Loop: Header=BB110_21 Depth=1
	s_or_saveexec_b64 s[8:9], s[8:9]
	s_mov_b64 s[18:19], 0
	v_mov_b32_e32 v2, 8
	s_xor_b64 exec, exec, s[8:9]
; %bb.132:                              ;   in Loop: Header=BB110_21 Depth=1
	v_sub_co_u32_e32 v22, vcc, v22, v4
	s_mov_b64 s[18:19], exec
	s_nop 0
	v_subb_co_u32_e32 v23, vcc, v23, v5, vcc
	v_mov_b32_e32 v2, 0
; %bb.133:                              ;   in Loop: Header=BB110_21 Depth=1
	s_or_b64 exec, exec, s[8:9]
	s_and_b64 s[20:21], s[18:19], exec
	v_mov_b64_e32 v[8:9], v[22:23]
.LBB110_134:                            ;   in Loop: Header=BB110_21 Depth=1
	s_or_b64 exec, exec, s[0:1]
	s_mov_b64 s[18:19], -1
	s_mov_b64 s[8:9], -1
                                        ; implicit-def: $sgpr0_sgpr1
                                        ; implicit-def: $sgpr24_sgpr25
	s_and_saveexec_b64 s[26:27], s[20:21]
	s_xor_b64 s[20:21], exec, s[26:27]
	s_cbranch_execz .LBB110_279
; %bb.135:                              ;   in Loop: Header=BB110_21 Depth=1
	v_cmp_eq_u64_e32 vcc, 1, v[6:7]
	v_cmp_eq_u64_e64 s[0:1], 1, v[8:9]
	s_and_b64 s[28:29], vcc, s[0:1]
                                        ; implicit-def: $sgpr24_sgpr25
                                        ; implicit-def: $sgpr0_sgpr1
	s_and_saveexec_b64 s[26:27], s[28:29]
	s_cbranch_execz .LBB110_172
; %bb.136:                              ;   in Loop: Header=BB110_21 Depth=1
	ds_read_b64 v[4:5], v3 offset:5120
	s_waitcnt lgkmcnt(0)
	s_barrier
	v_readfirstlane_b32 s30, v4
	v_readfirstlane_b32 s31, v5
	s_mov_b64 s[0:1], exec
	v_readlane_b32 s8, v58, 38
	v_readlane_b32 s9, v58, 39
	s_and_b64 s[8:9], s[0:1], s[8:9]
	s_mov_b64 exec, s[8:9]
; %bb.137:                              ;   in Loop: Header=BB110_21 Depth=1
	ds_write_b16 v28, v3
; %bb.138:                              ;   in Loop: Header=BB110_21 Depth=1
	s_or_b64 exec, exec, s[0:1]
	v_and_b32_e32 v4, s54, v31
	v_lshl_or_b32 v31, 1, s77, v4
	v_or_b32_e32 v36, s64, v36
	s_mov_b64 s[0:1], -1
	s_mov_b64 s[24:25], 0
	s_cmp_eq_u64 s[30:31], 0
	s_mov_b64 s[8:9], 0
	s_mov_b64 s[34:35], -1
	s_waitcnt lgkmcnt(0)
	s_barrier
                                        ; implicit-def: $vgpr37
	s_cbranch_scc1 .LBB110_157
; %bb.139:                              ;   in Loop: Header=BB110_21 Depth=1
	v_readlane_b32 s8, v58, 44
	s_add_u32 s38, s30, s8
	v_readlane_b32 s8, v58, 45
	s_addc_u32 s9, s31, s8
	s_mov_b32 s8, s99
	s_cmp_lg_u64 s[8:9], 0
	s_cbranch_scc0 .LBB110_199
; %bb.140:                              ;   in Loop: Header=BB110_21 Depth=1
	v_cvt_f32_u32_e32 v4, s96
	s_sub_u32 s8, 0, s96
	s_subb_u32 s36, 0, 0
	v_fmac_f32_e32 v4, 0, v34
	v_rcp_f32_e32 v4, v4
	s_nop 0
	v_mul_f32_e32 v4, 0x5f7ffffc, v4
	v_mul_f32_e32 v5, 0x2f800000, v4
	v_trunc_f32_e32 v5, v5
	v_fmac_f32_e32 v4, 0xcf800000, v5
	v_cvt_u32_f32_e32 v5, v5
	v_cvt_u32_f32_e32 v4, v4
	v_readfirstlane_b32 s37, v5
	v_readfirstlane_b32 s34, v4
	s_mul_i32 s35, s8, s37
	s_mul_hi_u32 s40, s8, s34
	s_mul_i32 s39, s36, s34
	s_add_i32 s35, s40, s35
	s_mul_i32 s41, s8, s34
	s_add_i32 s35, s35, s39
	s_mul_hi_u32 s40, s34, s41
	s_mul_i32 s42, s34, s35
	s_mul_hi_u32 s39, s34, s35
	s_add_u32 s40, s40, s42
	s_addc_u32 s39, 0, s39
	s_mul_hi_u32 s43, s37, s41
	s_mul_i32 s41, s37, s41
	s_add_u32 s40, s40, s41
	s_mul_hi_u32 s42, s37, s35
	s_addc_u32 s39, s39, s43
	s_addc_u32 s40, s42, 0
	s_mul_i32 s35, s37, s35
	s_add_u32 s35, s39, s35
	s_addc_u32 s39, 0, s40
	s_add_u32 s40, s34, s35
	s_cselect_b64 s[34:35], -1, 0
	s_cmp_lg_u64 s[34:35], 0
	s_addc_u32 s37, s37, s39
	s_mul_i32 s34, s8, s37
	s_mul_hi_u32 s35, s8, s40
	s_add_i32 s34, s35, s34
	s_mul_i32 s36, s36, s40
	s_add_i32 s34, s34, s36
	s_mul_i32 s8, s8, s40
	s_mul_hi_u32 s36, s37, s8
	s_mul_i32 s39, s37, s8
	s_mul_i32 s42, s40, s34
	s_mul_hi_u32 s8, s40, s8
	s_mul_hi_u32 s41, s40, s34
	s_add_u32 s8, s8, s42
	s_addc_u32 s41, 0, s41
	s_add_u32 s8, s8, s39
	s_mul_hi_u32 s35, s37, s34
	s_addc_u32 s8, s41, s36
	s_addc_u32 s35, s35, 0
	s_mul_i32 s34, s37, s34
	s_add_u32 s8, s8, s34
	s_addc_u32 s36, 0, s35
	s_add_u32 s8, s40, s8
	s_cselect_b64 s[34:35], -1, 0
	s_cmp_lg_u64 s[34:35], 0
	s_addc_u32 s34, s37, s36
	s_mul_i32 s36, s38, s34
	s_mul_hi_u32 s37, s38, s8
	s_mul_hi_u32 s35, s38, s34
	s_add_u32 s36, s37, s36
	s_addc_u32 s35, 0, s35
	s_mul_hi_u32 s39, s9, s8
	s_mul_i32 s8, s9, s8
	s_add_u32 s8, s36, s8
	s_mul_hi_u32 s37, s9, s34
	s_addc_u32 s8, s35, s39
	s_addc_u32 s35, s37, 0
	s_mul_i32 s34, s9, s34
	s_add_u32 s8, s8, s34
	s_addc_u32 s34, 0, s35
	s_mul_i32 s34, s96, s34
	s_mul_hi_u32 s35, s96, s8
	s_add_i32 s36, s35, s34
	s_mul_i32 s8, s96, s8
	s_sub_u32 s8, s38, s8
	s_cselect_b64 s[34:35], -1, 0
	s_cmp_lg_u64 s[34:35], 0
	s_subb_u32 s36, s9, s36
	s_sub_u32 s37, s8, s96
	s_cselect_b64 s[34:35], -1, 0
	s_cmp_lg_u64 s[34:35], 0
	s_subb_u32 s39, s36, 0
	;; [unrolled: 4-line block ×3, first 2 shown]
	s_cmp_ge_u32 s37, s96
	s_cselect_b32 s35, -1, 0
	s_cmp_eq_u32 s39, 0
	s_cselect_b32 s35, s35, -1
	s_cmp_lg_u32 s35, 0
	s_cselect_b32 s34, s34, s39
	s_cselect_b32 s37, s40, s37
	s_cmp_ge_u32 s8, s96
	s_cselect_b32 s35, -1, 0
	s_cmp_eq_u32 s36, 0
	s_cselect_b32 s35, s35, -1
	s_cmp_lg_u32 s35, 0
	s_cselect_b32 s35, s34, s36
	s_cselect_b32 s34, s37, s8
	s_cbranch_execnz .LBB110_142
.LBB110_141:                            ;   in Loop: Header=BB110_21 Depth=1
	v_cvt_f32_u32_e32 v4, s96
	s_sub_i32 s8, 0, s96
	v_rcp_iflag_f32_e32 v4, v4
	s_nop 0
	v_mul_f32_e32 v4, 0x4f7ffffe, v4
	v_cvt_u32_f32_e32 v4, v4
	s_nop 0
	v_readfirstlane_b32 s34, v4
	s_mul_i32 s8, s8, s34
	s_mul_hi_u32 s8, s34, s8
	s_add_i32 s34, s34, s8
	s_mul_hi_u32 s8, s38, s34
	s_mul_i32 s8, s8, s96
	s_sub_i32 s8, s38, s8
	s_sub_i32 s34, s8, s96
	s_cmp_ge_u32 s8, s96
	s_cselect_b32 s8, s34, s8
	s_sub_i32 s34, s8, s96
	s_cmp_ge_u32 s8, s96
	s_cselect_b32 s98, s34, s8
	s_mov_b64 s[34:35], s[98:99]
.LBB110_142:                            ;   in Loop: Header=BB110_21 Depth=1
	s_sub_u32 s38, s38, s34
	s_subb_u32 s39, s9, s35
	v_cmp_gt_u64_e32 vcc, s[38:39], v[0:1]
	s_mov_b64 s[34:35], 0
	s_mov_b64 s[8:9], 0
                                        ; implicit-def: $vgpr37
	s_and_saveexec_b64 s[36:37], vcc
	s_cbranch_execz .LBB110_156
; %bb.143:                              ;   in Loop: Header=BB110_21 Depth=1
	v_mov_b32_e32 v10, v27
	v_mov_b64_e32 v[4:5], v[0:1]
                                        ; implicit-def: $sgpr40_sgpr41
	s_branch .LBB110_146
.LBB110_144:                            ;   in Loop: Header=BB110_146 Depth=2
	s_or_b64 exec, exec, s[42:43]
	s_waitcnt lgkmcnt(0)
	s_barrier
	ds_read_b32 v11, v3 offset:3072
	s_mov_b64 s[42:43], -1
	s_waitcnt lgkmcnt(0)
	s_barrier
	v_cmp_ne_u32_sdwa s[44:45], v11, v3 src0_sel:WORD_0 src1_sel:DWORD
	s_and_b64 vcc, exec, s[44:45]
	s_mov_b64 s[44:45], -1
	s_cbranch_vccz .LBB110_149
.LBB110_145:                            ;   in Loop: Header=BB110_146 Depth=2
	s_and_b64 s[42:43], exec, s[42:43]
	s_or_b64 s[8:9], s[42:43], s[8:9]
	s_andn2_b64 s[40:41], s[40:41], exec
	s_and_b64 s[42:43], s[44:45], exec
	s_or_b64 s[40:41], s[40:41], s[42:43]
	s_andn2_b64 exec, exec, s[8:9]
	s_cbranch_execz .LBB110_155
.LBB110_146:                            ;   Parent Loop BB110_21 Depth=1
                                        ; =>  This Inner Loop Header: Depth=2
	v_cmp_gt_u64_e32 vcc, s[30:31], v[4:5]
	s_and_saveexec_b64 s[42:43], vcc
	s_cbranch_execz .LBB110_144
; %bb.147:                              ;   in Loop: Header=BB110_146 Depth=2
	ds_read_u16 v11, v10
	s_waitcnt lgkmcnt(0)
	v_add_u32_sdwa v22, sext(v11), s76 dst_sel:DWORD dst_unused:UNUSED_PAD src0_sel:WORD_0 src1_sel:DWORD
	v_and_b32_e32 v22, v22, v36
	v_cmp_eq_u32_e32 vcc, v22, v31
	s_and_b64 exec, exec, vcc
	s_cbranch_execz .LBB110_144
; %bb.148:                              ;   in Loop: Header=BB110_146 Depth=2
	v_perm_b32 v11, v11, 1, v35
	ds_write_b32 v3, v11 offset:3072
	s_branch .LBB110_144
.LBB110_149:                            ;   in Loop: Header=BB110_146 Depth=2
	v_lshl_add_u64 v[4:5], v[4:5], 0, s[96:97]
	v_cmp_le_u64_e32 vcc, s[38:39], v[4:5]
	v_add_u32_e32 v10, s7, v10
	s_mov_b64 s[44:45], 0
	s_orn2_b64 s[42:43], vcc, exec
	s_branch .LBB110_145
.LBB110_150:                            ;   in Loop: Header=BB110_21 Depth=1
                                        ; implicit-def: $sgpr28_sgpr29
	s_branch .LBB110_98
.LBB110_151:                            ;   in Loop: Header=BB110_21 Depth=1
	s_or_b64 exec, exec, s[16:17]
	s_waitcnt lgkmcnt(0)
	s_barrier
	s_mov_b64 s[0:1], exec
	v_readlane_b32 s2, v58, 28
	v_readlane_b32 s3, v58, 29
	s_and_b64 s[2:3], s[0:1], s[2:3]
	s_mov_b64 exec, s[2:3]
	s_cbranch_execz .LBB110_153
; %bb.152:                              ;   in Loop: Header=BB110_21 Depth=1
	ds_read_b32 v4, v3 offset:5144
	s_waitcnt lgkmcnt(0)
	v_ashrrev_i32_e32 v5, 31, v4
	ds_write_b64 v3, v[4:5] offset:5120
.LBB110_153:                            ;   in Loop: Header=BB110_21 Depth=1
	s_or_b64 exec, exec, s[0:1]
	s_waitcnt lgkmcnt(0)
	s_barrier
	s_mov_b64 s[0:1], -1
	s_and_b64 vcc, exec, s[8:9]
	s_cbranch_vccnz .LBB110_36
	s_branch .LBB110_51
.LBB110_154:                            ;   in Loop: Header=BB110_21 Depth=1
                                        ; implicit-def: $sgpr20_sgpr21
	s_branch .LBB110_112
.LBB110_155:                            ;   in Loop: Header=BB110_21 Depth=1
	s_or_b64 exec, exec, s[8:9]
	v_lshrrev_b32_e32 v37, 16, v11
	s_and_b64 s[8:9], s[40:41], exec
.LBB110_156:                            ;   in Loop: Header=BB110_21 Depth=1
	s_or_b64 exec, exec, s[36:37]
.LBB110_157:                            ;   in Loop: Header=BB110_21 Depth=1
	s_and_b64 vcc, exec, s[34:35]
	s_cbranch_vccz .LBB110_171
; %bb.158:                              ;   in Loop: Header=BB110_21 Depth=1
	s_mov_b32 s68, s99
	s_cmp_lg_u64 s[68:69], 0
	s_cbranch_scc0 .LBB110_200
; %bb.159:                              ;   in Loop: Header=BB110_21 Depth=1
	v_cvt_f32_u32_e32 v4, s96
	s_sub_u32 s24, 0, s96
	s_subb_u32 s25, 0, 0
	v_fmac_f32_e32 v4, 0, v34
	v_rcp_f32_e32 v4, v4
	s_nop 0
	v_mul_f32_e32 v4, 0x5f7ffffc, v4
	v_mul_f32_e32 v5, 0x2f800000, v4
	v_trunc_f32_e32 v5, v5
	v_fmac_f32_e32 v4, 0xcf800000, v5
	v_cvt_u32_f32_e32 v5, v5
	v_cvt_u32_f32_e32 v4, v4
	v_readfirstlane_b32 s30, v5
	v_readfirstlane_b32 s0, v4
	s_mul_i32 s1, s24, s30
	s_mul_hi_u32 s34, s24, s0
	s_mul_i32 s31, s25, s0
	s_add_i32 s1, s34, s1
	s_mul_i32 s35, s24, s0
	s_add_i32 s1, s1, s31
	s_mul_hi_u32 s34, s0, s35
	s_mul_i32 s36, s0, s1
	s_mul_hi_u32 s31, s0, s1
	s_add_u32 s34, s34, s36
	s_addc_u32 s31, 0, s31
	s_mul_hi_u32 s37, s30, s35
	s_mul_i32 s35, s30, s35
	s_add_u32 s34, s34, s35
	s_mul_hi_u32 s36, s30, s1
	s_addc_u32 s31, s31, s37
	s_addc_u32 s34, s36, 0
	s_mul_i32 s1, s30, s1
	s_add_u32 s1, s31, s1
	s_addc_u32 s31, 0, s34
	s_add_u32 s34, s0, s1
	s_cselect_b64 s[0:1], -1, 0
	s_cmp_lg_u64 s[0:1], 0
	s_addc_u32 s30, s30, s31
	s_mul_i32 s0, s24, s30
	s_mul_hi_u32 s1, s24, s34
	s_add_i32 s0, s1, s0
	s_mul_i32 s25, s25, s34
	s_add_i32 s0, s0, s25
	s_mul_i32 s24, s24, s34
	s_mul_hi_u32 s25, s30, s24
	s_mul_i32 s31, s30, s24
	s_mul_i32 s36, s34, s0
	s_mul_hi_u32 s24, s34, s24
	s_mul_hi_u32 s35, s34, s0
	s_add_u32 s24, s24, s36
	s_addc_u32 s35, 0, s35
	s_add_u32 s24, s24, s31
	s_mul_hi_u32 s1, s30, s0
	s_addc_u32 s24, s35, s25
	s_addc_u32 s1, s1, 0
	s_mul_i32 s0, s30, s0
	s_add_u32 s0, s24, s0
	s_addc_u32 s24, 0, s1
	s_add_u32 s25, s34, s0
	s_cselect_b64 s[0:1], -1, 0
	s_cmp_lg_u64 s[0:1], 0
	s_addc_u32 s0, s30, s24
	s_mul_i32 s24, s14, s0
	s_mul_hi_u32 s30, s14, s25
	s_mul_hi_u32 s1, s14, s0
	s_add_u32 s24, s30, s24
	s_addc_u32 s1, 0, s1
	s_mul_hi_u32 s31, s69, s25
	s_mul_i32 s25, s69, s25
	s_add_u32 s24, s24, s25
	s_mul_hi_u32 s30, s69, s0
	s_addc_u32 s1, s1, s31
	s_addc_u32 s24, s30, 0
	s_mul_i32 s0, s69, s0
	s_add_u32 s0, s1, s0
	s_addc_u32 s1, 0, s24
	s_mul_i32 s1, s96, s1
	s_mul_hi_u32 s24, s96, s0
	s_add_i32 s24, s24, s1
	s_mul_i32 s0, s96, s0
	s_sub_u32 s25, s14, s0
	s_cselect_b64 s[0:1], -1, 0
	s_cmp_lg_u64 s[0:1], 0
	s_subb_u32 s24, s69, s24
	s_sub_u32 s30, s25, s96
	s_cselect_b64 s[0:1], -1, 0
	s_cmp_lg_u64 s[0:1], 0
	s_subb_u32 s31, s24, 0
	;; [unrolled: 4-line block ×3, first 2 shown]
	s_cmp_ge_u32 s30, s96
	s_cselect_b32 s1, -1, 0
	s_cmp_eq_u32 s31, 0
	s_cselect_b32 s1, s1, -1
	s_cmp_lg_u32 s1, 0
	s_cselect_b32 s0, s0, s31
	s_cselect_b32 s30, s34, s30
	s_cmp_ge_u32 s25, s96
	s_cselect_b32 s1, -1, 0
	s_cmp_eq_u32 s24, 0
	s_cselect_b32 s1, s1, -1
	s_cmp_lg_u32 s1, 0
	s_cselect_b32 s1, s0, s24
	s_cselect_b32 s0, s30, s25
	s_cbranch_execnz .LBB110_161
.LBB110_160:                            ;   in Loop: Header=BB110_21 Depth=1
	v_cvt_f32_u32_e32 v4, s96
	s_sub_i32 s0, 0, s96
	v_rcp_iflag_f32_e32 v4, v4
	s_nop 0
	v_mul_f32_e32 v4, 0x4f7ffffe, v4
	v_cvt_u32_f32_e32 v4, v4
	s_nop 0
	v_readfirstlane_b32 s1, v4
	s_mul_i32 s0, s0, s1
	s_mul_hi_u32 s0, s1, s0
	s_add_i32 s1, s1, s0
	s_mul_hi_u32 s0, s14, s1
	s_mul_i32 s0, s0, s96
	s_sub_i32 s0, s14, s0
	s_sub_i32 s1, s0, s96
	s_cmp_ge_u32 s0, s96
	s_cselect_b32 s0, s1, s0
	s_sub_i32 s1, s0, s96
	s_cmp_ge_u32 s0, s96
	s_cselect_b32 s98, s1, s0
	s_mov_b64 s[0:1], s[98:99]
.LBB110_161:                            ;   in Loop: Header=BB110_21 Depth=1
	s_sub_u32 s24, s14, s0
	s_subb_u32 s25, s69, s1
	v_cmp_gt_u64_e32 vcc, s[24:25], v[0:1]
                                        ; implicit-def: $vgpr37
	s_and_saveexec_b64 s[0:1], vcc
	s_cbranch_execz .LBB110_170
; %bb.162:                              ;   in Loop: Header=BB110_21 Depth=1
	s_mov_b64 s[30:31], 0
	v_mov_b64_e32 v[4:5], v[0:1]
                                        ; implicit-def: $sgpr34_sgpr35
	s_branch .LBB110_165
.LBB110_163:                            ;   in Loop: Header=BB110_165 Depth=2
	s_or_b64 exec, exec, s[36:37]
	s_waitcnt lgkmcnt(0)
	s_barrier
	ds_read_b32 v10, v3 offset:3072
	s_mov_b64 s[36:37], -1
	s_waitcnt lgkmcnt(0)
	s_barrier
	v_cmp_eq_u32_sdwa s[38:39], v10, v3 src0_sel:WORD_0 src1_sel:DWORD
	s_and_b64 vcc, exec, s[38:39]
	s_mov_b64 s[38:39], -1
	s_cbranch_vccnz .LBB110_168
.LBB110_164:                            ;   in Loop: Header=BB110_165 Depth=2
	s_and_b64 s[36:37], exec, s[36:37]
	s_or_b64 s[30:31], s[36:37], s[30:31]
	s_andn2_b64 s[34:35], s[34:35], exec
	s_and_b64 s[36:37], s[38:39], exec
	s_or_b64 s[34:35], s[34:35], s[36:37]
	s_andn2_b64 exec, exec, s[30:31]
	s_cbranch_execz .LBB110_169
.LBB110_165:                            ;   Parent Loop BB110_21 Depth=1
                                        ; =>  This Inner Loop Header: Depth=2
	v_cmp_gt_u64_e32 vcc, s[56:57], v[4:5]
	s_and_saveexec_b64 s[36:37], vcc
	s_cbranch_execz .LBB110_163
; %bb.166:                              ;   in Loop: Header=BB110_165 Depth=2
	v_mul_lo_u32 v22, v5, s84
	v_mul_lo_u32 v23, v4, s85
	v_mad_u64_u32 v[10:11], s[38:39], v4, s84, 0
	v_add3_u32 v11, v11, v23, v22
	v_lshl_add_u64 v[10:11], v[10:11], 1, s[94:95]
	global_load_ushort v10, v[10:11], off
	s_waitcnt vmcnt(0)
	v_add_u32_sdwa v11, sext(v10), s76 dst_sel:DWORD dst_unused:UNUSED_PAD src0_sel:WORD_0 src1_sel:DWORD
	v_and_b32_e32 v11, v11, v36
	v_cmp_eq_u32_e32 vcc, v11, v31
	s_and_b64 exec, exec, vcc
	s_cbranch_execz .LBB110_163
; %bb.167:                              ;   in Loop: Header=BB110_165 Depth=2
	v_perm_b32 v10, v10, 1, v35
	ds_write_b32 v3, v10 offset:3072
	s_branch .LBB110_163
.LBB110_168:                            ;   in Loop: Header=BB110_165 Depth=2
	v_lshl_add_u64 v[4:5], v[4:5], 0, s[96:97]
	v_cmp_le_u64_e32 vcc, s[24:25], v[4:5]
	s_mov_b64 s[38:39], 0
	s_orn2_b64 s[36:37], vcc, exec
	s_branch .LBB110_164
.LBB110_169:                            ;   in Loop: Header=BB110_21 Depth=1
	s_or_b64 exec, exec, s[30:31]
	s_andn2_b64 s[8:9], s[8:9], exec
	s_and_b64 s[24:25], s[34:35], exec
	v_lshrrev_b32_e32 v37, 16, v10
	s_or_b64 s[8:9], s[8:9], s[24:25]
.LBB110_170:                            ;   in Loop: Header=BB110_21 Depth=1
	s_or_b64 exec, exec, s[0:1]
	s_mov_b64 s[0:1], 0
	s_mov_b64 s[24:25], -1
.LBB110_171:                            ;   in Loop: Header=BB110_21 Depth=1
	s_orn2_b64 s[8:9], s[8:9], exec
.LBB110_172:                            ;   in Loop: Header=BB110_21 Depth=1
	s_or_b64 exec, exec, s[26:27]
	s_mov_b64 s[30:31], 0
	s_and_saveexec_b64 s[26:27], s[8:9]
	s_cbranch_execz .LBB110_278
; %bb.173:                              ;   in Loop: Header=BB110_21 Depth=1
	s_xor_b64 s[28:29], s[28:29], -1
	v_mov_b32_e32 v2, 1
	v_mov_b64_e32 v[4:5], 1
	s_and_saveexec_b64 s[8:9], s[28:29]
	s_cbranch_execz .LBB110_183
; %bb.174:                              ;   in Loop: Header=BB110_21 Depth=1
	v_cmp_le_u64_e32 vcc, v[8:9], v[6:7]
	s_and_saveexec_b64 s[28:29], vcc
	s_xor_b64 s[28:29], exec, s[28:29]
	s_cbranch_execz .LBB110_180
; %bb.175:                              ;   in Loop: Header=BB110_21 Depth=1
	ds_read_b64 v[4:5], v3 offset:5120
	v_and_b32_e32 v2, s54, v31
	v_lshl_or_b32 v31, 1, s77, v2
	v_or_b32_e32 v36, s64, v36
	s_waitcnt lgkmcnt(0)
	v_cmp_ne_u64_e32 vcc, 0, v[4:5]
	s_cbranch_vccnz .LBB110_179
; %bb.176:                              ;   in Loop: Header=BB110_21 Depth=1
	s_mov_b64 s[30:31], exec
	v_readlane_b32 s34, v58, 28
	v_readlane_b32 s35, v58, 29
	s_and_b64 s[34:35], s[30:31], s[34:35]
	s_mov_b64 exec, s[34:35]
; %bb.177:                              ;   in Loop: Header=BB110_21 Depth=1
	ds_write_b64 v3, v[6:7] offset:5128
; %bb.178:                              ;   in Loop: Header=BB110_21 Depth=1
	s_or_b64 exec, exec, s[30:31]
	s_waitcnt lgkmcnt(0)
	s_barrier
.LBB110_179:                            ;   in Loop: Header=BB110_21 Depth=1
                                        ; implicit-def: $vgpr4_vgpr5_vgpr6_vgpr7
.LBB110_180:                            ;   in Loop: Header=BB110_21 Depth=1
	s_or_saveexec_b64 s[28:29], s[28:29]
	s_mov_b64 s[30:31], 0
	v_mov_b32_e32 v2, 8
	s_xor_b64 exec, exec, s[28:29]
; %bb.181:                              ;   in Loop: Header=BB110_21 Depth=1
	v_sub_co_u32_e32 v8, vcc, v8, v6
	s_mov_b64 s[30:31], exec
	s_nop 0
	v_subb_co_u32_e32 v9, vcc, v9, v7, vcc
	v_mov_b32_e32 v2, 0
; %bb.182:                              ;   in Loop: Header=BB110_21 Depth=1
	s_or_b64 exec, exec, s[28:29]
	s_and_b64 s[30:31], s[30:31], exec
	v_mov_b64_e32 v[4:5], v[8:9]
.LBB110_183:                            ;   in Loop: Header=BB110_21 Depth=1
	s_or_b64 exec, exec, s[8:9]
	s_mov_b64 s[8:9], -1
                                        ; implicit-def: $sgpr34_sgpr35
                                        ; implicit-def: $sgpr36_sgpr37
	s_and_saveexec_b64 s[28:29], s[30:31]
	s_cbranch_execz .LBB110_277
; %bb.184:                              ;   in Loop: Header=BB110_21 Depth=1
	s_cmp_eq_u64 s[22:23], 1
	s_cselect_b64 s[8:9], -1, 0
	v_cmp_eq_u64_e32 vcc, 1, v[4:5]
	s_and_b64 s[40:41], s[8:9], vcc
	s_mov_b64 s[8:9], -1
                                        ; implicit-def: $sgpr36_sgpr37
                                        ; implicit-def: $sgpr34_sgpr35
	s_and_saveexec_b64 s[38:39], s[40:41]
	s_cbranch_execz .LBB110_218
; %bb.185:                              ;   in Loop: Header=BB110_21 Depth=1
	ds_read_b64 v[6:7], v3 offset:5120
	s_waitcnt lgkmcnt(0)
	s_barrier
	v_readfirstlane_b32 s30, v6
	v_readfirstlane_b32 s31, v7
	s_mov_b64 s[8:9], exec
	v_readlane_b32 s34, v58, 38
	v_readlane_b32 s35, v58, 39
	s_and_b64 s[34:35], s[8:9], s[34:35]
	s_mov_b64 exec, s[34:35]
; %bb.186:                              ;   in Loop: Header=BB110_21 Depth=1
	ds_write_b16 v28, v3
; %bb.187:                              ;   in Loop: Header=BB110_21 Depth=1
	s_or_b64 exec, exec, s[8:9]
	v_and_b32_e32 v6, s54, v31
	v_lshl_or_b32 v31, 2, s77, v6
	v_or_b32_e32 v36, s64, v36
	s_mov_b64 s[34:35], -1
	s_mov_b64 s[36:37], 0
	s_cmp_eq_u64 s[30:31], 0
	s_mov_b64 s[8:9], 0
	s_mov_b64 s[42:43], -1
	s_waitcnt lgkmcnt(0)
	s_barrier
                                        ; implicit-def: $vgpr37
	s_cbranch_scc1 .LBB110_203
; %bb.188:                              ;   in Loop: Header=BB110_21 Depth=1
	v_readlane_b32 s8, v58, 44
	s_add_u32 s46, s30, s8
	v_readlane_b32 s8, v58, 45
	s_addc_u32 s9, s31, s8
	s_mov_b32 s8, s99
	s_cmp_lg_u64 s[8:9], 0
	s_cbranch_scc0 .LBB110_244
; %bb.189:                              ;   in Loop: Header=BB110_21 Depth=1
	v_cvt_f32_u32_e32 v6, s96
	s_sub_u32 s8, 0, s96
	s_subb_u32 s44, 0, 0
	v_fmac_f32_e32 v6, 0, v34
	v_rcp_f32_e32 v6, v6
	s_nop 0
	v_mul_f32_e32 v6, 0x5f7ffffc, v6
	v_mul_f32_e32 v7, 0x2f800000, v6
	v_trunc_f32_e32 v7, v7
	v_fmac_f32_e32 v6, 0xcf800000, v7
	v_cvt_u32_f32_e32 v7, v7
	v_cvt_u32_f32_e32 v6, v6
	v_readfirstlane_b32 s45, v7
	v_readfirstlane_b32 s42, v6
	s_mul_i32 s43, s8, s45
	s_mul_hi_u32 s48, s8, s42
	s_mul_i32 s47, s44, s42
	s_add_i32 s43, s48, s43
	s_mul_i32 s49, s8, s42
	s_add_i32 s43, s43, s47
	s_mul_hi_u32 s48, s42, s49
	s_mul_i32 s50, s42, s43
	s_mul_hi_u32 s47, s42, s43
	s_add_u32 s48, s48, s50
	s_addc_u32 s47, 0, s47
	s_mul_hi_u32 s51, s45, s49
	s_mul_i32 s49, s45, s49
	s_add_u32 s48, s48, s49
	s_mul_hi_u32 s50, s45, s43
	s_addc_u32 s47, s47, s51
	s_addc_u32 s48, s50, 0
	s_mul_i32 s43, s45, s43
	s_add_u32 s43, s47, s43
	s_addc_u32 s47, 0, s48
	s_add_u32 s48, s42, s43
	s_cselect_b64 s[42:43], -1, 0
	s_cmp_lg_u64 s[42:43], 0
	s_addc_u32 s45, s45, s47
	s_mul_i32 s42, s8, s45
	s_mul_hi_u32 s43, s8, s48
	s_add_i32 s42, s43, s42
	s_mul_i32 s44, s44, s48
	s_add_i32 s42, s42, s44
	s_mul_i32 s8, s8, s48
	s_mul_hi_u32 s44, s45, s8
	s_mul_i32 s47, s45, s8
	s_mul_i32 s50, s48, s42
	s_mul_hi_u32 s8, s48, s8
	s_mul_hi_u32 s49, s48, s42
	s_add_u32 s8, s8, s50
	s_addc_u32 s49, 0, s49
	s_add_u32 s8, s8, s47
	s_mul_hi_u32 s43, s45, s42
	s_addc_u32 s8, s49, s44
	s_addc_u32 s43, s43, 0
	s_mul_i32 s42, s45, s42
	s_add_u32 s8, s8, s42
	s_addc_u32 s44, 0, s43
	s_add_u32 s8, s48, s8
	s_cselect_b64 s[42:43], -1, 0
	s_cmp_lg_u64 s[42:43], 0
	s_addc_u32 s42, s45, s44
	s_mul_i32 s44, s46, s42
	s_mul_hi_u32 s45, s46, s8
	s_mul_hi_u32 s43, s46, s42
	s_add_u32 s44, s45, s44
	s_addc_u32 s43, 0, s43
	s_mul_hi_u32 s47, s9, s8
	s_mul_i32 s8, s9, s8
	s_add_u32 s8, s44, s8
	s_mul_hi_u32 s45, s9, s42
	s_addc_u32 s8, s43, s47
	s_addc_u32 s43, s45, 0
	s_mul_i32 s42, s9, s42
	s_add_u32 s8, s8, s42
	s_addc_u32 s42, 0, s43
	s_mul_i32 s42, s96, s42
	s_mul_hi_u32 s43, s96, s8
	s_add_i32 s44, s43, s42
	s_mul_i32 s8, s96, s8
	s_sub_u32 s8, s46, s8
	s_cselect_b64 s[42:43], -1, 0
	s_cmp_lg_u64 s[42:43], 0
	s_subb_u32 s44, s9, s44
	s_sub_u32 s45, s8, s96
	s_cselect_b64 s[42:43], -1, 0
	s_cmp_lg_u64 s[42:43], 0
	s_subb_u32 s47, s44, 0
	;; [unrolled: 4-line block ×3, first 2 shown]
	s_cmp_ge_u32 s45, s96
	s_cselect_b32 s43, -1, 0
	s_cmp_eq_u32 s47, 0
	s_cselect_b32 s43, s43, -1
	s_cmp_lg_u32 s43, 0
	s_cselect_b32 s42, s42, s47
	s_cselect_b32 s45, s48, s45
	s_cmp_ge_u32 s8, s96
	s_cselect_b32 s43, -1, 0
	s_cmp_eq_u32 s44, 0
	s_cselect_b32 s43, s43, -1
	s_cmp_lg_u32 s43, 0
	s_cselect_b32 s43, s42, s44
	s_cselect_b32 s42, s45, s8
	s_cbranch_execnz .LBB110_191
.LBB110_190:                            ;   in Loop: Header=BB110_21 Depth=1
	v_cvt_f32_u32_e32 v6, s96
	s_sub_i32 s8, 0, s96
	v_rcp_iflag_f32_e32 v6, v6
	s_nop 0
	v_mul_f32_e32 v6, 0x4f7ffffe, v6
	v_cvt_u32_f32_e32 v6, v6
	s_nop 0
	v_readfirstlane_b32 s42, v6
	s_mul_i32 s8, s8, s42
	s_mul_hi_u32 s8, s42, s8
	s_add_i32 s42, s42, s8
	s_mul_hi_u32 s8, s46, s42
	s_mul_i32 s8, s8, s96
	s_sub_i32 s8, s46, s8
	s_sub_i32 s42, s8, s96
	s_cmp_ge_u32 s8, s96
	s_cselect_b32 s8, s42, s8
	s_sub_i32 s42, s8, s96
	s_cmp_ge_u32 s8, s96
	s_cselect_b32 s98, s42, s8
	s_mov_b64 s[42:43], s[98:99]
.LBB110_191:                            ;   in Loop: Header=BB110_21 Depth=1
	s_sub_u32 s46, s46, s42
	s_subb_u32 s47, s9, s43
	v_cmp_gt_u64_e32 vcc, s[46:47], v[0:1]
	s_mov_b64 s[42:43], 0
	s_mov_b64 s[8:9], 0
                                        ; implicit-def: $vgpr37
	s_and_saveexec_b64 s[44:45], vcc
	s_cbranch_execz .LBB110_202
; %bb.192:                              ;   in Loop: Header=BB110_21 Depth=1
	v_mov_b32_e32 v8, v27
	v_mov_b64_e32 v[6:7], v[0:1]
                                        ; implicit-def: $sgpr48_sgpr49
	s_branch .LBB110_195
.LBB110_193:                            ;   in Loop: Header=BB110_195 Depth=2
	s_or_b64 exec, exec, s[50:51]
	s_waitcnt lgkmcnt(0)
	s_barrier
	ds_read_b32 v9, v3 offset:3072
	s_mov_b64 s[50:51], -1
	s_waitcnt lgkmcnt(0)
	s_barrier
	v_cmp_ne_u32_sdwa s[52:53], v9, v3 src0_sel:WORD_0 src1_sel:DWORD
	s_and_b64 vcc, exec, s[52:53]
	s_mov_b64 s[52:53], -1
	s_cbranch_vccz .LBB110_198
.LBB110_194:                            ;   in Loop: Header=BB110_195 Depth=2
	s_and_b64 s[50:51], exec, s[50:51]
	s_or_b64 s[8:9], s[50:51], s[8:9]
	s_andn2_b64 s[48:49], s[48:49], exec
	s_and_b64 s[50:51], s[52:53], exec
	s_or_b64 s[48:49], s[48:49], s[50:51]
	s_andn2_b64 exec, exec, s[8:9]
	s_cbranch_execz .LBB110_201
.LBB110_195:                            ;   Parent Loop BB110_21 Depth=1
                                        ; =>  This Inner Loop Header: Depth=2
	v_cmp_gt_u64_e32 vcc, s[30:31], v[6:7]
	s_and_saveexec_b64 s[50:51], vcc
	s_cbranch_execz .LBB110_193
; %bb.196:                              ;   in Loop: Header=BB110_195 Depth=2
	ds_read_u16 v9, v8
	s_waitcnt lgkmcnt(0)
	v_add_u32_sdwa v10, sext(v9), s76 dst_sel:DWORD dst_unused:UNUSED_PAD src0_sel:WORD_0 src1_sel:DWORD
	v_and_b32_e32 v10, v10, v36
	v_cmp_eq_u32_e32 vcc, v10, v31
	s_and_b64 exec, exec, vcc
	s_cbranch_execz .LBB110_193
; %bb.197:                              ;   in Loop: Header=BB110_195 Depth=2
	v_perm_b32 v9, v9, 1, v35
	ds_write_b32 v3, v9 offset:3072
	s_branch .LBB110_193
.LBB110_198:                            ;   in Loop: Header=BB110_195 Depth=2
	v_lshl_add_u64 v[6:7], v[6:7], 0, s[96:97]
	v_cmp_le_u64_e32 vcc, s[46:47], v[6:7]
	v_add_u32_e32 v8, s7, v8
	s_mov_b64 s[52:53], 0
	s_orn2_b64 s[50:51], vcc, exec
	s_branch .LBB110_194
.LBB110_199:                            ;   in Loop: Header=BB110_21 Depth=1
                                        ; implicit-def: $sgpr34_sgpr35
	s_branch .LBB110_141
.LBB110_200:                            ;   in Loop: Header=BB110_21 Depth=1
                                        ; implicit-def: $sgpr0_sgpr1
	s_branch .LBB110_160
.LBB110_201:                            ;   in Loop: Header=BB110_21 Depth=1
	s_or_b64 exec, exec, s[8:9]
	v_lshrrev_b32_e32 v37, 16, v9
	s_and_b64 s[8:9], s[48:49], exec
.LBB110_202:                            ;   in Loop: Header=BB110_21 Depth=1
	s_or_b64 exec, exec, s[44:45]
.LBB110_203:                            ;   in Loop: Header=BB110_21 Depth=1
	s_and_b64 vcc, exec, s[42:43]
	s_cbranch_vccz .LBB110_217
; %bb.204:                              ;   in Loop: Header=BB110_21 Depth=1
	s_mov_b32 s68, s99
	s_cmp_lg_u64 s[68:69], 0
	s_cbranch_scc0 .LBB110_245
; %bb.205:                              ;   in Loop: Header=BB110_21 Depth=1
	v_cvt_f32_u32_e32 v6, s96
	s_sub_u32 s34, 0, s96
	s_subb_u32 s35, 0, 0
	v_fmac_f32_e32 v6, 0, v34
	v_rcp_f32_e32 v6, v6
	s_nop 0
	v_mul_f32_e32 v6, 0x5f7ffffc, v6
	v_mul_f32_e32 v7, 0x2f800000, v6
	v_trunc_f32_e32 v7, v7
	v_fmac_f32_e32 v6, 0xcf800000, v7
	v_cvt_u32_f32_e32 v7, v7
	v_cvt_u32_f32_e32 v6, v6
	v_readfirstlane_b32 s36, v7
	v_readfirstlane_b32 s30, v6
	s_mul_i32 s31, s34, s36
	s_mul_hi_u32 s42, s34, s30
	s_mul_i32 s37, s35, s30
	s_add_i32 s31, s42, s31
	s_mul_i32 s43, s34, s30
	s_add_i32 s31, s31, s37
	s_mul_hi_u32 s42, s30, s43
	s_mul_i32 s44, s30, s31
	s_mul_hi_u32 s37, s30, s31
	s_add_u32 s42, s42, s44
	s_addc_u32 s37, 0, s37
	s_mul_hi_u32 s45, s36, s43
	s_mul_i32 s43, s36, s43
	s_add_u32 s42, s42, s43
	s_mul_hi_u32 s44, s36, s31
	s_addc_u32 s37, s37, s45
	s_addc_u32 s42, s44, 0
	s_mul_i32 s31, s36, s31
	s_add_u32 s31, s37, s31
	s_addc_u32 s37, 0, s42
	s_add_u32 s42, s30, s31
	s_cselect_b64 s[30:31], -1, 0
	s_cmp_lg_u64 s[30:31], 0
	s_addc_u32 s36, s36, s37
	s_mul_i32 s30, s34, s36
	s_mul_hi_u32 s31, s34, s42
	s_add_i32 s30, s31, s30
	s_mul_i32 s35, s35, s42
	s_add_i32 s30, s30, s35
	s_mul_i32 s34, s34, s42
	s_mul_hi_u32 s35, s36, s34
	s_mul_i32 s37, s36, s34
	s_mul_i32 s44, s42, s30
	s_mul_hi_u32 s34, s42, s34
	s_mul_hi_u32 s43, s42, s30
	s_add_u32 s34, s34, s44
	s_addc_u32 s43, 0, s43
	s_add_u32 s34, s34, s37
	s_mul_hi_u32 s31, s36, s30
	s_addc_u32 s34, s43, s35
	s_addc_u32 s31, s31, 0
	s_mul_i32 s30, s36, s30
	s_add_u32 s30, s34, s30
	s_addc_u32 s34, 0, s31
	s_add_u32 s35, s42, s30
	s_cselect_b64 s[30:31], -1, 0
	s_cmp_lg_u64 s[30:31], 0
	s_addc_u32 s30, s36, s34
	s_mul_i32 s34, s14, s30
	s_mul_hi_u32 s36, s14, s35
	s_mul_hi_u32 s31, s14, s30
	s_add_u32 s34, s36, s34
	s_addc_u32 s31, 0, s31
	s_mul_hi_u32 s37, s69, s35
	s_mul_i32 s35, s69, s35
	s_add_u32 s34, s34, s35
	s_mul_hi_u32 s36, s69, s30
	s_addc_u32 s31, s31, s37
	s_addc_u32 s34, s36, 0
	s_mul_i32 s30, s69, s30
	s_add_u32 s30, s31, s30
	s_addc_u32 s31, 0, s34
	s_mul_i32 s31, s96, s31
	s_mul_hi_u32 s34, s96, s30
	s_add_i32 s34, s34, s31
	s_mul_i32 s30, s96, s30
	s_sub_u32 s35, s14, s30
	s_cselect_b64 s[30:31], -1, 0
	s_cmp_lg_u64 s[30:31], 0
	s_subb_u32 s34, s69, s34
	s_sub_u32 s36, s35, s96
	s_cselect_b64 s[30:31], -1, 0
	s_cmp_lg_u64 s[30:31], 0
	s_subb_u32 s37, s34, 0
	;; [unrolled: 4-line block ×3, first 2 shown]
	s_cmp_ge_u32 s36, s96
	s_cselect_b32 s31, -1, 0
	s_cmp_eq_u32 s37, 0
	s_cselect_b32 s31, s31, -1
	s_cmp_lg_u32 s31, 0
	s_cselect_b32 s30, s30, s37
	s_cselect_b32 s36, s42, s36
	s_cmp_ge_u32 s35, s96
	s_cselect_b32 s31, -1, 0
	s_cmp_eq_u32 s34, 0
	s_cselect_b32 s31, s31, -1
	s_cmp_lg_u32 s31, 0
	s_cselect_b32 s31, s30, s34
	s_cselect_b32 s30, s36, s35
	s_cbranch_execnz .LBB110_207
.LBB110_206:                            ;   in Loop: Header=BB110_21 Depth=1
	v_cvt_f32_u32_e32 v6, s96
	s_sub_i32 s30, 0, s96
	v_rcp_iflag_f32_e32 v6, v6
	s_nop 0
	v_mul_f32_e32 v6, 0x4f7ffffe, v6
	v_cvt_u32_f32_e32 v6, v6
	s_nop 0
	v_readfirstlane_b32 s31, v6
	s_mul_i32 s30, s30, s31
	s_mul_hi_u32 s30, s31, s30
	s_add_i32 s31, s31, s30
	s_mul_hi_u32 s30, s14, s31
	s_mul_i32 s30, s30, s96
	s_sub_i32 s30, s14, s30
	s_sub_i32 s31, s30, s96
	s_cmp_ge_u32 s30, s96
	s_cselect_b32 s30, s31, s30
	s_sub_i32 s31, s30, s96
	s_cmp_ge_u32 s30, s96
	s_cselect_b32 s98, s31, s30
	s_mov_b64 s[30:31], s[98:99]
.LBB110_207:                            ;   in Loop: Header=BB110_21 Depth=1
	s_sub_u32 s34, s14, s30
	s_subb_u32 s35, s69, s31
	v_cmp_gt_u64_e32 vcc, s[34:35], v[0:1]
                                        ; implicit-def: $vgpr37
	s_and_saveexec_b64 s[30:31], vcc
	s_cbranch_execz .LBB110_216
; %bb.208:                              ;   in Loop: Header=BB110_21 Depth=1
	s_mov_b64 s[36:37], 0
	v_mov_b64_e32 v[6:7], v[0:1]
                                        ; implicit-def: $sgpr42_sgpr43
	s_branch .LBB110_211
.LBB110_209:                            ;   in Loop: Header=BB110_211 Depth=2
	s_or_b64 exec, exec, s[44:45]
	s_waitcnt lgkmcnt(0)
	s_barrier
	ds_read_b32 v8, v3 offset:3072
	s_mov_b64 s[44:45], -1
	s_waitcnt lgkmcnt(0)
	s_barrier
	v_cmp_eq_u32_sdwa s[46:47], v8, v3 src0_sel:WORD_0 src1_sel:DWORD
	s_and_b64 vcc, exec, s[46:47]
	s_mov_b64 s[46:47], -1
	s_cbranch_vccnz .LBB110_214
.LBB110_210:                            ;   in Loop: Header=BB110_211 Depth=2
	s_and_b64 s[44:45], exec, s[44:45]
	s_or_b64 s[36:37], s[44:45], s[36:37]
	s_andn2_b64 s[42:43], s[42:43], exec
	s_and_b64 s[44:45], s[46:47], exec
	s_or_b64 s[42:43], s[42:43], s[44:45]
	s_andn2_b64 exec, exec, s[36:37]
	s_cbranch_execz .LBB110_215
.LBB110_211:                            ;   Parent Loop BB110_21 Depth=1
                                        ; =>  This Inner Loop Header: Depth=2
	v_cmp_gt_u64_e32 vcc, s[56:57], v[6:7]
	s_and_saveexec_b64 s[44:45], vcc
	s_cbranch_execz .LBB110_209
; %bb.212:                              ;   in Loop: Header=BB110_211 Depth=2
	v_mul_lo_u32 v10, v7, s84
	v_mul_lo_u32 v11, v6, s85
	v_mad_u64_u32 v[8:9], s[46:47], v6, s84, 0
	v_add3_u32 v9, v9, v11, v10
	v_lshl_add_u64 v[8:9], v[8:9], 1, s[94:95]
	global_load_ushort v8, v[8:9], off
	s_waitcnt vmcnt(0)
	v_add_u32_sdwa v9, sext(v8), s76 dst_sel:DWORD dst_unused:UNUSED_PAD src0_sel:WORD_0 src1_sel:DWORD
	v_and_b32_e32 v9, v9, v36
	v_cmp_eq_u32_e32 vcc, v9, v31
	s_and_b64 exec, exec, vcc
	s_cbranch_execz .LBB110_209
; %bb.213:                              ;   in Loop: Header=BB110_211 Depth=2
	v_perm_b32 v8, v8, 1, v35
	ds_write_b32 v3, v8 offset:3072
	s_branch .LBB110_209
.LBB110_214:                            ;   in Loop: Header=BB110_211 Depth=2
	v_lshl_add_u64 v[6:7], v[6:7], 0, s[96:97]
	v_cmp_le_u64_e32 vcc, s[34:35], v[6:7]
	s_mov_b64 s[46:47], 0
	s_orn2_b64 s[44:45], vcc, exec
	s_branch .LBB110_210
.LBB110_215:                            ;   in Loop: Header=BB110_21 Depth=1
	s_or_b64 exec, exec, s[36:37]
	s_andn2_b64 s[8:9], s[8:9], exec
	s_and_b64 s[34:35], s[42:43], exec
	v_lshrrev_b32_e32 v37, 16, v8
	s_or_b64 s[8:9], s[8:9], s[34:35]
.LBB110_216:                            ;   in Loop: Header=BB110_21 Depth=1
	s_or_b64 exec, exec, s[30:31]
	s_mov_b64 s[34:35], 0
	s_mov_b64 s[36:37], -1
.LBB110_217:                            ;   in Loop: Header=BB110_21 Depth=1
	s_orn2_b64 s[8:9], s[8:9], exec
.LBB110_218:                            ;   in Loop: Header=BB110_21 Depth=1
	s_or_b64 exec, exec, s[38:39]
	s_mov_b64 s[30:31], 0
	s_and_saveexec_b64 s[38:39], s[8:9]
	s_cbranch_execz .LBB110_276
; %bb.219:                              ;   in Loop: Header=BB110_21 Depth=1
	s_xor_b64 s[40:41], s[40:41], -1
	v_mov_b32_e32 v2, 1
	v_mov_b64_e32 v[6:7], 1
	s_and_saveexec_b64 s[8:9], s[40:41]
	s_cbranch_execz .LBB110_228
; %bb.220:                              ;   in Loop: Header=BB110_21 Depth=1
	v_cmp_ge_u64_e32 vcc, s[22:23], v[4:5]
	s_and_saveexec_b64 s[30:31], vcc
	s_xor_b64 s[30:31], exec, s[30:31]
	s_cbranch_execz .LBB110_225
; %bb.221:                              ;   in Loop: Header=BB110_21 Depth=1
	ds_read_b64 v[6:7], v3 offset:5120
	v_and_b32_e32 v2, s54, v31
	v_lshl_or_b32 v31, 2, s77, v2
	v_or_b32_e32 v36, s64, v36
	s_waitcnt lgkmcnt(0)
	v_cmp_ne_u64_e32 vcc, 0, v[6:7]
	s_cbranch_vccnz .LBB110_225
; %bb.222:                              ;   in Loop: Header=BB110_21 Depth=1
	s_mov_b64 s[40:41], exec
	v_readlane_b32 s42, v58, 28
	v_readlane_b32 s43, v58, 29
	s_and_b64 s[42:43], s[40:41], s[42:43]
	s_mov_b64 exec, s[42:43]
; %bb.223:                              ;   in Loop: Header=BB110_21 Depth=1
	v_mov_b64_e32 v[6:7], s[22:23]
	ds_write_b64 v3, v[6:7] offset:5128
; %bb.224:                              ;   in Loop: Header=BB110_21 Depth=1
	s_or_b64 exec, exec, s[40:41]
	s_waitcnt lgkmcnt(0)
	s_barrier
.LBB110_225:                            ;   in Loop: Header=BB110_21 Depth=1
	s_or_saveexec_b64 s[30:31], s[30:31]
	s_mov_b64 s[40:41], 0
	v_mov_b32_e32 v2, 8
	s_xor_b64 exec, exec, s[30:31]
; %bb.226:                              ;   in Loop: Header=BB110_21 Depth=1
	v_mov_b32_e32 v2, s23
	v_subrev_co_u32_e32 v4, vcc, s22, v4
	s_mov_b64 s[40:41], exec
	s_nop 0
	v_subb_co_u32_e32 v5, vcc, v5, v2, vcc
	v_mov_b32_e32 v2, 0
; %bb.227:                              ;   in Loop: Header=BB110_21 Depth=1
	s_or_b64 exec, exec, s[30:31]
	s_and_b64 s[30:31], s[40:41], exec
	v_mov_b64_e32 v[6:7], v[4:5]
.LBB110_228:                            ;   in Loop: Header=BB110_21 Depth=1
	s_or_b64 exec, exec, s[8:9]
	s_mov_b64 s[8:9], -1
                                        ; implicit-def: $sgpr46_sgpr47
                                        ; implicit-def: $sgpr44_sgpr45
	s_and_saveexec_b64 s[22:23], s[30:31]
	s_cbranch_execz .LBB110_275
; %bb.229:                              ;   in Loop: Header=BB110_21 Depth=1
	s_cmp_eq_u64 s[2:3], 1
	s_cselect_b64 s[8:9], -1, 0
	v_cmp_eq_u64_e32 vcc, 1, v[6:7]
	s_and_b64 s[40:41], s[8:9], vcc
	s_mov_b64 s[30:31], -1
                                        ; implicit-def: $sgpr46_sgpr47
                                        ; implicit-def: $sgpr44_sgpr45
	s_and_saveexec_b64 s[42:43], s[40:41]
	s_cbranch_execz .LBB110_263
; %bb.230:                              ;   in Loop: Header=BB110_21 Depth=1
	ds_read_b64 v[4:5], v3 offset:5120
	s_waitcnt lgkmcnt(0)
	s_barrier
	v_readfirstlane_b32 s30, v4
	v_readfirstlane_b32 s31, v5
	s_mov_b64 s[8:9], exec
	v_readlane_b32 s44, v58, 38
	v_readlane_b32 s45, v58, 39
	s_and_b64 s[44:45], s[8:9], s[44:45]
	s_mov_b64 exec, s[44:45]
; %bb.231:                              ;   in Loop: Header=BB110_21 Depth=1
	ds_write_b16 v28, v3
; %bb.232:                              ;   in Loop: Header=BB110_21 Depth=1
	s_or_b64 exec, exec, s[8:9]
	v_or_b32_e32 v31, s64, v31
	v_or_b32_e32 v36, s64, v36
	s_mov_b64 s[44:45], -1
	s_mov_b64 s[46:47], 0
	s_cmp_eq_u64 s[30:31], 0
	s_mov_b64 s[8:9], 0
	s_mov_b64 s[48:49], -1
	s_waitcnt lgkmcnt(0)
	s_barrier
                                        ; implicit-def: $vgpr37
	s_cbranch_scc1 .LBB110_248
; %bb.233:                              ;   in Loop: Header=BB110_21 Depth=1
	v_readlane_b32 s8, v58, 44
	s_add_u32 s52, s30, s8
	v_readlane_b32 s8, v58, 45
	s_addc_u32 s9, s31, s8
	s_mov_b32 s8, s99
	s_cmp_lg_u64 s[8:9], 0
	s_cbranch_scc0 .LBB110_282
; %bb.234:                              ;   in Loop: Header=BB110_21 Depth=1
	v_cvt_f32_u32_e32 v4, s96
	s_sub_u32 s8, 0, s96
	s_subb_u32 s50, 0, 0
	v_fmac_f32_e32 v4, 0, v34
	v_rcp_f32_e32 v4, v4
	s_nop 0
	v_mul_f32_e32 v4, 0x5f7ffffc, v4
	v_mul_f32_e32 v5, 0x2f800000, v4
	v_trunc_f32_e32 v5, v5
	v_fmac_f32_e32 v4, 0xcf800000, v5
	v_cvt_u32_f32_e32 v5, v5
	v_cvt_u32_f32_e32 v4, v4
	v_readfirstlane_b32 s51, v5
	v_readfirstlane_b32 s48, v4
	s_mul_i32 s49, s8, s51
	s_mul_hi_u32 s54, s8, s48
	s_mul_i32 s53, s50, s48
	s_add_i32 s49, s54, s49
	s_mul_i32 s55, s8, s48
	s_add_i32 s49, s49, s53
	s_mul_hi_u32 s54, s48, s55
	s_mul_i32 s60, s48, s49
	s_mul_hi_u32 s53, s48, s49
	s_add_u32 s54, s54, s60
	s_addc_u32 s53, 0, s53
	s_mul_hi_u32 s61, s51, s55
	s_mul_i32 s55, s51, s55
	s_add_u32 s54, s54, s55
	s_mul_hi_u32 s60, s51, s49
	s_addc_u32 s53, s53, s61
	s_addc_u32 s54, s60, 0
	s_mul_i32 s49, s51, s49
	s_add_u32 s49, s53, s49
	s_addc_u32 s53, 0, s54
	s_add_u32 s54, s48, s49
	s_cselect_b64 s[48:49], -1, 0
	s_cmp_lg_u64 s[48:49], 0
	s_addc_u32 s51, s51, s53
	s_mul_i32 s48, s8, s51
	s_mul_hi_u32 s49, s8, s54
	s_add_i32 s48, s49, s48
	s_mul_i32 s50, s50, s54
	s_add_i32 s48, s48, s50
	s_mul_i32 s8, s8, s54
	s_mul_hi_u32 s50, s51, s8
	s_mul_i32 s53, s51, s8
	s_mul_i32 s60, s54, s48
	s_mul_hi_u32 s8, s54, s8
	s_mul_hi_u32 s55, s54, s48
	s_add_u32 s8, s8, s60
	s_addc_u32 s55, 0, s55
	s_add_u32 s8, s8, s53
	s_mul_hi_u32 s49, s51, s48
	s_addc_u32 s8, s55, s50
	s_addc_u32 s49, s49, 0
	s_mul_i32 s48, s51, s48
	s_add_u32 s8, s8, s48
	s_addc_u32 s50, 0, s49
	s_add_u32 s8, s54, s8
	s_cselect_b64 s[48:49], -1, 0
	s_cmp_lg_u64 s[48:49], 0
	s_addc_u32 s48, s51, s50
	s_mul_i32 s50, s52, s48
	s_mul_hi_u32 s51, s52, s8
	s_mul_hi_u32 s49, s52, s48
	s_add_u32 s50, s51, s50
	s_addc_u32 s49, 0, s49
	s_mul_hi_u32 s53, s9, s8
	s_mul_i32 s8, s9, s8
	s_add_u32 s8, s50, s8
	s_mul_hi_u32 s51, s9, s48
	s_addc_u32 s8, s49, s53
	s_addc_u32 s49, s51, 0
	s_mul_i32 s48, s9, s48
	s_add_u32 s8, s8, s48
	s_addc_u32 s48, 0, s49
	s_mul_i32 s48, s96, s48
	s_mul_hi_u32 s49, s96, s8
	s_add_i32 s50, s49, s48
	s_mul_i32 s8, s96, s8
	s_sub_u32 s8, s52, s8
	s_cselect_b64 s[48:49], -1, 0
	s_cmp_lg_u64 s[48:49], 0
	s_subb_u32 s50, s9, s50
	s_sub_u32 s51, s8, s96
	s_cselect_b64 s[48:49], -1, 0
	s_cmp_lg_u64 s[48:49], 0
	s_subb_u32 s53, s50, 0
	;; [unrolled: 4-line block ×3, first 2 shown]
	s_cmp_ge_u32 s51, s96
	s_cselect_b32 s49, -1, 0
	s_cmp_eq_u32 s53, 0
	s_cselect_b32 s49, s49, -1
	s_cmp_lg_u32 s49, 0
	s_cselect_b32 s48, s48, s53
	s_cselect_b32 s51, s54, s51
	s_cmp_ge_u32 s8, s96
	s_cselect_b32 s49, -1, 0
	s_cmp_eq_u32 s50, 0
	s_cselect_b32 s49, s49, -1
	s_cmp_lg_u32 s49, 0
	s_cselect_b32 s49, s48, s50
	s_cselect_b32 s48, s51, s8
	s_cbranch_execnz .LBB110_236
.LBB110_235:                            ;   in Loop: Header=BB110_21 Depth=1
	v_cvt_f32_u32_e32 v4, s96
	s_sub_i32 s8, 0, s96
	v_rcp_iflag_f32_e32 v4, v4
	s_nop 0
	v_mul_f32_e32 v4, 0x4f7ffffe, v4
	v_cvt_u32_f32_e32 v4, v4
	s_nop 0
	v_readfirstlane_b32 s48, v4
	s_mul_i32 s8, s8, s48
	s_mul_hi_u32 s8, s48, s8
	s_add_i32 s48, s48, s8
	s_mul_hi_u32 s8, s52, s48
	s_mul_i32 s8, s8, s96
	s_sub_i32 s8, s52, s8
	s_sub_i32 s48, s8, s96
	s_cmp_ge_u32 s8, s96
	s_cselect_b32 s8, s48, s8
	s_sub_i32 s48, s8, s96
	s_cmp_ge_u32 s8, s96
	s_cselect_b32 s98, s48, s8
	s_mov_b64 s[48:49], s[98:99]
.LBB110_236:                            ;   in Loop: Header=BB110_21 Depth=1
	s_sub_u32 s52, s52, s48
	s_subb_u32 s53, s9, s49
	v_cmp_gt_u64_e32 vcc, s[52:53], v[0:1]
	s_mov_b64 s[48:49], 0
	s_mov_b64 s[8:9], 0
                                        ; implicit-def: $vgpr37
	s_and_saveexec_b64 s[50:51], vcc
	s_cbranch_execz .LBB110_247
; %bb.237:                              ;   in Loop: Header=BB110_21 Depth=1
	v_mov_b32_e32 v8, v27
	v_mov_b64_e32 v[4:5], v[0:1]
                                        ; implicit-def: $sgpr54_sgpr55
	s_branch .LBB110_240
.LBB110_238:                            ;   in Loop: Header=BB110_240 Depth=2
	s_or_b64 exec, exec, s[60:61]
	s_waitcnt lgkmcnt(0)
	s_barrier
	ds_read_b32 v9, v3 offset:3072
	s_mov_b64 s[60:61], -1
	s_waitcnt lgkmcnt(0)
	s_barrier
	v_cmp_ne_u32_sdwa s[62:63], v9, v3 src0_sel:WORD_0 src1_sel:DWORD
	s_and_b64 vcc, exec, s[62:63]
	s_mov_b64 s[62:63], -1
	s_cbranch_vccz .LBB110_243
.LBB110_239:                            ;   in Loop: Header=BB110_240 Depth=2
	s_and_b64 s[60:61], exec, s[60:61]
	s_or_b64 s[8:9], s[60:61], s[8:9]
	s_andn2_b64 s[54:55], s[54:55], exec
	s_and_b64 s[60:61], s[62:63], exec
	s_or_b64 s[54:55], s[54:55], s[60:61]
	s_andn2_b64 exec, exec, s[8:9]
	s_cbranch_execz .LBB110_246
.LBB110_240:                            ;   Parent Loop BB110_21 Depth=1
                                        ; =>  This Inner Loop Header: Depth=2
	v_cmp_gt_u64_e32 vcc, s[30:31], v[4:5]
	s_and_saveexec_b64 s[60:61], vcc
	s_cbranch_execz .LBB110_238
; %bb.241:                              ;   in Loop: Header=BB110_240 Depth=2
	ds_read_u16 v9, v8
	s_waitcnt lgkmcnt(0)
	v_add_u32_sdwa v10, sext(v9), s76 dst_sel:DWORD dst_unused:UNUSED_PAD src0_sel:WORD_0 src1_sel:DWORD
	v_and_b32_e32 v10, v10, v36
	v_cmp_eq_u32_e32 vcc, v10, v31
	s_and_b64 exec, exec, vcc
	s_cbranch_execz .LBB110_238
; %bb.242:                              ;   in Loop: Header=BB110_240 Depth=2
	v_perm_b32 v9, v9, 1, v35
	ds_write_b32 v3, v9 offset:3072
	s_branch .LBB110_238
.LBB110_243:                            ;   in Loop: Header=BB110_240 Depth=2
	v_lshl_add_u64 v[4:5], v[4:5], 0, s[96:97]
	v_cmp_le_u64_e32 vcc, s[52:53], v[4:5]
	v_add_u32_e32 v8, s7, v8
	s_mov_b64 s[62:63], 0
	s_orn2_b64 s[60:61], vcc, exec
	s_branch .LBB110_239
.LBB110_244:                            ;   in Loop: Header=BB110_21 Depth=1
                                        ; implicit-def: $sgpr42_sgpr43
	s_branch .LBB110_190
.LBB110_245:                            ;   in Loop: Header=BB110_21 Depth=1
                                        ; implicit-def: $sgpr30_sgpr31
	s_branch .LBB110_206
.LBB110_246:                            ;   in Loop: Header=BB110_21 Depth=1
	s_or_b64 exec, exec, s[8:9]
	v_lshrrev_b32_e32 v37, 16, v9
	s_and_b64 s[8:9], s[54:55], exec
.LBB110_247:                            ;   in Loop: Header=BB110_21 Depth=1
	s_or_b64 exec, exec, s[50:51]
.LBB110_248:                            ;   in Loop: Header=BB110_21 Depth=1
	s_and_b64 vcc, exec, s[48:49]
	s_cbranch_vccz .LBB110_262
; %bb.249:                              ;   in Loop: Header=BB110_21 Depth=1
	s_mov_b32 s68, s99
	s_cmp_lg_u64 s[68:69], 0
	s_cbranch_scc0 .LBB110_283
; %bb.250:                              ;   in Loop: Header=BB110_21 Depth=1
	v_cvt_f32_u32_e32 v4, s96
	s_sub_u32 s44, 0, s96
	s_subb_u32 s45, 0, 0
	v_fmac_f32_e32 v4, 0, v34
	v_rcp_f32_e32 v4, v4
	s_nop 0
	v_mul_f32_e32 v4, 0x5f7ffffc, v4
	v_mul_f32_e32 v5, 0x2f800000, v4
	v_trunc_f32_e32 v5, v5
	v_fmac_f32_e32 v4, 0xcf800000, v5
	v_cvt_u32_f32_e32 v5, v5
	v_cvt_u32_f32_e32 v4, v4
	v_readfirstlane_b32 s46, v5
	v_readfirstlane_b32 s30, v4
	s_mul_i32 s31, s44, s46
	s_mul_hi_u32 s48, s44, s30
	s_mul_i32 s47, s45, s30
	s_add_i32 s31, s48, s31
	s_mul_i32 s49, s44, s30
	s_add_i32 s31, s31, s47
	s_mul_hi_u32 s48, s30, s49
	s_mul_i32 s50, s30, s31
	s_mul_hi_u32 s47, s30, s31
	s_add_u32 s48, s48, s50
	s_addc_u32 s47, 0, s47
	s_mul_hi_u32 s51, s46, s49
	s_mul_i32 s49, s46, s49
	s_add_u32 s48, s48, s49
	s_mul_hi_u32 s50, s46, s31
	s_addc_u32 s47, s47, s51
	s_addc_u32 s48, s50, 0
	s_mul_i32 s31, s46, s31
	s_add_u32 s31, s47, s31
	s_addc_u32 s47, 0, s48
	s_add_u32 s48, s30, s31
	s_cselect_b64 s[30:31], -1, 0
	s_cmp_lg_u64 s[30:31], 0
	s_addc_u32 s46, s46, s47
	s_mul_i32 s30, s44, s46
	s_mul_hi_u32 s31, s44, s48
	s_add_i32 s30, s31, s30
	s_mul_i32 s45, s45, s48
	s_add_i32 s30, s30, s45
	s_mul_i32 s44, s44, s48
	s_mul_hi_u32 s45, s46, s44
	s_mul_i32 s47, s46, s44
	s_mul_i32 s50, s48, s30
	s_mul_hi_u32 s44, s48, s44
	s_mul_hi_u32 s49, s48, s30
	s_add_u32 s44, s44, s50
	s_addc_u32 s49, 0, s49
	s_add_u32 s44, s44, s47
	s_mul_hi_u32 s31, s46, s30
	s_addc_u32 s44, s49, s45
	s_addc_u32 s31, s31, 0
	s_mul_i32 s30, s46, s30
	s_add_u32 s30, s44, s30
	s_addc_u32 s44, 0, s31
	s_add_u32 s45, s48, s30
	s_cselect_b64 s[30:31], -1, 0
	s_cmp_lg_u64 s[30:31], 0
	s_addc_u32 s30, s46, s44
	s_mul_i32 s44, s14, s30
	s_mul_hi_u32 s46, s14, s45
	s_mul_hi_u32 s31, s14, s30
	s_add_u32 s44, s46, s44
	s_addc_u32 s31, 0, s31
	s_mul_hi_u32 s47, s69, s45
	s_mul_i32 s45, s69, s45
	s_add_u32 s44, s44, s45
	s_mul_hi_u32 s46, s69, s30
	s_addc_u32 s31, s31, s47
	s_addc_u32 s44, s46, 0
	s_mul_i32 s30, s69, s30
	s_add_u32 s30, s31, s30
	s_addc_u32 s31, 0, s44
	s_mul_i32 s31, s96, s31
	s_mul_hi_u32 s44, s96, s30
	s_add_i32 s44, s44, s31
	s_mul_i32 s30, s96, s30
	s_sub_u32 s45, s14, s30
	s_cselect_b64 s[30:31], -1, 0
	s_cmp_lg_u64 s[30:31], 0
	s_subb_u32 s44, s69, s44
	s_sub_u32 s46, s45, s96
	s_cselect_b64 s[30:31], -1, 0
	s_cmp_lg_u64 s[30:31], 0
	s_subb_u32 s47, s44, 0
	;; [unrolled: 4-line block ×3, first 2 shown]
	s_cmp_ge_u32 s46, s96
	s_cselect_b32 s31, -1, 0
	s_cmp_eq_u32 s47, 0
	s_cselect_b32 s31, s31, -1
	s_cmp_lg_u32 s31, 0
	s_cselect_b32 s30, s30, s47
	s_cselect_b32 s46, s48, s46
	s_cmp_ge_u32 s45, s96
	s_cselect_b32 s31, -1, 0
	s_cmp_eq_u32 s44, 0
	s_cselect_b32 s31, s31, -1
	s_cmp_lg_u32 s31, 0
	s_cselect_b32 s31, s30, s44
	s_cselect_b32 s30, s46, s45
	s_cbranch_execnz .LBB110_252
.LBB110_251:                            ;   in Loop: Header=BB110_21 Depth=1
	v_cvt_f32_u32_e32 v4, s96
	s_sub_i32 s30, 0, s96
	v_rcp_iflag_f32_e32 v4, v4
	s_nop 0
	v_mul_f32_e32 v4, 0x4f7ffffe, v4
	v_cvt_u32_f32_e32 v4, v4
	s_nop 0
	v_readfirstlane_b32 s31, v4
	s_mul_i32 s30, s30, s31
	s_mul_hi_u32 s30, s31, s30
	s_add_i32 s31, s31, s30
	s_mul_hi_u32 s30, s14, s31
	s_mul_i32 s30, s30, s96
	s_sub_i32 s30, s14, s30
	s_sub_i32 s31, s30, s96
	s_cmp_ge_u32 s30, s96
	s_cselect_b32 s30, s31, s30
	s_sub_i32 s31, s30, s96
	s_cmp_ge_u32 s30, s96
	s_cselect_b32 s98, s31, s30
	s_mov_b64 s[30:31], s[98:99]
.LBB110_252:                            ;   in Loop: Header=BB110_21 Depth=1
	s_sub_u32 s44, s14, s30
	s_subb_u32 s45, s69, s31
	v_cmp_gt_u64_e32 vcc, s[44:45], v[0:1]
                                        ; implicit-def: $vgpr37
	s_and_saveexec_b64 s[30:31], vcc
	s_cbranch_execz .LBB110_261
; %bb.253:                              ;   in Loop: Header=BB110_21 Depth=1
	s_mov_b64 s[46:47], 0
	v_mov_b64_e32 v[4:5], v[0:1]
                                        ; implicit-def: $sgpr48_sgpr49
	s_branch .LBB110_256
.LBB110_254:                            ;   in Loop: Header=BB110_256 Depth=2
	s_or_b64 exec, exec, s[50:51]
	s_waitcnt lgkmcnt(0)
	s_barrier
	ds_read_b32 v8, v3 offset:3072
	s_mov_b64 s[50:51], -1
	s_waitcnt lgkmcnt(0)
	s_barrier
	v_cmp_eq_u32_sdwa s[52:53], v8, v3 src0_sel:WORD_0 src1_sel:DWORD
	s_and_b64 vcc, exec, s[52:53]
	s_mov_b64 s[52:53], -1
	s_cbranch_vccnz .LBB110_259
.LBB110_255:                            ;   in Loop: Header=BB110_256 Depth=2
	s_and_b64 s[50:51], exec, s[50:51]
	s_or_b64 s[46:47], s[50:51], s[46:47]
	s_andn2_b64 s[48:49], s[48:49], exec
	s_and_b64 s[50:51], s[52:53], exec
	s_or_b64 s[48:49], s[48:49], s[50:51]
	s_andn2_b64 exec, exec, s[46:47]
	s_cbranch_execz .LBB110_260
.LBB110_256:                            ;   Parent Loop BB110_21 Depth=1
                                        ; =>  This Inner Loop Header: Depth=2
	v_cmp_gt_u64_e32 vcc, s[56:57], v[4:5]
	s_and_saveexec_b64 s[50:51], vcc
	s_cbranch_execz .LBB110_254
; %bb.257:                              ;   in Loop: Header=BB110_256 Depth=2
	v_mul_lo_u32 v10, v5, s84
	v_mul_lo_u32 v11, v4, s85
	v_mad_u64_u32 v[8:9], s[52:53], v4, s84, 0
	v_add3_u32 v9, v9, v11, v10
	v_lshl_add_u64 v[8:9], v[8:9], 1, s[94:95]
	global_load_ushort v8, v[8:9], off
	s_waitcnt vmcnt(0)
	v_add_u32_sdwa v9, sext(v8), s76 dst_sel:DWORD dst_unused:UNUSED_PAD src0_sel:WORD_0 src1_sel:DWORD
	v_and_b32_e32 v9, v9, v36
	v_cmp_eq_u32_e32 vcc, v9, v31
	s_and_b64 exec, exec, vcc
	s_cbranch_execz .LBB110_254
; %bb.258:                              ;   in Loop: Header=BB110_256 Depth=2
	v_perm_b32 v8, v8, 1, v35
	ds_write_b32 v3, v8 offset:3072
	s_branch .LBB110_254
.LBB110_259:                            ;   in Loop: Header=BB110_256 Depth=2
	v_lshl_add_u64 v[4:5], v[4:5], 0, s[96:97]
	v_cmp_le_u64_e32 vcc, s[44:45], v[4:5]
	s_mov_b64 s[52:53], 0
	s_orn2_b64 s[50:51], vcc, exec
	s_branch .LBB110_255
.LBB110_260:                            ;   in Loop: Header=BB110_21 Depth=1
	s_or_b64 exec, exec, s[46:47]
	s_andn2_b64 s[8:9], s[8:9], exec
	s_and_b64 s[44:45], s[48:49], exec
	v_lshrrev_b32_e32 v37, 16, v8
	s_or_b64 s[8:9], s[8:9], s[44:45]
.LBB110_261:                            ;   in Loop: Header=BB110_21 Depth=1
	s_or_b64 exec, exec, s[30:31]
	s_mov_b64 s[44:45], 0
	s_mov_b64 s[46:47], -1
.LBB110_262:                            ;   in Loop: Header=BB110_21 Depth=1
	s_orn2_b64 s[30:31], s[8:9], exec
.LBB110_263:                            ;   in Loop: Header=BB110_21 Depth=1
	s_or_b64 exec, exec, s[42:43]
	s_mov_b64 s[42:43], 0
	s_and_saveexec_b64 s[8:9], s[30:31]
	s_cbranch_execz .LBB110_274
; %bb.264:                              ;   in Loop: Header=BB110_21 Depth=1
	s_xor_b64 s[40:41], s[40:41], -1
	v_mov_b64_e32 v[4:5], 1
	v_mov_b32_e32 v2, 1
	s_and_saveexec_b64 s[30:31], s[40:41]
	s_cbranch_execz .LBB110_273
; %bb.265:                              ;   in Loop: Header=BB110_21 Depth=1
	v_cmp_ge_u64_e32 vcc, s[2:3], v[6:7]
	s_and_saveexec_b64 s[40:41], vcc
	s_xor_b64 s[40:41], exec, s[40:41]
	s_cbranch_execz .LBB110_270
; %bb.266:                              ;   in Loop: Header=BB110_21 Depth=1
	ds_read_b64 v[4:5], v3 offset:5120
	v_or_b32_e32 v31, s64, v31
	v_or_b32_e32 v36, s64, v36
	s_waitcnt lgkmcnt(0)
	v_cmp_ne_u64_e32 vcc, 0, v[4:5]
	s_cbranch_vccnz .LBB110_270
; %bb.267:                              ;   in Loop: Header=BB110_21 Depth=1
	s_mov_b64 s[42:43], exec
	v_readlane_b32 s48, v58, 28
	v_readlane_b32 s49, v58, 29
	s_and_b64 s[48:49], s[42:43], s[48:49]
	s_mov_b64 exec, s[48:49]
; %bb.268:                              ;   in Loop: Header=BB110_21 Depth=1
	v_mov_b64_e32 v[4:5], s[2:3]
	ds_write_b64 v3, v[4:5] offset:5128
; %bb.269:                              ;   in Loop: Header=BB110_21 Depth=1
	s_or_b64 exec, exec, s[42:43]
	s_waitcnt lgkmcnt(0)
	s_barrier
.LBB110_270:                            ;   in Loop: Header=BB110_21 Depth=1
	s_andn2_saveexec_b64 s[40:41], s[40:41]
; %bb.271:                              ;   in Loop: Header=BB110_21 Depth=1
	v_mov_b32_e32 v2, s3
	v_subrev_co_u32_e32 v6, vcc, s2, v6
	s_nop 1
	v_subb_co_u32_e32 v7, vcc, v7, v2, vcc
; %bb.272:                              ;   in Loop: Header=BB110_21 Depth=1
	s_or_b64 exec, exec, s[40:41]
	v_mov_b32_e32 v2, 8
	v_mov_b64_e32 v[4:5], v[6:7]
.LBB110_273:                            ;   in Loop: Header=BB110_21 Depth=1
	s_or_b64 exec, exec, s[30:31]
	s_mov_b64 s[42:43], exec
	v_mov_b64_e32 v[6:7], v[4:5]
.LBB110_274:                            ;   in Loop: Header=BB110_21 Depth=1
	s_or_b64 exec, exec, s[8:9]
	s_orn2_b64 s[8:9], s[42:43], exec
.LBB110_275:                            ;   in Loop: Header=BB110_21 Depth=1
	s_or_b64 exec, exec, s[22:23]
	s_andn2_b64 s[2:3], s[36:37], exec
	s_and_b64 s[22:23], s[46:47], exec
	s_or_b64 s[36:37], s[2:3], s[22:23]
	s_andn2_b64 s[2:3], s[34:35], exec
	s_and_b64 s[22:23], s[44:45], exec
	s_or_b64 s[34:35], s[2:3], s[22:23]
	s_and_b64 s[30:31], s[8:9], exec
	v_mov_b64_e32 v[4:5], v[6:7]
.LBB110_276:                            ;   in Loop: Header=BB110_21 Depth=1
	s_or_b64 exec, exec, s[38:39]
	s_orn2_b64 s[8:9], s[30:31], exec
.LBB110_277:                            ;   in Loop: Header=BB110_21 Depth=1
	s_or_b64 exec, exec, s[28:29]
	s_andn2_b64 s[2:3], s[24:25], exec
	s_and_b64 s[22:23], s[36:37], exec
	s_or_b64 s[24:25], s[2:3], s[22:23]
	s_andn2_b64 s[0:1], s[0:1], exec
	s_and_b64 s[2:3], s[34:35], exec
	s_or_b64 s[0:1], s[0:1], s[2:3]
	s_and_b64 s[30:31], s[8:9], exec
	v_mov_b64_e32 v[8:9], v[4:5]
.LBB110_278:                            ;   in Loop: Header=BB110_21 Depth=1
	s_or_b64 exec, exec, s[26:27]
	s_orn2_b64 s[8:9], s[30:31], exec
.LBB110_279:                            ;   in Loop: Header=BB110_21 Depth=1
	s_or_b64 exec, exec, s[20:21]
	s_mov_b64 s[20:21], 0
	s_and_saveexec_b64 s[2:3], s[8:9]
	s_xor_b64 s[2:3], exec, s[2:3]
	s_cbranch_execz .LBB110_19
; %bb.280:                              ;   in Loop: Header=BB110_21 Depth=1
	v_and_b32_e32 v2, 7, v2
	v_cmp_eq_u32_e32 vcc, 0, v2
	s_mov_b64 s[8:9], -1
	s_mov_b64 s[18:19], -1
	s_and_saveexec_b64 s[20:21], vcc
	s_cbranch_execz .LBB110_18
; %bb.281:                              ;   in Loop: Header=BB110_21 Depth=1
	s_xor_b32 s87, s87, 1
	s_add_i32 s22, s77, -2
	s_cmp_eq_u32 s77, 0
	s_cselect_b64 s[8:9], -1, 0
	s_xor_b64 s[18:19], exec, -1
	s_orn2_b64 s[8:9], s[8:9], exec
	s_mov_b32 s77, s22
	s_branch .LBB110_18
.LBB110_282:                            ;   in Loop: Header=BB110_21 Depth=1
                                        ; implicit-def: $sgpr48_sgpr49
	s_branch .LBB110_235
.LBB110_283:                            ;   in Loop: Header=BB110_21 Depth=1
                                        ; implicit-def: $sgpr30_sgpr31
	s_branch .LBB110_251
.LBB110_284:
	s_or_b64 exec, exec, s[12:13]
	s_xor_b64 s[6:7], s[72:73], -1
	s_xor_b64 s[0:1], s[90:91], -1
	;; [unrolled: 1-line block ×3, first 2 shown]
	s_mov_b64 s[2:3], 0
	s_and_saveexec_b64 s[8:9], s[0:1]
	s_xor_b64 s[0:1], exec, s[8:9]
	s_cbranch_execnz .LBB110_289
; %bb.285:
	s_andn2_saveexec_b64 s[0:1], s[0:1]
	s_cbranch_execnz .LBB110_302
.LBB110_286:
	s_or_b64 exec, exec, s[0:1]
	s_and_saveexec_b64 s[0:1], s[2:3]
.LBB110_287:
	; divergent unreachable
.LBB110_288:
	s_endpgm
.LBB110_289:
	s_and_saveexec_b64 s[2:3], s[6:7]
	s_xor_b64 s[2:3], exec, s[2:3]
	s_cbranch_execz .LBB110_300
; %bb.290:
	s_and_saveexec_b64 s[6:7], s[4:5]
	s_xor_b64 s[4:5], exec, s[6:7]
; %bb.291:
	v_xor_b32_e32 v37, 0xffff8000, v31
; %bb.292:
	s_or_b64 exec, exec, s[4:5]
	v_readlane_b32 s8, v58, 2
	v_readlane_b32 s4, v58, 0
	;; [unrolled: 1-line block ×4, first 2 shown]
	s_mov_b32 s14, s4
	s_mul_i32 s4, s4, s9
	s_mul_hi_u32 s5, s14, s8
	s_add_i32 s5, s5, s4
	s_mul_i32 s4, s14, s8
	v_readlane_b32 s12, v58, 6
	v_readlane_b32 s16, v58, 24
	;; [unrolled: 1-line block ×3, first 2 shown]
	s_sub_u32 s4, s12, s4
	v_readlane_b32 s18, v58, 26
	v_readlane_b32 s19, v58, 27
	s_subb_u32 s5, s13, s5
	s_mul_i32 s6, s4, s19
	s_mul_hi_u32 s7, s4, s18
	v_readlane_b32 s10, v58, 4
	v_readlane_b32 s11, v58, 5
	;; [unrolled: 1-line block ×3, first 2 shown]
	s_add_i32 s6, s7, s6
	s_mul_i32 s5, s5, s18
	s_add_i32 s5, s6, s5
	s_mul_i32 s6, s14, s17
	s_mul_hi_u32 s7, s14, s16
	s_mul_i32 s8, s12, s11
	s_mul_hi_u32 s9, s12, s10
	s_mul_i32 s4, s4, s18
	s_add_i32 s7, s7, s6
	s_add_i32 s9, s9, s8
	s_mul_i32 s8, s12, s10
	v_readlane_b32 s18, v58, 34
	v_readlane_b32 s12, v58, 22
	s_sub_u32 s8, s18, s8
	v_readlane_b32 s13, v58, 23
	s_subb_u32 s9, 0, s9
	s_mul_i32 s10, s8, s13
	s_mul_hi_u32 s11, s8, s12
	s_mul_i32 s6, s14, s16
	s_add_i32 s10, s11, s10
	s_mul_i32 s9, s9, s12
	s_add_i32 s9, s10, s9
	s_lshl_b64 s[6:7], s[6:7], 1
	v_readlane_b32 s10, v58, 32
	v_readlane_b32 s11, v58, 33
	s_add_u32 s6, s10, s6
	s_addc_u32 s7, s11, s7
	s_lshl_b64 s[4:5], s[4:5], 1
	s_mul_i32 s8, s8, s12
	s_add_u32 s6, s6, s4
	s_addc_u32 s7, s7, s5
	s_lshl_b64 s[4:5], s[8:9], 1
	s_add_u32 s4, s6, s4
	s_addc_u32 s5, s7, s5
	v_mov_b32_e32 v2, 0
	v_readlane_b32 s19, v58, 35
	global_store_short v2, v37, s[4:5]
	s_mov_b64 s[4:5], exec
	v_readlane_b32 s6, v58, 36
	v_readlane_b32 s7, v58, 37
	s_and_b64 s[6:7], s[4:5], s[6:7]
	s_mov_b64 exec, s[6:7]
	s_cbranch_execz .LBB110_299
; %bb.293:
	s_mov_b64 s[6:7], 0
                                        ; implicit-def: $sgpr8_sgpr9
                                        ; implicit-def: $sgpr12_sgpr13
                                        ; implicit-def: $sgpr10_sgpr11
	s_branch .LBB110_295
.LBB110_294:                            ;   in Loop: Header=BB110_295 Depth=1
	s_or_b64 exec, exec, s[14:15]
	s_and_b64 s[14:15], exec, s[12:13]
	s_or_b64 s[6:7], s[14:15], s[6:7]
	s_andn2_b64 s[8:9], s[8:9], exec
	s_and_b64 s[14:15], s[10:11], exec
	s_or_b64 s[8:9], s[8:9], s[14:15]
	s_andn2_b64 exec, exec, s[6:7]
	s_cbranch_execz .LBB110_297
.LBB110_295:                            ; =>This Inner Loop Header: Depth=1
	v_mov_b64_e32 v[2:3], v[0:1]
	v_mul_lo_u32 v4, v3, s84
	v_mul_lo_u32 v5, v2, s85
	v_mad_u64_u32 v[0:1], s[14:15], v2, s84, 0
	v_add3_u32 v1, v1, v5, v4
	v_lshl_add_u64 v[0:1], v[0:1], 1, s[94:95]
	global_load_ushort v0, v[0:1], off
	s_or_b64 s[10:11], s[10:11], exec
	s_or_b64 s[12:13], s[12:13], exec
	s_waitcnt vmcnt(0)
	v_cmp_ne_u16_e32 vcc, v0, v37
                                        ; implicit-def: $vgpr0_vgpr1
	s_and_saveexec_b64 s[14:15], vcc
	s_cbranch_execz .LBB110_294
; %bb.296:                              ;   in Loop: Header=BB110_295 Depth=1
	v_lshl_add_u64 v[0:1], v[2:3], 0, s[96:97]
	v_cmp_le_u64_e32 vcc, s[56:57], v[0:1]
	s_andn2_b64 s[12:13], s[12:13], exec
	s_and_b64 s[16:17], vcc, exec
	s_andn2_b64 s[10:11], s[10:11], exec
	s_or_b64 s[12:13], s[12:13], s[16:17]
	s_branch .LBB110_294
.LBB110_297:
	s_or_b64 exec, exec, s[6:7]
	s_and_saveexec_b64 s[6:7], s[8:9]
	s_xor_b64 s[6:7], exec, s[6:7]
	s_cbranch_execz .LBB110_299
; %bb.298:
	v_readlane_b32 s12, v58, 8
	v_readlane_b32 s6, v58, 12
	;; [unrolled: 1-line block ×4, first 2 shown]
	s_mov_b32 s10, s6
	s_mul_i32 s6, s6, s13
	s_mul_hi_u32 s7, s10, s12
	s_add_i32 s7, s7, s6
	s_mul_i32 s6, s10, s12
	v_readlane_b32 s12, v58, 14
	v_readlane_b32 s20, v58, 18
	;; [unrolled: 1-line block ×3, first 2 shown]
	s_sub_u32 s6, s12, s6
	v_readlane_b32 s22, v58, 20
	v_readlane_b32 s23, v58, 21
	s_subb_u32 s7, s13, s7
	s_mul_i32 s8, s6, s23
	s_mul_hi_u32 s9, s6, s22
	v_readlane_b32 s21, v58, 19
	s_add_i32 s8, s9, s8
	s_mul_i32 s7, s7, s22
	v_readlane_b32 s14, v58, 10
	v_readlane_b32 s15, v58, 11
	s_add_i32 s7, s8, s7
	s_mul_i32 s8, s10, s21
	s_mul_hi_u32 s9, s10, s20
	s_add_i32 s9, s9, s8
	s_mul_i32 s8, s10, s20
	s_mul_i32 s10, s12, s15
	s_mul_hi_u32 s11, s12, s14
	s_add_i32 s11, s11, s10
	s_mul_i32 s10, s12, s14
	v_readlane_b32 s14, v58, 16
	s_sub_u32 s10, s18, s10
	v_readlane_b32 s15, v58, 17
	s_subb_u32 s11, 0, s11
	s_mul_i32 s12, s10, s15
	s_mul_hi_u32 s13, s10, s14
	s_add_i32 s12, s13, s12
	s_mul_i32 s11, s11, s14
	s_add_i32 s11, s12, s11
	s_lshl_b64 s[8:9], s[8:9], 3
	v_readlane_b32 s12, v58, 30
	s_mul_i32 s6, s6, s22
	v_readlane_b32 s13, v58, 31
	s_add_u32 s8, s12, s8
	s_addc_u32 s9, s13, s9
	s_lshl_b64 s[6:7], s[6:7], 3
	s_mul_i32 s10, s10, s14
	s_add_u32 s8, s8, s6
	s_addc_u32 s9, s9, s7
	s_lshl_b64 s[6:7], s[10:11], 3
	s_add_u32 s6, s8, s6
	s_addc_u32 s7, s9, s7
	v_mov_b32_e32 v0, 0
	global_store_dwordx2 v0, v[2:3], s[6:7]
.LBB110_299:
	s_or_b64 exec, exec, s[4:5]
.LBB110_300:
	s_or_saveexec_b64 s[2:3], s[2:3]
	s_mov_b64 s[4:5], 0
	s_xor_b64 exec, exec, s[2:3]
	s_cbranch_execnz .LBB110_303
.LBB110_301:
	s_or_b64 exec, exec, s[2:3]
	s_and_b64 s[2:3], s[4:5], exec
	s_andn2_saveexec_b64 s[0:1], s[0:1]
	s_cbranch_execz .LBB110_286
.LBB110_302:
	s_or_b64 s[2:3], s[2:3], exec
	s_trap 2
	s_or_b64 exec, exec, s[0:1]
	s_and_saveexec_b64 s[0:1], s[2:3]
	s_cbranch_execnz .LBB110_287
	s_branch .LBB110_288
.LBB110_303:
	s_mov_b64 s[4:5], exec
	s_trap 2
	s_branch .LBB110_301
	.section	.rodata,"a",@progbits
	.p2align	6, 0x0
	.amdhsa_kernel _ZN2at6native12_GLOBAL__N_112gatherMedianIsmLi3EEEvNS_4cuda6detail10TensorInfoIT_T0_EENS5_IlS7_EENS5_IKS6_S7_EES7_S7_S7_b
		.amdhsa_group_segment_fixed_size 5152
		.amdhsa_private_segment_fixed_size 0
		.amdhsa_kernarg_size 1536
		.amdhsa_user_sgpr_count 2
		.amdhsa_user_sgpr_dispatch_ptr 0
		.amdhsa_user_sgpr_queue_ptr 0
		.amdhsa_user_sgpr_kernarg_segment_ptr 1
		.amdhsa_user_sgpr_dispatch_id 0
		.amdhsa_user_sgpr_kernarg_preload_length 0
		.amdhsa_user_sgpr_kernarg_preload_offset 0
		.amdhsa_user_sgpr_private_segment_size 0
		.amdhsa_uses_dynamic_stack 0
		.amdhsa_enable_private_segment 0
		.amdhsa_system_sgpr_workgroup_id_x 1
		.amdhsa_system_sgpr_workgroup_id_y 1
		.amdhsa_system_sgpr_workgroup_id_z 1
		.amdhsa_system_sgpr_workgroup_info 0
		.amdhsa_system_vgpr_workitem_id 0
		.amdhsa_next_free_vgpr 59
		.amdhsa_next_free_sgpr 100
		.amdhsa_accum_offset 60
		.amdhsa_reserve_vcc 1
		.amdhsa_float_round_mode_32 0
		.amdhsa_float_round_mode_16_64 0
		.amdhsa_float_denorm_mode_32 3
		.amdhsa_float_denorm_mode_16_64 3
		.amdhsa_dx10_clamp 1
		.amdhsa_ieee_mode 1
		.amdhsa_fp16_overflow 0
		.amdhsa_tg_split 0
		.amdhsa_exception_fp_ieee_invalid_op 0
		.amdhsa_exception_fp_denorm_src 0
		.amdhsa_exception_fp_ieee_div_zero 0
		.amdhsa_exception_fp_ieee_overflow 0
		.amdhsa_exception_fp_ieee_underflow 0
		.amdhsa_exception_fp_ieee_inexact 0
		.amdhsa_exception_int_div_zero 0
	.end_amdhsa_kernel
	.section	.text._ZN2at6native12_GLOBAL__N_112gatherMedianIsmLi3EEEvNS_4cuda6detail10TensorInfoIT_T0_EENS5_IlS7_EENS5_IKS6_S7_EES7_S7_S7_b,"axG",@progbits,_ZN2at6native12_GLOBAL__N_112gatherMedianIsmLi3EEEvNS_4cuda6detail10TensorInfoIT_T0_EENS5_IlS7_EENS5_IKS6_S7_EES7_S7_S7_b,comdat
.Lfunc_end110:
	.size	_ZN2at6native12_GLOBAL__N_112gatherMedianIsmLi3EEEvNS_4cuda6detail10TensorInfoIT_T0_EENS5_IlS7_EENS5_IKS6_S7_EES7_S7_S7_b, .Lfunc_end110-_ZN2at6native12_GLOBAL__N_112gatherMedianIsmLi3EEEvNS_4cuda6detail10TensorInfoIT_T0_EENS5_IlS7_EENS5_IKS6_S7_EES7_S7_S7_b
                                        ; -- End function
	.set _ZN2at6native12_GLOBAL__N_112gatherMedianIsmLi3EEEvNS_4cuda6detail10TensorInfoIT_T0_EENS5_IlS7_EENS5_IKS6_S7_EES7_S7_S7_b.num_vgpr, 59
	.set _ZN2at6native12_GLOBAL__N_112gatherMedianIsmLi3EEEvNS_4cuda6detail10TensorInfoIT_T0_EENS5_IlS7_EENS5_IKS6_S7_EES7_S7_S7_b.num_agpr, 0
	.set _ZN2at6native12_GLOBAL__N_112gatherMedianIsmLi3EEEvNS_4cuda6detail10TensorInfoIT_T0_EENS5_IlS7_EENS5_IKS6_S7_EES7_S7_S7_b.numbered_sgpr, 100
	.set _ZN2at6native12_GLOBAL__N_112gatherMedianIsmLi3EEEvNS_4cuda6detail10TensorInfoIT_T0_EENS5_IlS7_EENS5_IKS6_S7_EES7_S7_S7_b.num_named_barrier, 0
	.set _ZN2at6native12_GLOBAL__N_112gatherMedianIsmLi3EEEvNS_4cuda6detail10TensorInfoIT_T0_EENS5_IlS7_EENS5_IKS6_S7_EES7_S7_S7_b.private_seg_size, 0
	.set _ZN2at6native12_GLOBAL__N_112gatherMedianIsmLi3EEEvNS_4cuda6detail10TensorInfoIT_T0_EENS5_IlS7_EENS5_IKS6_S7_EES7_S7_S7_b.uses_vcc, 1
	.set _ZN2at6native12_GLOBAL__N_112gatherMedianIsmLi3EEEvNS_4cuda6detail10TensorInfoIT_T0_EENS5_IlS7_EENS5_IKS6_S7_EES7_S7_S7_b.uses_flat_scratch, 0
	.set _ZN2at6native12_GLOBAL__N_112gatherMedianIsmLi3EEEvNS_4cuda6detail10TensorInfoIT_T0_EENS5_IlS7_EENS5_IKS6_S7_EES7_S7_S7_b.has_dyn_sized_stack, 0
	.set _ZN2at6native12_GLOBAL__N_112gatherMedianIsmLi3EEEvNS_4cuda6detail10TensorInfoIT_T0_EENS5_IlS7_EENS5_IKS6_S7_EES7_S7_S7_b.has_recursion, 0
	.set _ZN2at6native12_GLOBAL__N_112gatherMedianIsmLi3EEEvNS_4cuda6detail10TensorInfoIT_T0_EENS5_IlS7_EENS5_IKS6_S7_EES7_S7_S7_b.has_indirect_call, 0
	.section	.AMDGPU.csdata,"",@progbits
; Kernel info:
; codeLenInByte = 16624
; TotalNumSgprs: 106
; NumVgprs: 59
; NumAgprs: 0
; TotalNumVgprs: 59
; ScratchSize: 0
; MemoryBound: 0
; FloatMode: 240
; IeeeMode: 1
; LDSByteSize: 5152 bytes/workgroup (compile time only)
; SGPRBlocks: 13
; VGPRBlocks: 7
; NumSGPRsForWavesPerEU: 106
; NumVGPRsForWavesPerEU: 59
; AccumOffset: 60
; Occupancy: 7
; WaveLimiterHint : 1
; COMPUTE_PGM_RSRC2:SCRATCH_EN: 0
; COMPUTE_PGM_RSRC2:USER_SGPR: 2
; COMPUTE_PGM_RSRC2:TRAP_HANDLER: 0
; COMPUTE_PGM_RSRC2:TGID_X_EN: 1
; COMPUTE_PGM_RSRC2:TGID_Y_EN: 1
; COMPUTE_PGM_RSRC2:TGID_Z_EN: 1
; COMPUTE_PGM_RSRC2:TIDIG_COMP_CNT: 0
; COMPUTE_PGM_RSRC3_GFX90A:ACCUM_OFFSET: 14
; COMPUTE_PGM_RSRC3_GFX90A:TG_SPLIT: 0
	.section	.text._ZN2at6native12_GLOBAL__N_112gatherMedianIsmLin1EEEvNS_4cuda6detail10TensorInfoIT_T0_EENS5_IlS7_EENS5_IKS6_S7_EES7_S7_S7_b,"axG",@progbits,_ZN2at6native12_GLOBAL__N_112gatherMedianIsmLin1EEEvNS_4cuda6detail10TensorInfoIT_T0_EENS5_IlS7_EENS5_IKS6_S7_EES7_S7_S7_b,comdat
	.globl	_ZN2at6native12_GLOBAL__N_112gatherMedianIsmLin1EEEvNS_4cuda6detail10TensorInfoIT_T0_EENS5_IlS7_EENS5_IKS6_S7_EES7_S7_S7_b ; -- Begin function _ZN2at6native12_GLOBAL__N_112gatherMedianIsmLin1EEEvNS_4cuda6detail10TensorInfoIT_T0_EENS5_IlS7_EENS5_IKS6_S7_EES7_S7_S7_b
	.p2align	8
	.type	_ZN2at6native12_GLOBAL__N_112gatherMedianIsmLin1EEEvNS_4cuda6detail10TensorInfoIT_T0_EENS5_IlS7_EENS5_IKS6_S7_EES7_S7_S7_b,@function
_ZN2at6native12_GLOBAL__N_112gatherMedianIsmLin1EEEvNS_4cuda6detail10TensorInfoIT_T0_EENS5_IlS7_EENS5_IKS6_S7_EES7_S7_S7_b: ; @_ZN2at6native12_GLOBAL__N_112gatherMedianIsmLin1EEEvNS_4cuda6detail10TensorInfoIT_T0_EENS5_IlS7_EENS5_IKS6_S7_EES7_S7_S7_b
; %bb.0:
	s_load_dwordx2 s[10:11], s[0:1], 0x500
	s_load_dwordx4 s[56:59], s[0:1], 0x4e0
	s_add_u32 s12, s0, 0x500
	s_addc_u32 s13, s1, 0
	s_mov_b32 s5, 0
	s_waitcnt lgkmcnt(0)
	s_mul_i32 s4, s11, s4
	s_add_i32 s3, s4, s3
	s_mul_i32 s3, s3, s10
	s_add_i32 s4, s3, s2
	v_mov_b64_e32 v[2:3], s[4:5]
	v_cmp_le_u64_e32 vcc, s[58:59], v[2:3]
	s_cbranch_vccnz .LBB111_305
; %bb.1:
	s_load_dword s6, s[0:1], 0x198
	s_load_dwordx2 s[60:61], s[0:1], 0x4f0
	s_mov_b64 s[58:59], 0
	s_mov_b64 s[20:21], s[4:5]
	s_waitcnt lgkmcnt(0)
	s_cmp_lt_i32 s6, 2
	s_cbranch_scc1 .LBB111_9
; %bb.2:
	s_add_i32 s3, s6, 1
	s_add_i32 s8, s6, -1
	s_mov_b32 s6, 0
	s_mov_b32 s9, s6
	s_lshl_b64 s[8:9], s[8:9], 3
	s_add_u32 s7, s0, s8
	s_addc_u32 s9, s1, s9
	s_add_u32 s8, s7, 8
	s_addc_u32 s9, s9, 0
	s_mov_b64 s[14:15], s[4:5]
.LBB111_3:                              ; =>This Inner Loop Header: Depth=1
	s_load_dwordx2 s[16:17], s[8:9], 0x0
	s_waitcnt lgkmcnt(0)
	s_or_b64 s[18:19], s[14:15], s[16:17]
	s_mov_b32 s7, s19
	s_cmp_lg_u64 s[6:7], 0
	s_cbranch_scc0 .LBB111_8
; %bb.4:                                ;   in Loop: Header=BB111_3 Depth=1
	v_cvt_f32_u32_e32 v1, s16
	v_cvt_f32_u32_e32 v2, s17
	s_sub_u32 s7, 0, s16
	s_subb_u32 s11, 0, s17
	v_fmac_f32_e32 v1, 0x4f800000, v2
	v_rcp_f32_e32 v1, v1
	s_nop 0
	v_mul_f32_e32 v1, 0x5f7ffffc, v1
	v_mul_f32_e32 v2, 0x2f800000, v1
	v_trunc_f32_e32 v2, v2
	v_fmac_f32_e32 v1, 0xcf800000, v2
	v_cvt_u32_f32_e32 v2, v2
	v_cvt_u32_f32_e32 v1, v1
	v_readfirstlane_b32 s20, v2
	v_readfirstlane_b32 s18, v1
	s_mul_i32 s19, s7, s20
	s_mul_hi_u32 s22, s7, s18
	s_mul_i32 s21, s11, s18
	s_add_i32 s19, s22, s19
	s_mul_i32 s23, s7, s18
	s_add_i32 s19, s19, s21
	s_mul_i32 s22, s18, s19
	s_mul_hi_u32 s24, s18, s23
	s_mul_hi_u32 s21, s18, s19
	s_add_u32 s22, s24, s22
	s_addc_u32 s21, 0, s21
	s_mul_hi_u32 s25, s20, s23
	s_mul_i32 s23, s20, s23
	s_add_u32 s22, s22, s23
	s_mul_hi_u32 s24, s20, s19
	s_addc_u32 s21, s21, s25
	s_addc_u32 s22, s24, 0
	s_mul_i32 s19, s20, s19
	s_add_u32 s19, s21, s19
	s_addc_u32 s21, 0, s22
	s_add_u32 s22, s18, s19
	s_cselect_b64 s[18:19], -1, 0
	s_cmp_lg_u64 s[18:19], 0
	s_addc_u32 s20, s20, s21
	s_mul_i32 s18, s7, s20
	s_mul_hi_u32 s19, s7, s22
	s_add_i32 s18, s19, s18
	s_mul_i32 s11, s11, s22
	s_add_i32 s18, s18, s11
	s_mul_i32 s7, s7, s22
	s_mul_hi_u32 s19, s20, s7
	s_mul_i32 s21, s20, s7
	s_mul_i32 s24, s22, s18
	s_mul_hi_u32 s7, s22, s7
	s_mul_hi_u32 s23, s22, s18
	s_add_u32 s7, s7, s24
	s_addc_u32 s23, 0, s23
	s_add_u32 s7, s7, s21
	s_mul_hi_u32 s11, s20, s18
	s_addc_u32 s7, s23, s19
	s_addc_u32 s11, s11, 0
	s_mul_i32 s18, s20, s18
	s_add_u32 s7, s7, s18
	s_addc_u32 s11, 0, s11
	s_add_u32 s7, s22, s7
	s_cselect_b64 s[18:19], -1, 0
	s_cmp_lg_u64 s[18:19], 0
	s_addc_u32 s11, s20, s11
	s_mul_i32 s19, s14, s11
	s_mul_hi_u32 s20, s14, s7
	s_mul_hi_u32 s18, s14, s11
	s_add_u32 s19, s20, s19
	s_addc_u32 s18, 0, s18
	s_mul_hi_u32 s21, s15, s7
	s_mul_i32 s7, s15, s7
	s_add_u32 s7, s19, s7
	s_mul_hi_u32 s20, s15, s11
	s_addc_u32 s7, s18, s21
	s_addc_u32 s18, s20, 0
	s_mul_i32 s11, s15, s11
	s_add_u32 s7, s7, s11
	s_addc_u32 s11, 0, s18
	s_mul_i32 s18, s16, s11
	s_mul_hi_u32 s19, s16, s7
	s_add_i32 s18, s19, s18
	s_mul_i32 s19, s17, s7
	s_add_i32 s22, s18, s19
	s_sub_i32 s20, s15, s22
	s_mul_i32 s18, s16, s7
	s_sub_u32 s23, s14, s18
	s_cselect_b64 s[18:19], -1, 0
	s_cmp_lg_u64 s[18:19], 0
	s_subb_u32 s24, s20, s17
	s_sub_u32 s25, s23, s16
	s_cselect_b64 s[20:21], -1, 0
	s_cmp_lg_u64 s[20:21], 0
	s_subb_u32 s20, s24, 0
	s_cmp_ge_u32 s20, s17
	s_cselect_b32 s21, -1, 0
	s_cmp_ge_u32 s25, s16
	s_cselect_b32 s24, -1, 0
	s_cmp_eq_u32 s20, s17
	s_cselect_b32 s20, s24, s21
	s_add_u32 s21, s7, 1
	s_addc_u32 s24, s11, 0
	s_add_u32 s25, s7, 2
	s_addc_u32 s26, s11, 0
	s_cmp_lg_u32 s20, 0
	s_cselect_b32 s20, s25, s21
	s_cselect_b32 s21, s26, s24
	s_cmp_lg_u64 s[18:19], 0
	s_subb_u32 s18, s15, s22
	s_cmp_ge_u32 s18, s17
	s_cselect_b32 s19, -1, 0
	s_cmp_ge_u32 s23, s16
	s_cselect_b32 s22, -1, 0
	s_cmp_eq_u32 s18, s17
	s_cselect_b32 s18, s22, s19
	s_cmp_lg_u32 s18, 0
	s_cselect_b32 s21, s21, s11
	s_cselect_b32 s20, s20, s7
	s_cbranch_execnz .LBB111_6
.LBB111_5:                              ;   in Loop: Header=BB111_3 Depth=1
	v_cvt_f32_u32_e32 v1, s16
	s_sub_i32 s7, 0, s16
	s_mov_b32 s21, s6
	v_rcp_iflag_f32_e32 v1, v1
	s_nop 0
	v_mul_f32_e32 v1, 0x4f7ffffe, v1
	v_cvt_u32_f32_e32 v1, v1
	s_nop 0
	v_readfirstlane_b32 s11, v1
	s_mul_i32 s7, s7, s11
	s_mul_hi_u32 s7, s11, s7
	s_add_i32 s11, s11, s7
	s_mul_hi_u32 s7, s14, s11
	s_mul_i32 s18, s7, s16
	s_sub_i32 s18, s14, s18
	s_add_i32 s11, s7, 1
	s_sub_i32 s19, s18, s16
	s_cmp_ge_u32 s18, s16
	s_cselect_b32 s7, s11, s7
	s_cselect_b32 s18, s19, s18
	s_add_i32 s11, s7, 1
	s_cmp_ge_u32 s18, s16
	s_cselect_b32 s20, s11, s7
.LBB111_6:                              ;   in Loop: Header=BB111_3 Depth=1
	s_mul_i32 s7, s20, s17
	s_mul_hi_u32 s11, s20, s16
	s_load_dwordx2 s[18:19], s[8:9], 0xc8
	s_add_i32 s7, s11, s7
	s_mul_i32 s11, s21, s16
	s_add_i32 s7, s7, s11
	s_mul_i32 s11, s20, s16
	s_sub_u32 s11, s14, s11
	s_subb_u32 s7, s15, s7
	s_waitcnt lgkmcnt(0)
	s_mul_i32 s7, s18, s7
	s_mul_hi_u32 s14, s18, s11
	s_add_i32 s7, s14, s7
	s_mul_i32 s14, s19, s11
	s_add_i32 s7, s7, s14
	s_mul_i32 s11, s18, s11
	s_add_u32 s58, s11, s58
	s_addc_u32 s59, s7, s59
	s_add_i32 s3, s3, -1
	s_add_u32 s8, s8, -8
	s_addc_u32 s9, s9, -1
	s_cmp_gt_u32 s3, 2
	s_cbranch_scc0 .LBB111_9
; %bb.7:                                ;   in Loop: Header=BB111_3 Depth=1
	s_mov_b64 s[14:15], s[20:21]
	s_branch .LBB111_3
.LBB111_8:                              ;   in Loop: Header=BB111_3 Depth=1
                                        ; implicit-def: $sgpr20_sgpr21
	s_branch .LBB111_5
.LBB111_9:
	s_load_dword s8, s[0:1], 0x338
	s_load_dwordx2 s[6:7], s[0:1], 0xd0
                                        ; implicit-def: $vgpr68 : SGPR spill to VGPR lane
	s_mov_b64 s[62:63], 0
	v_writelane_b32 v68, s20, 0
	s_mov_b64 s[68:69], s[4:5]
	s_nop 0
	v_writelane_b32 v68, s21, 1
	s_waitcnt lgkmcnt(0)
	v_writelane_b32 v68, s6, 2
	s_nop 1
	v_writelane_b32 v68, s7, 3
	s_add_u32 s6, s0, 0x1a0
	s_addc_u32 s7, s1, 0
	s_cmp_lt_i32 s8, 2
	s_cbranch_scc1 .LBB111_17
; %bb.10:
	s_add_i32 s3, s8, 1
	s_add_i32 s14, s8, -1
	s_mov_b32 s8, 0
	s_mov_b32 s15, s8
	s_lshl_b64 s[14:15], s[14:15], 3
	s_add_u32 s9, s6, s14
	s_addc_u32 s11, s7, s15
	s_add_u32 s14, s9, 8
	s_addc_u32 s15, s11, 0
	s_mov_b64 s[16:17], s[4:5]
.LBB111_11:                             ; =>This Inner Loop Header: Depth=1
	s_load_dwordx2 s[18:19], s[14:15], 0x0
	s_waitcnt lgkmcnt(0)
	s_or_b64 s[20:21], s[16:17], s[18:19]
	s_mov_b32 s9, s21
	s_cmp_lg_u64 s[8:9], 0
	s_cbranch_scc0 .LBB111_16
; %bb.12:                               ;   in Loop: Header=BB111_11 Depth=1
	v_cvt_f32_u32_e32 v1, s18
	v_cvt_f32_u32_e32 v2, s19
	s_sub_u32 s9, 0, s18
	s_subb_u32 s11, 0, s19
	v_fmac_f32_e32 v1, 0x4f800000, v2
	v_rcp_f32_e32 v1, v1
	s_nop 0
	v_mul_f32_e32 v1, 0x5f7ffffc, v1
	v_mul_f32_e32 v2, 0x2f800000, v1
	v_trunc_f32_e32 v2, v2
	v_fmac_f32_e32 v1, 0xcf800000, v2
	v_cvt_u32_f32_e32 v2, v2
	v_cvt_u32_f32_e32 v1, v1
	v_readfirstlane_b32 s22, v2
	v_readfirstlane_b32 s20, v1
	s_mul_i32 s21, s9, s22
	s_mul_hi_u32 s24, s9, s20
	s_mul_i32 s23, s11, s20
	s_add_i32 s21, s24, s21
	s_mul_i32 s25, s9, s20
	s_add_i32 s21, s21, s23
	s_mul_i32 s24, s20, s21
	s_mul_hi_u32 s26, s20, s25
	s_mul_hi_u32 s23, s20, s21
	s_add_u32 s24, s26, s24
	s_addc_u32 s23, 0, s23
	s_mul_hi_u32 s27, s22, s25
	s_mul_i32 s25, s22, s25
	s_add_u32 s24, s24, s25
	s_mul_hi_u32 s26, s22, s21
	s_addc_u32 s23, s23, s27
	s_addc_u32 s24, s26, 0
	s_mul_i32 s21, s22, s21
	s_add_u32 s21, s23, s21
	s_addc_u32 s23, 0, s24
	s_add_u32 s24, s20, s21
	s_cselect_b64 s[20:21], -1, 0
	s_cmp_lg_u64 s[20:21], 0
	s_addc_u32 s22, s22, s23
	s_mul_i32 s20, s9, s22
	s_mul_hi_u32 s21, s9, s24
	s_add_i32 s20, s21, s20
	s_mul_i32 s11, s11, s24
	s_add_i32 s20, s20, s11
	s_mul_i32 s9, s9, s24
	s_mul_hi_u32 s21, s22, s9
	s_mul_i32 s23, s22, s9
	s_mul_i32 s26, s24, s20
	s_mul_hi_u32 s9, s24, s9
	s_mul_hi_u32 s25, s24, s20
	s_add_u32 s9, s9, s26
	s_addc_u32 s25, 0, s25
	s_add_u32 s9, s9, s23
	s_mul_hi_u32 s11, s22, s20
	s_addc_u32 s9, s25, s21
	s_addc_u32 s11, s11, 0
	s_mul_i32 s20, s22, s20
	s_add_u32 s9, s9, s20
	s_addc_u32 s11, 0, s11
	s_add_u32 s9, s24, s9
	s_cselect_b64 s[20:21], -1, 0
	s_cmp_lg_u64 s[20:21], 0
	s_addc_u32 s11, s22, s11
	s_mul_i32 s21, s16, s11
	s_mul_hi_u32 s22, s16, s9
	s_mul_hi_u32 s20, s16, s11
	s_add_u32 s21, s22, s21
	s_addc_u32 s20, 0, s20
	s_mul_hi_u32 s23, s17, s9
	s_mul_i32 s9, s17, s9
	s_add_u32 s9, s21, s9
	s_mul_hi_u32 s22, s17, s11
	s_addc_u32 s9, s20, s23
	s_addc_u32 s20, s22, 0
	s_mul_i32 s11, s17, s11
	s_add_u32 s9, s9, s11
	s_addc_u32 s11, 0, s20
	s_mul_i32 s20, s18, s11
	s_mul_hi_u32 s21, s18, s9
	s_add_i32 s20, s21, s20
	s_mul_i32 s21, s19, s9
	s_add_i32 s24, s20, s21
	s_sub_i32 s22, s17, s24
	s_mul_i32 s20, s18, s9
	s_sub_u32 s25, s16, s20
	s_cselect_b64 s[20:21], -1, 0
	s_cmp_lg_u64 s[20:21], 0
	s_subb_u32 s26, s22, s19
	s_sub_u32 s27, s25, s18
	s_cselect_b64 s[22:23], -1, 0
	s_cmp_lg_u64 s[22:23], 0
	s_subb_u32 s22, s26, 0
	s_cmp_ge_u32 s22, s19
	s_cselect_b32 s23, -1, 0
	s_cmp_ge_u32 s27, s18
	s_cselect_b32 s26, -1, 0
	s_cmp_eq_u32 s22, s19
	s_cselect_b32 s22, s26, s23
	s_add_u32 s23, s9, 1
	s_addc_u32 s26, s11, 0
	s_add_u32 s27, s9, 2
	s_addc_u32 s28, s11, 0
	s_cmp_lg_u32 s22, 0
	s_cselect_b32 s22, s27, s23
	s_cselect_b32 s23, s28, s26
	s_cmp_lg_u64 s[20:21], 0
	s_subb_u32 s20, s17, s24
	s_cmp_ge_u32 s20, s19
	s_cselect_b32 s21, -1, 0
	s_cmp_ge_u32 s25, s18
	s_cselect_b32 s24, -1, 0
	s_cmp_eq_u32 s20, s19
	s_cselect_b32 s20, s24, s21
	s_cmp_lg_u32 s20, 0
	s_cselect_b32 s69, s23, s11
	s_cselect_b32 s68, s22, s9
	s_cbranch_execnz .LBB111_14
.LBB111_13:                             ;   in Loop: Header=BB111_11 Depth=1
	v_cvt_f32_u32_e32 v1, s18
	s_sub_i32 s9, 0, s18
	s_mov_b32 s69, s8
	v_rcp_iflag_f32_e32 v1, v1
	s_nop 0
	v_mul_f32_e32 v1, 0x4f7ffffe, v1
	v_cvt_u32_f32_e32 v1, v1
	s_nop 0
	v_readfirstlane_b32 s11, v1
	s_mul_i32 s9, s9, s11
	s_mul_hi_u32 s9, s11, s9
	s_add_i32 s11, s11, s9
	s_mul_hi_u32 s9, s16, s11
	s_mul_i32 s20, s9, s18
	s_sub_i32 s20, s16, s20
	s_add_i32 s11, s9, 1
	s_sub_i32 s21, s20, s18
	s_cmp_ge_u32 s20, s18
	s_cselect_b32 s9, s11, s9
	s_cselect_b32 s20, s21, s20
	s_add_i32 s11, s9, 1
	s_cmp_ge_u32 s20, s18
	s_cselect_b32 s68, s11, s9
.LBB111_14:                             ;   in Loop: Header=BB111_11 Depth=1
	s_mul_i32 s9, s68, s19
	s_mul_hi_u32 s11, s68, s18
	s_load_dwordx2 s[20:21], s[14:15], 0xc8
	s_add_i32 s9, s11, s9
	s_mul_i32 s11, s69, s18
	s_add_i32 s9, s9, s11
	s_mul_i32 s11, s68, s18
	s_sub_u32 s11, s16, s11
	s_subb_u32 s9, s17, s9
	s_waitcnt lgkmcnt(0)
	s_mul_i32 s9, s20, s9
	s_mul_hi_u32 s16, s20, s11
	s_add_i32 s9, s16, s9
	s_mul_i32 s16, s21, s11
	s_add_i32 s9, s9, s16
	s_mul_i32 s11, s20, s11
	s_add_u32 s62, s11, s62
	s_addc_u32 s63, s9, s63
	s_add_i32 s3, s3, -1
	s_add_u32 s14, s14, -8
	s_addc_u32 s15, s15, -1
	s_cmp_gt_u32 s3, 2
	s_cbranch_scc0 .LBB111_17
; %bb.15:                               ;   in Loop: Header=BB111_11 Depth=1
	s_mov_b64 s[16:17], s[68:69]
	s_branch .LBB111_11
.LBB111_16:                             ;   in Loop: Header=BB111_11 Depth=1
                                        ; implicit-def: $sgpr68_sgpr69
	s_branch .LBB111_13
.LBB111_17:
	s_load_dword s8, s[0:1], 0x4d8
	s_load_dwordx2 s[14:15], s[6:7], 0xd0
	s_add_u32 s9, s0, 0x340
	s_addc_u32 s11, s1, 0
                                        ; kill: killed $sgpr6 killed $sgpr7
	s_mov_b64 s[6:7], 0
	s_waitcnt lgkmcnt(0)
	s_cmp_lt_i32 s8, 2
	v_writelane_b32 v68, s14, 4
	s_nop 1
	v_writelane_b32 v68, s15, 5
	s_cbranch_scc1 .LBB111_25
; %bb.18:
	s_add_i32 s3, s8, 1
	s_add_i32 s6, s8, -1
	s_mov_b32 s8, 0
	s_mov_b32 s7, s8
	s_lshl_b64 s[6:7], s[6:7], 3
	s_add_u32 s6, s9, s6
	s_addc_u32 s7, s11, s7
	s_add_u32 s14, s6, 8
	s_addc_u32 s15, s7, 0
	s_mov_b64 s[6:7], 0
.LBB111_19:                             ; =>This Inner Loop Header: Depth=1
	s_load_dwordx2 s[16:17], s[14:15], 0x0
	s_waitcnt lgkmcnt(0)
	s_or_b64 s[18:19], s[4:5], s[16:17]
	s_mov_b32 s9, s19
	s_cmp_lg_u64 s[8:9], 0
	s_cbranch_scc0 .LBB111_24
; %bb.20:                               ;   in Loop: Header=BB111_19 Depth=1
	v_cvt_f32_u32_e32 v1, s16
	v_cvt_f32_u32_e32 v2, s17
	s_sub_u32 s9, 0, s16
	s_subb_u32 s11, 0, s17
	v_fmac_f32_e32 v1, 0x4f800000, v2
	v_rcp_f32_e32 v1, v1
	s_nop 0
	v_mul_f32_e32 v1, 0x5f7ffffc, v1
	v_mul_f32_e32 v2, 0x2f800000, v1
	v_trunc_f32_e32 v2, v2
	v_fmac_f32_e32 v1, 0xcf800000, v2
	v_cvt_u32_f32_e32 v2, v2
	v_cvt_u32_f32_e32 v1, v1
	v_readfirstlane_b32 s20, v2
	v_readfirstlane_b32 s18, v1
	s_mul_i32 s19, s9, s20
	s_mul_hi_u32 s22, s9, s18
	s_mul_i32 s21, s11, s18
	s_add_i32 s19, s22, s19
	s_mul_i32 s23, s9, s18
	s_add_i32 s19, s19, s21
	s_mul_i32 s22, s18, s19
	s_mul_hi_u32 s24, s18, s23
	s_mul_hi_u32 s21, s18, s19
	s_add_u32 s22, s24, s22
	s_addc_u32 s21, 0, s21
	s_mul_hi_u32 s25, s20, s23
	s_mul_i32 s23, s20, s23
	s_add_u32 s22, s22, s23
	s_mul_hi_u32 s24, s20, s19
	s_addc_u32 s21, s21, s25
	s_addc_u32 s22, s24, 0
	s_mul_i32 s19, s20, s19
	s_add_u32 s19, s21, s19
	s_addc_u32 s21, 0, s22
	s_add_u32 s22, s18, s19
	s_cselect_b64 s[18:19], -1, 0
	s_cmp_lg_u64 s[18:19], 0
	s_addc_u32 s20, s20, s21
	s_mul_i32 s18, s9, s20
	s_mul_hi_u32 s19, s9, s22
	s_add_i32 s18, s19, s18
	s_mul_i32 s11, s11, s22
	s_add_i32 s18, s18, s11
	s_mul_i32 s9, s9, s22
	s_mul_hi_u32 s19, s20, s9
	s_mul_i32 s21, s20, s9
	s_mul_i32 s24, s22, s18
	s_mul_hi_u32 s9, s22, s9
	s_mul_hi_u32 s23, s22, s18
	s_add_u32 s9, s9, s24
	s_addc_u32 s23, 0, s23
	s_add_u32 s9, s9, s21
	s_mul_hi_u32 s11, s20, s18
	s_addc_u32 s9, s23, s19
	s_addc_u32 s11, s11, 0
	s_mul_i32 s18, s20, s18
	s_add_u32 s9, s9, s18
	s_addc_u32 s11, 0, s11
	s_add_u32 s9, s22, s9
	s_cselect_b64 s[18:19], -1, 0
	s_cmp_lg_u64 s[18:19], 0
	s_addc_u32 s11, s20, s11
	s_mul_i32 s19, s4, s11
	s_mul_hi_u32 s20, s4, s9
	s_mul_hi_u32 s18, s4, s11
	s_add_u32 s19, s20, s19
	s_addc_u32 s18, 0, s18
	s_mul_hi_u32 s21, s5, s9
	s_mul_i32 s9, s5, s9
	s_add_u32 s9, s19, s9
	s_mul_hi_u32 s20, s5, s11
	s_addc_u32 s9, s18, s21
	s_addc_u32 s18, s20, 0
	s_mul_i32 s11, s5, s11
	s_add_u32 s9, s9, s11
	s_addc_u32 s11, 0, s18
	s_mul_i32 s18, s16, s11
	s_mul_hi_u32 s19, s16, s9
	s_add_i32 s18, s19, s18
	s_mul_i32 s19, s17, s9
	s_add_i32 s22, s18, s19
	s_sub_i32 s20, s5, s22
	s_mul_i32 s18, s16, s9
	s_sub_u32 s23, s4, s18
	s_cselect_b64 s[18:19], -1, 0
	s_cmp_lg_u64 s[18:19], 0
	s_subb_u32 s24, s20, s17
	s_sub_u32 s25, s23, s16
	s_cselect_b64 s[20:21], -1, 0
	s_cmp_lg_u64 s[20:21], 0
	s_subb_u32 s20, s24, 0
	s_cmp_ge_u32 s20, s17
	s_cselect_b32 s21, -1, 0
	s_cmp_ge_u32 s25, s16
	s_cselect_b32 s24, -1, 0
	s_cmp_eq_u32 s20, s17
	s_cselect_b32 s20, s24, s21
	s_add_u32 s21, s9, 1
	s_addc_u32 s24, s11, 0
	s_add_u32 s25, s9, 2
	s_addc_u32 s26, s11, 0
	s_cmp_lg_u32 s20, 0
	s_cselect_b32 s20, s25, s21
	s_cselect_b32 s21, s26, s24
	s_cmp_lg_u64 s[18:19], 0
	s_subb_u32 s18, s5, s22
	s_cmp_ge_u32 s18, s17
	s_cselect_b32 s19, -1, 0
	s_cmp_ge_u32 s23, s16
	s_cselect_b32 s22, -1, 0
	s_cmp_eq_u32 s18, s17
	s_cselect_b32 s18, s22, s19
	s_cmp_lg_u32 s18, 0
	s_cselect_b32 s19, s21, s11
	s_cselect_b32 s18, s20, s9
	s_cbranch_execnz .LBB111_22
.LBB111_21:                             ;   in Loop: Header=BB111_19 Depth=1
	v_cvt_f32_u32_e32 v1, s16
	s_sub_i32 s9, 0, s16
	v_rcp_iflag_f32_e32 v1, v1
	s_nop 0
	v_mul_f32_e32 v1, 0x4f7ffffe, v1
	v_cvt_u32_f32_e32 v1, v1
	s_nop 0
	v_readfirstlane_b32 s11, v1
	s_mul_i32 s9, s9, s11
	s_mul_hi_u32 s9, s11, s9
	s_add_i32 s11, s11, s9
	s_mul_hi_u32 s9, s4, s11
	s_mul_i32 s18, s9, s16
	s_sub_i32 s18, s4, s18
	s_add_i32 s11, s9, 1
	s_sub_i32 s19, s18, s16
	s_cmp_ge_u32 s18, s16
	s_cselect_b32 s9, s11, s9
	s_cselect_b32 s18, s19, s18
	s_add_i32 s11, s9, 1
	s_cmp_ge_u32 s18, s16
	s_cselect_b32 s18, s11, s9
	s_mov_b32 s19, s8
.LBB111_22:                             ;   in Loop: Header=BB111_19 Depth=1
	s_mul_i32 s9, s18, s17
	s_mul_hi_u32 s11, s18, s16
	s_load_dwordx2 s[20:21], s[14:15], 0xc8
	s_add_i32 s9, s11, s9
	s_mul_i32 s11, s19, s16
	s_add_i32 s9, s9, s11
	s_mul_i32 s11, s18, s16
	s_sub_u32 s4, s4, s11
	s_subb_u32 s5, s5, s9
	s_waitcnt lgkmcnt(0)
	s_mul_i32 s5, s20, s5
	s_mul_hi_u32 s9, s20, s4
	s_add_i32 s5, s9, s5
	s_mul_i32 s9, s21, s4
	s_add_i32 s5, s5, s9
	s_mul_i32 s4, s20, s4
	s_add_u32 s6, s4, s6
	s_addc_u32 s7, s5, s7
	s_add_i32 s3, s3, -1
	s_add_u32 s14, s14, -8
	s_addc_u32 s15, s15, -1
	s_cmp_gt_u32 s3, 2
	s_cbranch_scc0 .LBB111_26
; %bb.23:                               ;   in Loop: Header=BB111_19 Depth=1
	s_mov_b64 s[4:5], s[18:19]
	s_branch .LBB111_19
.LBB111_24:                             ;   in Loop: Header=BB111_19 Depth=1
                                        ; implicit-def: $sgpr18_sgpr19
	s_branch .LBB111_21
.LBB111_25:
	s_mov_b64 s[18:19], s[4:5]
.LBB111_26:
	s_load_dwordx2 s[4:5], s[0:1], 0x410
	s_load_dwordx2 s[8:9], s[0:1], 0x340
	v_cmp_eq_u32_e64 s[16:17], 0, v0
	s_mov_b64 s[14:15], exec
	s_nop 0
	v_writelane_b32 v68, s16, 6
	s_nop 1
	v_writelane_b32 v68, s17, 7
	s_and_b64 s[16:17], s[14:15], s[16:17]
	s_mov_b64 exec, s[16:17]
; %bb.27:
	v_mov_b32_e32 v2, 0
	v_mov_b32_e32 v3, v2
	ds_write_b64 v2, v[2:3] offset:5136
; %bb.28:
	s_or_b64 exec, exec, s[14:15]
	s_load_dwordx2 s[14:15], s[0:1], 0x0
	v_mov_b32_e32 v3, 0
	s_waitcnt lgkmcnt(0)
	s_barrier
	v_writelane_b32 v68, s14, 8
	s_barrier
	s_nop 0
	v_writelane_b32 v68, s15, 9
	s_load_dwordx2 s[14:15], s[0:1], 0x1a0
	s_waitcnt lgkmcnt(0)
	ds_read_b64 v[4:5], v3 offset:5136
	v_writelane_b32 v68, s14, 10
	s_nop 1
	v_writelane_b32 v68, s15, 11
	s_waitcnt lgkmcnt(0)
	v_readfirstlane_b32 s14, v4
	v_readfirstlane_b32 s15, v5
	s_mov_b64 s[16:17], exec
	v_readlane_b32 s20, v68, 6
	v_readlane_b32 s21, v68, 7
	s_and_b64 s[20:21], s[16:17], s[20:21]
	s_mov_b64 exec, s[20:21]
	s_cbranch_execz .LBB111_30
; %bb.29:
	v_mov_b32_e32 v4, 0
	v_mov_b32_e32 v6, s56
	;; [unrolled: 1-line block ×4, first 2 shown]
	ds_write_b32 v4, v4 offset:5144
	ds_write_b128 v4, v[4:7] offset:5120
.LBB111_30:
	s_or_b64 exec, exec, s[16:17]
	s_load_dword s3, s[0:1], 0x4f8
	v_cmp_lt_i64_e64 s[0:1], s[14:15], 1
	s_mul_i32 s11, s4, s19
	v_mov_b32_e32 v1, v3
	v_mbcnt_lo_u32_b32 v2, -1, 0
	s_waitcnt lgkmcnt(0)
	s_bitcmp1_b32 s3, 0
	s_cselect_b64 s[16:17], -1, 0
	s_not_b64 s[14:15], s[14:15]
	s_or_b64 s[0:1], s[16:17], s[0:1]
	s_add_u32 s14, s56, s14
	s_addc_u32 s15, s57, s15
	s_lshr_b64 s[14:15], s[14:15], 1
	s_add_u32 s3, s14, 1
	s_addc_u32 s14, s15, 0
	s_and_b64 s[0:1], s[0:1], exec
	s_mul_hi_u32 s0, s4, s18
	s_cselect_b32 s15, s14, s57
	s_cselect_b32 s14, s3, s56
	s_add_i32 s0, s0, s11
	s_mul_i32 s1, s5, s18
	s_add_i32 s1, s0, s1
	s_mul_i32 s0, s4, s18
	s_lshl_b64 s[16:17], s[0:1], 1
	s_add_u32 s18, s8, s16
	v_cmp_gt_u64_e64 s[0:1], s[56:57], v[0:1]
	s_addc_u32 s19, s9, s17
	s_lshl_b64 s[78:79], s[6:7], 1
	v_writelane_b32 v68, s0, 12
	v_mbcnt_hi_u32_b32 v44, -1, v2
	s_add_u32 s80, s18, s78
	v_writelane_b32 v68, s1, 13
	v_cmp_gt_u32_e32 vcc, 64, v0
	v_cmp_gt_i32_e64 s[0:1], 4, v44
	s_addc_u32 s81, s19, s79
	s_and_b64 s[84:85], vcc, s[0:1]
	v_cmp_gt_u32_e64 s[0:1], 2, v0
	v_mov_b64_e32 v[4:5], 0x600
	s_nop 0
	v_writelane_b32 v68, s0, 14
	s_barrier
	s_nop 0
	v_writelane_b32 v68, s1, 15
	v_cmp_gt_u64_e64 s[0:1], s[56:57], v[4:5]
	v_lshlrev_b64 v[8:9], v44, -1
	v_not_b32_e32 v18, v8
	v_writelane_b32 v68, s0, 16
	v_mov_b32_e32 v8, s57
	v_not_b32_e32 v19, v9
	v_writelane_b32 v68, s1, 17
	v_mad_u64_u32 v[6:7], s[0:1], s60, v0, 0
	v_mov_b32_e32 v2, v7
	v_mad_u64_u32 v[4:5], s[0:1], s61, v0, v[2:3]
	s_load_dword s0, s[12:13], 0xc
	v_lshlrev_b32_e32 v2, 2, v44
	v_and_b32_e32 v47, 0x100, v2
	v_lshrrev_b32_e32 v2, 1, v0
	v_and_b32_e32 v2, 0x1e0, v2
	s_waitcnt lgkmcnt(0)
	s_and_b32 s76, s0, 0xffff
	s_bfe_u32 s0, s0, 0xa0006
	s_cmp_gt_u32 s76, 63
	v_or_b32_e32 v48, 0xc00, v2
	v_add_u32_e32 v2, 2, v0
	s_cselect_b64 s[6:7], -1, 0
	s_add_u32 s1, s76, -1
	v_cmp_gt_u64_e32 vcc, s[56:57], v[2:3]
	v_writelane_b32 v68, s6, 18
	s_addc_u32 s3, 0, -1
	v_cndmask_b32_e32 v9, 0, v8, vcc
	v_mov_b32_e32 v8, s56
	v_writelane_b32 v68, s7, 19
	s_add_u32 s93, s1, s56
	v_cndmask_b32_e32 v8, v2, v8, vcc
	v_mov_b32_e32 v11, -1
	v_not_b32_e32 v10, v0
	v_writelane_b32 v68, s1, 20
	s_addc_u32 s55, s3, s57
	v_lshl_add_u64 v[8:9], v[8:9], 0, v[10:11]
	v_writelane_b32 v68, s3, 21
	s_cmp_lt_u32 s2, s10
	v_cmp_lt_u64_e64 s[2:3], 3, v[8:9]
	s_cselect_b32 s1, 12, 18
	v_and_b32_e32 v20, -4, v8
	v_writelane_b32 v68, s2, 22
	v_mov_b32_e32 v21, v9
	s_add_u32 s50, s12, s1
	v_writelane_b32 v68, s3, 23
	v_cmp_ne_u64_e64 s[2:3], v[8:9], v[20:21]
	s_addc_u32 s51, s13, 0
	s_add_i32 s1, s0, -1
	v_writelane_b32 v68, s2, 24
	s_and_b32 s1, s1, 0xffff
	v_lshlrev_b32_e32 v49, 3, v0
	v_writelane_b32 v68, s3, 25
	s_bfe_u32 s2, s76, 0x30006
	s_cmp_gt_u32 s1, 6
	s_cselect_b64 s[4:5], -1, 0
	v_writelane_b32 v68, s4, 26
	s_and_b32 s33, s0, 0x3f8
	s_cmp_lg_u32 s2, 0
	v_writelane_b32 v68, s5, 27
	v_writelane_b32 v68, s2, 28
	s_cselect_b64 s[0:1], -1, 0
	v_writelane_b32 v68, s0, 29
	v_or_b32_e32 v10, 6, v49
	v_mov_b64_e32 v[8:9], s[18:19]
	v_writelane_b32 v68, s1, 30
	s_add_u32 s0, s16, s78
	s_addc_u32 s1, s17, s79
	s_add_u32 s0, s8, s0
	s_addc_u32 s1, s9, s1
	v_writelane_b32 v68, s0, 31
	s_lshl_b32 s89, s76, 1
	v_mov_b32_e32 v7, v4
	v_writelane_b32 v68, s1, 32
	s_lshl_b64 s[0:1], s[60:61], 1
	v_writelane_b32 v68, s0, 33
	v_lshlrev_b64 v[4:5], 1, v[6:7]
	s_mov_b32 s73, s61
	v_writelane_b32 v68, s1, 34
	v_mad_u64_u32 v[24:25], s[0:1], s60, v10, v[8:9]
	v_mov_b32_e32 v2, v25
	v_mad_u64_u32 v[10:11], s[0:1], s61, v10, v[2:3]
	s_lshl_b64 s[0:1], s[60:61], 3
	v_mov_b32_e32 v25, v10
	v_writelane_b32 v68, s0, 35
	v_or_b32_e32 v10, 4, v49
	s_mov_b32 s92, s60
	v_writelane_b32 v68, s1, 36
	v_mad_u64_u32 v[26:27], s[0:1], s60, v10, v[8:9]
	v_mov_b32_e32 v2, v27
	v_mad_u64_u32 v[10:11], s[0:1], s61, v10, v[2:3]
	v_mov_b32_e32 v27, v10
	v_or_b32_e32 v10, 2, v49
	v_mad_u64_u32 v[28:29], s[0:1], s60, v10, v[8:9]
	v_mov_b32_e32 v2, v29
	v_mad_u64_u32 v[8:9], s[0:1], s61, v10, v[2:3]
	s_add_u32 s0, s8, s78
	s_addc_u32 s1, s9, s79
	s_add_u32 s0, s0, s16
	s_addc_u32 s1, s1, s17
	v_lshl_add_u64 v[16:17], s[0:1], 0, v[4:5]
	s_mul_i32 s0, s61, s76
	s_mul_hi_u32 s1, s60, s76
	s_add_i32 s1, s1, s0
	s_mul_i32 s0, s60, s76
	s_lshl_b64 s[86:87], s[0:1], 1
                                        ; implicit-def: $sgpr0_sgpr1
                                        ; kill: killed $sgpr0_sgpr1
	s_mov_b32 s83, 0
	s_mov_b32 s0, 0
	v_writelane_b32 v68, s0, 37
	v_writelane_b32 v68, s84, 38
	v_lshlrev_b32_e32 v45, 1, v0
	s_mov_b32 s53, s61
	v_writelane_b32 v68, s85, 39
	v_writelane_b32 v68, s86, 40
	v_mov_b32_e32 v2, 0xc00
	v_cmp_eq_u32_e64 s[96:97], 0, v44
	v_writelane_b32 v68, s87, 41
	v_writelane_b32 v68, s50, 42
	v_add_u32_e32 v46, 0xc00, v45
	v_lshl_add_u64 v[12:13], s[80:81], 0, v[4:5]
	v_writelane_b32 v68, s51, 43
	v_writelane_b32 v68, s73, 44
	v_writelane_b32 v68, s92, 45
	v_lshlrev_b32_e32 v14, 2, v0
	v_mov_b32_e32 v15, v3
	s_mov_b32 s77, s83
	v_lshl_add_u64 v[22:23], v[20:21], 0, v[0:1]
	s_mov_b32 s64, s60
	s_mov_b32 s54, s60
	;; [unrolled: 1-line block ×3, first 2 shown]
	v_mov_b32_e32 v29, v8
	v_lshl_add_u64 v[30:31], v[6:7], 3, s[18:19]
	v_lshl_or_b32 v50, v44, 3, v2
	s_mov_b32 s90, 14
	s_mov_b64 s[74:75], 0
	v_mov_b64_e32 v[32:33], s[14:15]
	s_mov_b32 s91, 0x8000
	v_mov_b64_e32 v[56:57], s[56:57]
	v_mov_b32_e32 v52, 0x4f800000
	v_mov_b32_e32 v53, 0x5040100
	;; [unrolled: 1-line block ×5, first 2 shown]
	v_writelane_b32 v68, s53, 46
                                        ; implicit-def: $sgpr2_sgpr3
                                        ; implicit-def: $sgpr10_sgpr11
                                        ; implicit-def: $sgpr4_sgpr5
                                        ; implicit-def: $sgpr66_sgpr67
                                        ; implicit-def: $sgpr12_sgpr13
	v_writelane_b32 v68, s54, 47
	s_branch .LBB111_34
.LBB111_31:                             ;   in Loop: Header=BB111_34 Depth=1
	s_or_b64 exec, exec, s[14:15]
	s_and_b64 s[8:9], s[8:9], exec
	s_andn2_b64 s[24:25], s[24:25], exec
	s_andn2_b64 s[0:1], s[0:1], exec
	s_orn2_b64 s[18:19], s[6:7], exec
.LBB111_32:                             ;   in Loop: Header=BB111_34 Depth=1
	s_or_b64 exec, exec, s[2:3]
	s_andn2_b64 s[2:3], s[30:31], exec
	s_and_b64 s[6:7], s[8:9], exec
	s_or_b64 s[30:31], s[2:3], s[6:7]
	s_andn2_b64 s[2:3], s[94:95], exec
	s_and_b64 s[6:7], s[24:25], exec
	s_or_b64 s[94:95], s[2:3], s[6:7]
	;; [unrolled: 3-line block ×3, first 2 shown]
	s_orn2_b64 s[0:1], s[18:19], exec
.LBB111_33:                             ;   in Loop: Header=BB111_34 Depth=1
	s_or_b64 exec, exec, s[16:17]
	s_and_b64 s[0:1], exec, s[0:1]
	s_or_b64 s[74:75], s[0:1], s[74:75]
	v_readlane_b32 s0, v68, 50
	v_readlane_b32 s1, v68, 51
	s_andn2_b64 s[0:1], s[0:1], exec
	s_and_b64 s[2:3], s[30:31], exec
	s_or_b64 s[0:1], s[0:1], s[2:3]
	v_writelane_b32 v68, s0, 50
	s_and_b64 s[2:3], s[94:95], exec
	s_mov_b64 s[12:13], s[30:31]
	v_writelane_b32 v68, s1, 51
	s_andn2_b64 s[0:1], s[10:11], exec
	s_or_b64 s[10:11], s[0:1], s[2:3]
	v_readlane_b32 s0, v68, 48
	v_readlane_b32 s1, v68, 49
	s_andn2_b64 s[0:1], s[0:1], exec
	s_and_b64 s[2:3], s[98:99], exec
	s_mov_b64 s[66:67], s[94:95]
	s_mov_b64 s[4:5], s[98:99]
	s_or_b64 s[2:3], s[0:1], s[2:3]
	v_mov_b64_e32 v[32:33], v[8:9]
	s_andn2_b64 exec, exec, s[74:75]
	s_cbranch_execz .LBB111_301
.LBB111_34:                             ; =>This Loop Header: Depth=1
                                        ;     Child Loop BB111_39 Depth 2
                                        ;     Child Loop BB111_53 Depth 2
	;; [unrolled: 1-line block ×17, first 2 shown]
	ds_read_b128 v[4:7], v3 offset:5120
	s_mov_b64 s[98:99], s[96:97]
	v_writelane_b32 v68, s2, 48
	s_mov_b32 s30, s89
	s_mov_b64 s[94:95], s[68:69]
	s_waitcnt lgkmcnt(0)
	v_readfirstlane_b32 s97, v5
	v_readfirstlane_b32 s96, v4
	s_mov_b32 s68, s64
	s_mov_b32 s64, s88
	s_cmp_lg_u64 s[96:97], 0
	v_writelane_b32 v68, s3, 49
	s_cbranch_scc1 .LBB111_66
; %bb.35:                               ;   in Loop: Header=BB111_34 Depth=1
	v_readlane_b32 s0, v68, 16
	v_readlane_b32 s1, v68, 17
	s_and_b64 vcc, exec, s[0:1]
	s_cbranch_vccz .LBB111_47
; %bb.36:                               ;   in Loop: Header=BB111_34 Depth=1
	s_mov_b64 s[0:1], 0x601
	v_cmp_gt_u64_e32 vcc, s[0:1], v[6:7]
	s_mov_b64 s[6:7], 0
	s_mov_b64 s[0:1], 0
	s_mov_b32 s23, s64
	s_mov_b32 s24, s68
	s_cbranch_vccz .LBB111_48
; %bb.37:                               ;   in Loop: Header=BB111_34 Depth=1
	global_load_ushort v6, v3, s[50:51]
	global_load_ushort v8, v[12:13], off
	v_readlane_b32 s0, v68, 31
	v_readlane_b32 s1, v68, 32
	v_readlane_b32 s14, v68, 33
	v_readlane_b32 s15, v68, 34
	v_mov_b64_e32 v[4:5], s[0:1]
	s_mov_b64 s[26:27], s[98:99]
	s_mov_b64 s[8:9], 0
	s_waitcnt vmcnt(1)
	v_and_b32_e32 v2, 0xffff, v6
	v_readfirstlane_b32 s0, v6
	v_lshl_add_u64 v[6:7], v[0:1], 0, v[2:3]
	s_and_b32 s2, 0xffff, s0
	v_mad_u64_u32 v[4:5], s[0:1], s14, v6, v[4:5]
	v_mul_lo_u32 v7, s14, v7
	v_mul_lo_u32 v9, s15, v6
	s_mul_i32 s0, s15, s2
	s_mul_hi_u32 s1, s14, s2
	s_mul_i32 s14, s14, s2
	v_add3_u32 v5, v9, v5, v7
	s_add_i32 s15, s1, s0
	v_mov_b64_e32 v[6:7], v[0:1]
	s_branch .LBB111_39
.LBB111_38:                             ;   in Loop: Header=BB111_39 Depth=2
	s_or_b64 exec, exec, s[2:3]
	v_lshl_add_u64 v[4:5], v[4:5], 0, s[14:15]
	v_mov_b32_e32 v8, v9
	s_andn2_b64 exec, exec, s[8:9]
	s_cbranch_execz .LBB111_126
.LBB111_39:                             ;   Parent Loop BB111_34 Depth=1
                                        ; =>  This Inner Loop Header: Depth=2
	v_lshl_add_u64 v[6:7], v[6:7], 0, v[2:3]
	v_cmp_gt_u64_e64 s[0:1], s[56:57], v[6:7]
	v_cmp_le_u64_e32 vcc, s[56:57], v[6:7]
	s_waitcnt lgkmcnt(0)
	v_mov_b32_e32 v10, 0
	v_mov_b32_e32 v9, 0
	s_and_saveexec_b64 s[2:3], s[0:1]
	s_cbranch_execz .LBB111_41
; %bb.40:                               ;   in Loop: Header=BB111_39 Depth=2
	global_load_ushort v9, v[4:5], off
.LBB111_41:                             ;   in Loop: Header=BB111_39 Depth=2
	s_or_b64 exec, exec, s[2:3]
	s_waitcnt vmcnt(0)
	v_add_u32_sdwa v11, sext(v8), s91 dst_sel:DWORD dst_unused:UNUSED_PAD src0_sel:WORD_0 src1_sel:DWORD
	v_and_b32_e32 v11, v11, v54
	v_cmp_eq_u32_e64 s[0:1], v11, v51
	s_cmp_lg_u64 s[0:1], 0
	s_cselect_b64 s[2:3], -1, 0
	s_and_b64 s[2:3], s[26:27], s[2:3]
	s_and_saveexec_b64 s[16:17], s[2:3]
	s_cbranch_execz .LBB111_45
; %bb.42:                               ;   in Loop: Header=BB111_39 Depth=2
	s_mov_b64 s[20:21], exec
	v_mbcnt_lo_u32_b32 v10, s20, 0
	v_mbcnt_hi_u32_b32 v10, s21, v10
	s_bcnt1_i32_b64 s22, s[0:1]
	v_cmp_eq_u32_e64 s[2:3], 0, v10
                                        ; implicit-def: $vgpr11
	s_and_saveexec_b64 s[18:19], s[2:3]
; %bb.43:                               ;   in Loop: Header=BB111_39 Depth=2
	s_bcnt1_i32_b64 s2, s[20:21]
	s_mul_i32 s2, s22, s2
	v_mov_b32_e32 v11, s2
	ds_add_rtn_u32 v11, v3, v11 offset:5144
; %bb.44:                               ;   in Loop: Header=BB111_39 Depth=2
	s_or_b64 exec, exec, s[18:19]
	s_waitcnt lgkmcnt(0)
	v_readfirstlane_b32 s2, v11
	s_nop 1
	v_mov_b32_e32 v11, s2
	v_mad_u32_u24 v10, s22, v10, v11
.LBB111_45:                             ;   in Loop: Header=BB111_39 Depth=2
	s_or_b64 exec, exec, s[16:17]
	ds_bpermute_b32 v10, v47, v10
	s_and_b64 s[2:3], exec, vcc
	s_or_b64 s[8:9], s[2:3], s[8:9]
	s_and_saveexec_b64 s[2:3], s[0:1]
	s_cbranch_execz .LBB111_38
; %bb.46:                               ;   in Loop: Header=BB111_39 Depth=2
	v_and_b32_e32 v34, s0, v18
	v_and_b32_e32 v11, s1, v19
	v_bcnt_u32_b32 v34, v34, 0
	v_bcnt_u32_b32 v11, v11, v34
	v_lshlrev_b32_e32 v11, 1, v11
	s_waitcnt lgkmcnt(0)
	v_lshl_add_u32 v10, v10, 1, v11
	ds_write_b16 v10, v8
	s_branch .LBB111_38
.LBB111_47:                             ;   in Loop: Header=BB111_34 Depth=1
	s_mov_b64 s[6:7], -1
	s_mov_b64 s[0:1], 0
	s_mov_b32 s23, s64
	s_mov_b32 s24, s68
.LBB111_48:                             ;   in Loop: Header=BB111_34 Depth=1
	s_and_b64 vcc, exec, s[6:7]
	s_cbranch_vccz .LBB111_64
.LBB111_49:                             ;   in Loop: Header=BB111_34 Depth=1
	s_mov_b64 s[0:1], exec
	v_readlane_b32 s2, v68, 12
	v_readlane_b32 s3, v68, 13
	s_and_b64 s[2:3], s[0:1], s[2:3]
	s_mov_b64 exec, s[2:3]
	s_cbranch_execz .LBB111_61
; %bb.50:                               ;   in Loop: Header=BB111_34 Depth=1
	global_load_ushort v2, v3, s[50:51]
	global_load_ushort v36, v[12:13], off
	v_mov_b32_e32 v8, v0
	s_waitcnt vmcnt(1)
	v_readfirstlane_b32 s6, v2
	v_add_u32_sdwa v2, v2, v0 dst_sel:DWORD dst_unused:UNUSED_PAD src0_sel:WORD_0 src1_sel:DWORD
	v_cmp_gt_u64_e32 vcc, s[56:57], v[2:3]
	s_and_saveexec_b64 s[2:3], vcc
	s_cbranch_execz .LBB111_60
; %bb.51:                               ;   in Loop: Header=BB111_34 Depth=1
	s_and_b32 s82, s6, 0xffff
	s_cmp_eq_u32 s82, 1
	v_readlane_b32 s8, v68, 22
	s_cselect_b64 s[6:7], -1, 0
	v_readlane_b32 s9, v68, 23
	s_and_b64 s[14:15], s[8:9], s[6:7]
	s_mov_b64 s[8:9], -1
	v_mov_b64_e32 v[6:7], v[0:1]
	v_mov_b64_e32 v[4:5], v[2:3]
                                        ; implicit-def: $vgpr8_vgpr9
	s_and_saveexec_b64 s[6:7], s[14:15]
	s_cbranch_execz .LBB111_55
; %bb.52:                               ;   in Loop: Header=BB111_34 Depth=1
	v_lshl_add_u64 v[8:9], v[2:3], 0, 3
	v_lshl_add_u64 v[6:7], v[2:3], 0, 2
	v_lshl_add_u64 v[4:5], v[2:3], 0, 1
	v_mov_b64_e32 v[10:11], v[8:9]
	s_waitcnt vmcnt(0)
	v_lshlrev_b32_e32 v38, 16, v36
	s_mov_b64 s[8:9], 0
	v_mov_b64_e32 v[34:35], v[20:21]
	v_mov_b32_e32 v37, v45
	v_mov_b64_e32 v[8:9], v[6:7]
	v_mov_b64_e32 v[6:7], v[4:5]
	;; [unrolled: 1-line block ×3, first 2 shown]
	s_mov_b32 s16, 0x5040100
.LBB111_53:                             ;   Parent Loop BB111_34 Depth=1
                                        ; =>  This Inner Loop Header: Depth=2
	v_mul_lo_u32 v36, v11, s54
	v_mul_lo_u32 v39, v10, s23
	v_mad_u64_u32 v[40:41], s[14:15], v10, s54, 0
	v_mul_lo_u32 v62, v9, s92
	v_mul_lo_u32 v63, v8, s53
	v_mad_u64_u32 v[42:43], s[14:15], v8, s92, 0
	;; [unrolled: 3-line block ×4, first 2 shown]
	v_add3_u32 v41, v41, v39, v36
	v_add3_u32 v43, v43, v63, v62
	;; [unrolled: 1-line block ×4, first 2 shown]
	v_lshl_add_u64 v[42:43], v[42:43], 1, s[80:81]
	v_lshl_add_u64 v[40:41], v[40:41], 1, s[80:81]
	;; [unrolled: 1-line block ×4, first 2 shown]
	global_load_ushort v39, v[42:43], off
	global_load_ushort v36, v[40:41], off
	s_nop 0
	global_load_ushort v40, v[58:59], off
	global_load_ushort v41, v[60:61], off
	v_lshl_add_u64 v[34:35], v[34:35], 0, -4
	v_cmp_eq_u64_e32 vcc, 0, v[34:35]
	v_lshl_add_u64 v[10:11], v[10:11], 0, 4
	v_lshl_add_u64 v[8:9], v[8:9], 0, 4
	v_lshl_add_u64 v[6:7], v[6:7], 0, 4
	v_lshl_add_u64 v[4:5], v[4:5], 0, 4
	s_or_b64 s[8:9], vcc, s[8:9]
	s_waitcnt vmcnt(2)
	v_perm_b32 v42, v36, v39, s16
	s_waitcnt vmcnt(1)
	v_perm_b32 v39, v39, v40, s16
	s_waitcnt vmcnt(0)
	v_alignbit_b32 v38, v41, v38, 16
	ds_write_b64 v37, v[38:39]
	v_add_u32_e32 v37, 8, v37
	v_mov_b32_e32 v38, v42
	s_andn2_b64 exec, exec, s[8:9]
	s_cbranch_execnz .LBB111_53
; %bb.54:                               ;   in Loop: Header=BB111_34 Depth=1
	s_or_b64 exec, exec, s[8:9]
	v_readlane_b32 s8, v68, 24
	v_lshl_add_u64 v[4:5], v[2:3], 0, v[20:21]
	v_readlane_b32 s9, v68, 25
	v_lshl_add_u64 v[8:9], v[4:5], 0, -1
	s_orn2_b64 s[8:9], s[8:9], exec
	v_mov_b64_e32 v[6:7], v[22:23]
.LBB111_55:                             ;   in Loop: Header=BB111_34 Depth=1
	s_or_b64 exec, exec, s[6:7]
	s_and_saveexec_b64 s[6:7], s[8:9]
	s_cbranch_execz .LBB111_59
; %bb.56:                               ;   in Loop: Header=BB111_34 Depth=1
	v_readlane_b32 s16, v68, 31
	v_readlane_b32 s17, v68, 32
	;; [unrolled: 1-line block ×4, first 2 shown]
	v_mov_b64_e32 v[8:9], s[16:17]
	v_mad_u64_u32 v[8:9], s[16:17], s18, v4, v[8:9]
	s_sub_u32 s8, 0, s82
	v_mul_lo_u32 v2, s18, v5
	v_mul_lo_u32 v7, s19, v4
	s_mul_i32 s16, s19, s82
	s_mul_hi_u32 s17, s18, s82
	s_mov_b64 s[14:15], 0
	s_subb_u32 s9, 0, 0
	v_add3_u32 v9, v7, v9, v2
	s_add_i32 s17, s17, s16
	s_mul_i32 s16, s18, s82
.LBB111_57:                             ;   Parent Loop BB111_34 Depth=1
                                        ; =>  This Inner Loop Header: Depth=2
	global_load_ushort v2, v[8:9], off
	v_mov_b64_e32 v[10:11], v[4:5]
	v_lshlrev_b32_e32 v4, 1, v6
	s_waitcnt vmcnt(1)
	ds_write_b16 v4, v36
	v_lshl_add_u64 v[4:5], v[10:11], 0, s[82:83]
	v_cmp_le_u64_e32 vcc, s[56:57], v[4:5]
	v_lshl_add_u64 v[8:9], v[8:9], 0, s[16:17]
	v_mov_b64_e32 v[6:7], v[10:11]
	s_or_b64 s[14:15], vcc, s[14:15]
	s_waitcnt vmcnt(0)
	v_mov_b32_e32 v36, v2
	s_andn2_b64 exec, exec, s[14:15]
	s_cbranch_execnz .LBB111_57
; %bb.58:                               ;   in Loop: Header=BB111_34 Depth=1
	s_or_b64 exec, exec, s[14:15]
	v_lshl_add_u64 v[8:9], s[8:9], 0, v[4:5]
	v_mov_b32_e32 v36, v2
.LBB111_59:                             ;   in Loop: Header=BB111_34 Depth=1
	s_or_b64 exec, exec, s[6:7]
.LBB111_60:                             ;   in Loop: Header=BB111_34 Depth=1
	s_or_b64 exec, exec, s[2:3]
	v_lshlrev_b32_e32 v2, 1, v8
	s_waitcnt vmcnt(0)
	ds_write_b16 v2, v36
.LBB111_61:                             ;   in Loop: Header=BB111_34 Depth=1
	s_or_b64 exec, exec, s[0:1]
	s_waitcnt lgkmcnt(0)
	s_barrier
	s_mov_b64 s[0:1], exec
	v_readlane_b32 s2, v68, 6
	v_readlane_b32 s3, v68, 7
	s_and_b64 s[2:3], s[0:1], s[2:3]
	s_mov_b64 exec, s[2:3]
; %bb.62:                               ;   in Loop: Header=BB111_34 Depth=1
	ds_write_b64 v3, v[56:57] offset:5120
; %bb.63:                               ;   in Loop: Header=BB111_34 Depth=1
	s_or_b64 exec, exec, s[0:1]
	s_waitcnt lgkmcnt(0)
	s_barrier
	s_mov_b64 s[0:1], -1
.LBB111_64:                             ;   in Loop: Header=BB111_34 Depth=1
	s_mov_b64 s[96:97], 0
	s_and_b64 vcc, exec, s[0:1]
	s_cbranch_vccz .LBB111_66
; %bb.65:                               ;   in Loop: Header=BB111_34 Depth=1
	ds_read_b64 v[4:5], v3 offset:5120
	s_waitcnt lgkmcnt(0)
	v_readfirstlane_b32 s96, v4
.LBB111_66:                             ;   in Loop: Header=BB111_34 Depth=1
	s_cmp_lt_i32 s96, 1
	s_mov_b64 s[0:1], -1
                                        ; implicit-def: $vgpr4_vgpr5
                                        ; implicit-def: $vgpr8_vgpr9
	s_cbranch_scc0 .LBB111_81
; %bb.67:                               ;   in Loop: Header=BB111_34 Depth=1
	global_load_ushort v2, v3, s[50:51]
	s_mov_b32 s0, s83
	s_waitcnt vmcnt(0)
	v_readfirstlane_b32 s1, v2
	s_and_b32 s8, s1, 0xffff
	s_lshl_b32 s82, s8, 2
	s_mov_b32 s1, s57
	s_cmp_lg_u64 s[0:1], 0
	s_cbranch_scc0 .LBB111_99
; %bb.68:                               ;   in Loop: Header=BB111_34 Depth=1
	v_cvt_f32_u32_e32 v2, s82
	s_sub_u32 s2, 0, s82
	s_subb_u32 s3, 0, 0
	v_fmac_f32_e32 v2, 0, v52
	v_rcp_f32_e32 v2, v2
	s_nop 0
	v_mul_f32_e32 v2, 0x5f7ffffc, v2
	v_mul_f32_e32 v4, 0x2f800000, v2
	v_trunc_f32_e32 v4, v4
	v_fmac_f32_e32 v2, 0xcf800000, v4
	v_cvt_u32_f32_e32 v4, v4
	v_cvt_u32_f32_e32 v2, v2
	v_readfirstlane_b32 s6, v4
	v_readfirstlane_b32 s0, v2
	s_mul_i32 s1, s2, s6
	s_mul_hi_u32 s9, s2, s0
	s_mul_i32 s7, s3, s0
	s_add_i32 s1, s9, s1
	s_mul_i32 s14, s2, s0
	s_add_i32 s1, s1, s7
	s_mul_hi_u32 s9, s0, s14
	s_mul_i32 s15, s0, s1
	s_mul_hi_u32 s7, s0, s1
	s_add_u32 s9, s9, s15
	s_addc_u32 s7, 0, s7
	s_mul_hi_u32 s16, s6, s14
	s_mul_i32 s14, s6, s14
	s_add_u32 s9, s9, s14
	s_mul_hi_u32 s15, s6, s1
	s_addc_u32 s7, s7, s16
	s_addc_u32 s9, s15, 0
	s_mul_i32 s1, s6, s1
	s_add_u32 s1, s7, s1
	s_addc_u32 s7, 0, s9
	s_add_u32 s9, s0, s1
	s_cselect_b64 s[0:1], -1, 0
	s_cmp_lg_u64 s[0:1], 0
	s_addc_u32 s6, s6, s7
	s_mul_i32 s0, s2, s6
	s_mul_hi_u32 s1, s2, s9
	s_add_i32 s0, s1, s0
	s_mul_i32 s3, s3, s9
	s_add_i32 s0, s0, s3
	s_mul_i32 s2, s2, s9
	s_mul_hi_u32 s3, s6, s2
	s_mul_i32 s7, s6, s2
	s_mul_i32 s15, s9, s0
	s_mul_hi_u32 s2, s9, s2
	s_mul_hi_u32 s14, s9, s0
	s_add_u32 s2, s2, s15
	s_addc_u32 s14, 0, s14
	s_add_u32 s2, s2, s7
	s_mul_hi_u32 s1, s6, s0
	s_addc_u32 s2, s14, s3
	s_addc_u32 s1, s1, 0
	s_mul_i32 s0, s6, s0
	s_add_u32 s0, s2, s0
	s_addc_u32 s2, 0, s1
	s_add_u32 s3, s9, s0
	s_cselect_b64 s[0:1], -1, 0
	s_cmp_lg_u64 s[0:1], 0
	s_addc_u32 s0, s6, s2
	s_mul_i32 s2, s56, s0
	s_mul_hi_u32 s6, s56, s3
	s_mul_hi_u32 s1, s56, s0
	s_add_u32 s2, s6, s2
	s_addc_u32 s1, 0, s1
	s_mul_hi_u32 s7, s57, s3
	s_mul_i32 s3, s57, s3
	s_add_u32 s2, s2, s3
	s_mul_hi_u32 s6, s57, s0
	s_addc_u32 s1, s1, s7
	s_addc_u32 s2, s6, 0
	s_mul_i32 s0, s57, s0
	s_add_u32 s0, s1, s0
	s_addc_u32 s1, 0, s2
	s_mul_i32 s1, s82, s1
	s_mul_hi_u32 s2, s82, s0
	s_add_i32 s2, s2, s1
	s_mul_i32 s0, s82, s0
	s_sub_u32 s3, s56, s0
	s_cselect_b64 s[0:1], -1, 0
	s_cmp_lg_u64 s[0:1], 0
	s_subb_u32 s2, s57, s2
	s_sub_u32 s6, s3, s82
	s_cselect_b64 s[0:1], -1, 0
	s_cmp_lg_u64 s[0:1], 0
	s_subb_u32 s7, s2, 0
	;; [unrolled: 4-line block ×3, first 2 shown]
	s_cmp_ge_u32 s6, s82
	s_cselect_b32 s1, -1, 0
	s_cmp_eq_u32 s7, 0
	s_cselect_b32 s1, s1, -1
	s_cmp_lg_u32 s1, 0
	s_cselect_b32 s0, s0, s7
	s_cselect_b32 s6, s9, s6
	s_cmp_ge_u32 s3, s82
	s_cselect_b32 s1, -1, 0
	s_cmp_eq_u32 s2, 0
	s_cselect_b32 s1, s1, -1
	s_cmp_lg_u32 s1, 0
	s_cselect_b32 s1, s0, s2
	s_cselect_b32 s0, s6, s3
	s_cbranch_execnz .LBB111_70
.LBB111_69:                             ;   in Loop: Header=BB111_34 Depth=1
	v_cvt_f32_u32_e32 v2, s82
	s_sub_i32 s0, 0, s82
	v_rcp_iflag_f32_e32 v2, v2
	s_nop 0
	v_mul_f32_e32 v2, 0x4f7ffffe, v2
	v_cvt_u32_f32_e32 v2, v2
	s_nop 0
	v_readfirstlane_b32 s1, v2
	s_mul_i32 s0, s0, s1
	s_mul_hi_u32 s0, s1, s0
	s_add_i32 s1, s1, s0
	s_mul_hi_u32 s0, s56, s1
	s_mul_i32 s0, s0, s82
	s_sub_i32 s0, s56, s0
	s_sub_i32 s1, s0, s82
	s_cmp_ge_u32 s0, s82
	s_cselect_b32 s0, s1, s0
	s_sub_i32 s1, s0, s82
	s_cmp_ge_u32 s0, s82
	s_cselect_b32 s0, s1, s0
	s_mov_b32 s1, s83
.LBB111_70:                             ;   in Loop: Header=BB111_34 Depth=1
	s_sub_u32 s14, s56, s0
	s_subb_u32 s15, s57, s1
	s_mov_b32 s9, s83
	v_cmp_gt_u64_e32 vcc, s[14:15], v[14:15]
	v_mov_b64_e32 v[4:5], 0
	v_mov_b64_e32 v[6:7], 0
	;; [unrolled: 1-line block ×4, first 2 shown]
	s_and_saveexec_b64 s[88:89], vcc
	s_cbranch_execz .LBB111_74
; %bb.71:                               ;   in Loop: Header=BB111_34 Depth=1
	v_readlane_b32 s2, v68, 35
	v_readlane_b32 s3, v68, 36
	s_mul_i32 s0, s3, s8
	s_mul_hi_u32 s1, s2, s8
	s_mov_b32 s65, s55
	s_mov_b32 s97, s93
	s_add_i32 s7, s1, s0
	s_mul_i32 s6, s2, s8
	s_mov_b64 s[72:73], 0
	v_mov_b64_e32 v[34:35], v[30:31]
	v_mov_b64_e32 v[36:37], v[28:29]
	;; [unrolled: 1-line block ×4, first 2 shown]
	s_mov_b64 s[70:71], 0
	s_mov_b64 s[84:85], 0
	;; [unrolled: 1-line block ×4, first 2 shown]
	v_mov_b64_e32 v[42:43], v[14:15]
.LBB111_72:                             ;   Parent Loop BB111_34 Depth=1
                                        ; =>  This Inner Loop Header: Depth=2
	v_lshl_add_u64 v[4:5], v[34:35], 0, s[78:79]
	v_lshl_add_u64 v[6:7], v[36:37], 0, s[78:79]
	;; [unrolled: 1-line block ×4, first 2 shown]
	global_load_sshort v2, v[4:5], off
	s_nop 0
	global_load_sshort v4, v[6:7], off
	global_load_sshort v5, v[8:9], off
	s_nop 0
	global_load_sshort v6, v[10:11], off
	v_lshl_add_u64 v[42:43], v[42:43], 0, s[82:83]
	v_cmp_le_u64_e32 vcc, s[14:15], v[42:43]
	v_lshl_add_u64 v[40:41], v[40:41], 0, s[6:7]
	v_lshl_add_u64 v[38:39], v[38:39], 0, s[6:7]
	;; [unrolled: 1-line block ×4, first 2 shown]
	s_waitcnt vmcnt(3)
	v_add_u32_e32 v2, 0x8000, v2
	s_waitcnt vmcnt(2)
	v_add_u32_e32 v4, 0x8000, v4
	v_and_b32_e32 v7, v2, v54
	v_bfe_u32 v2, v2, s90, 2
	s_waitcnt vmcnt(1)
	v_add_u32_e32 v5, 0x8000, v5
	v_and_b32_e32 v8, v4, v54
	v_bfe_u32 v4, v4, s90, 2
	v_cmp_eq_u32_e64 s[20:21], v7, v51
	v_cmp_eq_u32_e64 s[2:3], 0, v2
	s_waitcnt vmcnt(0)
	v_add_u32_e32 v6, 0x8000, v6
	v_and_b32_e32 v9, v5, v54
	v_bfe_u32 v5, v5, s90, 2
	v_cmp_eq_u32_e64 s[18:19], v8, v51
	v_cmp_eq_u32_e64 s[34:35], 0, v4
	s_and_b64 s[2:3], s[20:21], s[2:3]
	v_and_b32_e32 v10, v6, v54
	v_bfe_u32 v6, v6, s90, 2
	v_cmp_eq_u32_e64 s[16:17], v9, v51
	v_cmp_eq_u32_e64 s[36:37], 0, v5
	;; [unrolled: 1-line block ×5, first 2 shown]
	v_cndmask_b32_e64 v2, 0, 1, s[2:3]
	s_and_b64 s[2:3], s[18:19], s[34:35]
	v_cmp_eq_u32_e64 s[0:1], v10, v51
	v_cmp_eq_u32_e64 s[38:39], 0, v6
	;; [unrolled: 1-line block ×5, first 2 shown]
	v_cndmask_b32_e64 v4, 0, 1, s[2:3]
	s_and_b64 s[2:3], s[16:17], s[36:37]
	v_cmp_eq_u32_e64 s[44:45], 1, v5
	v_cmp_eq_u32_e64 s[52:53], 2, v5
	;; [unrolled: 1-line block ×3, first 2 shown]
	v_cndmask_b32_e64 v5, 0, 1, s[2:3]
	s_and_b64 s[2:3], s[0:1], s[38:39]
	v_cmp_eq_u32_e64 s[46:47], 1, v6
	v_cmp_eq_u32_e64 s[54:55], 2, v6
	;; [unrolled: 1-line block ×3, first 2 shown]
	v_cndmask_b32_e64 v6, 0, 1, s[2:3]
	v_cmp_ne_u32_e64 s[2:3], 0, v2
	v_cmp_ne_u32_e64 s[34:35], 0, v4
	;; [unrolled: 1-line block ×4, first 2 shown]
	s_bcnt1_i32_b64 s2, s[2:3]
	s_bcnt1_i32_b64 s3, s[34:35]
	;; [unrolled: 1-line block ×4, first 2 shown]
	s_add_u32 s2, s2, s86
	s_addc_u32 s36, 0, s87
	s_add_u32 s2, s2, s3
	s_addc_u32 s3, s36, 0
	;; [unrolled: 2-line block ×4, first 2 shown]
	s_and_b64 s[2:3], s[20:21], s[40:41]
	v_cndmask_b32_e64 v2, 0, 1, s[2:3]
	s_and_b64 s[2:3], s[18:19], s[42:43]
	v_cndmask_b32_e64 v6, 0, 1, s[2:3]
	;; [unrolled: 2-line block ×4, first 2 shown]
	v_cmp_ne_u32_e64 s[2:3], 0, v2
	v_cmp_ne_u32_e64 s[34:35], 0, v6
	;; [unrolled: 1-line block ×4, first 2 shown]
	s_bcnt1_i32_b64 s2, s[2:3]
	s_bcnt1_i32_b64 s3, s[34:35]
	;; [unrolled: 1-line block ×4, first 2 shown]
	s_add_u32 s2, s2, s92
	s_addc_u32 s36, 0, s93
	s_add_u32 s2, s2, s3
	s_addc_u32 s3, s36, 0
	;; [unrolled: 2-line block ×4, first 2 shown]
	s_and_b64 s[2:3], s[20:21], s[48:49]
	v_cndmask_b32_e64 v2, 0, 1, s[2:3]
	s_and_b64 s[2:3], s[18:19], s[50:51]
	v_cndmask_b32_e64 v8, 0, 1, s[2:3]
	;; [unrolled: 2-line block ×4, first 2 shown]
	v_cmp_ne_u32_e64 s[2:3], 0, v2
	v_cmp_ne_u32_e64 s[34:35], 0, v8
	;; [unrolled: 1-line block ×4, first 2 shown]
	s_bcnt1_i32_b64 s2, s[2:3]
	s_bcnt1_i32_b64 s3, s[34:35]
	;; [unrolled: 1-line block ×4, first 2 shown]
	s_add_u32 s2, s2, s84
	s_addc_u32 s36, 0, s85
	s_add_u32 s2, s2, s3
	s_addc_u32 s3, s36, 0
	;; [unrolled: 2-line block ×4, first 2 shown]
	s_and_b64 s[2:3], s[20:21], s[28:29]
	v_cndmask_b32_e64 v2, 0, 1, s[2:3]
	s_and_b64 s[2:3], s[18:19], s[26:27]
	v_cndmask_b32_e64 v10, 0, 1, s[2:3]
	s_and_b64 s[2:3], s[16:17], s[24:25]
	s_and_b64 s[0:1], s[0:1], s[22:23]
	v_cndmask_b32_e64 v11, 0, 1, s[2:3]
	v_cndmask_b32_e64 v58, 0, 1, s[0:1]
	v_cmp_ne_u32_e64 s[0:1], 0, v2
	v_cmp_ne_u32_e64 s[2:3], 0, v10
	;; [unrolled: 1-line block ×4, first 2 shown]
	s_bcnt1_i32_b64 s0, s[0:1]
	s_bcnt1_i32_b64 s1, s[2:3]
	;; [unrolled: 1-line block ×4, first 2 shown]
	s_add_u32 s0, s0, s70
	s_addc_u32 s16, 0, s71
	s_add_u32 s0, s0, s1
	s_addc_u32 s1, s16, 0
	;; [unrolled: 2-line block ×4, first 2 shown]
	v_mov_b64_e32 v[4:5], s[86:87]
	v_mov_b64_e32 v[6:7], s[92:93]
	;; [unrolled: 1-line block ×3, first 2 shown]
	s_or_b64 s[72:73], vcc, s[72:73]
	v_mov_b64_e32 v[10:11], s[70:71]
	s_andn2_b64 exec, exec, s[72:73]
	s_cbranch_execnz .LBB111_72
; %bb.73:                               ;   in Loop: Header=BB111_34 Depth=1
	s_or_b64 exec, exec, s[72:73]
	v_readlane_b32 s84, v68, 38
	v_readlane_b32 s86, v68, 40
	;; [unrolled: 1-line block ×5, first 2 shown]
	s_mov_b32 s93, s97
	s_mov_b32 s55, s65
	v_readlane_b32 s51, v68, 43
	v_readlane_b32 s73, v68, 44
	;; [unrolled: 1-line block ×5, first 2 shown]
.LBB111_74:                             ;   in Loop: Header=BB111_34 Depth=1
	s_or_b64 exec, exec, s[88:89]
	v_lshl_add_u64 v[34:35], s[14:15], 0, v[0:1]
	v_cmp_gt_u64_e32 vcc, s[56:57], v[34:35]
	s_and_saveexec_b64 s[2:3], vcc
	s_cbranch_execz .LBB111_80
; %bb.75:                               ;   in Loop: Header=BB111_34 Depth=1
	v_mul_lo_u32 v2, v35, s60
	v_mul_lo_u32 v38, v34, s61
	v_mad_u64_u32 v[36:37], s[0:1], v34, s60, 0
	v_add3_u32 v37, v37, v38, v2
	v_lshl_add_u64 v[36:37], v[36:37], 1, s[80:81]
	global_load_ushort v36, v[36:37], off
	s_mov_b64 s[6:7], 0
	s_branch .LBB111_77
.LBB111_76:                             ;   in Loop: Header=BB111_77 Depth=2
	s_or_b64 exec, exec, s[14:15]
	s_waitcnt vmcnt(0)
	v_add_u32_sdwa v36, sext(v36), s91 dst_sel:DWORD dst_unused:UNUSED_PAD src0_sel:WORD_0 src1_sel:DWORD
	s_and_b64 s[0:1], exec, vcc
	v_and_b32_e32 v37, v36, v54
	v_bfe_u32 v36, v36, s90, 2
	s_or_b64 s[6:7], s[0:1], s[6:7]
	v_cmp_eq_u32_e32 vcc, v37, v51
	v_cmp_eq_u32_e64 s[0:1], 0, v36
	s_and_b64 s[0:1], vcc, s[0:1]
	s_nop 0
	v_cndmask_b32_e64 v37, 0, 1, s[0:1]
	v_cmp_ne_u32_e64 s[0:1], 0, v37
	s_bcnt1_i32_b64 s82, s[0:1]
	v_cmp_eq_u32_e64 s[0:1], 1, v36
	s_and_b64 s[0:1], vcc, s[0:1]
	v_lshl_add_u64 v[4:5], s[82:83], 0, v[4:5]
	v_cndmask_b32_e64 v37, 0, 1, s[0:1]
	v_cmp_ne_u32_e64 s[0:1], 0, v37
	s_bcnt1_i32_b64 s82, s[0:1]
	v_cmp_eq_u32_e64 s[0:1], 2, v36
	s_and_b64 s[0:1], vcc, s[0:1]
	v_lshl_add_u64 v[6:7], s[82:83], 0, v[6:7]
	;; [unrolled: 6-line block ×3, first 2 shown]
	v_cndmask_b32_e64 v36, 0, 1, s[0:1]
	v_cmp_ne_u32_e32 vcc, 0, v36
	s_bcnt1_i32_b64 s82, vcc
	v_lshl_add_u64 v[10:11], s[82:83], 0, v[10:11]
	v_mov_b32_e32 v36, v2
	s_andn2_b64 exec, exec, s[6:7]
	s_cbranch_execz .LBB111_79
.LBB111_77:                             ;   Parent Loop BB111_34 Depth=1
                                        ; =>  This Inner Loop Header: Depth=2
	v_lshl_add_u64 v[34:35], v[34:35], 0, s[8:9]
	v_cmp_gt_u64_e64 s[0:1], s[56:57], v[34:35]
	v_cmp_le_u64_e32 vcc, s[56:57], v[34:35]
	v_mov_b32_e32 v2, 0
	s_and_saveexec_b64 s[14:15], s[0:1]
	s_cbranch_execz .LBB111_76
; %bb.78:                               ;   in Loop: Header=BB111_77 Depth=2
	v_mul_lo_u32 v2, v35, s60
	v_mul_lo_u32 v37, v34, s61
	v_mad_u64_u32 v[38:39], s[0:1], v34, s60, 0
	v_add3_u32 v39, v39, v37, v2
	v_lshl_add_u64 v[38:39], v[38:39], 1, s[80:81]
	global_load_ushort v2, v[38:39], off
	s_branch .LBB111_76
.LBB111_79:                             ;   in Loop: Header=BB111_34 Depth=1
	s_or_b64 exec, exec, s[6:7]
.LBB111_80:                             ;   in Loop: Header=BB111_34 Depth=1
	s_or_b64 exec, exec, s[2:3]
	s_mov_b64 s[0:1], 0
.LBB111_81:                             ;   in Loop: Header=BB111_34 Depth=1
	s_and_b64 vcc, exec, s[0:1]
	s_cbranch_vccz .LBB111_91
; %bb.82:                               ;   in Loop: Header=BB111_34 Depth=1
	global_load_ushort v2, v3, s[50:51]
	v_mov_b64_e32 v[8:9], 0
	s_waitcnt vmcnt(0)
	v_readfirstlane_b32 s0, v2
	s_and_b32 s92, 0xffff, s0
	s_lshl_b32 s82, s92, 2
	v_cvt_f32_u32_e32 v4, s82
	s_sub_i32 s0, 0, s82
	v_rcp_iflag_f32_e32 v6, v4
	v_mov_b64_e32 v[4:5], 0
	v_mul_f32_e32 v6, 0x4f7ffffe, v6
	v_cvt_u32_f32_e32 v10, v6
	v_mov_b64_e32 v[6:7], 0
	v_readfirstlane_b32 s1, v10
	s_mul_i32 s0, s0, s1
	s_mul_hi_u32 s0, s1, s0
	s_add_i32 s1, s1, s0
	s_mul_hi_u32 s0, s96, s1
	s_mul_i32 s1, s0, s82
	s_sub_i32 s1, s96, s1
	s_add_i32 s2, s0, 1
	s_sub_i32 s3, s1, s82
	s_cmp_ge_u32 s1, s82
	s_cselect_b32 s0, s2, s0
	s_cselect_b32 s1, s3, s1
	s_add_i32 s2, s0, 1
	s_cmp_ge_u32 s1, s82
	s_cselect_b32 s0, s2, s0
	s_mul_hi_u32 s9, s92, s0
	s_mul_i32 s8, s92, s0
	s_lshl_b64 s[14:15], s[8:9], 2
	v_cmp_gt_u64_e32 vcc, s[14:15], v[14:15]
	v_mov_b64_e32 v[10:11], 0
	s_and_saveexec_b64 s[6:7], vcc
	s_cbranch_execz .LBB111_86
; %bb.83:                               ;   in Loop: Header=BB111_34 Depth=1
	s_mov_b32 s65, s55
	s_lshl_b32 s9, s92, 3
	s_mov_b64 s[70:71], 0
	v_mov_b32_e32 v36, v49
	s_mov_b64 s[72:73], 0
	s_mov_b64 s[84:85], 0
	;; [unrolled: 1-line block ×4, first 2 shown]
	v_mov_b64_e32 v[34:35], v[14:15]
.LBB111_84:                             ;   Parent Loop BB111_34 Depth=1
                                        ; =>  This Inner Loop Header: Depth=2
	ds_read_b64 v[4:5], v36
	v_lshl_add_u64 v[34:35], v[34:35], 0, s[82:83]
	v_cmp_le_u64_e32 vcc, s[14:15], v[34:35]
	v_add_u32_e32 v36, s9, v36
	s_waitcnt lgkmcnt(0)
	v_add_u32_sdwa v6, sext(v4), s91 dst_sel:DWORD dst_unused:UNUSED_PAD src0_sel:WORD_0 src1_sel:DWORD
	v_add_u32_sdwa v4, sext(v4), s91 dst_sel:DWORD dst_unused:UNUSED_PAD src0_sel:WORD_1 src1_sel:DWORD
	v_and_b32_e32 v8, v6, v54
	v_bfe_u32 v6, v6, s90, 2
	v_add_u32_sdwa v7, sext(v5), s91 dst_sel:DWORD dst_unused:UNUSED_PAD src0_sel:WORD_0 src1_sel:DWORD
	v_and_b32_e32 v9, v4, v54
	v_bfe_u32 v4, v4, s90, 2
	v_cmp_eq_u32_e64 s[20:21], v8, v51
	v_cmp_eq_u32_e64 s[2:3], 0, v6
	v_add_u32_sdwa v5, sext(v5), s91 dst_sel:DWORD dst_unused:UNUSED_PAD src0_sel:WORD_1 src1_sel:DWORD
	v_and_b32_e32 v10, v7, v54
	v_bfe_u32 v7, v7, s90, 2
	v_cmp_eq_u32_e64 s[18:19], v9, v51
	v_cmp_eq_u32_e64 s[34:35], 0, v4
	s_and_b64 s[2:3], s[20:21], s[2:3]
	v_and_b32_e32 v11, v5, v54
	v_bfe_u32 v5, v5, s90, 2
	v_cmp_eq_u32_e64 s[16:17], v10, v51
	v_cmp_eq_u32_e64 s[36:37], 0, v7
	;; [unrolled: 1-line block ×5, first 2 shown]
	v_cndmask_b32_e64 v4, 0, 1, s[2:3]
	s_and_b64 s[2:3], s[18:19], s[34:35]
	v_cmp_eq_u32_e64 s[0:1], v11, v51
	v_cmp_eq_u32_e64 s[38:39], 0, v5
	;; [unrolled: 1-line block ×5, first 2 shown]
	v_cndmask_b32_e64 v5, 0, 1, s[2:3]
	s_and_b64 s[2:3], s[16:17], s[36:37]
	v_cmp_eq_u32_e64 s[40:41], 1, v6
	v_cmp_eq_u32_e64 s[48:49], 2, v6
	v_cmp_eq_u32_e64 s[28:29], 3, v6
	v_cndmask_b32_e64 v6, 0, 1, s[2:3]
	s_and_b64 s[2:3], s[0:1], s[38:39]
	v_cmp_eq_u32_e64 s[44:45], 1, v7
	v_cmp_eq_u32_e64 s[52:53], 2, v7
	;; [unrolled: 1-line block ×3, first 2 shown]
	v_cndmask_b32_e64 v7, 0, 1, s[2:3]
	v_cmp_ne_u32_e64 s[2:3], 0, v4
	v_cmp_ne_u32_e64 s[34:35], 0, v5
	;; [unrolled: 1-line block ×4, first 2 shown]
	s_bcnt1_i32_b64 s2, s[2:3]
	s_bcnt1_i32_b64 s3, s[34:35]
	;; [unrolled: 1-line block ×4, first 2 shown]
	s_add_u32 s2, s2, s88
	s_addc_u32 s36, 0, s89
	s_add_u32 s2, s2, s3
	s_addc_u32 s3, s36, 0
	;; [unrolled: 2-line block ×4, first 2 shown]
	s_and_b64 s[2:3], s[20:21], s[40:41]
	v_cndmask_b32_e64 v6, 0, 1, s[2:3]
	s_and_b64 s[2:3], s[18:19], s[42:43]
	v_cndmask_b32_e64 v7, 0, 1, s[2:3]
	;; [unrolled: 2-line block ×4, first 2 shown]
	v_cmp_ne_u32_e64 s[2:3], 0, v6
	v_cmp_ne_u32_e64 s[34:35], 0, v7
	;; [unrolled: 1-line block ×4, first 2 shown]
	s_bcnt1_i32_b64 s2, s[2:3]
	s_bcnt1_i32_b64 s3, s[34:35]
	;; [unrolled: 1-line block ×4, first 2 shown]
	s_add_u32 s2, s2, s86
	s_addc_u32 s36, 0, s87
	s_add_u32 s2, s2, s3
	s_addc_u32 s3, s36, 0
	;; [unrolled: 2-line block ×4, first 2 shown]
	s_and_b64 s[2:3], s[20:21], s[48:49]
	v_cndmask_b32_e64 v8, 0, 1, s[2:3]
	s_and_b64 s[2:3], s[18:19], s[50:51]
	v_cndmask_b32_e64 v9, 0, 1, s[2:3]
	;; [unrolled: 2-line block ×4, first 2 shown]
	v_cmp_ne_u32_e64 s[2:3], 0, v8
	v_cmp_ne_u32_e64 s[34:35], 0, v9
	;; [unrolled: 1-line block ×4, first 2 shown]
	s_bcnt1_i32_b64 s2, s[2:3]
	s_bcnt1_i32_b64 s3, s[34:35]
	s_bcnt1_i32_b64 s34, s[36:37]
	s_bcnt1_i32_b64 s35, s[38:39]
	s_add_u32 s2, s2, s84
	s_addc_u32 s36, 0, s85
	s_add_u32 s2, s2, s3
	s_addc_u32 s3, s36, 0
	;; [unrolled: 2-line block ×4, first 2 shown]
	s_and_b64 s[2:3], s[20:21], s[28:29]
	v_cndmask_b32_e64 v10, 0, 1, s[2:3]
	s_and_b64 s[2:3], s[18:19], s[26:27]
	v_cndmask_b32_e64 v11, 0, 1, s[2:3]
	s_and_b64 s[2:3], s[16:17], s[24:25]
	s_and_b64 s[0:1], s[0:1], s[22:23]
	v_cndmask_b32_e64 v37, 0, 1, s[2:3]
	v_cndmask_b32_e64 v38, 0, 1, s[0:1]
	v_cmp_ne_u32_e64 s[0:1], 0, v10
	v_cmp_ne_u32_e64 s[2:3], 0, v11
	;; [unrolled: 1-line block ×4, first 2 shown]
	s_bcnt1_i32_b64 s0, s[0:1]
	s_bcnt1_i32_b64 s1, s[2:3]
	s_bcnt1_i32_b64 s2, s[16:17]
	s_bcnt1_i32_b64 s3, s[18:19]
	s_add_u32 s0, s0, s72
	s_addc_u32 s16, 0, s73
	s_add_u32 s0, s0, s1
	s_addc_u32 s1, s16, 0
	;; [unrolled: 2-line block ×4, first 2 shown]
	v_mov_b64_e32 v[4:5], s[88:89]
	v_mov_b64_e32 v[6:7], s[86:87]
	;; [unrolled: 1-line block ×3, first 2 shown]
	s_or_b64 s[70:71], vcc, s[70:71]
	v_mov_b64_e32 v[10:11], s[72:73]
	s_andn2_b64 exec, exec, s[70:71]
	s_cbranch_execnz .LBB111_84
; %bb.85:                               ;   in Loop: Header=BB111_34 Depth=1
	s_or_b64 exec, exec, s[70:71]
	v_readlane_b32 s84, v68, 38
	v_readlane_b32 s86, v68, 40
	;; [unrolled: 1-line block ×5, first 2 shown]
	s_mov_b32 s55, s65
	v_readlane_b32 s51, v68, 43
	v_readlane_b32 s53, v68, 46
	;; [unrolled: 1-line block ×3, first 2 shown]
.LBB111_86:                             ;   in Loop: Header=BB111_34 Depth=1
	s_or_b64 exec, exec, s[6:7]
	s_and_b32 s6, s96, 0x7fffffff
	s_mov_b32 s7, s83
	v_lshl_add_u64 v[34:35], s[14:15], 0, v[0:1]
	v_and_b32_e32 v2, 0xffff, v2
	v_cmp_gt_u64_e32 vcc, s[6:7], v[34:35]
	s_and_saveexec_b64 s[14:15], vcc
	s_cbranch_execz .LBB111_90
; %bb.87:                               ;   in Loop: Header=BB111_34 Depth=1
	v_lshl_add_u32 v36, s8, 3, v45
	s_lshl_b32 s22, s92, 1
	s_mov_b64 s[8:9], 0
.LBB111_88:                             ;   Parent Loop BB111_34 Depth=1
                                        ; =>  This Inner Loop Header: Depth=2
	ds_read_i16 v37, v36
	v_lshl_add_u64 v[34:35], v[34:35], 0, v[2:3]
	v_cmp_le_u64_e32 vcc, s[6:7], v[34:35]
	v_add_u32_e32 v36, s22, v36
	s_waitcnt lgkmcnt(0)
	v_add_u32_e32 v37, 0x8000, v37
	v_and_b32_e32 v38, v37, v54
	v_bfe_u32 v37, v37, s90, 2
	v_cmp_eq_u32_e64 s[0:1], v38, v51
	v_cmp_eq_u32_e64 s[2:3], 0, v37
	;; [unrolled: 1-line block ×3, first 2 shown]
	s_and_b64 s[2:3], s[0:1], s[2:3]
	v_cmp_eq_u32_e64 s[18:19], 2, v37
	v_cmp_eq_u32_e64 s[20:21], 3, v37
	v_cndmask_b32_e64 v37, 0, 1, s[2:3]
	s_and_b64 s[2:3], s[0:1], s[16:17]
	v_cndmask_b32_e64 v38, 0, 1, s[2:3]
	s_and_b64 s[2:3], s[0:1], s[18:19]
	s_and_b64 s[0:1], s[0:1], s[20:21]
	v_cndmask_b32_e64 v40, 0, 1, s[0:1]
	v_cmp_ne_u32_e64 s[0:1], 0, v37
	v_cndmask_b32_e64 v39, 0, 1, s[2:3]
	v_cmp_ne_u32_e64 s[2:3], 0, v38
	s_bcnt1_i32_b64 s82, s[0:1]
	v_cmp_ne_u32_e64 s[16:17], 0, v39
	v_lshl_add_u64 v[4:5], s[82:83], 0, v[4:5]
	s_bcnt1_i32_b64 s82, s[2:3]
	v_cmp_ne_u32_e64 s[18:19], 0, v40
	v_lshl_add_u64 v[6:7], s[82:83], 0, v[6:7]
	s_bcnt1_i32_b64 s82, s[16:17]
	v_lshl_add_u64 v[8:9], s[82:83], 0, v[8:9]
	s_bcnt1_i32_b64 s82, s[18:19]
	s_or_b64 s[8:9], vcc, s[8:9]
	v_lshl_add_u64 v[10:11], s[82:83], 0, v[10:11]
	s_andn2_b64 exec, exec, s[8:9]
	s_cbranch_execnz .LBB111_88
; %bb.89:                               ;   in Loop: Header=BB111_34 Depth=1
	s_or_b64 exec, exec, s[8:9]
.LBB111_90:                             ;   in Loop: Header=BB111_34 Depth=1
	s_or_b64 exec, exec, s[14:15]
	v_readlane_b32 s73, v68, 44
	v_readlane_b32 s92, v68, 45
.LBB111_91:                             ;   in Loop: Header=BB111_34 Depth=1
	v_readlane_b32 s0, v68, 37
	s_lshl_b32 s2, s0, 6
	s_mov_b64 s[96:97], s[98:99]
	s_and_saveexec_b64 s[0:1], s[98:99]
	s_mov_b32 s88, s64
	s_mov_b32 s64, s68
	s_cbranch_execz .LBB111_93
; %bb.92:                               ;   in Loop: Header=BB111_34 Depth=1
	v_lshl_add_u32 v2, s2, 3, v48
	ds_write_b128 v2, v[4:7]
	ds_write_b128 v2, v[8:11] offset:16
.LBB111_93:                             ;   in Loop: Header=BB111_34 Depth=1
	s_or_b64 exec, exec, s[0:1]
	s_waitcnt lgkmcnt(0)
	s_barrier
	s_and_saveexec_b64 s[0:1], s[84:85]
	s_mov_b64 s[68:69], s[94:95]
	s_mov_b32 s89, s30
	s_mov_b64 s[40:41], s[4:5]
	s_cbranch_execz .LBB111_105
; %bb.94:                               ;   in Loop: Header=BB111_34 Depth=1
	v_readlane_b32 s6, v68, 18
	v_readlane_b32 s7, v68, 19
	s_andn2_b64 vcc, exec, s[6:7]
	v_mov_b64_e32 v[4:5], 0
	s_cbranch_vccnz .LBB111_104
; %bb.95:                               ;   in Loop: Header=BB111_34 Depth=1
	v_readlane_b32 s4, v68, 26
	v_readlane_b32 s5, v68, 27
	s_andn2_b64 vcc, exec, s[4:5]
	s_cbranch_vccnz .LBB111_100
; %bb.96:                               ;   in Loop: Header=BB111_34 Depth=1
	v_readlane_b32 s3, v68, 37
	v_mov_b64_e32 v[4:5], 0
	s_nop 0
	v_lshl_add_u32 v2, s3, 9, v50
	s_mov_b32 s3, 0
.LBB111_97:                             ;   Parent Loop BB111_34 Depth=1
                                        ; =>  This Inner Loop Header: Depth=2
	ds_read2_b64 v[6:9], v2 offset1:4
	ds_read2_b64 v[34:37], v2 offset0:8 offset1:12
	ds_read2_b64 v[38:41], v2 offset0:16 offset1:20
	;; [unrolled: 1-line block ×3, first 2 shown]
	s_add_i32 s3, s3, 8
	s_waitcnt lgkmcnt(3)
	v_lshl_add_u64 v[4:5], v[6:7], 0, v[4:5]
	v_lshl_add_u64 v[4:5], v[8:9], 0, v[4:5]
	s_waitcnt lgkmcnt(2)
	v_lshl_add_u64 v[4:5], v[34:35], 0, v[4:5]
	v_lshl_add_u64 v[4:5], v[36:37], 0, v[4:5]
	s_waitcnt lgkmcnt(1)
	v_lshl_add_u64 v[4:5], v[38:39], 0, v[4:5]
	v_lshl_add_u64 v[4:5], v[40:41], 0, v[4:5]
	s_waitcnt lgkmcnt(0)
	v_lshl_add_u64 v[4:5], v[58:59], 0, v[4:5]
	v_add_u32_e32 v2, 0x100, v2
	s_cmp_eq_u32 s33, s3
	v_lshl_add_u64 v[4:5], v[60:61], 0, v[4:5]
	s_cbranch_scc0 .LBB111_97
; %bb.98:                               ;   in Loop: Header=BB111_34 Depth=1
	s_mov_b32 s3, s33
	s_branch .LBB111_101
.LBB111_99:                             ;   in Loop: Header=BB111_34 Depth=1
                                        ; implicit-def: $sgpr0_sgpr1
	s_branch .LBB111_69
.LBB111_100:                            ;   in Loop: Header=BB111_34 Depth=1
	s_mov_b32 s3, 0
	v_mov_b64_e32 v[4:5], 0
.LBB111_101:                            ;   in Loop: Header=BB111_34 Depth=1
	v_readlane_b32 s4, v68, 29
	v_readlane_b32 s5, v68, 30
	s_andn2_b64 vcc, exec, s[4:5]
	s_cbranch_vccnz .LBB111_104
; %bb.102:                              ;   in Loop: Header=BB111_34 Depth=1
	v_readlane_b32 s4, v68, 37
	s_lshl_b32 s6, s4, 9
	s_lshl_b32 s3, s3, 5
	s_add_i32 s6, s6, s3
	v_add_u32_e32 v2, s6, v50
	v_readlane_b32 s3, v68, 28
.LBB111_103:                            ;   Parent Loop BB111_34 Depth=1
                                        ; =>  This Inner Loop Header: Depth=2
	ds_read_b64 v[6:7], v2
	s_add_i32 s3, s3, -1
	v_add_u32_e32 v2, 32, v2
	s_cmp_lg_u32 s3, 0
	s_waitcnt lgkmcnt(0)
	v_lshl_add_u64 v[4:5], v[6:7], 0, v[4:5]
	s_cbranch_scc1 .LBB111_103
.LBB111_104:                            ;   in Loop: Header=BB111_34 Depth=1
	v_add_lshl_u32 v2, s2, v44, 3
	ds_write_b64 v2, v[4:5] offset:3072
.LBB111_105:                            ;   in Loop: Header=BB111_34 Depth=1
	s_or_b64 exec, exec, s[0:1]
	s_lshl_b32 s0, s2, 3
	v_mov_b32_e32 v2, s0
	s_waitcnt lgkmcnt(0)
	s_barrier
	ds_read_b128 v[8:11], v2 offset:3088
	ds_read_b128 v[4:7], v2 offset:3072
	s_lshl_b32 s72, 3, s90
	v_cmp_eq_u64_e64 s[0:1], 1, v[32:33]
	s_not_b32 s52, s72
	s_waitcnt lgkmcnt(1)
	v_readfirstlane_b32 s22, v8
	s_waitcnt lgkmcnt(0)
	v_cmp_eq_u64_e32 vcc, 1, v[4:5]
	v_readfirstlane_b32 s23, v9
	v_readfirstlane_b32 s2, v10
	;; [unrolled: 1-line block ×3, first 2 shown]
	s_and_b64 s[8:9], vcc, s[0:1]
	s_mov_b64 s[0:1], -1
	s_mov_b64 s[18:19], -1
                                        ; implicit-def: $sgpr14_sgpr15
                                        ; implicit-def: $sgpr6_sgpr7
	s_and_saveexec_b64 s[16:17], s[8:9]
	s_cbranch_execz .LBB111_143
; %bb.106:                              ;   in Loop: Header=BB111_34 Depth=1
	ds_read_b64 v[8:9], v3 offset:5120
	s_waitcnt lgkmcnt(0)
	s_barrier
	v_readfirstlane_b32 s20, v8
	v_readfirstlane_b32 s21, v9
	s_mov_b64 s[6:7], exec
	v_readlane_b32 s14, v68, 14
	v_readlane_b32 s15, v68, 15
	s_and_b64 s[14:15], s[6:7], s[14:15]
	s_mov_b64 exec, s[14:15]
; %bb.107:                              ;   in Loop: Header=BB111_34 Depth=1
	ds_write_b16 v46, v3
; %bb.108:                              ;   in Loop: Header=BB111_34 Depth=1
	s_or_b64 exec, exec, s[6:7]
	v_and_b32_e32 v51, s52, v51
	v_or_b32_e32 v54, s72, v54
	s_mov_b64 s[6:7], -1
	s_mov_b64 s[14:15], 0
	s_cmp_eq_u64 s[20:21], 0
	s_mov_b64 s[18:19], 0
	s_mov_b64 s[24:25], -1
	s_waitcnt lgkmcnt(0)
	s_barrier
                                        ; implicit-def: $vgpr55
	s_cbranch_scc1 .LBB111_122
; %bb.109:                              ;   in Loop: Header=BB111_34 Depth=1
	v_readlane_b32 s18, v68, 20
	s_add_u32 s28, s20, s18
	v_readlane_b32 s18, v68, 21
	s_addc_u32 s19, s21, s18
	s_mov_b32 s18, s83
	s_cmp_lg_u64 s[18:19], 0
	s_cbranch_scc0 .LBB111_125
; %bb.110:                              ;   in Loop: Header=BB111_34 Depth=1
	v_cvt_f32_u32_e32 v2, s76
	s_sub_u32 s18, 0, s76
	s_subb_u32 s26, 0, 0
	v_fmac_f32_e32 v2, 0, v52
	v_rcp_f32_e32 v2, v2
	s_nop 0
	v_mul_f32_e32 v2, 0x5f7ffffc, v2
	v_mul_f32_e32 v8, 0x2f800000, v2
	v_trunc_f32_e32 v8, v8
	v_fmac_f32_e32 v2, 0xcf800000, v8
	v_cvt_u32_f32_e32 v8, v8
	v_cvt_u32_f32_e32 v2, v2
	v_readfirstlane_b32 s27, v8
	v_readfirstlane_b32 s24, v2
	s_mul_i32 s25, s18, s27
	s_mul_hi_u32 s34, s18, s24
	s_mul_i32 s29, s26, s24
	s_add_i32 s25, s34, s25
	s_mul_i32 s35, s18, s24
	s_add_i32 s25, s25, s29
	s_mul_hi_u32 s34, s24, s35
	s_mul_i32 s36, s24, s25
	s_mul_hi_u32 s29, s24, s25
	s_add_u32 s34, s34, s36
	s_addc_u32 s29, 0, s29
	s_mul_hi_u32 s37, s27, s35
	s_mul_i32 s35, s27, s35
	s_add_u32 s34, s34, s35
	s_mul_hi_u32 s36, s27, s25
	s_addc_u32 s29, s29, s37
	s_addc_u32 s34, s36, 0
	s_mul_i32 s25, s27, s25
	s_add_u32 s25, s29, s25
	s_addc_u32 s29, 0, s34
	s_add_u32 s34, s24, s25
	s_cselect_b64 s[24:25], -1, 0
	s_cmp_lg_u64 s[24:25], 0
	s_addc_u32 s27, s27, s29
	s_mul_i32 s24, s18, s27
	s_mul_hi_u32 s25, s18, s34
	s_add_i32 s24, s25, s24
	s_mul_i32 s26, s26, s34
	s_add_i32 s24, s24, s26
	s_mul_i32 s18, s18, s34
	s_mul_hi_u32 s26, s27, s18
	s_mul_i32 s29, s27, s18
	s_mul_i32 s36, s34, s24
	s_mul_hi_u32 s18, s34, s18
	s_mul_hi_u32 s35, s34, s24
	s_add_u32 s18, s18, s36
	s_addc_u32 s35, 0, s35
	s_add_u32 s18, s18, s29
	s_mul_hi_u32 s25, s27, s24
	s_addc_u32 s18, s35, s26
	s_addc_u32 s25, s25, 0
	s_mul_i32 s24, s27, s24
	s_add_u32 s18, s18, s24
	s_addc_u32 s26, 0, s25
	s_add_u32 s18, s34, s18
	s_cselect_b64 s[24:25], -1, 0
	s_cmp_lg_u64 s[24:25], 0
	s_addc_u32 s24, s27, s26
	s_mul_i32 s26, s28, s24
	s_mul_hi_u32 s27, s28, s18
	s_mul_hi_u32 s25, s28, s24
	s_add_u32 s26, s27, s26
	s_addc_u32 s25, 0, s25
	s_mul_hi_u32 s29, s19, s18
	s_mul_i32 s18, s19, s18
	s_add_u32 s18, s26, s18
	s_mul_hi_u32 s27, s19, s24
	s_addc_u32 s18, s25, s29
	s_addc_u32 s25, s27, 0
	s_mul_i32 s24, s19, s24
	s_add_u32 s18, s18, s24
	s_addc_u32 s24, 0, s25
	s_mul_i32 s24, s76, s24
	s_mul_hi_u32 s25, s76, s18
	s_add_i32 s26, s25, s24
	s_mul_i32 s18, s76, s18
	s_sub_u32 s18, s28, s18
	s_cselect_b64 s[24:25], -1, 0
	s_cmp_lg_u64 s[24:25], 0
	s_subb_u32 s26, s19, s26
	s_sub_u32 s27, s18, s76
	s_cselect_b64 s[24:25], -1, 0
	s_cmp_lg_u64 s[24:25], 0
	s_subb_u32 s29, s26, 0
	;; [unrolled: 4-line block ×3, first 2 shown]
	s_cmp_ge_u32 s27, s76
	s_cselect_b32 s25, -1, 0
	s_cmp_eq_u32 s29, 0
	s_cselect_b32 s25, s25, -1
	s_cmp_lg_u32 s25, 0
	s_cselect_b32 s24, s24, s29
	s_cselect_b32 s27, s34, s27
	s_cmp_ge_u32 s18, s76
	s_cselect_b32 s25, -1, 0
	s_cmp_eq_u32 s26, 0
	s_cselect_b32 s25, s25, -1
	s_cmp_lg_u32 s25, 0
	s_cselect_b32 s25, s24, s26
	s_cselect_b32 s24, s27, s18
	s_cbranch_execnz .LBB111_112
.LBB111_111:                            ;   in Loop: Header=BB111_34 Depth=1
	v_cvt_f32_u32_e32 v2, s76
	s_sub_i32 s18, 0, s76
	v_rcp_iflag_f32_e32 v2, v2
	s_nop 0
	v_mul_f32_e32 v2, 0x4f7ffffe, v2
	v_cvt_u32_f32_e32 v2, v2
	s_nop 0
	v_readfirstlane_b32 s24, v2
	s_mul_i32 s18, s18, s24
	s_mul_hi_u32 s18, s24, s18
	s_add_i32 s24, s24, s18
	s_mul_hi_u32 s18, s28, s24
	s_mul_i32 s18, s18, s76
	s_sub_i32 s18, s28, s18
	s_sub_i32 s24, s18, s76
	s_cmp_ge_u32 s18, s76
	s_cselect_b32 s18, s24, s18
	s_sub_i32 s24, s18, s76
	s_cmp_ge_u32 s18, s76
	s_cselect_b32 s82, s24, s18
	s_mov_b64 s[24:25], s[82:83]
.LBB111_112:                            ;   in Loop: Header=BB111_34 Depth=1
	s_sub_u32 s28, s28, s24
	s_subb_u32 s29, s19, s25
	v_cmp_gt_u64_e32 vcc, s[28:29], v[0:1]
	s_mov_b64 s[24:25], 0
	s_mov_b64 s[18:19], 0
                                        ; implicit-def: $vgpr55
	s_and_saveexec_b64 s[26:27], vcc
	s_cbranch_execz .LBB111_121
; %bb.113:                              ;   in Loop: Header=BB111_34 Depth=1
	v_mov_b32_e32 v2, v45
	v_mov_b64_e32 v[8:9], v[0:1]
                                        ; implicit-def: $sgpr34_sgpr35
	s_branch .LBB111_116
.LBB111_114:                            ;   in Loop: Header=BB111_116 Depth=2
	s_or_b64 exec, exec, s[36:37]
	s_waitcnt lgkmcnt(0)
	s_barrier
	ds_read_b32 v10, v3 offset:3072
	s_mov_b64 s[36:37], -1
	s_waitcnt lgkmcnt(0)
	s_barrier
	v_cmp_ne_u32_sdwa s[38:39], v10, v3 src0_sel:WORD_0 src1_sel:DWORD
	s_and_b64 vcc, exec, s[38:39]
	s_mov_b64 s[38:39], -1
	s_cbranch_vccz .LBB111_119
.LBB111_115:                            ;   in Loop: Header=BB111_116 Depth=2
	s_and_b64 s[36:37], exec, s[36:37]
	s_or_b64 s[18:19], s[36:37], s[18:19]
	s_andn2_b64 s[34:35], s[34:35], exec
	s_and_b64 s[36:37], s[38:39], exec
	s_or_b64 s[34:35], s[34:35], s[36:37]
	s_andn2_b64 exec, exec, s[18:19]
	s_cbranch_execz .LBB111_120
.LBB111_116:                            ;   Parent Loop BB111_34 Depth=1
                                        ; =>  This Inner Loop Header: Depth=2
	v_cmp_gt_u64_e32 vcc, s[20:21], v[8:9]
	s_and_saveexec_b64 s[36:37], vcc
	s_cbranch_execz .LBB111_114
; %bb.117:                              ;   in Loop: Header=BB111_116 Depth=2
	ds_read_u16 v10, v2
	s_waitcnt lgkmcnt(0)
	v_add_u32_sdwa v11, sext(v10), s91 dst_sel:DWORD dst_unused:UNUSED_PAD src0_sel:WORD_0 src1_sel:DWORD
	v_and_b32_e32 v11, v11, v54
	v_cmp_eq_u32_e32 vcc, v11, v51
	s_and_b64 exec, exec, vcc
	s_cbranch_execz .LBB111_114
; %bb.118:                              ;   in Loop: Header=BB111_116 Depth=2
	v_perm_b32 v10, v10, 1, v53
	ds_write_b32 v3, v10 offset:3072
	s_branch .LBB111_114
.LBB111_119:                            ;   in Loop: Header=BB111_116 Depth=2
	v_lshl_add_u64 v[8:9], v[8:9], 0, s[76:77]
	v_cmp_le_u64_e32 vcc, s[28:29], v[8:9]
	v_add_u32_e32 v2, s89, v2
	s_mov_b64 s[38:39], 0
	s_orn2_b64 s[36:37], vcc, exec
	s_branch .LBB111_115
.LBB111_120:                            ;   in Loop: Header=BB111_34 Depth=1
	s_or_b64 exec, exec, s[18:19]
	v_lshrrev_b32_e32 v55, 16, v10
	s_and_b64 s[18:19], s[34:35], exec
.LBB111_121:                            ;   in Loop: Header=BB111_34 Depth=1
	s_or_b64 exec, exec, s[26:27]
.LBB111_122:                            ;   in Loop: Header=BB111_34 Depth=1
	s_and_b64 vcc, exec, s[24:25]
	s_cbranch_vccz .LBB111_142
; %bb.123:                              ;   in Loop: Header=BB111_34 Depth=1
	s_mov_b32 s54, s83
	s_cmp_lg_u64 s[54:55], 0
	s_cbranch_scc0 .LBB111_129
; %bb.124:                              ;   in Loop: Header=BB111_34 Depth=1
	v_cvt_f32_u32_e32 v2, s76
	s_sub_u32 s14, 0, s76
	s_subb_u32 s15, 0, 0
	v_fmac_f32_e32 v2, 0, v52
	v_rcp_f32_e32 v2, v2
	s_nop 0
	v_mul_f32_e32 v2, 0x5f7ffffc, v2
	v_mul_f32_e32 v8, 0x2f800000, v2
	v_trunc_f32_e32 v8, v8
	v_fmac_f32_e32 v2, 0xcf800000, v8
	v_cvt_u32_f32_e32 v8, v8
	v_cvt_u32_f32_e32 v2, v2
	v_readfirstlane_b32 s20, v8
	v_readfirstlane_b32 s6, v2
	s_mul_i32 s7, s14, s20
	s_mul_hi_u32 s24, s14, s6
	s_mul_i32 s21, s15, s6
	s_add_i32 s7, s24, s7
	s_mul_i32 s25, s14, s6
	s_add_i32 s7, s7, s21
	s_mul_hi_u32 s24, s6, s25
	s_mul_i32 s26, s6, s7
	s_mul_hi_u32 s21, s6, s7
	s_add_u32 s24, s24, s26
	s_addc_u32 s21, 0, s21
	s_mul_hi_u32 s27, s20, s25
	s_mul_i32 s25, s20, s25
	s_add_u32 s24, s24, s25
	s_mul_hi_u32 s26, s20, s7
	s_addc_u32 s21, s21, s27
	s_addc_u32 s24, s26, 0
	s_mul_i32 s7, s20, s7
	s_add_u32 s7, s21, s7
	s_addc_u32 s21, 0, s24
	s_add_u32 s24, s6, s7
	s_cselect_b64 s[6:7], -1, 0
	s_cmp_lg_u64 s[6:7], 0
	s_addc_u32 s20, s20, s21
	s_mul_i32 s6, s14, s20
	s_mul_hi_u32 s7, s14, s24
	s_add_i32 s6, s7, s6
	s_mul_i32 s15, s15, s24
	s_add_i32 s6, s6, s15
	s_mul_i32 s14, s14, s24
	s_mul_hi_u32 s15, s20, s14
	s_mul_i32 s21, s20, s14
	s_mul_i32 s26, s24, s6
	s_mul_hi_u32 s14, s24, s14
	s_mul_hi_u32 s25, s24, s6
	s_add_u32 s14, s14, s26
	s_addc_u32 s25, 0, s25
	s_add_u32 s14, s14, s21
	s_mul_hi_u32 s7, s20, s6
	s_addc_u32 s14, s25, s15
	s_addc_u32 s7, s7, 0
	s_mul_i32 s6, s20, s6
	s_add_u32 s6, s14, s6
	s_addc_u32 s14, 0, s7
	s_add_u32 s15, s24, s6
	s_cselect_b64 s[6:7], -1, 0
	s_cmp_lg_u64 s[6:7], 0
	s_addc_u32 s6, s20, s14
	s_mul_i32 s14, s93, s6
	s_mul_hi_u32 s20, s93, s15
	s_mul_hi_u32 s7, s93, s6
	s_add_u32 s14, s20, s14
	s_addc_u32 s7, 0, s7
	s_mul_hi_u32 s21, s55, s15
	s_mul_i32 s15, s55, s15
	s_add_u32 s14, s14, s15
	s_mul_hi_u32 s20, s55, s6
	s_addc_u32 s7, s7, s21
	s_addc_u32 s14, s20, 0
	s_mul_i32 s6, s55, s6
	s_add_u32 s6, s7, s6
	s_addc_u32 s7, 0, s14
	s_mul_i32 s7, s76, s7
	s_mul_hi_u32 s14, s76, s6
	s_add_i32 s14, s14, s7
	s_mul_i32 s6, s76, s6
	s_sub_u32 s15, s93, s6
	s_cselect_b64 s[6:7], -1, 0
	s_cmp_lg_u64 s[6:7], 0
	s_subb_u32 s14, s55, s14
	s_sub_u32 s20, s15, s76
	s_cselect_b64 s[6:7], -1, 0
	s_cmp_lg_u64 s[6:7], 0
	s_subb_u32 s21, s14, 0
	;; [unrolled: 4-line block ×3, first 2 shown]
	s_cmp_ge_u32 s20, s76
	s_cselect_b32 s7, -1, 0
	s_cmp_eq_u32 s21, 0
	s_cselect_b32 s7, s7, -1
	s_cmp_lg_u32 s7, 0
	s_cselect_b32 s6, s6, s21
	s_cselect_b32 s20, s24, s20
	s_cmp_ge_u32 s15, s76
	s_cselect_b32 s7, -1, 0
	s_cmp_eq_u32 s14, 0
	s_cselect_b32 s7, s7, -1
	s_cmp_lg_u32 s7, 0
	s_cselect_b32 s7, s6, s14
	s_cselect_b32 s6, s20, s15
	s_mov_b64 s[14:15], 0
	s_branch .LBB111_130
.LBB111_125:                            ;   in Loop: Header=BB111_34 Depth=1
                                        ; implicit-def: $sgpr24_sgpr25
	s_branch .LBB111_111
.LBB111_126:                            ;   in Loop: Header=BB111_34 Depth=1
	s_or_b64 exec, exec, s[8:9]
	s_waitcnt lgkmcnt(0)
	s_barrier
	s_mov_b64 s[0:1], exec
	v_readlane_b32 s2, v68, 6
	v_readlane_b32 s3, v68, 7
	s_and_b64 s[2:3], s[0:1], s[2:3]
	s_mov_b64 exec, s[2:3]
	s_cbranch_execz .LBB111_128
; %bb.127:                              ;   in Loop: Header=BB111_34 Depth=1
	ds_read_b32 v4, v3 offset:5144
	s_waitcnt lgkmcnt(0)
	v_ashrrev_i32_e32 v5, 31, v4
	ds_write_b64 v3, v[4:5] offset:5120
.LBB111_128:                            ;   in Loop: Header=BB111_34 Depth=1
	s_or_b64 exec, exec, s[0:1]
	s_waitcnt lgkmcnt(0)
	s_barrier
	s_mov_b64 s[0:1], -1
	s_and_b64 vcc, exec, s[6:7]
	s_cbranch_vccnz .LBB111_49
	s_branch .LBB111_64
.LBB111_129:                            ;   in Loop: Header=BB111_34 Depth=1
	s_mov_b64 s[14:15], -1
                                        ; implicit-def: $sgpr6_sgpr7
.LBB111_130:                            ;   in Loop: Header=BB111_34 Depth=1
	s_andn2_b64 vcc, exec, s[14:15]
	v_readlane_b32 s53, v68, 46
	v_readlane_b32 s54, v68, 47
	s_cbranch_vccnz .LBB111_132
; %bb.131:                              ;   in Loop: Header=BB111_34 Depth=1
	v_cvt_f32_u32_e32 v2, s76
	s_sub_i32 s6, 0, s76
	v_rcp_iflag_f32_e32 v2, v2
	s_nop 0
	v_mul_f32_e32 v2, 0x4f7ffffe, v2
	v_cvt_u32_f32_e32 v2, v2
	s_nop 0
	v_readfirstlane_b32 s7, v2
	s_mul_i32 s6, s6, s7
	s_mul_hi_u32 s6, s7, s6
	s_add_i32 s7, s7, s6
	s_mul_hi_u32 s6, s93, s7
	s_mul_i32 s6, s6, s76
	s_sub_i32 s6, s93, s6
	s_sub_i32 s7, s6, s76
	s_cmp_ge_u32 s6, s76
	s_cselect_b32 s6, s7, s6
	s_sub_i32 s7, s6, s76
	s_cmp_ge_u32 s6, s76
	s_cselect_b32 s82, s7, s6
	s_mov_b64 s[6:7], s[82:83]
.LBB111_132:                            ;   in Loop: Header=BB111_34 Depth=1
	s_sub_u32 s14, s93, s6
	s_subb_u32 s15, s55, s7
	v_cmp_gt_u64_e32 vcc, s[14:15], v[0:1]
                                        ; implicit-def: $vgpr55
	s_and_saveexec_b64 s[6:7], vcc
	s_cbranch_execz .LBB111_141
; %bb.133:                              ;   in Loop: Header=BB111_34 Depth=1
	s_mov_b64 s[20:21], 0
	v_mov_b64_e32 v[8:9], v[16:17]
	v_mov_b64_e32 v[10:11], v[0:1]
                                        ; implicit-def: $sgpr24_sgpr25
	s_branch .LBB111_136
.LBB111_134:                            ;   in Loop: Header=BB111_136 Depth=2
	s_or_b64 exec, exec, s[26:27]
	s_waitcnt lgkmcnt(0)
	s_barrier
	ds_read_b32 v2, v3 offset:3072
	s_mov_b64 s[26:27], -1
	s_waitcnt lgkmcnt(0)
	s_barrier
	v_cmp_ne_u32_sdwa s[28:29], v2, v3 src0_sel:WORD_0 src1_sel:DWORD
	s_and_b64 vcc, exec, s[28:29]
	s_mov_b64 s[28:29], -1
	s_cbranch_vccz .LBB111_139
.LBB111_135:                            ;   in Loop: Header=BB111_136 Depth=2
	s_and_b64 s[26:27], exec, s[26:27]
	s_or_b64 s[20:21], s[26:27], s[20:21]
	s_andn2_b64 s[24:25], s[24:25], exec
	s_and_b64 s[26:27], s[28:29], exec
	s_or_b64 s[24:25], s[24:25], s[26:27]
	s_andn2_b64 exec, exec, s[20:21]
	s_cbranch_execz .LBB111_140
.LBB111_136:                            ;   Parent Loop BB111_34 Depth=1
                                        ; =>  This Inner Loop Header: Depth=2
	v_cmp_gt_u64_e32 vcc, s[56:57], v[10:11]
	s_and_saveexec_b64 s[26:27], vcc
	s_cbranch_execz .LBB111_134
; %bb.137:                              ;   in Loop: Header=BB111_136 Depth=2
	global_load_ushort v2, v[8:9], off
	s_waitcnt vmcnt(0)
	v_add_u32_sdwa v34, sext(v2), s91 dst_sel:DWORD dst_unused:UNUSED_PAD src0_sel:WORD_0 src1_sel:DWORD
	v_and_b32_e32 v34, v34, v54
	v_cmp_eq_u32_e32 vcc, v34, v51
	s_and_b64 exec, exec, vcc
	s_cbranch_execz .LBB111_134
; %bb.138:                              ;   in Loop: Header=BB111_136 Depth=2
	v_perm_b32 v2, v2, 1, v53
	ds_write_b32 v3, v2 offset:3072
	s_branch .LBB111_134
.LBB111_139:                            ;   in Loop: Header=BB111_136 Depth=2
	v_lshl_add_u64 v[10:11], v[10:11], 0, s[76:77]
	v_cmp_le_u64_e32 vcc, s[14:15], v[10:11]
	v_lshl_add_u64 v[8:9], v[8:9], 0, s[86:87]
	s_mov_b64 s[28:29], 0
	s_orn2_b64 s[26:27], vcc, exec
	s_branch .LBB111_135
.LBB111_140:                            ;   in Loop: Header=BB111_34 Depth=1
	s_or_b64 exec, exec, s[20:21]
	s_andn2_b64 s[14:15], s[18:19], exec
	s_and_b64 s[18:19], s[24:25], exec
	v_lshrrev_b32_e32 v55, 16, v2
	s_or_b64 s[18:19], s[14:15], s[18:19]
.LBB111_141:                            ;   in Loop: Header=BB111_34 Depth=1
	s_or_b64 exec, exec, s[6:7]
	s_mov_b64 s[6:7], 0
	s_mov_b64 s[14:15], -1
.LBB111_142:                            ;   in Loop: Header=BB111_34 Depth=1
	s_orn2_b64 s[18:19], s[18:19], exec
.LBB111_143:                            ;   in Loop: Header=BB111_34 Depth=1
	s_or_b64 exec, exec, s[16:17]
	s_andn2_b64 s[16:17], s[66:67], exec
	s_and_b64 s[14:15], s[14:15], exec
	s_or_b64 s[94:95], s[16:17], s[14:15]
	s_andn2_b64 s[14:15], s[40:41], exec
	s_and_b64 s[6:7], s[6:7], exec
	s_andn2_b64 s[30:31], s[12:13], exec
	s_or_b64 s[98:99], s[14:15], s[6:7]
                                        ; implicit-def: $vgpr8_vgpr9
	s_and_saveexec_b64 s[16:17], s[18:19]
	s_cbranch_execz .LBB111_33
; %bb.144:                              ;   in Loop: Header=BB111_34 Depth=1
	s_xor_b64 s[6:7], s[8:9], -1
	v_mov_b32_e32 v2, 1
	s_mov_b64 s[8:9], 0
	v_mov_b64_e32 v[8:9], 1
	s_and_saveexec_b64 s[0:1], s[6:7]
	s_cbranch_execz .LBB111_153
; %bb.145:                              ;   in Loop: Header=BB111_34 Depth=1
	v_cmp_le_u64_e32 vcc, v[32:33], v[4:5]
	s_and_saveexec_b64 s[6:7], vcc
	s_xor_b64 s[6:7], exec, s[6:7]
	s_cbranch_execz .LBB111_150
; %bb.146:                              ;   in Loop: Header=BB111_34 Depth=1
	ds_read_b64 v[8:9], v3 offset:5120
	v_and_b32_e32 v51, s52, v51
	v_or_b32_e32 v54, s72, v54
	s_waitcnt lgkmcnt(0)
	v_cmp_ne_u64_e32 vcc, 0, v[8:9]
	s_cbranch_vccnz .LBB111_150
; %bb.147:                              ;   in Loop: Header=BB111_34 Depth=1
	s_mov_b64 s[8:9], exec
	v_readlane_b32 s14, v68, 6
	v_readlane_b32 s15, v68, 7
	s_and_b64 s[14:15], s[8:9], s[14:15]
	s_mov_b64 exec, s[14:15]
; %bb.148:                              ;   in Loop: Header=BB111_34 Depth=1
	ds_write_b64 v3, v[4:5] offset:5128
; %bb.149:                              ;   in Loop: Header=BB111_34 Depth=1
	s_or_b64 exec, exec, s[8:9]
	s_waitcnt lgkmcnt(0)
	s_barrier
.LBB111_150:                            ;   in Loop: Header=BB111_34 Depth=1
	s_or_saveexec_b64 s[6:7], s[6:7]
	s_mov_b64 s[8:9], 0
	v_mov_b32_e32 v2, 8
	s_xor_b64 exec, exec, s[6:7]
; %bb.151:                              ;   in Loop: Header=BB111_34 Depth=1
	v_sub_co_u32_e32 v32, vcc, v32, v4
	s_mov_b64 s[8:9], exec
	s_nop 0
	v_subb_co_u32_e32 v33, vcc, v33, v5, vcc
	v_mov_b32_e32 v2, 0
; %bb.152:                              ;   in Loop: Header=BB111_34 Depth=1
	s_or_b64 exec, exec, s[6:7]
	s_and_b64 s[8:9], s[8:9], exec
	v_mov_b64_e32 v[8:9], v[32:33]
.LBB111_153:                            ;   in Loop: Header=BB111_34 Depth=1
	s_or_b64 exec, exec, s[0:1]
	s_mov_b64 s[18:19], -1
	s_mov_b64 s[6:7], -1
                                        ; implicit-def: $sgpr0_sgpr1
                                        ; implicit-def: $sgpr24_sgpr25
	s_and_saveexec_b64 s[14:15], s[8:9]
	s_xor_b64 s[20:21], exec, s[14:15]
	s_cbranch_execz .LBB111_298
; %bb.154:                              ;   in Loop: Header=BB111_34 Depth=1
	v_cmp_eq_u64_e32 vcc, 1, v[6:7]
	v_cmp_eq_u64_e64 s[0:1], 1, v[8:9]
	s_and_b64 s[8:9], vcc, s[0:1]
                                        ; implicit-def: $sgpr24_sgpr25
                                        ; implicit-def: $sgpr0_sgpr1
	s_and_saveexec_b64 s[26:27], s[8:9]
	s_cbranch_execz .LBB111_189
; %bb.155:                              ;   in Loop: Header=BB111_34 Depth=1
	ds_read_b64 v[4:5], v3 offset:5120
	s_waitcnt lgkmcnt(0)
	s_barrier
	v_readfirstlane_b32 s14, v4
	v_readfirstlane_b32 s15, v5
	s_mov_b64 s[0:1], exec
	v_readlane_b32 s6, v68, 14
	v_readlane_b32 s7, v68, 15
	s_and_b64 s[6:7], s[0:1], s[6:7]
	s_mov_b64 exec, s[6:7]
; %bb.156:                              ;   in Loop: Header=BB111_34 Depth=1
	ds_write_b16 v46, v3
; %bb.157:                              ;   in Loop: Header=BB111_34 Depth=1
	s_or_b64 exec, exec, s[0:1]
	v_and_b32_e32 v4, s52, v51
	v_lshl_or_b32 v51, 1, s90, v4
	v_or_b32_e32 v54, s72, v54
	s_mov_b64 s[0:1], -1
	s_mov_b64 s[24:25], 0
	s_cmp_eq_u64 s[14:15], 0
	s_mov_b64 s[6:7], 0
	s_mov_b64 s[28:29], -1
	s_waitcnt lgkmcnt(0)
	s_barrier
                                        ; implicit-def: $vgpr55
	s_cbranch_scc1 .LBB111_171
; %bb.158:                              ;   in Loop: Header=BB111_34 Depth=1
	v_readlane_b32 s6, v68, 20
	s_add_u32 s36, s14, s6
	v_readlane_b32 s6, v68, 21
	s_addc_u32 s7, s15, s6
	s_mov_b32 s6, s83
	s_cmp_lg_u64 s[6:7], 0
	s_cbranch_scc0 .LBB111_174
; %bb.159:                              ;   in Loop: Header=BB111_34 Depth=1
	v_cvt_f32_u32_e32 v4, s76
	s_sub_u32 s6, 0, s76
	s_subb_u32 s34, 0, 0
	v_fmac_f32_e32 v4, 0, v52
	v_rcp_f32_e32 v4, v4
	s_nop 0
	v_mul_f32_e32 v4, 0x5f7ffffc, v4
	v_mul_f32_e32 v5, 0x2f800000, v4
	v_trunc_f32_e32 v5, v5
	v_fmac_f32_e32 v4, 0xcf800000, v5
	v_cvt_u32_f32_e32 v5, v5
	v_cvt_u32_f32_e32 v4, v4
	v_readfirstlane_b32 s35, v5
	v_readfirstlane_b32 s28, v4
	s_mul_i32 s29, s6, s35
	s_mul_hi_u32 s38, s6, s28
	s_mul_i32 s37, s34, s28
	s_add_i32 s29, s38, s29
	s_mul_i32 s39, s6, s28
	s_add_i32 s29, s29, s37
	s_mul_hi_u32 s38, s28, s39
	s_mul_i32 s40, s28, s29
	s_mul_hi_u32 s37, s28, s29
	s_add_u32 s38, s38, s40
	s_addc_u32 s37, 0, s37
	s_mul_hi_u32 s41, s35, s39
	s_mul_i32 s39, s35, s39
	s_add_u32 s38, s38, s39
	s_mul_hi_u32 s40, s35, s29
	s_addc_u32 s37, s37, s41
	s_addc_u32 s38, s40, 0
	s_mul_i32 s29, s35, s29
	s_add_u32 s29, s37, s29
	s_addc_u32 s37, 0, s38
	s_add_u32 s38, s28, s29
	s_cselect_b64 s[28:29], -1, 0
	s_cmp_lg_u64 s[28:29], 0
	s_addc_u32 s35, s35, s37
	s_mul_i32 s28, s6, s35
	s_mul_hi_u32 s29, s6, s38
	s_add_i32 s28, s29, s28
	s_mul_i32 s34, s34, s38
	s_add_i32 s28, s28, s34
	s_mul_i32 s6, s6, s38
	s_mul_hi_u32 s34, s35, s6
	s_mul_i32 s37, s35, s6
	s_mul_i32 s40, s38, s28
	s_mul_hi_u32 s6, s38, s6
	s_mul_hi_u32 s39, s38, s28
	s_add_u32 s6, s6, s40
	s_addc_u32 s39, 0, s39
	s_add_u32 s6, s6, s37
	s_mul_hi_u32 s29, s35, s28
	s_addc_u32 s6, s39, s34
	s_addc_u32 s29, s29, 0
	s_mul_i32 s28, s35, s28
	s_add_u32 s6, s6, s28
	s_addc_u32 s34, 0, s29
	s_add_u32 s6, s38, s6
	s_cselect_b64 s[28:29], -1, 0
	s_cmp_lg_u64 s[28:29], 0
	s_addc_u32 s28, s35, s34
	s_mul_i32 s34, s36, s28
	s_mul_hi_u32 s35, s36, s6
	s_mul_hi_u32 s29, s36, s28
	s_add_u32 s34, s35, s34
	s_addc_u32 s29, 0, s29
	s_mul_hi_u32 s37, s7, s6
	s_mul_i32 s6, s7, s6
	s_add_u32 s6, s34, s6
	s_mul_hi_u32 s35, s7, s28
	s_addc_u32 s6, s29, s37
	s_addc_u32 s29, s35, 0
	s_mul_i32 s28, s7, s28
	s_add_u32 s6, s6, s28
	s_addc_u32 s28, 0, s29
	s_mul_i32 s28, s76, s28
	s_mul_hi_u32 s29, s76, s6
	s_add_i32 s34, s29, s28
	s_mul_i32 s6, s76, s6
	s_sub_u32 s6, s36, s6
	s_cselect_b64 s[28:29], -1, 0
	s_cmp_lg_u64 s[28:29], 0
	s_subb_u32 s34, s7, s34
	s_sub_u32 s35, s6, s76
	s_cselect_b64 s[28:29], -1, 0
	s_cmp_lg_u64 s[28:29], 0
	s_subb_u32 s37, s34, 0
	;; [unrolled: 4-line block ×3, first 2 shown]
	s_cmp_ge_u32 s35, s76
	s_cselect_b32 s29, -1, 0
	s_cmp_eq_u32 s37, 0
	s_cselect_b32 s29, s29, -1
	s_cmp_lg_u32 s29, 0
	s_cselect_b32 s28, s28, s37
	s_cselect_b32 s35, s38, s35
	s_cmp_ge_u32 s6, s76
	s_cselect_b32 s29, -1, 0
	s_cmp_eq_u32 s34, 0
	s_cselect_b32 s29, s29, -1
	s_cmp_lg_u32 s29, 0
	s_cselect_b32 s29, s28, s34
	s_cselect_b32 s28, s35, s6
	s_cbranch_execnz .LBB111_161
.LBB111_160:                            ;   in Loop: Header=BB111_34 Depth=1
	v_cvt_f32_u32_e32 v4, s76
	s_sub_i32 s6, 0, s76
	v_rcp_iflag_f32_e32 v4, v4
	s_nop 0
	v_mul_f32_e32 v4, 0x4f7ffffe, v4
	v_cvt_u32_f32_e32 v4, v4
	s_nop 0
	v_readfirstlane_b32 s28, v4
	s_mul_i32 s6, s6, s28
	s_mul_hi_u32 s6, s28, s6
	s_add_i32 s28, s28, s6
	s_mul_hi_u32 s6, s36, s28
	s_mul_i32 s6, s6, s76
	s_sub_i32 s6, s36, s6
	s_sub_i32 s28, s6, s76
	s_cmp_ge_u32 s6, s76
	s_cselect_b32 s6, s28, s6
	s_sub_i32 s28, s6, s76
	s_cmp_ge_u32 s6, s76
	s_cselect_b32 s82, s28, s6
	s_mov_b64 s[28:29], s[82:83]
.LBB111_161:                            ;   in Loop: Header=BB111_34 Depth=1
	s_sub_u32 s36, s36, s28
	s_subb_u32 s37, s7, s29
	v_cmp_gt_u64_e32 vcc, s[36:37], v[0:1]
	s_mov_b64 s[28:29], 0
	s_mov_b64 s[6:7], 0
                                        ; implicit-def: $vgpr55
	s_and_saveexec_b64 s[34:35], vcc
	s_cbranch_execz .LBB111_170
; %bb.162:                              ;   in Loop: Header=BB111_34 Depth=1
	v_mov_b32_e32 v10, v45
	v_mov_b64_e32 v[4:5], v[0:1]
                                        ; implicit-def: $sgpr38_sgpr39
	s_branch .LBB111_165
.LBB111_163:                            ;   in Loop: Header=BB111_165 Depth=2
	s_or_b64 exec, exec, s[40:41]
	s_waitcnt lgkmcnt(0)
	s_barrier
	ds_read_b32 v11, v3 offset:3072
	s_mov_b64 s[40:41], -1
	s_waitcnt lgkmcnt(0)
	s_barrier
	v_cmp_ne_u32_sdwa s[42:43], v11, v3 src0_sel:WORD_0 src1_sel:DWORD
	s_and_b64 vcc, exec, s[42:43]
	s_mov_b64 s[42:43], -1
	s_cbranch_vccz .LBB111_168
.LBB111_164:                            ;   in Loop: Header=BB111_165 Depth=2
	s_and_b64 s[40:41], exec, s[40:41]
	s_or_b64 s[6:7], s[40:41], s[6:7]
	s_andn2_b64 s[38:39], s[38:39], exec
	s_and_b64 s[40:41], s[42:43], exec
	s_or_b64 s[38:39], s[38:39], s[40:41]
	s_andn2_b64 exec, exec, s[6:7]
	s_cbranch_execz .LBB111_169
.LBB111_165:                            ;   Parent Loop BB111_34 Depth=1
                                        ; =>  This Inner Loop Header: Depth=2
	v_cmp_gt_u64_e32 vcc, s[14:15], v[4:5]
	s_and_saveexec_b64 s[40:41], vcc
	s_cbranch_execz .LBB111_163
; %bb.166:                              ;   in Loop: Header=BB111_165 Depth=2
	ds_read_u16 v11, v10
	s_waitcnt lgkmcnt(0)
	v_add_u32_sdwa v32, sext(v11), s91 dst_sel:DWORD dst_unused:UNUSED_PAD src0_sel:WORD_0 src1_sel:DWORD
	v_and_b32_e32 v32, v32, v54
	v_cmp_eq_u32_e32 vcc, v32, v51
	s_and_b64 exec, exec, vcc
	s_cbranch_execz .LBB111_163
; %bb.167:                              ;   in Loop: Header=BB111_165 Depth=2
	v_perm_b32 v11, v11, 1, v53
	ds_write_b32 v3, v11 offset:3072
	s_branch .LBB111_163
.LBB111_168:                            ;   in Loop: Header=BB111_165 Depth=2
	v_lshl_add_u64 v[4:5], v[4:5], 0, s[76:77]
	v_cmp_le_u64_e32 vcc, s[36:37], v[4:5]
	v_add_u32_e32 v10, s89, v10
	s_mov_b64 s[42:43], 0
	s_orn2_b64 s[40:41], vcc, exec
	s_branch .LBB111_164
.LBB111_169:                            ;   in Loop: Header=BB111_34 Depth=1
	s_or_b64 exec, exec, s[6:7]
	v_lshrrev_b32_e32 v55, 16, v11
	s_and_b64 s[6:7], s[38:39], exec
.LBB111_170:                            ;   in Loop: Header=BB111_34 Depth=1
	s_or_b64 exec, exec, s[34:35]
.LBB111_171:                            ;   in Loop: Header=BB111_34 Depth=1
	s_and_b64 vcc, exec, s[28:29]
	s_cbranch_vccz .LBB111_188
; %bb.172:                              ;   in Loop: Header=BB111_34 Depth=1
	s_mov_b32 s54, s83
	s_cmp_lg_u64 s[54:55], 0
	s_cbranch_scc0 .LBB111_175
; %bb.173:                              ;   in Loop: Header=BB111_34 Depth=1
	v_cvt_f32_u32_e32 v4, s76
	s_sub_u32 s14, 0, s76
	s_subb_u32 s15, 0, 0
	v_fmac_f32_e32 v4, 0, v52
	v_rcp_f32_e32 v4, v4
	s_nop 0
	v_mul_f32_e32 v4, 0x5f7ffffc, v4
	v_mul_f32_e32 v5, 0x2f800000, v4
	v_trunc_f32_e32 v5, v5
	v_fmac_f32_e32 v4, 0xcf800000, v5
	v_cvt_u32_f32_e32 v5, v5
	v_cvt_u32_f32_e32 v4, v4
	v_readfirstlane_b32 s24, v5
	v_readfirstlane_b32 s0, v4
	s_mul_i32 s1, s14, s24
	s_mul_hi_u32 s28, s14, s0
	s_mul_i32 s25, s15, s0
	s_add_i32 s1, s28, s1
	s_mul_i32 s29, s14, s0
	s_add_i32 s1, s1, s25
	s_mul_hi_u32 s28, s0, s29
	s_mul_i32 s34, s0, s1
	s_mul_hi_u32 s25, s0, s1
	s_add_u32 s28, s28, s34
	s_addc_u32 s25, 0, s25
	s_mul_hi_u32 s35, s24, s29
	s_mul_i32 s29, s24, s29
	s_add_u32 s28, s28, s29
	s_mul_hi_u32 s34, s24, s1
	s_addc_u32 s25, s25, s35
	s_addc_u32 s28, s34, 0
	s_mul_i32 s1, s24, s1
	s_add_u32 s1, s25, s1
	s_addc_u32 s25, 0, s28
	s_add_u32 s28, s0, s1
	s_cselect_b64 s[0:1], -1, 0
	s_cmp_lg_u64 s[0:1], 0
	s_addc_u32 s24, s24, s25
	s_mul_i32 s0, s14, s24
	s_mul_hi_u32 s1, s14, s28
	s_add_i32 s0, s1, s0
	s_mul_i32 s15, s15, s28
	s_add_i32 s0, s0, s15
	s_mul_i32 s14, s14, s28
	s_mul_hi_u32 s15, s24, s14
	s_mul_i32 s25, s24, s14
	s_mul_i32 s34, s28, s0
	s_mul_hi_u32 s14, s28, s14
	s_mul_hi_u32 s29, s28, s0
	s_add_u32 s14, s14, s34
	s_addc_u32 s29, 0, s29
	s_add_u32 s14, s14, s25
	s_mul_hi_u32 s1, s24, s0
	s_addc_u32 s14, s29, s15
	s_addc_u32 s1, s1, 0
	s_mul_i32 s0, s24, s0
	s_add_u32 s0, s14, s0
	s_addc_u32 s14, 0, s1
	s_add_u32 s15, s28, s0
	s_cselect_b64 s[0:1], -1, 0
	s_cmp_lg_u64 s[0:1], 0
	s_addc_u32 s0, s24, s14
	s_mul_i32 s14, s93, s0
	s_mul_hi_u32 s24, s93, s15
	s_mul_hi_u32 s1, s93, s0
	s_add_u32 s14, s24, s14
	s_addc_u32 s1, 0, s1
	s_mul_hi_u32 s25, s55, s15
	s_mul_i32 s15, s55, s15
	s_add_u32 s14, s14, s15
	s_mul_hi_u32 s24, s55, s0
	s_addc_u32 s1, s1, s25
	s_addc_u32 s14, s24, 0
	s_mul_i32 s0, s55, s0
	s_add_u32 s0, s1, s0
	s_addc_u32 s1, 0, s14
	s_mul_i32 s1, s76, s1
	s_mul_hi_u32 s14, s76, s0
	s_add_i32 s14, s14, s1
	s_mul_i32 s0, s76, s0
	s_sub_u32 s15, s93, s0
	s_cselect_b64 s[0:1], -1, 0
	s_cmp_lg_u64 s[0:1], 0
	s_subb_u32 s14, s55, s14
	s_sub_u32 s24, s15, s76
	s_cselect_b64 s[0:1], -1, 0
	s_cmp_lg_u64 s[0:1], 0
	s_subb_u32 s25, s14, 0
	;; [unrolled: 4-line block ×3, first 2 shown]
	s_cmp_ge_u32 s24, s76
	s_cselect_b32 s1, -1, 0
	s_cmp_eq_u32 s25, 0
	s_cselect_b32 s1, s1, -1
	s_cmp_lg_u32 s1, 0
	s_cselect_b32 s0, s0, s25
	s_cselect_b32 s24, s28, s24
	s_cmp_ge_u32 s15, s76
	s_cselect_b32 s1, -1, 0
	s_cmp_eq_u32 s14, 0
	s_cselect_b32 s1, s1, -1
	s_cmp_lg_u32 s1, 0
	s_cselect_b32 s1, s0, s14
	s_cselect_b32 s0, s24, s15
	s_mov_b64 s[14:15], 0
	s_branch .LBB111_176
.LBB111_174:                            ;   in Loop: Header=BB111_34 Depth=1
                                        ; implicit-def: $sgpr28_sgpr29
	s_branch .LBB111_160
.LBB111_175:                            ;   in Loop: Header=BB111_34 Depth=1
	s_mov_b64 s[14:15], -1
                                        ; implicit-def: $sgpr0_sgpr1
.LBB111_176:                            ;   in Loop: Header=BB111_34 Depth=1
	s_andn2_b64 vcc, exec, s[14:15]
	v_readlane_b32 s53, v68, 46
	v_readlane_b32 s54, v68, 47
	s_cbranch_vccnz .LBB111_178
; %bb.177:                              ;   in Loop: Header=BB111_34 Depth=1
	v_cvt_f32_u32_e32 v4, s76
	s_sub_i32 s0, 0, s76
	v_rcp_iflag_f32_e32 v4, v4
	s_nop 0
	v_mul_f32_e32 v4, 0x4f7ffffe, v4
	v_cvt_u32_f32_e32 v4, v4
	s_nop 0
	v_readfirstlane_b32 s1, v4
	s_mul_i32 s0, s0, s1
	s_mul_hi_u32 s0, s1, s0
	s_add_i32 s1, s1, s0
	s_mul_hi_u32 s0, s93, s1
	s_mul_i32 s0, s0, s76
	s_sub_i32 s0, s93, s0
	s_sub_i32 s1, s0, s76
	s_cmp_ge_u32 s0, s76
	s_cselect_b32 s0, s1, s0
	s_sub_i32 s1, s0, s76
	s_cmp_ge_u32 s0, s76
	s_cselect_b32 s82, s1, s0
	s_mov_b64 s[0:1], s[82:83]
.LBB111_178:                            ;   in Loop: Header=BB111_34 Depth=1
	s_sub_u32 s14, s93, s0
	s_subb_u32 s15, s55, s1
	v_cmp_gt_u64_e32 vcc, s[14:15], v[0:1]
                                        ; implicit-def: $vgpr55
	s_and_saveexec_b64 s[0:1], vcc
	s_cbranch_execz .LBB111_187
; %bb.179:                              ;   in Loop: Header=BB111_34 Depth=1
	s_mov_b64 s[24:25], 0
	v_mov_b64_e32 v[4:5], v[16:17]
	v_mov_b64_e32 v[10:11], v[0:1]
                                        ; implicit-def: $sgpr28_sgpr29
	s_branch .LBB111_182
.LBB111_180:                            ;   in Loop: Header=BB111_182 Depth=2
	s_or_b64 exec, exec, s[34:35]
	s_waitcnt lgkmcnt(0)
	s_barrier
	ds_read_b32 v32, v3 offset:3072
	s_mov_b64 s[34:35], -1
	s_waitcnt lgkmcnt(0)
	s_barrier
	v_cmp_eq_u32_sdwa s[36:37], v32, v3 src0_sel:WORD_0 src1_sel:DWORD
	s_and_b64 vcc, exec, s[36:37]
	s_mov_b64 s[36:37], -1
	s_cbranch_vccnz .LBB111_185
.LBB111_181:                            ;   in Loop: Header=BB111_182 Depth=2
	s_and_b64 s[34:35], exec, s[34:35]
	s_or_b64 s[24:25], s[34:35], s[24:25]
	s_andn2_b64 s[28:29], s[28:29], exec
	s_and_b64 s[34:35], s[36:37], exec
	s_or_b64 s[28:29], s[28:29], s[34:35]
	s_andn2_b64 exec, exec, s[24:25]
	s_cbranch_execz .LBB111_186
.LBB111_182:                            ;   Parent Loop BB111_34 Depth=1
                                        ; =>  This Inner Loop Header: Depth=2
	v_cmp_gt_u64_e32 vcc, s[56:57], v[10:11]
	s_and_saveexec_b64 s[34:35], vcc
	s_cbranch_execz .LBB111_180
; %bb.183:                              ;   in Loop: Header=BB111_182 Depth=2
	global_load_ushort v32, v[4:5], off
	s_waitcnt vmcnt(0)
	v_add_u32_sdwa v33, sext(v32), s91 dst_sel:DWORD dst_unused:UNUSED_PAD src0_sel:WORD_0 src1_sel:DWORD
	v_and_b32_e32 v33, v33, v54
	v_cmp_eq_u32_e32 vcc, v33, v51
	s_and_b64 exec, exec, vcc
	s_cbranch_execz .LBB111_180
; %bb.184:                              ;   in Loop: Header=BB111_182 Depth=2
	v_perm_b32 v32, v32, 1, v53
	ds_write_b32 v3, v32 offset:3072
	s_branch .LBB111_180
.LBB111_185:                            ;   in Loop: Header=BB111_182 Depth=2
	v_lshl_add_u64 v[10:11], v[10:11], 0, s[76:77]
	v_cmp_le_u64_e32 vcc, s[14:15], v[10:11]
	v_lshl_add_u64 v[4:5], v[4:5], 0, s[86:87]
	s_mov_b64 s[36:37], 0
	s_orn2_b64 s[34:35], vcc, exec
	s_branch .LBB111_181
.LBB111_186:                            ;   in Loop: Header=BB111_34 Depth=1
	s_or_b64 exec, exec, s[24:25]
	s_andn2_b64 s[6:7], s[6:7], exec
	s_and_b64 s[14:15], s[28:29], exec
	v_lshrrev_b32_e32 v55, 16, v32
	s_or_b64 s[6:7], s[6:7], s[14:15]
.LBB111_187:                            ;   in Loop: Header=BB111_34 Depth=1
	s_or_b64 exec, exec, s[0:1]
	s_mov_b64 s[0:1], 0
	s_mov_b64 s[24:25], -1
.LBB111_188:                            ;   in Loop: Header=BB111_34 Depth=1
	s_orn2_b64 s[6:7], s[6:7], exec
.LBB111_189:                            ;   in Loop: Header=BB111_34 Depth=1
	s_or_b64 exec, exec, s[26:27]
	s_mov_b64 s[14:15], 0
	s_and_saveexec_b64 s[26:27], s[6:7]
	s_cbranch_execz .LBB111_297
; %bb.190:                              ;   in Loop: Header=BB111_34 Depth=1
	s_xor_b64 s[14:15], s[8:9], -1
	v_mov_b32_e32 v2, 1
	s_mov_b64 s[8:9], 0
	v_mov_b64_e32 v[4:5], 1
	s_and_saveexec_b64 s[6:7], s[14:15]
	s_cbranch_execz .LBB111_200
; %bb.191:                              ;   in Loop: Header=BB111_34 Depth=1
	v_cmp_le_u64_e32 vcc, v[8:9], v[6:7]
	s_and_saveexec_b64 s[8:9], vcc
	s_xor_b64 s[8:9], exec, s[8:9]
	s_cbranch_execz .LBB111_197
; %bb.192:                              ;   in Loop: Header=BB111_34 Depth=1
	ds_read_b64 v[4:5], v3 offset:5120
	v_and_b32_e32 v2, s52, v51
	v_lshl_or_b32 v51, 1, s90, v2
	v_or_b32_e32 v54, s72, v54
	s_waitcnt lgkmcnt(0)
	v_cmp_ne_u64_e32 vcc, 0, v[4:5]
	s_cbranch_vccnz .LBB111_196
; %bb.193:                              ;   in Loop: Header=BB111_34 Depth=1
	s_mov_b64 s[14:15], exec
	v_readlane_b32 s28, v68, 6
	v_readlane_b32 s29, v68, 7
	s_and_b64 s[28:29], s[14:15], s[28:29]
	s_mov_b64 exec, s[28:29]
; %bb.194:                              ;   in Loop: Header=BB111_34 Depth=1
	ds_write_b64 v3, v[6:7] offset:5128
; %bb.195:                              ;   in Loop: Header=BB111_34 Depth=1
	s_or_b64 exec, exec, s[14:15]
	s_waitcnt lgkmcnt(0)
	s_barrier
.LBB111_196:                            ;   in Loop: Header=BB111_34 Depth=1
                                        ; implicit-def: $vgpr4_vgpr5_vgpr6_vgpr7
.LBB111_197:                            ;   in Loop: Header=BB111_34 Depth=1
	s_or_saveexec_b64 s[8:9], s[8:9]
	s_mov_b64 s[14:15], 0
	v_mov_b32_e32 v2, 8
	s_xor_b64 exec, exec, s[8:9]
; %bb.198:                              ;   in Loop: Header=BB111_34 Depth=1
	v_sub_co_u32_e32 v8, vcc, v8, v6
	s_mov_b64 s[14:15], exec
	s_nop 0
	v_subb_co_u32_e32 v9, vcc, v9, v7, vcc
	v_mov_b32_e32 v2, 0
; %bb.199:                              ;   in Loop: Header=BB111_34 Depth=1
	s_or_b64 exec, exec, s[8:9]
	s_and_b64 s[8:9], s[14:15], exec
	v_mov_b64_e32 v[4:5], v[8:9]
.LBB111_200:                            ;   in Loop: Header=BB111_34 Depth=1
	s_or_b64 exec, exec, s[6:7]
	s_mov_b64 s[6:7], -1
                                        ; implicit-def: $sgpr34_sgpr35
                                        ; implicit-def: $sgpr36_sgpr37
	s_and_saveexec_b64 s[28:29], s[8:9]
	s_cbranch_execz .LBB111_296
; %bb.201:                              ;   in Loop: Header=BB111_34 Depth=1
	s_cmp_eq_u64 s[22:23], 1
	s_cselect_b64 s[6:7], -1, 0
	v_cmp_eq_u64_e32 vcc, 1, v[4:5]
	s_and_b64 s[8:9], s[6:7], vcc
	s_mov_b64 s[6:7], -1
                                        ; implicit-def: $sgpr36_sgpr37
                                        ; implicit-def: $sgpr34_sgpr35
	s_and_saveexec_b64 s[38:39], s[8:9]
	s_cbranch_execz .LBB111_236
; %bb.202:                              ;   in Loop: Header=BB111_34 Depth=1
	ds_read_b64 v[6:7], v3 offset:5120
	s_waitcnt lgkmcnt(0)
	s_barrier
	v_readfirstlane_b32 s14, v6
	v_readfirstlane_b32 s15, v7
	s_mov_b64 s[6:7], exec
	v_readlane_b32 s34, v68, 14
	v_readlane_b32 s35, v68, 15
	s_and_b64 s[34:35], s[6:7], s[34:35]
	s_mov_b64 exec, s[34:35]
; %bb.203:                              ;   in Loop: Header=BB111_34 Depth=1
	ds_write_b16 v46, v3
; %bb.204:                              ;   in Loop: Header=BB111_34 Depth=1
	s_or_b64 exec, exec, s[6:7]
	v_and_b32_e32 v6, s52, v51
	v_lshl_or_b32 v51, 2, s90, v6
	v_or_b32_e32 v54, s72, v54
	s_mov_b64 s[34:35], -1
	s_mov_b64 s[36:37], 0
	s_cmp_eq_u64 s[14:15], 0
	s_mov_b64 s[6:7], 0
	s_mov_b64 s[40:41], -1
	s_waitcnt lgkmcnt(0)
	s_barrier
                                        ; implicit-def: $vgpr55
	s_cbranch_scc1 .LBB111_218
; %bb.205:                              ;   in Loop: Header=BB111_34 Depth=1
	v_readlane_b32 s6, v68, 20
	s_add_u32 s44, s14, s6
	v_readlane_b32 s6, v68, 21
	s_addc_u32 s7, s15, s6
	s_mov_b32 s6, s83
	s_cmp_lg_u64 s[6:7], 0
	s_cbranch_scc0 .LBB111_221
; %bb.206:                              ;   in Loop: Header=BB111_34 Depth=1
	v_cvt_f32_u32_e32 v6, s76
	s_sub_u32 s6, 0, s76
	s_subb_u32 s42, 0, 0
	v_fmac_f32_e32 v6, 0, v52
	v_rcp_f32_e32 v6, v6
	s_nop 0
	v_mul_f32_e32 v6, 0x5f7ffffc, v6
	v_mul_f32_e32 v7, 0x2f800000, v6
	v_trunc_f32_e32 v7, v7
	v_fmac_f32_e32 v6, 0xcf800000, v7
	v_cvt_u32_f32_e32 v7, v7
	v_cvt_u32_f32_e32 v6, v6
	v_readfirstlane_b32 s43, v7
	v_readfirstlane_b32 s40, v6
	s_mul_i32 s41, s6, s43
	s_mul_hi_u32 s46, s6, s40
	s_mul_i32 s45, s42, s40
	s_add_i32 s41, s46, s41
	s_mul_i32 s47, s6, s40
	s_add_i32 s41, s41, s45
	s_mul_hi_u32 s46, s40, s47
	s_mul_i32 s48, s40, s41
	s_mul_hi_u32 s45, s40, s41
	s_add_u32 s46, s46, s48
	s_addc_u32 s45, 0, s45
	s_mul_hi_u32 s49, s43, s47
	s_mul_i32 s47, s43, s47
	s_add_u32 s46, s46, s47
	s_mul_hi_u32 s48, s43, s41
	s_addc_u32 s45, s45, s49
	s_addc_u32 s46, s48, 0
	s_mul_i32 s41, s43, s41
	s_add_u32 s41, s45, s41
	s_addc_u32 s45, 0, s46
	s_add_u32 s46, s40, s41
	s_cselect_b64 s[40:41], -1, 0
	s_cmp_lg_u64 s[40:41], 0
	s_addc_u32 s43, s43, s45
	s_mul_i32 s40, s6, s43
	s_mul_hi_u32 s41, s6, s46
	s_add_i32 s40, s41, s40
	s_mul_i32 s42, s42, s46
	s_add_i32 s40, s40, s42
	s_mul_i32 s6, s6, s46
	s_mul_hi_u32 s42, s43, s6
	s_mul_i32 s45, s43, s6
	s_mul_i32 s48, s46, s40
	s_mul_hi_u32 s6, s46, s6
	s_mul_hi_u32 s47, s46, s40
	s_add_u32 s6, s6, s48
	s_addc_u32 s47, 0, s47
	s_add_u32 s6, s6, s45
	s_mul_hi_u32 s41, s43, s40
	s_addc_u32 s6, s47, s42
	s_addc_u32 s41, s41, 0
	s_mul_i32 s40, s43, s40
	s_add_u32 s6, s6, s40
	s_addc_u32 s42, 0, s41
	s_add_u32 s6, s46, s6
	s_cselect_b64 s[40:41], -1, 0
	s_cmp_lg_u64 s[40:41], 0
	s_addc_u32 s40, s43, s42
	s_mul_i32 s42, s44, s40
	s_mul_hi_u32 s43, s44, s6
	s_mul_hi_u32 s41, s44, s40
	s_add_u32 s42, s43, s42
	s_addc_u32 s41, 0, s41
	s_mul_hi_u32 s45, s7, s6
	s_mul_i32 s6, s7, s6
	s_add_u32 s6, s42, s6
	s_mul_hi_u32 s43, s7, s40
	s_addc_u32 s6, s41, s45
	s_addc_u32 s41, s43, 0
	s_mul_i32 s40, s7, s40
	s_add_u32 s6, s6, s40
	s_addc_u32 s40, 0, s41
	s_mul_i32 s40, s76, s40
	s_mul_hi_u32 s41, s76, s6
	s_add_i32 s42, s41, s40
	s_mul_i32 s6, s76, s6
	s_sub_u32 s6, s44, s6
	s_cselect_b64 s[40:41], -1, 0
	s_cmp_lg_u64 s[40:41], 0
	s_subb_u32 s42, s7, s42
	s_sub_u32 s43, s6, s76
	s_cselect_b64 s[40:41], -1, 0
	s_cmp_lg_u64 s[40:41], 0
	s_subb_u32 s45, s42, 0
	;; [unrolled: 4-line block ×3, first 2 shown]
	s_cmp_ge_u32 s43, s76
	s_cselect_b32 s41, -1, 0
	s_cmp_eq_u32 s45, 0
	s_cselect_b32 s41, s41, -1
	s_cmp_lg_u32 s41, 0
	s_cselect_b32 s40, s40, s45
	s_cselect_b32 s43, s46, s43
	s_cmp_ge_u32 s6, s76
	s_cselect_b32 s41, -1, 0
	s_cmp_eq_u32 s42, 0
	s_cselect_b32 s41, s41, -1
	s_cmp_lg_u32 s41, 0
	s_cselect_b32 s41, s40, s42
	s_cselect_b32 s40, s43, s6
	s_cbranch_execnz .LBB111_208
.LBB111_207:                            ;   in Loop: Header=BB111_34 Depth=1
	v_cvt_f32_u32_e32 v6, s76
	s_sub_i32 s6, 0, s76
	v_rcp_iflag_f32_e32 v6, v6
	s_nop 0
	v_mul_f32_e32 v6, 0x4f7ffffe, v6
	v_cvt_u32_f32_e32 v6, v6
	s_nop 0
	v_readfirstlane_b32 s40, v6
	s_mul_i32 s6, s6, s40
	s_mul_hi_u32 s6, s40, s6
	s_add_i32 s40, s40, s6
	s_mul_hi_u32 s6, s44, s40
	s_mul_i32 s6, s6, s76
	s_sub_i32 s6, s44, s6
	s_sub_i32 s40, s6, s76
	s_cmp_ge_u32 s6, s76
	s_cselect_b32 s6, s40, s6
	s_sub_i32 s40, s6, s76
	s_cmp_ge_u32 s6, s76
	s_cselect_b32 s82, s40, s6
	s_mov_b64 s[40:41], s[82:83]
.LBB111_208:                            ;   in Loop: Header=BB111_34 Depth=1
	s_sub_u32 s44, s44, s40
	s_subb_u32 s45, s7, s41
	v_cmp_gt_u64_e32 vcc, s[44:45], v[0:1]
	s_mov_b64 s[40:41], 0
	s_mov_b64 s[6:7], 0
                                        ; implicit-def: $vgpr55
	s_and_saveexec_b64 s[42:43], vcc
	s_cbranch_execz .LBB111_217
; %bb.209:                              ;   in Loop: Header=BB111_34 Depth=1
	v_mov_b32_e32 v8, v45
	v_mov_b64_e32 v[6:7], v[0:1]
                                        ; implicit-def: $sgpr46_sgpr47
	s_branch .LBB111_212
.LBB111_210:                            ;   in Loop: Header=BB111_212 Depth=2
	s_or_b64 exec, exec, s[48:49]
	s_waitcnt lgkmcnt(0)
	s_barrier
	ds_read_b32 v9, v3 offset:3072
	s_mov_b64 s[48:49], -1
	s_waitcnt lgkmcnt(0)
	s_barrier
	v_cmp_ne_u32_sdwa s[50:51], v9, v3 src0_sel:WORD_0 src1_sel:DWORD
	s_and_b64 vcc, exec, s[50:51]
	s_mov_b64 s[50:51], -1
	s_cbranch_vccz .LBB111_215
.LBB111_211:                            ;   in Loop: Header=BB111_212 Depth=2
	s_and_b64 s[48:49], exec, s[48:49]
	s_or_b64 s[6:7], s[48:49], s[6:7]
	s_andn2_b64 s[46:47], s[46:47], exec
	s_and_b64 s[48:49], s[50:51], exec
	s_or_b64 s[46:47], s[46:47], s[48:49]
	s_andn2_b64 exec, exec, s[6:7]
	s_cbranch_execz .LBB111_216
.LBB111_212:                            ;   Parent Loop BB111_34 Depth=1
                                        ; =>  This Inner Loop Header: Depth=2
	v_cmp_gt_u64_e32 vcc, s[14:15], v[6:7]
	s_and_saveexec_b64 s[48:49], vcc
	s_cbranch_execz .LBB111_210
; %bb.213:                              ;   in Loop: Header=BB111_212 Depth=2
	ds_read_u16 v9, v8
	s_waitcnt lgkmcnt(0)
	v_add_u32_sdwa v10, sext(v9), s91 dst_sel:DWORD dst_unused:UNUSED_PAD src0_sel:WORD_0 src1_sel:DWORD
	v_and_b32_e32 v10, v10, v54
	v_cmp_eq_u32_e32 vcc, v10, v51
	s_and_b64 exec, exec, vcc
	s_cbranch_execz .LBB111_210
; %bb.214:                              ;   in Loop: Header=BB111_212 Depth=2
	v_perm_b32 v9, v9, 1, v53
	ds_write_b32 v3, v9 offset:3072
	s_branch .LBB111_210
.LBB111_215:                            ;   in Loop: Header=BB111_212 Depth=2
	v_lshl_add_u64 v[6:7], v[6:7], 0, s[76:77]
	v_cmp_le_u64_e32 vcc, s[44:45], v[6:7]
	v_add_u32_e32 v8, s89, v8
	s_mov_b64 s[50:51], 0
	s_orn2_b64 s[48:49], vcc, exec
	s_branch .LBB111_211
.LBB111_216:                            ;   in Loop: Header=BB111_34 Depth=1
	s_or_b64 exec, exec, s[6:7]
	v_readlane_b32 s50, v68, 42
	v_lshrrev_b32_e32 v55, 16, v9
	s_and_b64 s[6:7], s[46:47], exec
	v_readlane_b32 s51, v68, 43
.LBB111_217:                            ;   in Loop: Header=BB111_34 Depth=1
	s_or_b64 exec, exec, s[42:43]
.LBB111_218:                            ;   in Loop: Header=BB111_34 Depth=1
	s_and_b64 vcc, exec, s[40:41]
	s_cbranch_vccz .LBB111_235
; %bb.219:                              ;   in Loop: Header=BB111_34 Depth=1
	s_mov_b32 s54, s83
	s_cmp_lg_u64 s[54:55], 0
	s_cbranch_scc0 .LBB111_222
; %bb.220:                              ;   in Loop: Header=BB111_34 Depth=1
	v_cvt_f32_u32_e32 v6, s76
	s_sub_u32 s34, 0, s76
	s_subb_u32 s35, 0, 0
	v_fmac_f32_e32 v6, 0, v52
	v_rcp_f32_e32 v6, v6
	s_nop 0
	v_mul_f32_e32 v6, 0x5f7ffffc, v6
	v_mul_f32_e32 v7, 0x2f800000, v6
	v_trunc_f32_e32 v7, v7
	v_fmac_f32_e32 v6, 0xcf800000, v7
	v_cvt_u32_f32_e32 v7, v7
	v_cvt_u32_f32_e32 v6, v6
	v_readfirstlane_b32 s36, v7
	v_readfirstlane_b32 s14, v6
	s_mul_i32 s15, s34, s36
	s_mul_hi_u32 s40, s34, s14
	s_mul_i32 s37, s35, s14
	s_add_i32 s15, s40, s15
	s_mul_i32 s41, s34, s14
	s_add_i32 s15, s15, s37
	s_mul_hi_u32 s40, s14, s41
	s_mul_i32 s42, s14, s15
	s_mul_hi_u32 s37, s14, s15
	s_add_u32 s40, s40, s42
	s_addc_u32 s37, 0, s37
	s_mul_hi_u32 s43, s36, s41
	s_mul_i32 s41, s36, s41
	s_add_u32 s40, s40, s41
	s_mul_hi_u32 s42, s36, s15
	s_addc_u32 s37, s37, s43
	s_addc_u32 s40, s42, 0
	s_mul_i32 s15, s36, s15
	s_add_u32 s15, s37, s15
	s_addc_u32 s37, 0, s40
	s_add_u32 s40, s14, s15
	s_cselect_b64 s[14:15], -1, 0
	s_cmp_lg_u64 s[14:15], 0
	s_addc_u32 s36, s36, s37
	s_mul_i32 s14, s34, s36
	s_mul_hi_u32 s15, s34, s40
	s_add_i32 s14, s15, s14
	s_mul_i32 s35, s35, s40
	s_add_i32 s14, s14, s35
	s_mul_i32 s34, s34, s40
	s_mul_hi_u32 s35, s36, s34
	s_mul_i32 s37, s36, s34
	s_mul_i32 s42, s40, s14
	s_mul_hi_u32 s34, s40, s34
	s_mul_hi_u32 s41, s40, s14
	s_add_u32 s34, s34, s42
	s_addc_u32 s41, 0, s41
	s_add_u32 s34, s34, s37
	s_mul_hi_u32 s15, s36, s14
	s_addc_u32 s34, s41, s35
	s_addc_u32 s15, s15, 0
	s_mul_i32 s14, s36, s14
	s_add_u32 s14, s34, s14
	s_addc_u32 s34, 0, s15
	s_add_u32 s35, s40, s14
	s_cselect_b64 s[14:15], -1, 0
	s_cmp_lg_u64 s[14:15], 0
	s_addc_u32 s14, s36, s34
	s_mul_i32 s34, s93, s14
	s_mul_hi_u32 s36, s93, s35
	s_mul_hi_u32 s15, s93, s14
	s_add_u32 s34, s36, s34
	s_addc_u32 s15, 0, s15
	s_mul_hi_u32 s37, s55, s35
	s_mul_i32 s35, s55, s35
	s_add_u32 s34, s34, s35
	s_mul_hi_u32 s36, s55, s14
	s_addc_u32 s15, s15, s37
	s_addc_u32 s34, s36, 0
	s_mul_i32 s14, s55, s14
	s_add_u32 s14, s15, s14
	s_addc_u32 s15, 0, s34
	s_mul_i32 s15, s76, s15
	s_mul_hi_u32 s34, s76, s14
	s_add_i32 s34, s34, s15
	s_mul_i32 s14, s76, s14
	s_sub_u32 s35, s93, s14
	s_cselect_b64 s[14:15], -1, 0
	s_cmp_lg_u64 s[14:15], 0
	s_subb_u32 s34, s55, s34
	s_sub_u32 s36, s35, s76
	s_cselect_b64 s[14:15], -1, 0
	s_cmp_lg_u64 s[14:15], 0
	s_subb_u32 s37, s34, 0
	;; [unrolled: 4-line block ×3, first 2 shown]
	s_cmp_ge_u32 s36, s76
	s_cselect_b32 s15, -1, 0
	s_cmp_eq_u32 s37, 0
	s_cselect_b32 s15, s15, -1
	s_cmp_lg_u32 s15, 0
	s_cselect_b32 s14, s14, s37
	s_cselect_b32 s36, s40, s36
	s_cmp_ge_u32 s35, s76
	s_cselect_b32 s15, -1, 0
	s_cmp_eq_u32 s34, 0
	s_cselect_b32 s15, s15, -1
	s_cmp_lg_u32 s15, 0
	s_cselect_b32 s15, s14, s34
	s_cselect_b32 s14, s36, s35
	s_mov_b64 s[34:35], 0
	s_branch .LBB111_223
.LBB111_221:                            ;   in Loop: Header=BB111_34 Depth=1
                                        ; implicit-def: $sgpr40_sgpr41
	s_branch .LBB111_207
.LBB111_222:                            ;   in Loop: Header=BB111_34 Depth=1
	s_mov_b64 s[34:35], -1
                                        ; implicit-def: $sgpr14_sgpr15
.LBB111_223:                            ;   in Loop: Header=BB111_34 Depth=1
	s_andn2_b64 vcc, exec, s[34:35]
	v_readlane_b32 s53, v68, 46
	v_readlane_b32 s54, v68, 47
	s_cbranch_vccnz .LBB111_225
; %bb.224:                              ;   in Loop: Header=BB111_34 Depth=1
	v_cvt_f32_u32_e32 v6, s76
	s_sub_i32 s14, 0, s76
	v_rcp_iflag_f32_e32 v6, v6
	s_nop 0
	v_mul_f32_e32 v6, 0x4f7ffffe, v6
	v_cvt_u32_f32_e32 v6, v6
	s_nop 0
	v_readfirstlane_b32 s15, v6
	s_mul_i32 s14, s14, s15
	s_mul_hi_u32 s14, s15, s14
	s_add_i32 s15, s15, s14
	s_mul_hi_u32 s14, s93, s15
	s_mul_i32 s14, s14, s76
	s_sub_i32 s14, s93, s14
	s_sub_i32 s15, s14, s76
	s_cmp_ge_u32 s14, s76
	s_cselect_b32 s14, s15, s14
	s_sub_i32 s15, s14, s76
	s_cmp_ge_u32 s14, s76
	s_cselect_b32 s82, s15, s14
	s_mov_b64 s[14:15], s[82:83]
.LBB111_225:                            ;   in Loop: Header=BB111_34 Depth=1
	s_sub_u32 s34, s93, s14
	s_subb_u32 s35, s55, s15
	v_cmp_gt_u64_e32 vcc, s[34:35], v[0:1]
                                        ; implicit-def: $vgpr55
	s_and_saveexec_b64 s[14:15], vcc
	s_cbranch_execz .LBB111_234
; %bb.226:                              ;   in Loop: Header=BB111_34 Depth=1
	s_mov_b64 s[36:37], 0
	v_mov_b64_e32 v[6:7], v[16:17]
	v_mov_b64_e32 v[8:9], v[0:1]
                                        ; implicit-def: $sgpr40_sgpr41
	s_branch .LBB111_229
.LBB111_227:                            ;   in Loop: Header=BB111_229 Depth=2
	s_or_b64 exec, exec, s[42:43]
	s_waitcnt lgkmcnt(0)
	s_barrier
	ds_read_b32 v10, v3 offset:3072
	s_mov_b64 s[42:43], -1
	s_waitcnt lgkmcnt(0)
	s_barrier
	v_cmp_eq_u32_sdwa s[44:45], v10, v3 src0_sel:WORD_0 src1_sel:DWORD
	s_and_b64 vcc, exec, s[44:45]
	s_mov_b64 s[44:45], -1
	s_cbranch_vccnz .LBB111_232
.LBB111_228:                            ;   in Loop: Header=BB111_229 Depth=2
	s_and_b64 s[42:43], exec, s[42:43]
	s_or_b64 s[36:37], s[42:43], s[36:37]
	s_andn2_b64 s[40:41], s[40:41], exec
	s_and_b64 s[42:43], s[44:45], exec
	s_or_b64 s[40:41], s[40:41], s[42:43]
	s_andn2_b64 exec, exec, s[36:37]
	s_cbranch_execz .LBB111_233
.LBB111_229:                            ;   Parent Loop BB111_34 Depth=1
                                        ; =>  This Inner Loop Header: Depth=2
	v_cmp_gt_u64_e32 vcc, s[56:57], v[8:9]
	s_and_saveexec_b64 s[42:43], vcc
	s_cbranch_execz .LBB111_227
; %bb.230:                              ;   in Loop: Header=BB111_229 Depth=2
	global_load_ushort v10, v[6:7], off
	s_waitcnt vmcnt(0)
	v_add_u32_sdwa v11, sext(v10), s91 dst_sel:DWORD dst_unused:UNUSED_PAD src0_sel:WORD_0 src1_sel:DWORD
	v_and_b32_e32 v11, v11, v54
	v_cmp_eq_u32_e32 vcc, v11, v51
	s_and_b64 exec, exec, vcc
	s_cbranch_execz .LBB111_227
; %bb.231:                              ;   in Loop: Header=BB111_229 Depth=2
	v_perm_b32 v10, v10, 1, v53
	ds_write_b32 v3, v10 offset:3072
	s_branch .LBB111_227
.LBB111_232:                            ;   in Loop: Header=BB111_229 Depth=2
	v_lshl_add_u64 v[8:9], v[8:9], 0, s[76:77]
	v_cmp_le_u64_e32 vcc, s[34:35], v[8:9]
	v_lshl_add_u64 v[6:7], v[6:7], 0, s[86:87]
	s_mov_b64 s[44:45], 0
	s_orn2_b64 s[42:43], vcc, exec
	s_branch .LBB111_228
.LBB111_233:                            ;   in Loop: Header=BB111_34 Depth=1
	s_or_b64 exec, exec, s[36:37]
	s_andn2_b64 s[6:7], s[6:7], exec
	s_and_b64 s[34:35], s[40:41], exec
	v_lshrrev_b32_e32 v55, 16, v10
	s_or_b64 s[6:7], s[6:7], s[34:35]
.LBB111_234:                            ;   in Loop: Header=BB111_34 Depth=1
	s_or_b64 exec, exec, s[14:15]
	s_mov_b64 s[34:35], 0
	s_mov_b64 s[36:37], -1
.LBB111_235:                            ;   in Loop: Header=BB111_34 Depth=1
	s_orn2_b64 s[6:7], s[6:7], exec
.LBB111_236:                            ;   in Loop: Header=BB111_34 Depth=1
	s_or_b64 exec, exec, s[38:39]
	s_mov_b64 s[14:15], 0
	s_and_saveexec_b64 s[38:39], s[6:7]
	s_cbranch_execz .LBB111_295
; %bb.237:                              ;   in Loop: Header=BB111_34 Depth=1
	s_xor_b64 s[14:15], s[8:9], -1
	v_mov_b32_e32 v2, 1
	s_mov_b64 s[8:9], 0
	v_mov_b64_e32 v[6:7], 1
	s_and_saveexec_b64 s[6:7], s[14:15]
	s_cbranch_execz .LBB111_246
; %bb.238:                              ;   in Loop: Header=BB111_34 Depth=1
	v_cmp_ge_u64_e32 vcc, s[22:23], v[4:5]
	s_and_saveexec_b64 s[8:9], vcc
	s_xor_b64 s[8:9], exec, s[8:9]
	s_cbranch_execz .LBB111_243
; %bb.239:                              ;   in Loop: Header=BB111_34 Depth=1
	ds_read_b64 v[6:7], v3 offset:5120
	v_and_b32_e32 v2, s52, v51
	v_lshl_or_b32 v51, 2, s90, v2
	v_or_b32_e32 v54, s72, v54
	s_waitcnt lgkmcnt(0)
	v_cmp_ne_u64_e32 vcc, 0, v[6:7]
	s_cbranch_vccnz .LBB111_243
; %bb.240:                              ;   in Loop: Header=BB111_34 Depth=1
	s_mov_b64 s[14:15], exec
	v_readlane_b32 s40, v68, 6
	v_readlane_b32 s41, v68, 7
	s_and_b64 s[40:41], s[14:15], s[40:41]
	s_mov_b64 exec, s[40:41]
; %bb.241:                              ;   in Loop: Header=BB111_34 Depth=1
	v_mov_b64_e32 v[6:7], s[22:23]
	ds_write_b64 v3, v[6:7] offset:5128
; %bb.242:                              ;   in Loop: Header=BB111_34 Depth=1
	s_or_b64 exec, exec, s[14:15]
	s_waitcnt lgkmcnt(0)
	s_barrier
.LBB111_243:                            ;   in Loop: Header=BB111_34 Depth=1
	s_or_saveexec_b64 s[8:9], s[8:9]
	s_mov_b64 s[14:15], 0
	v_mov_b32_e32 v2, 8
	s_xor_b64 exec, exec, s[8:9]
; %bb.244:                              ;   in Loop: Header=BB111_34 Depth=1
	v_mov_b32_e32 v2, s23
	v_subrev_co_u32_e32 v4, vcc, s22, v4
	s_mov_b64 s[14:15], exec
	s_nop 0
	v_subb_co_u32_e32 v5, vcc, v5, v2, vcc
	v_mov_b32_e32 v2, 0
; %bb.245:                              ;   in Loop: Header=BB111_34 Depth=1
	s_or_b64 exec, exec, s[8:9]
	s_and_b64 s[8:9], s[14:15], exec
	v_mov_b64_e32 v[6:7], v[4:5]
.LBB111_246:                            ;   in Loop: Header=BB111_34 Depth=1
	s_or_b64 exec, exec, s[6:7]
	s_mov_b64 s[6:7], -1
                                        ; implicit-def: $sgpr44_sgpr45
                                        ; implicit-def: $sgpr42_sgpr43
	s_and_saveexec_b64 s[22:23], s[8:9]
	s_cbranch_execz .LBB111_294
; %bb.247:                              ;   in Loop: Header=BB111_34 Depth=1
	s_cmp_eq_u64 s[2:3], 1
	s_cselect_b64 s[6:7], -1, 0
	v_cmp_eq_u64_e32 vcc, 1, v[6:7]
	s_and_b64 s[8:9], s[6:7], vcc
	s_mov_b64 s[14:15], -1
                                        ; implicit-def: $sgpr44_sgpr45
                                        ; implicit-def: $sgpr42_sgpr43
	s_and_saveexec_b64 s[40:41], s[8:9]
	s_cbranch_execz .LBB111_282
; %bb.248:                              ;   in Loop: Header=BB111_34 Depth=1
	ds_read_b64 v[4:5], v3 offset:5120
	s_waitcnt lgkmcnt(0)
	s_barrier
	v_readfirstlane_b32 s14, v4
	v_readfirstlane_b32 s15, v5
	s_mov_b64 s[6:7], exec
	v_readlane_b32 s42, v68, 14
	v_readlane_b32 s43, v68, 15
	s_and_b64 s[42:43], s[6:7], s[42:43]
	s_mov_b64 exec, s[42:43]
; %bb.249:                              ;   in Loop: Header=BB111_34 Depth=1
	ds_write_b16 v46, v3
; %bb.250:                              ;   in Loop: Header=BB111_34 Depth=1
	s_or_b64 exec, exec, s[6:7]
	v_or_b32_e32 v51, s72, v51
	v_or_b32_e32 v54, s72, v54
	s_mov_b64 s[42:43], -1
	s_mov_b64 s[44:45], 0
	s_cmp_eq_u64 s[14:15], 0
	s_mov_b64 s[6:7], 0
	s_mov_b64 s[46:47], -1
	s_waitcnt lgkmcnt(0)
	s_barrier
                                        ; implicit-def: $vgpr55
	s_cbranch_scc1 .LBB111_264
; %bb.251:                              ;   in Loop: Header=BB111_34 Depth=1
	v_readlane_b32 s6, v68, 20
	s_add_u32 s50, s14, s6
	v_readlane_b32 s6, v68, 21
	s_addc_u32 s7, s15, s6
	s_mov_b32 s6, s83
	s_mov_b32 s65, s55
	s_cmp_lg_u64 s[6:7], 0
	s_cbranch_scc0 .LBB111_267
; %bb.252:                              ;   in Loop: Header=BB111_34 Depth=1
	v_cvt_f32_u32_e32 v4, s76
	s_sub_u32 s6, 0, s76
	s_subb_u32 s48, 0, 0
	v_fmac_f32_e32 v4, 0, v52
	v_rcp_f32_e32 v4, v4
	s_nop 0
	v_mul_f32_e32 v4, 0x5f7ffffc, v4
	v_mul_f32_e32 v5, 0x2f800000, v4
	v_trunc_f32_e32 v5, v5
	v_fmac_f32_e32 v4, 0xcf800000, v5
	v_cvt_u32_f32_e32 v5, v5
	v_cvt_u32_f32_e32 v4, v4
	v_readfirstlane_b32 s49, v5
	v_readfirstlane_b32 s46, v4
	s_mul_i32 s47, s6, s49
	s_mul_hi_u32 s52, s6, s46
	s_mul_i32 s51, s48, s46
	s_add_i32 s47, s52, s47
	s_mul_i32 s53, s6, s46
	s_add_i32 s47, s47, s51
	s_mul_hi_u32 s52, s46, s53
	s_mul_i32 s54, s46, s47
	s_mul_hi_u32 s51, s46, s47
	s_add_u32 s52, s52, s54
	s_addc_u32 s51, 0, s51
	s_mul_hi_u32 s55, s49, s53
	s_mul_i32 s53, s49, s53
	s_add_u32 s52, s52, s53
	s_mul_hi_u32 s54, s49, s47
	s_addc_u32 s51, s51, s55
	s_addc_u32 s52, s54, 0
	s_mul_i32 s47, s49, s47
	s_add_u32 s47, s51, s47
	s_addc_u32 s51, 0, s52
	s_add_u32 s52, s46, s47
	s_cselect_b64 s[46:47], -1, 0
	s_cmp_lg_u64 s[46:47], 0
	s_addc_u32 s49, s49, s51
	s_mul_i32 s46, s6, s49
	s_mul_hi_u32 s47, s6, s52
	s_add_i32 s46, s47, s46
	s_mul_i32 s48, s48, s52
	s_add_i32 s46, s46, s48
	s_mul_i32 s6, s6, s52
	s_mul_hi_u32 s48, s49, s6
	s_mul_i32 s51, s49, s6
	s_mul_i32 s54, s52, s46
	s_mul_hi_u32 s6, s52, s6
	s_mul_hi_u32 s53, s52, s46
	s_add_u32 s6, s6, s54
	s_addc_u32 s53, 0, s53
	s_add_u32 s6, s6, s51
	s_mul_hi_u32 s47, s49, s46
	s_addc_u32 s6, s53, s48
	s_addc_u32 s47, s47, 0
	s_mul_i32 s46, s49, s46
	s_add_u32 s6, s6, s46
	s_addc_u32 s48, 0, s47
	s_add_u32 s6, s52, s6
	s_cselect_b64 s[46:47], -1, 0
	s_cmp_lg_u64 s[46:47], 0
	s_addc_u32 s46, s49, s48
	s_mul_i32 s48, s50, s46
	s_mul_hi_u32 s49, s50, s6
	s_mul_hi_u32 s47, s50, s46
	s_add_u32 s48, s49, s48
	s_addc_u32 s47, 0, s47
	s_mul_hi_u32 s51, s7, s6
	s_mul_i32 s6, s7, s6
	s_add_u32 s6, s48, s6
	s_mul_hi_u32 s49, s7, s46
	s_addc_u32 s6, s47, s51
	s_addc_u32 s47, s49, 0
	s_mul_i32 s46, s7, s46
	s_add_u32 s6, s6, s46
	s_addc_u32 s46, 0, s47
	s_mul_i32 s46, s76, s46
	s_mul_hi_u32 s47, s76, s6
	s_add_i32 s48, s47, s46
	s_mul_i32 s6, s76, s6
	s_sub_u32 s6, s50, s6
	s_cselect_b64 s[46:47], -1, 0
	s_cmp_lg_u64 s[46:47], 0
	s_subb_u32 s48, s7, s48
	s_sub_u32 s49, s6, s76
	s_cselect_b64 s[46:47], -1, 0
	s_cmp_lg_u64 s[46:47], 0
	s_subb_u32 s51, s48, 0
	;; [unrolled: 4-line block ×3, first 2 shown]
	s_cmp_ge_u32 s49, s76
	s_cselect_b32 s47, -1, 0
	s_cmp_eq_u32 s51, 0
	s_cselect_b32 s47, s47, -1
	s_cmp_lg_u32 s47, 0
	s_cselect_b32 s46, s46, s51
	s_cselect_b32 s49, s52, s49
	s_cmp_ge_u32 s6, s76
	s_cselect_b32 s47, -1, 0
	s_cmp_eq_u32 s48, 0
	s_cselect_b32 s47, s47, -1
	s_cmp_lg_u32 s47, 0
	s_cselect_b32 s47, s46, s48
	s_cselect_b32 s46, s49, s6
	s_cbranch_execnz .LBB111_254
.LBB111_253:                            ;   in Loop: Header=BB111_34 Depth=1
	v_cvt_f32_u32_e32 v4, s76
	s_sub_i32 s6, 0, s76
	v_rcp_iflag_f32_e32 v4, v4
	s_nop 0
	v_mul_f32_e32 v4, 0x4f7ffffe, v4
	v_cvt_u32_f32_e32 v4, v4
	s_nop 0
	v_readfirstlane_b32 s46, v4
	s_mul_i32 s6, s6, s46
	s_mul_hi_u32 s6, s46, s6
	s_add_i32 s46, s46, s6
	s_mul_hi_u32 s6, s50, s46
	s_mul_i32 s6, s6, s76
	s_sub_i32 s6, s50, s6
	s_sub_i32 s46, s6, s76
	s_cmp_ge_u32 s6, s76
	s_cselect_b32 s6, s46, s6
	s_sub_i32 s46, s6, s76
	s_cmp_ge_u32 s6, s76
	s_cselect_b32 s82, s46, s6
	s_mov_b64 s[46:47], s[82:83]
.LBB111_254:                            ;   in Loop: Header=BB111_34 Depth=1
	s_sub_u32 s50, s50, s46
	s_subb_u32 s51, s7, s47
	v_cmp_gt_u64_e32 vcc, s[50:51], v[0:1]
	s_mov_b64 s[46:47], 0
	s_mov_b64 s[6:7], 0
                                        ; implicit-def: $vgpr55
	s_and_saveexec_b64 s[48:49], vcc
	s_cbranch_execz .LBB111_263
; %bb.255:                              ;   in Loop: Header=BB111_34 Depth=1
	v_mov_b32_e32 v8, v45
	v_mov_b64_e32 v[4:5], v[0:1]
                                        ; implicit-def: $sgpr52_sgpr53
	s_branch .LBB111_258
.LBB111_256:                            ;   in Loop: Header=BB111_258 Depth=2
	s_or_b64 exec, exec, s[54:55]
	s_waitcnt lgkmcnt(0)
	s_barrier
	ds_read_b32 v9, v3 offset:3072
	s_mov_b64 s[54:55], -1
	s_waitcnt lgkmcnt(0)
	s_barrier
	v_cmp_ne_u32_sdwa s[70:71], v9, v3 src0_sel:WORD_0 src1_sel:DWORD
	s_and_b64 vcc, exec, s[70:71]
	s_mov_b64 s[70:71], -1
	s_cbranch_vccz .LBB111_261
.LBB111_257:                            ;   in Loop: Header=BB111_258 Depth=2
	s_and_b64 s[54:55], exec, s[54:55]
	s_or_b64 s[6:7], s[54:55], s[6:7]
	s_andn2_b64 s[52:53], s[52:53], exec
	s_and_b64 s[54:55], s[70:71], exec
	s_or_b64 s[52:53], s[52:53], s[54:55]
	s_andn2_b64 exec, exec, s[6:7]
	s_cbranch_execz .LBB111_262
.LBB111_258:                            ;   Parent Loop BB111_34 Depth=1
                                        ; =>  This Inner Loop Header: Depth=2
	v_cmp_gt_u64_e32 vcc, s[14:15], v[4:5]
	s_and_saveexec_b64 s[54:55], vcc
	s_cbranch_execz .LBB111_256
; %bb.259:                              ;   in Loop: Header=BB111_258 Depth=2
	ds_read_u16 v9, v8
	s_waitcnt lgkmcnt(0)
	v_add_u32_sdwa v10, sext(v9), s91 dst_sel:DWORD dst_unused:UNUSED_PAD src0_sel:WORD_0 src1_sel:DWORD
	v_and_b32_e32 v10, v10, v54
	v_cmp_eq_u32_e32 vcc, v10, v51
	s_and_b64 exec, exec, vcc
	s_cbranch_execz .LBB111_256
; %bb.260:                              ;   in Loop: Header=BB111_258 Depth=2
	v_perm_b32 v9, v9, 1, v53
	ds_write_b32 v3, v9 offset:3072
	s_branch .LBB111_256
.LBB111_261:                            ;   in Loop: Header=BB111_258 Depth=2
	v_lshl_add_u64 v[4:5], v[4:5], 0, s[76:77]
	v_cmp_le_u64_e32 vcc, s[50:51], v[4:5]
	v_add_u32_e32 v8, s89, v8
	s_mov_b64 s[70:71], 0
	s_orn2_b64 s[54:55], vcc, exec
	s_branch .LBB111_257
.LBB111_262:                            ;   in Loop: Header=BB111_34 Depth=1
	s_or_b64 exec, exec, s[6:7]
	v_lshrrev_b32_e32 v55, 16, v9
	s_and_b64 s[6:7], s[52:53], exec
.LBB111_263:                            ;   in Loop: Header=BB111_34 Depth=1
	s_or_b64 exec, exec, s[48:49]
	v_readlane_b32 s50, v68, 42
	s_mov_b32 s55, s65
	v_readlane_b32 s51, v68, 43
	v_readlane_b32 s53, v68, 46
	;; [unrolled: 1-line block ×3, first 2 shown]
.LBB111_264:                            ;   in Loop: Header=BB111_34 Depth=1
	s_and_b64 vcc, exec, s[46:47]
	s_cbranch_vccz .LBB111_281
; %bb.265:                              ;   in Loop: Header=BB111_34 Depth=1
	s_mov_b32 s54, s83
	s_cmp_lg_u64 s[54:55], 0
	s_cbranch_scc0 .LBB111_268
; %bb.266:                              ;   in Loop: Header=BB111_34 Depth=1
	v_cvt_f32_u32_e32 v4, s76
	s_sub_u32 s42, 0, s76
	s_subb_u32 s43, 0, 0
	v_fmac_f32_e32 v4, 0, v52
	v_rcp_f32_e32 v4, v4
	s_nop 0
	v_mul_f32_e32 v4, 0x5f7ffffc, v4
	v_mul_f32_e32 v5, 0x2f800000, v4
	v_trunc_f32_e32 v5, v5
	v_fmac_f32_e32 v4, 0xcf800000, v5
	v_cvt_u32_f32_e32 v5, v5
	v_cvt_u32_f32_e32 v4, v4
	v_readfirstlane_b32 s44, v5
	v_readfirstlane_b32 s14, v4
	s_mul_i32 s15, s42, s44
	s_mul_hi_u32 s46, s42, s14
	s_mul_i32 s45, s43, s14
	s_add_i32 s15, s46, s15
	s_mul_i32 s47, s42, s14
	s_add_i32 s15, s15, s45
	s_mul_hi_u32 s46, s14, s47
	s_mul_i32 s48, s14, s15
	s_mul_hi_u32 s45, s14, s15
	s_add_u32 s46, s46, s48
	s_addc_u32 s45, 0, s45
	s_mul_hi_u32 s49, s44, s47
	s_mul_i32 s47, s44, s47
	s_add_u32 s46, s46, s47
	s_mul_hi_u32 s48, s44, s15
	s_addc_u32 s45, s45, s49
	s_addc_u32 s46, s48, 0
	s_mul_i32 s15, s44, s15
	s_add_u32 s15, s45, s15
	s_addc_u32 s45, 0, s46
	s_add_u32 s46, s14, s15
	s_cselect_b64 s[14:15], -1, 0
	s_cmp_lg_u64 s[14:15], 0
	s_addc_u32 s44, s44, s45
	s_mul_i32 s14, s42, s44
	s_mul_hi_u32 s15, s42, s46
	s_add_i32 s14, s15, s14
	s_mul_i32 s43, s43, s46
	s_add_i32 s14, s14, s43
	s_mul_i32 s42, s42, s46
	s_mul_hi_u32 s43, s44, s42
	s_mul_i32 s45, s44, s42
	s_mul_i32 s48, s46, s14
	s_mul_hi_u32 s42, s46, s42
	s_mul_hi_u32 s47, s46, s14
	s_add_u32 s42, s42, s48
	s_addc_u32 s47, 0, s47
	s_add_u32 s42, s42, s45
	s_mul_hi_u32 s15, s44, s14
	s_addc_u32 s42, s47, s43
	s_addc_u32 s15, s15, 0
	s_mul_i32 s14, s44, s14
	s_add_u32 s14, s42, s14
	s_addc_u32 s42, 0, s15
	s_add_u32 s43, s46, s14
	s_cselect_b64 s[14:15], -1, 0
	s_cmp_lg_u64 s[14:15], 0
	s_addc_u32 s14, s44, s42
	s_mul_i32 s42, s93, s14
	s_mul_hi_u32 s44, s93, s43
	s_mul_hi_u32 s15, s93, s14
	s_add_u32 s42, s44, s42
	s_addc_u32 s15, 0, s15
	s_mul_hi_u32 s45, s55, s43
	s_mul_i32 s43, s55, s43
	s_add_u32 s42, s42, s43
	s_mul_hi_u32 s44, s55, s14
	s_addc_u32 s15, s15, s45
	s_addc_u32 s42, s44, 0
	s_mul_i32 s14, s55, s14
	s_add_u32 s14, s15, s14
	s_addc_u32 s15, 0, s42
	s_mul_i32 s15, s76, s15
	s_mul_hi_u32 s42, s76, s14
	s_add_i32 s42, s42, s15
	s_mul_i32 s14, s76, s14
	s_sub_u32 s43, s93, s14
	s_cselect_b64 s[14:15], -1, 0
	s_cmp_lg_u64 s[14:15], 0
	s_subb_u32 s42, s55, s42
	s_sub_u32 s44, s43, s76
	s_cselect_b64 s[14:15], -1, 0
	s_cmp_lg_u64 s[14:15], 0
	s_subb_u32 s45, s42, 0
	;; [unrolled: 4-line block ×3, first 2 shown]
	s_cmp_ge_u32 s44, s76
	s_cselect_b32 s15, -1, 0
	s_cmp_eq_u32 s45, 0
	s_cselect_b32 s15, s15, -1
	s_cmp_lg_u32 s15, 0
	s_cselect_b32 s14, s14, s45
	s_cselect_b32 s44, s46, s44
	s_cmp_ge_u32 s43, s76
	s_cselect_b32 s15, -1, 0
	s_cmp_eq_u32 s42, 0
	s_cselect_b32 s15, s15, -1
	s_cmp_lg_u32 s15, 0
	s_cselect_b32 s15, s14, s42
	s_cselect_b32 s14, s44, s43
	s_mov_b64 s[42:43], 0
	s_branch .LBB111_269
.LBB111_267:                            ;   in Loop: Header=BB111_34 Depth=1
                                        ; implicit-def: $sgpr46_sgpr47
	s_branch .LBB111_253
.LBB111_268:                            ;   in Loop: Header=BB111_34 Depth=1
	s_mov_b64 s[42:43], -1
                                        ; implicit-def: $sgpr14_sgpr15
.LBB111_269:                            ;   in Loop: Header=BB111_34 Depth=1
	s_andn2_b64 vcc, exec, s[42:43]
	v_readlane_b32 s53, v68, 46
	v_readlane_b32 s54, v68, 47
	s_cbranch_vccnz .LBB111_271
; %bb.270:                              ;   in Loop: Header=BB111_34 Depth=1
	v_cvt_f32_u32_e32 v4, s76
	s_sub_i32 s14, 0, s76
	v_rcp_iflag_f32_e32 v4, v4
	s_nop 0
	v_mul_f32_e32 v4, 0x4f7ffffe, v4
	v_cvt_u32_f32_e32 v4, v4
	s_nop 0
	v_readfirstlane_b32 s15, v4
	s_mul_i32 s14, s14, s15
	s_mul_hi_u32 s14, s15, s14
	s_add_i32 s15, s15, s14
	s_mul_hi_u32 s14, s93, s15
	s_mul_i32 s14, s14, s76
	s_sub_i32 s14, s93, s14
	s_sub_i32 s15, s14, s76
	s_cmp_ge_u32 s14, s76
	s_cselect_b32 s14, s15, s14
	s_sub_i32 s15, s14, s76
	s_cmp_ge_u32 s14, s76
	s_cselect_b32 s82, s15, s14
	s_mov_b64 s[14:15], s[82:83]
.LBB111_271:                            ;   in Loop: Header=BB111_34 Depth=1
	s_sub_u32 s42, s93, s14
	s_subb_u32 s43, s55, s15
	v_cmp_gt_u64_e32 vcc, s[42:43], v[0:1]
                                        ; implicit-def: $vgpr55
	s_and_saveexec_b64 s[14:15], vcc
	s_cbranch_execz .LBB111_280
; %bb.272:                              ;   in Loop: Header=BB111_34 Depth=1
	s_mov_b64 s[44:45], 0
	v_mov_b64_e32 v[4:5], v[16:17]
	v_mov_b64_e32 v[8:9], v[0:1]
                                        ; implicit-def: $sgpr46_sgpr47
	s_branch .LBB111_275
.LBB111_273:                            ;   in Loop: Header=BB111_275 Depth=2
	s_or_b64 exec, exec, s[48:49]
	s_waitcnt lgkmcnt(0)
	s_barrier
	ds_read_b32 v10, v3 offset:3072
	s_mov_b64 s[48:49], -1
	s_waitcnt lgkmcnt(0)
	s_barrier
	v_cmp_eq_u32_sdwa s[50:51], v10, v3 src0_sel:WORD_0 src1_sel:DWORD
	s_and_b64 vcc, exec, s[50:51]
	s_mov_b64 s[50:51], -1
	s_cbranch_vccnz .LBB111_278
.LBB111_274:                            ;   in Loop: Header=BB111_275 Depth=2
	s_and_b64 s[48:49], exec, s[48:49]
	s_or_b64 s[44:45], s[48:49], s[44:45]
	s_andn2_b64 s[46:47], s[46:47], exec
	s_and_b64 s[48:49], s[50:51], exec
	s_or_b64 s[46:47], s[46:47], s[48:49]
	s_andn2_b64 exec, exec, s[44:45]
	s_cbranch_execz .LBB111_279
.LBB111_275:                            ;   Parent Loop BB111_34 Depth=1
                                        ; =>  This Inner Loop Header: Depth=2
	v_cmp_gt_u64_e32 vcc, s[56:57], v[8:9]
	s_and_saveexec_b64 s[48:49], vcc
	s_cbranch_execz .LBB111_273
; %bb.276:                              ;   in Loop: Header=BB111_275 Depth=2
	global_load_ushort v10, v[4:5], off
	s_waitcnt vmcnt(0)
	v_add_u32_sdwa v11, sext(v10), s91 dst_sel:DWORD dst_unused:UNUSED_PAD src0_sel:WORD_0 src1_sel:DWORD
	v_and_b32_e32 v11, v11, v54
	v_cmp_eq_u32_e32 vcc, v11, v51
	s_and_b64 exec, exec, vcc
	s_cbranch_execz .LBB111_273
; %bb.277:                              ;   in Loop: Header=BB111_275 Depth=2
	v_perm_b32 v10, v10, 1, v53
	ds_write_b32 v3, v10 offset:3072
	s_branch .LBB111_273
.LBB111_278:                            ;   in Loop: Header=BB111_275 Depth=2
	v_lshl_add_u64 v[8:9], v[8:9], 0, s[76:77]
	v_cmp_le_u64_e32 vcc, s[42:43], v[8:9]
	v_lshl_add_u64 v[4:5], v[4:5], 0, s[86:87]
	s_mov_b64 s[50:51], 0
	s_orn2_b64 s[48:49], vcc, exec
	s_branch .LBB111_274
.LBB111_279:                            ;   in Loop: Header=BB111_34 Depth=1
	s_or_b64 exec, exec, s[44:45]
	s_andn2_b64 s[6:7], s[6:7], exec
	s_and_b64 s[42:43], s[46:47], exec
	v_readlane_b32 s50, v68, 42
	v_lshrrev_b32_e32 v55, 16, v10
	s_or_b64 s[6:7], s[6:7], s[42:43]
	v_readlane_b32 s51, v68, 43
.LBB111_280:                            ;   in Loop: Header=BB111_34 Depth=1
	s_or_b64 exec, exec, s[14:15]
	s_mov_b64 s[42:43], 0
	s_mov_b64 s[44:45], -1
.LBB111_281:                            ;   in Loop: Header=BB111_34 Depth=1
	s_orn2_b64 s[14:15], s[6:7], exec
.LBB111_282:                            ;   in Loop: Header=BB111_34 Depth=1
	s_or_b64 exec, exec, s[40:41]
	s_mov_b64 s[40:41], 0
	s_and_saveexec_b64 s[6:7], s[14:15]
	s_cbranch_execz .LBB111_293
; %bb.283:                              ;   in Loop: Header=BB111_34 Depth=1
	s_xor_b64 s[14:15], s[8:9], -1
	v_mov_b64_e32 v[4:5], 1
	v_mov_b32_e32 v2, 1
	s_and_saveexec_b64 s[8:9], s[14:15]
	s_cbranch_execz .LBB111_292
; %bb.284:                              ;   in Loop: Header=BB111_34 Depth=1
	v_cmp_ge_u64_e32 vcc, s[2:3], v[6:7]
	s_and_saveexec_b64 s[14:15], vcc
	s_xor_b64 s[14:15], exec, s[14:15]
	s_cbranch_execz .LBB111_289
; %bb.285:                              ;   in Loop: Header=BB111_34 Depth=1
	ds_read_b64 v[4:5], v3 offset:5120
	v_or_b32_e32 v51, s72, v51
	v_or_b32_e32 v54, s72, v54
	s_waitcnt lgkmcnt(0)
	v_cmp_ne_u64_e32 vcc, 0, v[4:5]
	s_cbranch_vccnz .LBB111_289
; %bb.286:                              ;   in Loop: Header=BB111_34 Depth=1
	s_mov_b64 s[40:41], exec
	v_readlane_b32 s46, v68, 6
	v_readlane_b32 s47, v68, 7
	s_and_b64 s[46:47], s[40:41], s[46:47]
	s_mov_b64 exec, s[46:47]
; %bb.287:                              ;   in Loop: Header=BB111_34 Depth=1
	v_mov_b64_e32 v[4:5], s[2:3]
	ds_write_b64 v3, v[4:5] offset:5128
; %bb.288:                              ;   in Loop: Header=BB111_34 Depth=1
	s_or_b64 exec, exec, s[40:41]
	s_waitcnt lgkmcnt(0)
	s_barrier
.LBB111_289:                            ;   in Loop: Header=BB111_34 Depth=1
	s_andn2_saveexec_b64 s[14:15], s[14:15]
; %bb.290:                              ;   in Loop: Header=BB111_34 Depth=1
	v_mov_b32_e32 v2, s3
	v_subrev_co_u32_e32 v6, vcc, s2, v6
	s_nop 1
	v_subb_co_u32_e32 v7, vcc, v7, v2, vcc
; %bb.291:                              ;   in Loop: Header=BB111_34 Depth=1
	s_or_b64 exec, exec, s[14:15]
	v_mov_b32_e32 v2, 8
	v_mov_b64_e32 v[4:5], v[6:7]
.LBB111_292:                            ;   in Loop: Header=BB111_34 Depth=1
	s_or_b64 exec, exec, s[8:9]
	s_mov_b64 s[40:41], exec
	v_mov_b64_e32 v[6:7], v[4:5]
.LBB111_293:                            ;   in Loop: Header=BB111_34 Depth=1
	s_or_b64 exec, exec, s[6:7]
	s_orn2_b64 s[6:7], s[40:41], exec
.LBB111_294:                            ;   in Loop: Header=BB111_34 Depth=1
	s_or_b64 exec, exec, s[22:23]
	s_andn2_b64 s[2:3], s[36:37], exec
	s_and_b64 s[8:9], s[44:45], exec
	s_or_b64 s[36:37], s[2:3], s[8:9]
	s_andn2_b64 s[2:3], s[34:35], exec
	s_and_b64 s[8:9], s[42:43], exec
	s_or_b64 s[34:35], s[2:3], s[8:9]
	s_and_b64 s[14:15], s[6:7], exec
	v_mov_b64_e32 v[4:5], v[6:7]
.LBB111_295:                            ;   in Loop: Header=BB111_34 Depth=1
	s_or_b64 exec, exec, s[38:39]
	s_orn2_b64 s[6:7], s[14:15], exec
.LBB111_296:                            ;   in Loop: Header=BB111_34 Depth=1
	s_or_b64 exec, exec, s[28:29]
	s_andn2_b64 s[2:3], s[24:25], exec
	s_and_b64 s[8:9], s[36:37], exec
	s_or_b64 s[24:25], s[2:3], s[8:9]
	s_andn2_b64 s[0:1], s[0:1], exec
	s_and_b64 s[2:3], s[34:35], exec
	s_or_b64 s[0:1], s[0:1], s[2:3]
	s_and_b64 s[14:15], s[6:7], exec
	v_mov_b64_e32 v[8:9], v[4:5]
.LBB111_297:                            ;   in Loop: Header=BB111_34 Depth=1
	s_or_b64 exec, exec, s[26:27]
	s_orn2_b64 s[6:7], s[14:15], exec
.LBB111_298:                            ;   in Loop: Header=BB111_34 Depth=1
	s_or_b64 exec, exec, s[20:21]
	s_mov_b64 s[8:9], 0
	s_and_saveexec_b64 s[2:3], s[6:7]
	s_xor_b64 s[2:3], exec, s[2:3]
	s_cbranch_execz .LBB111_32
; %bb.299:                              ;   in Loop: Header=BB111_34 Depth=1
	v_and_b32_e32 v2, 7, v2
	v_cmp_eq_u32_e32 vcc, 0, v2
	s_mov_b64 s[6:7], -1
	s_mov_b64 s[8:9], -1
	s_and_saveexec_b64 s[14:15], vcc
	s_cbranch_execz .LBB111_31
; %bb.300:                              ;   in Loop: Header=BB111_34 Depth=1
	v_readlane_b32 s4, v68, 37
	s_xor_b32 s4, s4, 1
	s_add_i32 s18, s90, -2
	s_cmp_eq_u32 s90, 0
	s_cselect_b64 s[6:7], -1, 0
	s_xor_b64 s[8:9], exec, -1
	s_orn2_b64 s[6:7], s[6:7], exec
	s_mov_b32 s90, s18
	v_writelane_b32 v68, s4, 37
	s_branch .LBB111_31
.LBB111_301:
	s_or_b64 exec, exec, s[74:75]
	s_xor_b64 s[0:1], s[2:3], -1
	v_readlane_b32 s2, v68, 50
	v_readlane_b32 s3, v68, 51
	s_xor_b64 s[6:7], s[10:11], -1
	s_xor_b64 s[4:5], s[2:3], -1
	s_mov_b64 s[2:3], 0
	s_and_saveexec_b64 s[8:9], s[0:1]
	s_xor_b64 s[0:1], exec, s[8:9]
	s_cbranch_execnz .LBB111_306
; %bb.302:
	s_andn2_saveexec_b64 s[0:1], s[0:1]
	s_cbranch_execnz .LBB111_319
.LBB111_303:
	s_or_b64 exec, exec, s[0:1]
	s_and_saveexec_b64 s[0:1], s[2:3]
.LBB111_304:
	; divergent unreachable
.LBB111_305:
	s_endpgm
.LBB111_306:
	s_and_saveexec_b64 s[2:3], s[6:7]
	s_xor_b64 s[2:3], exec, s[2:3]
	s_cbranch_execz .LBB111_317
; %bb.307:
	s_and_saveexec_b64 s[6:7], s[4:5]
	s_xor_b64 s[4:5], exec, s[6:7]
; %bb.308:
	v_xor_b32_e32 v55, 0xffff8000, v51
; %bb.309:
	s_or_b64 exec, exec, s[4:5]
	v_readlane_b32 s8, v68, 0
	v_readlane_b32 s6, v68, 2
	;; [unrolled: 1-line block ×4, first 2 shown]
	s_mul_i32 s4, s6, s9
	s_mul_hi_u32 s5, s6, s8
	s_add_i32 s4, s5, s4
	s_mul_i32 s5, s7, s8
	s_add_i32 s5, s4, s5
	s_mul_i32 s4, s6, s8
	s_lshl_b64 s[4:5], s[4:5], 1
	v_readlane_b32 s6, v68, 8
	v_readlane_b32 s7, v68, 9
	s_add_u32 s6, s6, s4
	s_addc_u32 s7, s7, s5
	s_lshl_b64 s[4:5], s[58:59], 1
	s_add_u32 s4, s6, s4
	s_addc_u32 s5, s7, s5
	v_mov_b32_e32 v2, 0
	global_store_short v2, v55, s[4:5]
	s_mov_b64 s[4:5], exec
	v_readlane_b32 s6, v68, 12
	v_readlane_b32 s7, v68, 13
	s_and_b64 s[6:7], s[4:5], s[6:7]
	s_mov_b64 exec, s[6:7]
	s_cbranch_execz .LBB111_316
; %bb.310:
	s_mov_b64 s[6:7], 0
                                        ; implicit-def: $sgpr8_sgpr9
                                        ; implicit-def: $sgpr12_sgpr13
                                        ; implicit-def: $sgpr10_sgpr11
	s_branch .LBB111_312
.LBB111_311:                            ;   in Loop: Header=BB111_312 Depth=1
	s_or_b64 exec, exec, s[14:15]
	s_and_b64 s[14:15], exec, s[12:13]
	s_or_b64 s[6:7], s[14:15], s[6:7]
	s_andn2_b64 s[8:9], s[8:9], exec
	s_and_b64 s[14:15], s[10:11], exec
	s_or_b64 s[8:9], s[8:9], s[14:15]
	s_andn2_b64 exec, exec, s[6:7]
	s_cbranch_execz .LBB111_314
.LBB111_312:                            ; =>This Inner Loop Header: Depth=1
	global_load_ushort v4, v[16:17], off
	v_mov_b64_e32 v[2:3], v[0:1]
	s_or_b64 s[10:11], s[10:11], exec
	s_or_b64 s[12:13], s[12:13], exec
                                        ; implicit-def: $vgpr0_vgpr1
	s_waitcnt vmcnt(0)
	v_cmp_ne_u16_e32 vcc, v4, v55
	s_and_saveexec_b64 s[14:15], vcc
	s_cbranch_execz .LBB111_311
; %bb.313:                              ;   in Loop: Header=BB111_312 Depth=1
	v_lshl_add_u64 v[0:1], v[2:3], 0, s[76:77]
	v_cmp_le_u64_e32 vcc, s[56:57], v[0:1]
	s_andn2_b64 s[12:13], s[12:13], exec
	s_and_b64 s[16:17], vcc, exec
	v_lshl_add_u64 v[16:17], v[16:17], 0, s[86:87]
	s_andn2_b64 s[10:11], s[10:11], exec
	s_or_b64 s[12:13], s[12:13], s[16:17]
	s_branch .LBB111_311
.LBB111_314:
	s_or_b64 exec, exec, s[6:7]
	s_and_saveexec_b64 s[6:7], s[8:9]
	s_xor_b64 s[6:7], exec, s[6:7]
	s_cbranch_execz .LBB111_316
; %bb.315:
	v_readlane_b32 s8, v68, 4
	v_readlane_b32 s9, v68, 5
	s_mul_i32 s6, s8, s69
	s_mul_hi_u32 s7, s8, s68
	s_add_i32 s6, s7, s6
	s_mul_i32 s7, s9, s68
	s_add_i32 s7, s6, s7
	s_mul_i32 s6, s8, s68
	s_lshl_b64 s[6:7], s[6:7], 3
	v_readlane_b32 s8, v68, 10
	v_readlane_b32 s9, v68, 11
	s_add_u32 s8, s8, s6
	s_addc_u32 s9, s9, s7
	s_lshl_b64 s[6:7], s[62:63], 3
	s_add_u32 s6, s8, s6
	s_addc_u32 s7, s9, s7
	v_mov_b32_e32 v0, 0
	global_store_dwordx2 v0, v[2:3], s[6:7]
.LBB111_316:
	s_or_b64 exec, exec, s[4:5]
.LBB111_317:
	s_or_saveexec_b64 s[2:3], s[2:3]
	s_mov_b64 s[4:5], 0
	s_xor_b64 exec, exec, s[2:3]
	s_cbranch_execnz .LBB111_320
.LBB111_318:
	s_or_b64 exec, exec, s[2:3]
	s_and_b64 s[2:3], s[4:5], exec
	s_andn2_saveexec_b64 s[0:1], s[0:1]
	s_cbranch_execz .LBB111_303
.LBB111_319:
	s_or_b64 s[2:3], s[2:3], exec
	s_trap 2
	s_or_b64 exec, exec, s[0:1]
	s_and_saveexec_b64 s[0:1], s[2:3]
	s_cbranch_execnz .LBB111_304
	s_branch .LBB111_305
.LBB111_320:
	s_mov_b64 s[4:5], exec
	s_trap 2
	s_branch .LBB111_318
	.section	.rodata,"a",@progbits
	.p2align	6, 0x0
	.amdhsa_kernel _ZN2at6native12_GLOBAL__N_112gatherMedianIsmLin1EEEvNS_4cuda6detail10TensorInfoIT_T0_EENS5_IlS7_EENS5_IKS6_S7_EES7_S7_S7_b
		.amdhsa_group_segment_fixed_size 5152
		.amdhsa_private_segment_fixed_size 0
		.amdhsa_kernarg_size 1536
		.amdhsa_user_sgpr_count 2
		.amdhsa_user_sgpr_dispatch_ptr 0
		.amdhsa_user_sgpr_queue_ptr 0
		.amdhsa_user_sgpr_kernarg_segment_ptr 1
		.amdhsa_user_sgpr_dispatch_id 0
		.amdhsa_user_sgpr_kernarg_preload_length 0
		.amdhsa_user_sgpr_kernarg_preload_offset 0
		.amdhsa_user_sgpr_private_segment_size 0
		.amdhsa_uses_dynamic_stack 0
		.amdhsa_enable_private_segment 0
		.amdhsa_system_sgpr_workgroup_id_x 1
		.amdhsa_system_sgpr_workgroup_id_y 1
		.amdhsa_system_sgpr_workgroup_id_z 1
		.amdhsa_system_sgpr_workgroup_info 0
		.amdhsa_system_vgpr_workitem_id 0
		.amdhsa_next_free_vgpr 69
		.amdhsa_next_free_sgpr 100
		.amdhsa_accum_offset 72
		.amdhsa_reserve_vcc 1
		.amdhsa_float_round_mode_32 0
		.amdhsa_float_round_mode_16_64 0
		.amdhsa_float_denorm_mode_32 3
		.amdhsa_float_denorm_mode_16_64 3
		.amdhsa_dx10_clamp 1
		.amdhsa_ieee_mode 1
		.amdhsa_fp16_overflow 0
		.amdhsa_tg_split 0
		.amdhsa_exception_fp_ieee_invalid_op 0
		.amdhsa_exception_fp_denorm_src 0
		.amdhsa_exception_fp_ieee_div_zero 0
		.amdhsa_exception_fp_ieee_overflow 0
		.amdhsa_exception_fp_ieee_underflow 0
		.amdhsa_exception_fp_ieee_inexact 0
		.amdhsa_exception_int_div_zero 0
	.end_amdhsa_kernel
	.section	.text._ZN2at6native12_GLOBAL__N_112gatherMedianIsmLin1EEEvNS_4cuda6detail10TensorInfoIT_T0_EENS5_IlS7_EENS5_IKS6_S7_EES7_S7_S7_b,"axG",@progbits,_ZN2at6native12_GLOBAL__N_112gatherMedianIsmLin1EEEvNS_4cuda6detail10TensorInfoIT_T0_EENS5_IlS7_EENS5_IKS6_S7_EES7_S7_S7_b,comdat
.Lfunc_end111:
	.size	_ZN2at6native12_GLOBAL__N_112gatherMedianIsmLin1EEEvNS_4cuda6detail10TensorInfoIT_T0_EENS5_IlS7_EENS5_IKS6_S7_EES7_S7_S7_b, .Lfunc_end111-_ZN2at6native12_GLOBAL__N_112gatherMedianIsmLin1EEEvNS_4cuda6detail10TensorInfoIT_T0_EENS5_IlS7_EENS5_IKS6_S7_EES7_S7_S7_b
                                        ; -- End function
	.set _ZN2at6native12_GLOBAL__N_112gatherMedianIsmLin1EEEvNS_4cuda6detail10TensorInfoIT_T0_EENS5_IlS7_EENS5_IKS6_S7_EES7_S7_S7_b.num_vgpr, 69
	.set _ZN2at6native12_GLOBAL__N_112gatherMedianIsmLin1EEEvNS_4cuda6detail10TensorInfoIT_T0_EENS5_IlS7_EENS5_IKS6_S7_EES7_S7_S7_b.num_agpr, 0
	.set _ZN2at6native12_GLOBAL__N_112gatherMedianIsmLin1EEEvNS_4cuda6detail10TensorInfoIT_T0_EENS5_IlS7_EENS5_IKS6_S7_EES7_S7_S7_b.numbered_sgpr, 100
	.set _ZN2at6native12_GLOBAL__N_112gatherMedianIsmLin1EEEvNS_4cuda6detail10TensorInfoIT_T0_EENS5_IlS7_EENS5_IKS6_S7_EES7_S7_S7_b.num_named_barrier, 0
	.set _ZN2at6native12_GLOBAL__N_112gatherMedianIsmLin1EEEvNS_4cuda6detail10TensorInfoIT_T0_EENS5_IlS7_EENS5_IKS6_S7_EES7_S7_S7_b.private_seg_size, 0
	.set _ZN2at6native12_GLOBAL__N_112gatherMedianIsmLin1EEEvNS_4cuda6detail10TensorInfoIT_T0_EENS5_IlS7_EENS5_IKS6_S7_EES7_S7_S7_b.uses_vcc, 1
	.set _ZN2at6native12_GLOBAL__N_112gatherMedianIsmLin1EEEvNS_4cuda6detail10TensorInfoIT_T0_EENS5_IlS7_EENS5_IKS6_S7_EES7_S7_S7_b.uses_flat_scratch, 0
	.set _ZN2at6native12_GLOBAL__N_112gatherMedianIsmLin1EEEvNS_4cuda6detail10TensorInfoIT_T0_EENS5_IlS7_EENS5_IKS6_S7_EES7_S7_S7_b.has_dyn_sized_stack, 0
	.set _ZN2at6native12_GLOBAL__N_112gatherMedianIsmLin1EEEvNS_4cuda6detail10TensorInfoIT_T0_EENS5_IlS7_EENS5_IKS6_S7_EES7_S7_S7_b.has_recursion, 0
	.set _ZN2at6native12_GLOBAL__N_112gatherMedianIsmLin1EEEvNS_4cuda6detail10TensorInfoIT_T0_EENS5_IlS7_EENS5_IKS6_S7_EES7_S7_S7_b.has_indirect_call, 0
	.section	.AMDGPU.csdata,"",@progbits
; Kernel info:
; codeLenInByte = 18220
; TotalNumSgprs: 106
; NumVgprs: 69
; NumAgprs: 0
; TotalNumVgprs: 69
; ScratchSize: 0
; MemoryBound: 0
; FloatMode: 240
; IeeeMode: 1
; LDSByteSize: 5152 bytes/workgroup (compile time only)
; SGPRBlocks: 13
; VGPRBlocks: 8
; NumSGPRsForWavesPerEU: 106
; NumVGPRsForWavesPerEU: 69
; AccumOffset: 72
; Occupancy: 7
; WaveLimiterHint : 1
; COMPUTE_PGM_RSRC2:SCRATCH_EN: 0
; COMPUTE_PGM_RSRC2:USER_SGPR: 2
; COMPUTE_PGM_RSRC2:TRAP_HANDLER: 0
; COMPUTE_PGM_RSRC2:TGID_X_EN: 1
; COMPUTE_PGM_RSRC2:TGID_Y_EN: 1
; COMPUTE_PGM_RSRC2:TGID_Z_EN: 1
; COMPUTE_PGM_RSRC2:TIDIG_COMP_CNT: 0
; COMPUTE_PGM_RSRC3_GFX90A:ACCUM_OFFSET: 17
; COMPUTE_PGM_RSRC3_GFX90A:TG_SPLIT: 0
	.section	.text._ZN2at6native12_GLOBAL__N_112gatherMedianIdjLi1EEEvNS_4cuda6detail10TensorInfoIT_T0_EENS5_IlS7_EENS5_IKS6_S7_EES7_S7_S7_b,"axG",@progbits,_ZN2at6native12_GLOBAL__N_112gatherMedianIdjLi1EEEvNS_4cuda6detail10TensorInfoIT_T0_EENS5_IlS7_EENS5_IKS6_S7_EES7_S7_S7_b,comdat
	.globl	_ZN2at6native12_GLOBAL__N_112gatherMedianIdjLi1EEEvNS_4cuda6detail10TensorInfoIT_T0_EENS5_IlS7_EENS5_IKS6_S7_EES7_S7_S7_b ; -- Begin function _ZN2at6native12_GLOBAL__N_112gatherMedianIdjLi1EEEvNS_4cuda6detail10TensorInfoIT_T0_EENS5_IlS7_EENS5_IKS6_S7_EES7_S7_S7_b
	.p2align	8
	.type	_ZN2at6native12_GLOBAL__N_112gatherMedianIdjLi1EEEvNS_4cuda6detail10TensorInfoIT_T0_EENS5_IlS7_EENS5_IKS6_S7_EES7_S7_S7_b,@function
_ZN2at6native12_GLOBAL__N_112gatherMedianIdjLi1EEEvNS_4cuda6detail10TensorInfoIT_T0_EENS5_IlS7_EENS5_IKS6_S7_EES7_S7_S7_b: ; @_ZN2at6native12_GLOBAL__N_112gatherMedianIdjLi1EEEvNS_4cuda6detail10TensorInfoIT_T0_EENS5_IlS7_EENS5_IKS6_S7_EES7_S7_S7_b
; %bb.0:
	s_load_dwordx2 s[10:11], s[0:1], 0x298
	s_load_dwordx4 s[56:59], s[0:1], 0x288
	s_add_u32 s8, s0, 0x298
	s_addc_u32 s9, s1, 0
	s_waitcnt lgkmcnt(0)
	s_mul_i32 s4, s11, s4
	s_add_i32 s3, s4, s3
	s_mul_i32 s3, s3, s10
	s_add_i32 s6, s3, s2
	s_cmp_ge_u32 s6, s57
	s_cbranch_scc1 .LBB112_256
; %bb.1:
	s_load_dword s3, s[0:1], 0x21c
	s_load_dwordx2 s[4:5], s[0:1], 0x1b0
	s_load_dwordx2 s[12:13], s[0:1], 0xd8
                                        ; implicit-def: $vgpr60 : SGPR spill to VGPR lane
	s_mov_b32 s7, 0
	v_mov_b32_e32 v2, 0
	s_waitcnt lgkmcnt(0)
	v_writelane_b32 v60, s12, 0
	s_nop 1
	v_writelane_b32 v60, s13, 1
	s_load_dwordx2 s[12:13], s[0:1], 0x0
	s_waitcnt lgkmcnt(0)
	v_writelane_b32 v60, s12, 2
	s_nop 1
	v_writelane_b32 v60, s13, 3
	v_writelane_b32 v60, s6, 4
	s_mul_i32 s6, s3, s6
	s_lshl_b64 s[6:7], s[6:7], 3
	s_add_u32 s62, s4, s6
	s_addc_u32 s63, s5, s7
	v_cmp_gt_u32_e64 s[6:7], s56, v0
	s_mov_b64 s[4:5], exec
	s_nop 0
	v_writelane_b32 v60, s6, 5
	s_nop 1
	v_writelane_b32 v60, s7, 6
	s_and_b64 s[6:7], s[4:5], s[6:7]
	s_mov_b64 exec, s[6:7]
	s_cbranch_execz .LBB112_5
; %bb.2:
	s_load_dword s3, s[8:9], 0xc
	v_mov_b32_e32 v5, 0
	v_mul_lo_u32 v4, v0, s58
	s_mov_b64 s[6:7], 0
	v_mov_b32_e32 v2, v5
	s_waitcnt lgkmcnt(0)
	s_and_b32 s3, s3, 0xffff
	s_mul_i32 s11, s58, s3
	v_mov_b32_e32 v1, v0
.LBB112_3:                              ; =>This Inner Loop Header: Depth=1
	v_lshl_add_u64 v[6:7], v[4:5], 3, s[62:63]
	global_load_dwordx2 v[6:7], v[6:7], off
	v_add_u32_e32 v1, s3, v1
	v_cmp_le_u32_e32 vcc, s56, v1
	s_or_b64 s[6:7], vcc, s[6:7]
	v_add_u32_e32 v4, s11, v4
	s_waitcnt vmcnt(0)
	v_cmp_u_f64_e32 vcc, v[6:7], v[6:7]
	s_nop 1
	v_addc_co_u32_e32 v2, vcc, 0, v2, vcc
	s_andn2_b64 exec, exec, s[6:7]
	s_cbranch_execnz .LBB112_3
; %bb.4:
	s_or_b64 exec, exec, s[6:7]
.LBB112_5:
	s_or_b64 exec, exec, s[4:5]
	s_load_dword s3, s[0:1], 0x144
	v_cmp_eq_u32_e64 s[16:17], 0, v0
                                        ; kill: killed $sgpr0 killed $sgpr1
	s_waitcnt lgkmcnt(0)
	v_writelane_b32 v60, s3, 7
	s_load_dword s3, s[0:1], 0x6c
	s_waitcnt lgkmcnt(0)
	v_writelane_b32 v60, s3, 8
	s_and_saveexec_b64 s[0:1], s[16:17]
; %bb.6:
	v_mov_b32_e32 v4, 0
	v_mov_b32_e32 v5, v4
	ds_write_b64 v4, v[4:5] offset:4096
; %bb.7:
	s_or_b64 exec, exec, s[0:1]
	v_cmp_ne_u32_e32 vcc, 0, v2
	s_waitcnt lgkmcnt(0)
	s_barrier
	s_and_saveexec_b64 s[0:1], vcc
	s_cbranch_execz .LBB112_12
; %bb.8:
	s_mov_b64 s[6:7], exec
	v_mov_b32_e32 v1, 0
	s_mov_b64 s[4:5], 0
.LBB112_9:                              ; =>This Inner Loop Header: Depth=1
	s_ff1_i32_b64 s3, s[6:7]
	v_readlane_b32 s12, v2, s3
	v_readlane_b32 s11, v1, s3
	s_add_u32 s4, s4, s12
	s_addc_u32 s5, s5, s11
	s_lshl_b64 s[12:13], 1, s3
	s_andn2_b64 s[6:7], s[6:7], s[12:13]
	s_cmp_lg_u64 s[6:7], 0
	s_cbranch_scc1 .LBB112_9
; %bb.10:
	v_mbcnt_lo_u32_b32 v1, exec_lo, 0
	v_mbcnt_hi_u32_b32 v1, exec_hi, v1
	v_cmp_eq_u32_e32 vcc, 0, v1
	s_and_saveexec_b64 s[6:7], vcc
	s_xor_b64 s[6:7], exec, s[6:7]
; %bb.11:
	v_mov_b32_e32 v1, 0
	v_mov_b64_e32 v[2:3], s[4:5]
	ds_add_u64 v1, v[2:3] offset:4096
.LBB112_12:
	s_or_b64 exec, exec, s[0:1]
	v_mov_b32_e32 v1, 0
	s_waitcnt lgkmcnt(0)
	s_barrier
	ds_read_b64 v[2:3], v1 offset:4096
	s_bitcmp1_b32 s59, 0
	s_cselect_b64 s[4:5], -1, 0
	s_mov_b32 s3, s56
	s_waitcnt lgkmcnt(0)
	v_readfirstlane_b32 s0, v2
	v_readfirstlane_b32 s1, v3
	s_nop 1
	v_cmp_lt_i64_e64 s[6:7], s[0:1], 1
	s_or_b64 s[4:5], s[4:5], s[6:7]
	s_andn2_b64 vcc, exec, s[4:5]
	s_cbranch_vccnz .LBB112_14
; %bb.13:
	s_not_b64 s[0:1], s[0:1]
	s_add_u32 s0, s0, s56
	s_addc_u32 s1, s1, 0
	s_lshr_b32 s3, s1, 31
	s_add_u32 s0, s0, s3
	s_addc_u32 s1, s1, 0
	s_lshr_b64 s[0:1], s[0:1], 1
	s_add_i32 s3, s0, 1
.LBB112_14:
	s_and_saveexec_b64 s[0:1], s[16:17]
	s_cbranch_execz .LBB112_16
; %bb.15:
	v_mov_b32_e32 v2, 0
	v_mov_b32_e32 v3, s56
	ds_write_b32 v2, v2 offset:4112
	ds_write_b64 v2, v[2:3] offset:4104
.LBB112_16:
	s_or_b64 exec, exec, s[0:1]
	s_waitcnt lgkmcnt(0)
	s_barrier
	s_load_dword s11, s[8:9], 0xc
	v_mbcnt_lo_u32_b32 v1, -1, 0
	v_mbcnt_hi_u32_b32 v34, -1, v1
	v_cmp_gt_u32_e32 vcc, 64, v0
	v_cmp_gt_i32_e64 s[0:1], 4, v34
	s_waitcnt lgkmcnt(0)
	s_and_b32 s59, s11, 0xffff
	s_add_i32 s78, s59, -1
	s_lshl_b32 s33, s59, 2
	s_and_b64 s[68:69], vcc, s[0:1]
	s_add_i32 s0, s78, s56
	s_cmpk_gt_u32 s56, 0x180
	s_cselect_b64 s[70:71], -1, 0
	s_cmp_gt_u32 s59, 63
	s_cselect_b64 s[72:73], -1, 0
	s_cmp_lt_u32 s2, s10
	s_cselect_b32 s1, 12, 18
	s_add_u32 s8, s8, s1
	s_addc_u32 s9, s9, 0
	v_writelane_b32 v60, s8, 9
	v_lshlrev_b64 v[2:3], v34, -1
	v_not_b32_e32 v22, v2
	v_writelane_b32 v60, s9, 10
	s_bfe_u32 s8, s11, 0xa0006
	v_lshrrev_b32_e32 v2, 2, v0
	s_add_i32 s1, s8, -2
	v_and_b32_e32 v2, 0xf0, v2
	s_lshr_b32 s2, s1, 1
	v_or_b32_e32 v37, 0xc00, v2
	s_add_i32 s2, s2, 1
	v_cvt_f32_u32_e32 v2, s33
	s_cmpk_gt_u32 s59, 0x7f
	s_cselect_b64 s[10:11], -1, 0
	v_writelane_b32 v60, s10, 11
	s_and_b32 s9, s8, 0x3fe
	v_rcp_iflag_f32_e32 v2, v2
	v_writelane_b32 v60, s11, 12
	s_and_b32 s10, s2, 7
	s_cmp_gt_u32 s1, 13
	s_cselect_b64 s[12:13], -1, 0
	v_writelane_b32 v60, s12, 13
	s_and_b32 s1, s2, -8
	v_mul_f32_e32 v2, 0x4f7ffffe, v2
	v_writelane_b32 v60, s13, 14
	v_writelane_b32 v60, s1, 15
	s_cmp_lg_u32 s10, 0
	v_cvt_u32_f32_e32 v2, v2
	v_writelane_b32 v60, s10, 16
	s_cselect_b64 s[10:11], -1, 0
	v_writelane_b32 v60, s10, 17
	s_cmp_lg_u32 s9, s8
	v_readfirstlane_b32 s2, v2
	v_writelane_b32 v60, s11, 18
	v_writelane_b32 v60, s8, 19
	v_cvt_f32_u32_e32 v2, s59
	v_writelane_b32 v60, s9, 20
	s_cselect_b64 s[8:9], -1, 0
	s_sub_i32 s1, 0, s33
	s_mul_i32 s1, s1, s2
	s_mul_hi_u32 s1, s2, s1
	s_add_i32 s82, s2, s1
	v_rcp_iflag_f32_e32 v2, v2
	s_mul_hi_u32 s1, s56, s82
	s_mul_i32 s1, s1, s33
	s_sub_i32 s1, s56, s1
	s_sub_i32 s2, s1, s33
	v_mul_f32_e32 v2, 0x4f7ffffe, v2
	s_cmp_ge_u32 s1, s33
	v_cvt_u32_f32_e32 v2, v2
	s_cselect_b32 s1, s2, s1
	s_sub_i32 s2, s1, s33
	s_cmp_ge_u32 s1, s33
	s_cselect_b32 s1, s2, s1
	s_sub_i32 s2, 0, s59
	v_readfirstlane_b32 s12, v2
	s_mul_i32 s2, s2, s12
	s_mul_hi_u32 s2, s12, s2
	s_add_i32 s80, s12, s2
	s_mul_hi_u32 s2, s0, s80
	s_mul_i32 s2, s2, s59
	s_sub_i32 s2, s0, s2
	s_sub_i32 s83, s56, s1
	;; [unrolled: 1-line block ×3, first 2 shown]
	s_cmp_ge_u32 s2, s59
	s_cselect_b32 s2, s12, s2
	v_lshlrev_b32_e32 v23, 2, v0
	s_sub_i32 s12, s2, s59
	s_cmp_ge_u32 s2, s59
	v_mul_lo_u32 v2, s58, v23
	s_cselect_b32 s2, s12, s2
	v_add_u32_e32 v39, s58, v2
	v_or_b32_e32 v2, 2, v23
	s_sub_i32 s81, s0, s2
	v_mul_lo_u32 v40, s58, v2
	v_or_b32_e32 v2, 3, v23
	s_add_i32 s0, s59, s56
	v_mov_b32_e32 v19, 0
	v_add_u32_e32 v38, s83, v0
	v_mul_lo_u32 v41, s58, v2
	v_add_u32_e32 v2, s0, v0
	s_mov_b32 s14, 0
	v_lshlrev_b32_e32 v35, 3, v0
	v_mul_lo_u32 v16, s58, v0
	v_mov_b32_e32 v17, v19
	v_lshlrev_b32_e32 v4, 2, v34
	v_writelane_b32 v60, s8, 21
	v_mul_lo_u32 v18, v38, s58
	s_mul_i32 s57, s58, s59
	v_subrev_u32_e32 v2, s1, v2
	s_mov_b32 s15, 1
	v_cmp_eq_u32_e64 s[4:5], 0, v34
	v_cmp_gt_u32_e64 s[6:7], 2, v0
	v_add_u32_e32 v36, 0xc00, v35
	v_lshl_add_u64 v[20:21], v[16:17], 3, s[62:63]
	v_and_b32_e32 v17, 0x100, v4
	v_not_b32_e32 v1, v3
	v_writelane_b32 v60, s9, 22
	v_cmp_gt_u32_e64 s[8:9], s83, v23
	v_cmp_gt_u32_e64 s[10:11], s56, v38
	v_lshl_add_u64 v[24:25], v[18:19], 3, s[62:63]
	v_cmp_gt_u32_e64 s[12:13], s81, v0
	s_lshl_b32 s74, s57, 2
	v_lshlrev_b32_e32 v42, 2, v16
	v_mul_lo_u32 v43, s58, v2
	v_lshlrev_b32_e32 v44, 5, v0
	s_lshl_b32 s75, s59, 5
	s_lshl_b32 s79, s59, 3
	v_or_b32_e32 v45, 0xc00, v4
	s_mov_b32 s76, 62
	v_mov_b64_e32 v[6:7], 0
	s_mov_b64 s[84:85], 0
	v_mov_b32_e32 v47, s3
	v_mov_b64_e32 v[26:27], 0
	v_mov_b64_e32 v[28:29], 0
	v_mov_b32_e32 v49, s56
	v_mov_b32_e32 v3, 0x3ff00000
	;; [unrolled: 1-line block ×5, first 2 shown]
	s_mov_b32 s77, s14
                                        ; implicit-def: $sgpr86_sgpr87
                                        ; implicit-def: $sgpr90_sgpr91
                                        ; implicit-def: $sgpr88_sgpr89
                                        ; implicit-def: $sgpr94_sgpr95
                                        ; implicit-def: $sgpr96_sgpr97
                                        ; implicit-def: $sgpr92_sgpr93
	s_branch .LBB112_20
.LBB112_17:                             ;   in Loop: Header=BB112_20 Depth=1
	s_or_b64 exec, exec, s[26:27]
	s_and_b64 s[20:21], s[20:21], exec
	s_andn2_b64 s[24:25], s[24:25], exec
	s_andn2_b64 s[22:23], s[22:23], exec
	s_orn2_b64 s[18:19], s[18:19], exec
.LBB112_18:                             ;   in Loop: Header=BB112_20 Depth=1
	s_or_b64 exec, exec, s[0:1]
	s_andn2_b64 s[0:1], s[92:93], exec
	s_and_b64 s[14:15], s[20:21], exec
	s_or_b64 s[92:93], s[0:1], s[14:15]
	s_andn2_b64 s[0:1], s[96:97], exec
	s_and_b64 s[14:15], s[24:25], exec
	s_or_b64 s[96:97], s[0:1], s[14:15]
	;; [unrolled: 3-line block ×3, first 2 shown]
	s_orn2_b64 s[18:19], s[18:19], exec
.LBB112_19:                             ;   in Loop: Header=BB112_20 Depth=1
	s_or_b64 exec, exec, s[2:3]
	s_and_b64 s[0:1], exec, s[18:19]
	s_or_b64 s[84:85], s[0:1], s[84:85]
	s_andn2_b64 s[0:1], s[88:89], exec
	s_and_b64 s[2:3], s[92:93], exec
	s_or_b64 s[88:89], s[0:1], s[2:3]
	s_andn2_b64 s[0:1], s[90:91], exec
	s_and_b64 s[2:3], s[96:97], exec
	s_or_b64 s[90:91], s[0:1], s[2:3]
	s_andn2_b64 s[0:1], s[86:87], exec
	s_and_b64 s[2:3], s[94:95], exec
	s_or_b64 s[86:87], s[0:1], s[2:3]
	s_mov_b32 s77, s31
	s_mov_b32 s76, s30
	v_mov_b32_e32 v47, v9
	s_andn2_b64 exec, exec, s[84:85]
	s_cbranch_execz .LBB112_252
.LBB112_20:                             ; =>This Loop Header: Depth=1
                                        ;     Child Loop BB112_26 Depth 2
                                        ;     Child Loop BB112_39 Depth 2
	;; [unrolled: 1-line block ×17, first 2 shown]
	ds_read_b64 v[4:5], v19 offset:4104
	s_waitcnt lgkmcnt(0)
	v_readfirstlane_b32 s14, v4
	s_cmp_lg_u32 s14, 0
	s_cbranch_scc1 .LBB112_47
; %bb.21:                               ;   in Loop: Header=BB112_20 Depth=1
	s_and_b64 vcc, exec, s[70:71]
	s_cbranch_vccz .LBB112_34
; %bb.22:                               ;   in Loop: Header=BB112_20 Depth=1
	s_movk_i32 s0, 0x181
	v_cmp_gt_u32_e32 vcc, s0, v5
	s_mov_b64 s[18:19], 0
	s_mov_b64 s[0:1], 0
	s_cbranch_vccz .LBB112_35
; %bb.23:                               ;   in Loop: Header=BB112_20 Depth=1
	s_mov_b64 s[20:21], exec
	v_readlane_b32 s0, v60, 5
	v_readlane_b32 s1, v60, 6
	s_and_b64 s[0:1], s[20:21], s[0:1]
	s_mov_b64 exec, s[0:1]
	s_cbranch_execz .LBB112_78
; %bb.24:                               ;   in Loop: Header=BB112_20 Depth=1
	v_readlane_b32 s0, v60, 9
	v_readlane_b32 s1, v60, 10
	s_nop 4
	global_load_ushort v2, v19, s[0:1]
	global_load_dwordx2 v[4:5], v[20:21], off
	s_mov_b64 s[22:23], 0
	v_mov_b32_e32 v11, v0
	s_waitcnt vmcnt(1)
	v_add_u32_e32 v8, v0, v2
	v_mul_lo_u32 v10, s58, v2
	v_mul_lo_u32 v18, s58, v8
	s_branch .LBB112_26
.LBB112_25:                             ;   in Loop: Header=BB112_26 Depth=2
	s_or_b64 exec, exec, s[2:3]
	v_add_u32_e32 v18, v18, v10
	v_mov_b64_e32 v[4:5], v[8:9]
	s_andn2_b64 exec, exec, s[22:23]
	s_cbranch_execz .LBB112_78
.LBB112_26:                             ;   Parent Loop BB112_20 Depth=1
                                        ; =>  This Inner Loop Header: Depth=2
	v_add_u32_e32 v11, v11, v2
	v_cmp_gt_u32_e64 s[0:1], s56, v11
	v_cmp_le_u32_e32 vcc, s56, v11
	v_mov_b64_e32 v[8:9], 0
	s_and_saveexec_b64 s[2:3], s[0:1]
	s_cbranch_execz .LBB112_28
; %bb.27:                               ;   in Loop: Header=BB112_26 Depth=2
	v_lshl_add_u64 v[8:9], v[18:19], 3, s[62:63]
	global_load_dwordx2 v[8:9], v[8:9], off
.LBB112_28:                             ;   in Loop: Header=BB112_26 Depth=2
	s_or_b64 exec, exec, s[2:3]
	s_waitcnt vmcnt(0) lgkmcnt(0)
	v_ashrrev_i32_e32 v12, 31, v5
	v_or_b32_e32 v13, 0x80000000, v12
	v_xor_b32_e32 v13, v13, v5
	v_xor_b32_e32 v12, v12, v4
	v_cmp_o_f64_e64 s[0:1], v[4:5], v[4:5]
	s_nop 1
	v_cndmask_b32_e64 v13, -1, v13, s[0:1]
	v_cndmask_b32_e64 v12, -1, v12, s[0:1]
	v_and_b32_e32 v13, v13, v29
	v_and_b32_e32 v12, v12, v28
	v_cmp_eq_u64_e64 s[0:1], v[12:13], v[26:27]
	s_cmp_lg_u64 s[0:1], 0
	s_cselect_b64 s[2:3], -1, 0
	s_and_b64 s[2:3], s[4:5], s[2:3]
	v_mov_b32_e32 v12, 0
	s_and_saveexec_b64 s[24:25], s[2:3]
	s_cbranch_execz .LBB112_32
; %bb.29:                               ;   in Loop: Header=BB112_26 Depth=2
	s_mov_b64 s[28:29], exec
	v_mbcnt_lo_u32_b32 v12, s28, 0
	v_mbcnt_hi_u32_b32 v12, s29, v12
	s_bcnt1_i32_b64 s14, s[0:1]
	v_cmp_eq_u32_e64 s[2:3], 0, v12
                                        ; implicit-def: $vgpr13
	s_and_saveexec_b64 s[26:27], s[2:3]
; %bb.30:                               ;   in Loop: Header=BB112_26 Depth=2
	s_bcnt1_i32_b64 s2, s[28:29]
	s_mul_i32 s2, s14, s2
	v_mov_b32_e32 v13, s2
	ds_add_rtn_u32 v13, v19, v13 offset:4112
; %bb.31:                               ;   in Loop: Header=BB112_26 Depth=2
	s_or_b64 exec, exec, s[26:27]
	s_waitcnt lgkmcnt(0)
	v_readfirstlane_b32 s2, v13
	s_nop 1
	v_mov_b32_e32 v13, s2
	v_mad_u32_u24 v12, s14, v12, v13
.LBB112_32:                             ;   in Loop: Header=BB112_26 Depth=2
	s_or_b64 exec, exec, s[24:25]
	ds_bpermute_b32 v12, v17, v12
	s_and_b64 s[2:3], exec, vcc
	s_or_b64 s[22:23], s[2:3], s[22:23]
	s_and_saveexec_b64 s[2:3], s[0:1]
	s_cbranch_execz .LBB112_25
; %bb.33:                               ;   in Loop: Header=BB112_26 Depth=2
	v_and_b32_e32 v14, s0, v22
	v_and_b32_e32 v13, s1, v1
	v_bcnt_u32_b32 v14, v14, 0
	v_bcnt_u32_b32 v13, v13, v14
	v_lshlrev_b32_e32 v13, 3, v13
	s_waitcnt lgkmcnt(0)
	v_lshl_add_u32 v12, v12, 3, v13
	ds_write_b64 v12, v[4:5]
	s_branch .LBB112_25
.LBB112_34:                             ;   in Loop: Header=BB112_20 Depth=1
	s_mov_b64 s[18:19], -1
	s_mov_b64 s[0:1], 0
.LBB112_35:                             ;   in Loop: Header=BB112_20 Depth=1
	s_and_b64 vcc, exec, s[18:19]
	s_cbranch_vccz .LBB112_45
.LBB112_36:                             ;   in Loop: Header=BB112_20 Depth=1
	s_mov_b64 s[0:1], exec
	v_readlane_b32 s2, v60, 5
	v_readlane_b32 s3, v60, 6
	s_and_b64 s[2:3], s[0:1], s[2:3]
	s_mov_b64 exec, s[2:3]
	s_cbranch_execz .LBB112_42
; %bb.37:                               ;   in Loop: Header=BB112_20 Depth=1
	v_readlane_b32 s2, v60, 9
	v_readlane_b32 s3, v60, 10
	s_nop 4
	global_load_ushort v2, v19, s[2:3]
	global_load_dwordx2 v[4:5], v[20:21], off
	v_mov_b32_e32 v10, v0
	s_waitcnt vmcnt(1)
	v_add_u32_e32 v8, v0, v2
	v_cmp_gt_u32_e32 vcc, s56, v8
	s_and_saveexec_b64 s[2:3], vcc
	s_cbranch_execz .LBB112_41
; %bb.38:                               ;   in Loop: Header=BB112_20 Depth=1
	v_lshlrev_b32_e32 v11, 3, v2
	v_mul_lo_u32 v18, s58, v8
	v_mul_lo_u32 v12, s58, v2
	s_mov_b64 s[18:19], 0
	v_mov_b32_e32 v13, v35
	v_mov_b32_e32 v10, v0
.LBB112_39:                             ;   Parent Loop BB112_20 Depth=1
                                        ; =>  This Inner Loop Header: Depth=2
	v_lshl_add_u64 v[8:9], v[18:19], 3, s[62:63]
	global_load_dwordx2 v[8:9], v[8:9], off
	v_add_u32_e32 v10, v10, v2
	s_waitcnt vmcnt(1)
	ds_write_b64 v13, v[4:5]
	v_add_u32_e32 v4, v2, v10
	v_cmp_le_u32_e32 vcc, s56, v4
	v_add_u32_e32 v13, v13, v11
	v_add_u32_e32 v18, v18, v12
	s_or_b64 s[18:19], vcc, s[18:19]
	s_waitcnt vmcnt(0)
	v_mov_b64_e32 v[4:5], v[8:9]
	s_andn2_b64 exec, exec, s[18:19]
	s_cbranch_execnz .LBB112_39
; %bb.40:                               ;   in Loop: Header=BB112_20 Depth=1
	s_or_b64 exec, exec, s[18:19]
	v_mov_b64_e32 v[4:5], v[8:9]
.LBB112_41:                             ;   in Loop: Header=BB112_20 Depth=1
	s_or_b64 exec, exec, s[2:3]
	v_lshlrev_b32_e32 v2, 3, v10
	s_waitcnt vmcnt(0)
	ds_write_b64 v2, v[4:5]
.LBB112_42:                             ;   in Loop: Header=BB112_20 Depth=1
	s_or_b64 exec, exec, s[0:1]
	s_waitcnt lgkmcnt(0)
	s_barrier
	s_and_saveexec_b64 s[0:1], s[16:17]
; %bb.43:                               ;   in Loop: Header=BB112_20 Depth=1
	ds_write_b32 v19, v49 offset:4104
; %bb.44:                               ;   in Loop: Header=BB112_20 Depth=1
	s_or_b64 exec, exec, s[0:1]
	s_mov_b64 s[0:1], -1
	s_waitcnt lgkmcnt(0)
	s_barrier
.LBB112_45:                             ;   in Loop: Header=BB112_20 Depth=1
	s_mov_b32 s14, 0
	s_and_b64 vcc, exec, s[0:1]
	s_cbranch_vccz .LBB112_47
; %bb.46:                               ;   in Loop: Header=BB112_20 Depth=1
	ds_read_b32 v2, v19 offset:4104
	s_waitcnt lgkmcnt(0)
	v_readfirstlane_b32 s14, v2
.LBB112_47:                             ;   in Loop: Header=BB112_20 Depth=1
	s_cmp_lt_i32 s14, 1
	s_mov_b64 s[0:1], -1
                                        ; implicit-def: $vgpr10_vgpr11
	s_cbranch_scc1 .LBB112_57
; %bb.48:                               ;   in Loop: Header=BB112_20 Depth=1
	s_and_b64 vcc, exec, s[0:1]
	s_cbranch_vccnz .LBB112_68
.LBB112_49:                             ;   in Loop: Header=BB112_20 Depth=1
	s_lshl_b32 s14, s77, 6
	s_and_saveexec_b64 s[0:1], s[4:5]
.LBB112_50:                             ;   in Loop: Header=BB112_20 Depth=1
	v_lshl_add_u32 v2, s14, 2, v37
	ds_write_b128 v2, v[8:11]
.LBB112_51:                             ;   in Loop: Header=BB112_20 Depth=1
	s_or_b64 exec, exec, s[0:1]
	s_waitcnt lgkmcnt(0)
	s_barrier
	s_and_saveexec_b64 s[0:1], s[68:69]
	s_cbranch_execz .LBB112_88
; %bb.52:                               ;   in Loop: Header=BB112_20 Depth=1
	v_add_u32_e32 v2, s14, v34
	s_andn2_b64 vcc, exec, s[72:73]
	v_mov_b32_e32 v4, 0
	s_cbranch_vccnz .LBB112_87
; %bb.53:                               ;   in Loop: Header=BB112_20 Depth=1
	v_readlane_b32 s2, v60, 11
	v_readlane_b32 s3, v60, 12
	s_andn2_b64 vcc, exec, s[2:3]
	s_cbranch_vccnz .LBB112_77
; %bb.54:                               ;   in Loop: Header=BB112_20 Depth=1
	v_readlane_b32 s2, v60, 13
	v_readlane_b32 s3, v60, 14
	s_andn2_b64 vcc, exec, s[2:3]
	v_lshl_add_u32 v8, v2, 2, v46
	s_cbranch_vccnz .LBB112_81
; %bb.55:                               ;   in Loop: Header=BB112_20 Depth=1
	s_mov_b32 s3, 1
	s_mov_b32 s2, 0
	v_mov_b32_e32 v4, 0
	v_mov_b32_e32 v5, 0
	v_readlane_b32 s15, v60, 15
.LBB112_56:                             ;   Parent Loop BB112_20 Depth=1
                                        ; =>  This Inner Loop Header: Depth=2
	v_lshl_add_u32 v9, s2, 4, v8
	v_lshl_add_u32 v18, s3, 4, v8
	ds_read2_b32 v[10:11], v9 offset1:8
	ds_read2_b32 v[12:13], v18 offset1:8
	ds_read2_b32 v[14:15], v9 offset0:16 offset1:24
	ds_read2_b32 v[30:31], v18 offset0:16 offset1:24
	;; [unrolled: 1-line block ×6, first 2 shown]
	s_waitcnt lgkmcnt(7)
	v_add3_u32 v4, v10, v4, v11
	s_waitcnt lgkmcnt(6)
	v_add3_u32 v5, v12, v5, v13
	;; [unrolled: 2-line block ×3, first 2 shown]
	v_add3_u32 v4, v14, v4, v15
	s_add_i32 s3, s3, 16
	s_add_i32 s2, s2, 16
	s_add_i32 s15, s15, -8
	s_waitcnt lgkmcnt(3)
	v_add3_u32 v4, v32, v4, v33
	s_waitcnt lgkmcnt(2)
	v_add3_u32 v5, v52, v5, v53
	s_cmp_lg_u32 s15, 0
	s_waitcnt lgkmcnt(0)
	v_add3_u32 v5, v56, v5, v57
	v_add3_u32 v4, v54, v4, v55
	s_cbranch_scc1 .LBB112_56
	s_branch .LBB112_82
.LBB112_57:                             ;   in Loop: Header=BB112_20 Depth=1
	v_mov_b32_e32 v18, v19
	v_mov_b64_e32 v[10:11], v[18:19]
	v_mov_b64_e32 v[8:9], v[18:19]
	s_and_saveexec_b64 s[44:45], s[8:9]
	s_cbranch_execz .LBB112_61
; %bb.58:                               ;   in Loop: Header=BB112_20 Depth=1
	s_mov_b32 s15, 0
	s_mov_b64 s[46:47], 0
	v_mov_b32_e32 v2, v23
	s_mov_b32 s50, 0
	s_mov_b32 s51, s15
	;; [unrolled: 1-line block ×4, first 2 shown]
.LBB112_59:                             ;   Parent Loop BB112_20 Depth=1
                                        ; =>  This Inner Loop Header: Depth=2
	v_add_u32_e32 v18, s15, v42
	v_lshl_add_u64 v[12:13], v[18:19], 3, s[62:63]
	v_add_u32_e32 v18, s15, v39
	global_load_dwordx2 v[12:13], v[12:13], off
	v_lshl_add_u64 v[14:15], v[18:19], 3, s[62:63]
	v_add_u32_e32 v18, s15, v40
	global_load_dwordx2 v[14:15], v[14:15], off
	v_lshl_add_u64 v[30:31], v[18:19], 3, s[62:63]
	global_load_dwordx2 v[30:31], v[30:31], off
	v_add_u32_e32 v18, s15, v41
	v_lshl_add_u64 v[32:33], v[18:19], 3, s[62:63]
	global_load_dwordx2 v[32:33], v[32:33], off
	v_mov_b32_e32 v11, v19
	v_mov_b32_e32 v9, v19
	;; [unrolled: 1-line block ×3, first 2 shown]
	v_add_u32_e32 v2, s33, v2
	v_cmp_le_u32_e32 vcc, s83, v2
	s_add_i32 s15, s15, s74
	s_waitcnt vmcnt(3)
	v_ashrrev_i32_e32 v4, 31, v13
	v_xor_b32_e32 v8, v4, v12
	v_or_b32_e32 v4, 0x80000000, v4
	s_waitcnt vmcnt(2)
	v_ashrrev_i32_e32 v10, 31, v15
	v_cmp_o_f64_e64 s[0:1], v[12:13], v[12:13]
	v_xor_b32_e32 v18, v10, v14
	v_cmp_o_f64_e64 s[2:3], v[14:15], v[14:15]
	v_xor_b32_e32 v4, v4, v13
	v_or_b32_e32 v10, 0x80000000, v10
	s_waitcnt vmcnt(1)
	v_ashrrev_i32_e32 v14, 31, v31
	v_cndmask_b32_e64 v12, -1, v8, s[0:1]
	v_cndmask_b32_e64 v13, -1, v4, s[0:1]
	v_xor_b32_e32 v4, v10, v15
	v_or_b32_e32 v10, 0x80000000, v14
	v_xor_b32_e32 v8, v14, v30
	v_cmp_o_f64_e64 s[18:19], v[30:31], v[30:31]
	v_and_b32_e32 v30, v12, v28
	v_cndmask_b32_e64 v15, -1, v4, s[2:3]
	v_xor_b32_e32 v4, v10, v31
	v_and_b32_e32 v31, v13, v29
	v_lshrrev_b64 v[12:13], s76, v[12:13]
	s_waitcnt vmcnt(0)
	v_ashrrev_i32_e32 v48, 31, v33
	v_cndmask_b32_e64 v14, -1, v18, s[2:3]
	v_and_b32_e32 v18, 3, v12
	v_or_b32_e32 v10, 0x80000000, v48
	v_cndmask_b32_e64 v52, -1, v8, s[18:19]
	v_cndmask_b32_e64 v53, -1, v4, s[18:19]
	v_cmp_eq_u64_e64 s[2:3], v[30:31], v[26:27]
	v_lshrrev_b64 v[12:13], s76, v[14:15]
	v_cmp_eq_u64_e64 s[18:19], 0, v[18:19]
	v_xor_b32_e32 v54, v48, v32
	v_cmp_o_f64_e64 s[0:1], v[32:33], v[32:33]
	v_xor_b32_e32 v4, v10, v33
	v_and_b32_e32 v10, 3, v12
	v_cmp_eq_u64_e64 s[20:21], 1, v[18:19]
	s_and_b64 s[18:19], s[2:3], s[18:19]
	v_and_b32_e32 v32, v14, v28
	v_and_b32_e32 v33, v15, v29
	v_cndmask_b32_e64 v14, -1, v54, s[0:1]
	v_cndmask_b32_e64 v15, -1, v4, s[0:1]
	v_lshrrev_b64 v[12:13], s76, v[52:53]
	v_cmp_eq_u64_e64 s[22:23], 2, v[18:19]
	v_cmp_eq_u64_e64 s[28:29], 0, v[10:11]
	;; [unrolled: 1-line block ×5, first 2 shown]
	v_cndmask_b32_e64 v10, 0, 1, s[18:19]
	s_and_b64 s[18:19], s[2:3], s[20:21]
	v_and_b32_e32 v30, v52, v28
	v_cmp_eq_u64_e64 s[0:1], v[32:33], v[26:27]
	v_and_b32_e32 v31, v53, v29
	v_cmp_eq_u64_e64 s[24:25], 3, v[18:19]
	v_and_b32_e32 v8, 3, v12
	v_lshrrev_b64 v[12:13], s76, v[14:15]
	v_cndmask_b32_e64 v11, 0, 1, s[18:19]
	s_and_b64 s[18:19], s[2:3], s[22:23]
	v_cmp_eq_u64_e64 s[26:27], v[30:31], v[26:27]
	v_cndmask_b32_e64 v13, 0, 1, s[18:19]
	s_and_b64 s[2:3], s[2:3], s[24:25]
	v_cmp_eq_u64_e64 s[18:19], 0, v[8:9]
	v_cmp_eq_u64_e64 s[20:21], 1, v[8:9]
	s_and_b64 s[30:31], s[0:1], s[30:31]
	s_and_b64 s[34:35], s[0:1], s[34:35]
	v_and_b32_e32 v32, v14, v28
	v_and_b32_e32 v33, v15, v29
	v_cndmask_b32_e64 v14, 0, 1, s[2:3]
	v_and_b32_e32 v4, 3, v12
	v_cmp_eq_u64_e64 s[22:23], 2, v[8:9]
	v_cmp_eq_u64_e64 s[24:25], 3, v[8:9]
	v_cmp_ne_u32_e64 s[38:39], 0, v10
	s_and_b64 s[28:29], s[0:1], s[28:29]
	v_cndmask_b32_e64 v9, 0, 1, s[30:31]
	v_cndmask_b32_e64 v10, 0, 1, s[34:35]
	s_and_b64 s[0:1], s[0:1], s[36:37]
	s_and_b64 s[18:19], s[26:27], s[18:19]
	;; [unrolled: 1-line block ×3, first 2 shown]
	v_cmp_eq_u64_e64 s[2:3], v[32:33], v[26:27]
	v_cndmask_b32_e64 v8, 0, 1, s[28:29]
	v_cmp_ne_u32_e64 s[28:29], 0, v11
	v_cmp_ne_u32_e64 s[30:31], 0, v13
	;; [unrolled: 1-line block ×3, first 2 shown]
	v_cndmask_b32_e64 v11, 0, 1, s[0:1]
	v_cmp_eq_u64_e64 s[0:1], 0, v[4:5]
	v_cmp_eq_u64_e64 s[36:37], 1, v[4:5]
	;; [unrolled: 1-line block ×4, first 2 shown]
	v_cndmask_b32_e64 v4, 0, 1, s[18:19]
	v_cmp_ne_u32_e64 s[18:19], 0, v9
	v_cndmask_b32_e64 v5, 0, 1, s[20:21]
	v_cmp_ne_u32_e64 s[20:21], 0, v10
	s_and_b64 s[22:23], s[26:27], s[22:23]
	s_and_b64 s[24:25], s[26:27], s[24:25]
	s_bcnt1_i32_b64 s52, s[38:39]
	v_cmp_ne_u32_e64 s[38:39], 0, v8
	s_bcnt1_i32_b64 s28, s[28:29]
	s_bcnt1_i32_b64 s29, s[30:31]
	v_cndmask_b32_e64 v8, 0, 1, s[22:23]
	s_bcnt1_i32_b64 s30, s[34:35]
	v_cmp_ne_u32_e64 s[22:23], 0, v11
	v_cndmask_b32_e64 v9, 0, 1, s[24:25]
	s_and_b64 s[0:1], s[2:3], s[0:1]
	s_bcnt1_i32_b64 s27, s[18:19]
	s_and_b64 s[18:19], s[2:3], s[36:37]
	s_bcnt1_i32_b64 s34, s[20:21]
	s_and_b64 s[20:21], s[2:3], s[40:41]
	s_and_b64 s[2:3], s[2:3], s[42:43]
	s_bcnt1_i32_b64 s26, s[38:39]
	v_cmp_ne_u32_e64 s[24:25], 0, v4
	v_cndmask_b32_e64 v4, 0, 1, s[0:1]
	v_cmp_ne_u32_e64 s[0:1], 0, v5
	v_cndmask_b32_e64 v5, 0, 1, s[18:19]
	s_add_i32 s31, s50, s52
	s_add_i32 s28, s51, s28
	v_cmp_ne_u32_e64 s[18:19], 0, v8
	v_cndmask_b32_e64 v8, 0, 1, s[20:21]
	s_bcnt1_i32_b64 s22, s[22:23]
	v_cmp_ne_u32_e64 s[20:21], 0, v9
	v_cndmask_b32_e64 v9, 0, 1, s[2:3]
	s_add_i32 s23, s48, s29
	s_add_i32 s29, s49, s30
	s_bcnt1_i32_b64 s24, s[24:25]
	v_cmp_ne_u32_e64 s[2:3], 0, v4
	s_bcnt1_i32_b64 s25, s[0:1]
	v_cmp_ne_u32_e64 s[0:1], 0, v5
	s_add_i32 s27, s28, s27
	s_add_i32 s26, s31, s26
	s_bcnt1_i32_b64 s28, s[18:19]
	v_cmp_ne_u32_e64 s[18:19], 0, v8
	s_bcnt1_i32_b64 s30, s[20:21]
	v_cmp_ne_u32_e64 s[20:21], 0, v9
	s_add_i32 s22, s29, s22
	s_add_i32 s23, s23, s34
	s_bcnt1_i32_b64 s2, s[2:3]
	s_bcnt1_i32_b64 s0, s[0:1]
	s_add_i32 s1, s26, s24
	s_add_i32 s3, s27, s25
	s_bcnt1_i32_b64 s18, s[18:19]
	s_bcnt1_i32_b64 s19, s[20:21]
	s_add_i32 s20, s23, s28
	s_add_i32 s21, s22, s30
	;; [unrolled: 1-line block ×6, first 2 shown]
	s_or_b64 s[46:47], vcc, s[46:47]
	v_mov_b64_e32 v[8:9], s[50:51]
	v_mov_b64_e32 v[10:11], s[48:49]
	s_andn2_b64 exec, exec, s[46:47]
	s_cbranch_execnz .LBB112_59
; %bb.60:                               ;   in Loop: Header=BB112_20 Depth=1
	s_or_b64 exec, exec, s[46:47]
.LBB112_61:                             ;   in Loop: Header=BB112_20 Depth=1
	s_or_b64 exec, exec, s[44:45]
	s_and_saveexec_b64 s[2:3], s[10:11]
	s_cbranch_execz .LBB112_67
; %bb.62:                               ;   in Loop: Header=BB112_20 Depth=1
	global_load_dwordx2 v[14:15], v[24:25], off
	s_mov_b64 s[18:19], 0
	v_mov_b32_e32 v4, v43
	v_mov_b32_e32 v2, v38
	s_branch .LBB112_64
.LBB112_63:                             ;   in Loop: Header=BB112_64 Depth=2
	s_or_b64 exec, exec, s[20:21]
	s_waitcnt vmcnt(0)
	v_ashrrev_i32_e32 v5, 31, v15
	v_or_b32_e32 v18, 0x80000000, v5
	s_and_b64 s[0:1], exec, vcc
	v_xor_b32_e32 v18, v18, v15
	v_xor_b32_e32 v5, v5, v14
	v_cmp_o_f64_e32 vcc, v[14:15], v[14:15]
	s_or_b64 s[18:19], s[0:1], s[18:19]
	v_add_u32_e32 v4, s57, v4
	v_cndmask_b32_e32 v15, -1, v18, vcc
	v_cndmask_b32_e32 v14, -1, v5, vcc
	v_and_b32_e32 v31, v15, v29
	v_and_b32_e32 v30, v14, v28
	v_lshrrev_b64 v[14:15], s76, v[14:15]
	v_and_b32_e32 v18, 3, v14
	v_cmp_eq_u64_e32 vcc, v[30:31], v[26:27]
	v_cmp_eq_u64_e64 s[0:1], 0, v[18:19]
	s_and_b64 s[0:1], vcc, s[0:1]
	v_mov_b64_e32 v[14:15], v[12:13]
	v_cndmask_b32_e64 v5, 0, 1, s[0:1]
	v_cmp_ne_u32_e64 s[0:1], 0, v5
	s_bcnt1_i32_b64 s15, s[0:1]
	v_cmp_eq_u64_e64 s[0:1], 1, v[18:19]
	s_and_b64 s[0:1], vcc, s[0:1]
	v_add_u32_e32 v8, s15, v8
	v_cndmask_b32_e64 v5, 0, 1, s[0:1]
	v_cmp_ne_u32_e64 s[0:1], 0, v5
	s_bcnt1_i32_b64 s0, s[0:1]
	s_nop 0
	v_add_u32_e32 v9, s0, v9
	v_cmp_eq_u64_e64 s[0:1], 2, v[18:19]
	s_and_b64 s[0:1], vcc, s[0:1]
	s_nop 0
	v_cndmask_b32_e64 v5, 0, 1, s[0:1]
	v_cmp_ne_u32_e64 s[0:1], 0, v5
	s_bcnt1_i32_b64 s15, s[0:1]
	v_cmp_eq_u64_e64 s[0:1], 3, v[18:19]
	s_and_b64 s[0:1], vcc, s[0:1]
	v_add_u32_e32 v10, s15, v10
	v_cndmask_b32_e64 v5, 0, 1, s[0:1]
	v_cmp_ne_u32_e32 vcc, 0, v5
	s_bcnt1_i32_b64 s0, vcc
	v_add_u32_e32 v11, s0, v11
	s_andn2_b64 exec, exec, s[18:19]
	s_cbranch_execz .LBB112_66
.LBB112_64:                             ;   Parent Loop BB112_20 Depth=1
                                        ; =>  This Inner Loop Header: Depth=2
	v_add_u32_e32 v2, s59, v2
	v_cmp_gt_u32_e64 s[0:1], s56, v2
	v_cmp_le_u32_e32 vcc, s56, v2
	v_mov_b64_e32 v[12:13], 0
	s_and_saveexec_b64 s[20:21], s[0:1]
	s_cbranch_execz .LBB112_63
; %bb.65:                               ;   in Loop: Header=BB112_64 Depth=2
	v_mov_b32_e32 v5, v19
	v_lshl_add_u64 v[12:13], v[4:5], 3, s[62:63]
	global_load_dwordx2 v[12:13], v[12:13], off
	s_branch .LBB112_63
.LBB112_66:                             ;   in Loop: Header=BB112_20 Depth=1
	s_or_b64 exec, exec, s[18:19]
.LBB112_67:                             ;   in Loop: Header=BB112_20 Depth=1
	s_or_b64 exec, exec, s[2:3]
	s_branch .LBB112_49
.LBB112_68:                             ;   in Loop: Header=BB112_20 Depth=1
	s_mul_hi_u32 s0, s14, s82
	s_mul_i32 s0, s0, s33
	s_sub_i32 s0, s14, s0
	s_sub_i32 s1, s0, s33
	s_cmp_ge_u32 s0, s33
	s_cselect_b32 s0, s1, s0
	s_sub_i32 s1, s0, s33
	s_cmp_ge_u32 s0, s33
	s_cselect_b32 s0, s1, s0
	s_sub_i32 s15, s14, s0
	v_mov_b32_e32 v18, v19
	v_cmp_gt_u32_e32 vcc, s15, v23
	v_mov_b64_e32 v[10:11], v[18:19]
	v_mov_b64_e32 v[8:9], v[18:19]
	s_and_saveexec_b64 s[98:99], vcc
	s_cbranch_execz .LBB112_72
; %bb.69:                               ;   in Loop: Header=BB112_20 Depth=1
	s_mov_b32 s66, 0
	s_mov_b64 s[60:61], 0
	v_mov_b32_e32 v2, v44
	v_mov_b32_e32 v48, v23
	s_mov_b32 s67, s66
	s_mov_b32 s64, s66
	;; [unrolled: 1-line block ×3, first 2 shown]
.LBB112_70:                             ;   Parent Loop BB112_20 Depth=1
                                        ; =>  This Inner Loop Header: Depth=2
	ds_read_b128 v[12:15], v2
	ds_read_b128 v[8:11], v2 offset:16
	v_mov_b32_e32 v5, v19
	v_mov_b32_e32 v31, v19
	;; [unrolled: 1-line block ×3, first 2 shown]
	s_waitcnt lgkmcnt(1)
	v_ashrrev_i32_e32 v4, 31, v13
	v_ashrrev_i32_e32 v18, 31, v15
	s_waitcnt lgkmcnt(0)
	v_ashrrev_i32_e32 v30, 31, v9
	v_ashrrev_i32_e32 v32, 31, v11
	v_xor_b32_e32 v52, v18, v14
	v_cmp_o_f64_e64 s[0:1], v[14:15], v[14:15]
	v_xor_b32_e32 v14, v30, v8
	v_cmp_o_f64_e64 s[2:3], v[8:9], v[8:9]
	v_xor_b32_e32 v8, v4, v12
	v_or_b32_e32 v4, 0x80000000, v4
	v_xor_b32_e32 v53, v32, v10
	v_cmp_o_f64_e64 s[18:19], v[10:11], v[10:11]
	v_cmp_o_f64_e64 s[20:21], v[12:13], v[12:13]
	v_or_b32_e32 v10, 0x80000000, v18
	v_or_b32_e32 v12, 0x80000000, v30
	v_xor_b32_e32 v4, v4, v13
	v_or_b32_e32 v18, 0x80000000, v32
	v_xor_b32_e32 v13, v10, v15
	v_xor_b32_e32 v15, v12, v9
	v_cndmask_b32_e64 v8, -1, v8, s[20:21]
	v_cndmask_b32_e64 v9, -1, v4, s[20:21]
	v_xor_b32_e32 v18, v18, v11
	v_cndmask_b32_e64 v10, -1, v52, s[0:1]
	v_cndmask_b32_e64 v12, -1, v14, s[2:3]
	;; [unrolled: 1-line block ×4, first 2 shown]
	v_and_b32_e32 v52, v8, v28
	v_and_b32_e32 v53, v9, v29
	v_lshrrev_b64 v[8:9], s76, v[8:9]
	v_cndmask_b32_e64 v13, -1, v15, s[2:3]
	v_cndmask_b32_e64 v15, -1, v18, s[18:19]
	v_and_b32_e32 v54, v10, v28
	v_and_b32_e32 v55, v11, v29
	v_lshrrev_b64 v[10:11], s76, v[10:11]
	v_and_b32_e32 v18, 3, v8
	v_and_b32_e32 v56, v12, v28
	;; [unrolled: 1-line block ×3, first 2 shown]
	v_lshrrev_b64 v[12:13], s76, v[12:13]
	v_cmp_eq_u64_e64 s[0:1], v[52:53], v[26:27]
	v_and_b32_e32 v4, 3, v10
	v_cmp_eq_u64_e64 s[22:23], 0, v[18:19]
	v_and_b32_e32 v58, v14, v28
	v_and_b32_e32 v59, v15, v29
	v_lshrrev_b64 v[14:15], s76, v[14:15]
	v_cmp_eq_u64_e64 s[2:3], v[54:55], v[26:27]
	v_and_b32_e32 v30, 3, v12
	v_cmp_eq_u64_e64 s[24:25], 0, v[4:5]
	s_and_b64 s[22:23], s[0:1], s[22:23]
	v_cmp_eq_u64_e64 s[18:19], v[56:57], v[26:27]
	v_and_b32_e32 v32, 3, v14
	v_cmp_eq_u64_e64 s[26:27], 0, v[30:31]
	v_cmp_eq_u64_e64 s[34:35], 1, v[4:5]
	;; [unrolled: 1-line block ×4, first 2 shown]
	v_cndmask_b32_e64 v4, 0, 1, s[22:23]
	s_and_b64 s[22:23], s[2:3], s[24:25]
	v_cmp_eq_u64_e64 s[20:21], v[58:59], v[26:27]
	v_cmp_eq_u64_e64 s[28:29], 0, v[32:33]
	v_cndmask_b32_e64 v5, 0, 1, s[22:23]
	s_and_b64 s[22:23], s[18:19], s[26:27]
	v_cmp_eq_u64_e64 s[30:31], 1, v[18:19]
	v_cndmask_b32_e64 v8, 0, 1, s[22:23]
	s_and_b64 s[22:23], s[20:21], s[28:29]
	v_cndmask_b32_e64 v9, 0, 1, s[22:23]
	s_and_b64 s[22:23], s[0:1], s[30:31]
	v_cmp_eq_u64_e64 s[36:37], 1, v[30:31]
	v_cndmask_b32_e64 v10, 0, 1, s[22:23]
	s_and_b64 s[22:23], s[2:3], s[34:35]
	v_cmp_eq_u64_e64 s[38:39], 1, v[32:33]
	v_cndmask_b32_e64 v11, 0, 1, s[22:23]
	s_and_b64 s[22:23], s[18:19], s[36:37]
	v_cmp_eq_u64_e64 s[40:41], 2, v[18:19]
	v_cmp_eq_u64_e64 s[48:49], 3, v[18:19]
	v_cndmask_b32_e64 v12, 0, 1, s[22:23]
	s_and_b64 s[22:23], s[20:21], s[38:39]
	v_cndmask_b32_e64 v13, 0, 1, s[22:23]
	s_and_b64 s[22:23], s[0:1], s[40:41]
	s_and_b64 s[0:1], s[0:1], s[48:49]
	v_cmp_eq_u64_e64 s[44:45], 2, v[30:31]
	v_cmp_eq_u64_e64 s[52:53], 3, v[30:31]
	v_cndmask_b32_e64 v14, 0, 1, s[22:23]
	s_and_b64 s[22:23], s[2:3], s[42:43]
	v_cndmask_b32_e64 v31, 0, 1, s[0:1]
	s_and_b64 s[0:1], s[2:3], s[50:51]
	v_cmp_eq_u64_e64 s[46:47], 2, v[32:33]
	v_cmp_eq_u64_e64 s[54:55], 3, v[32:33]
	v_cndmask_b32_e64 v15, 0, 1, s[22:23]
	s_and_b64 s[22:23], s[18:19], s[44:45]
	v_cndmask_b32_e64 v32, 0, 1, s[0:1]
	s_and_b64 s[0:1], s[18:19], s[52:53]
	;; [unrolled: 2-line block ×4, first 2 shown]
	v_cndmask_b32_e64 v30, 0, 1, s[22:23]
	v_cndmask_b32_e64 v52, 0, 1, s[0:1]
	v_cmp_ne_u32_e64 s[0:1], 0, v4
	v_cmp_ne_u32_e64 s[2:3], 0, v5
	;; [unrolled: 1-line block ×11, first 2 shown]
	s_bcnt1_i32_b64 s0, s[0:1]
	s_bcnt1_i32_b64 s1, s[2:3]
	;; [unrolled: 1-line block ×8, first 2 shown]
	v_cmp_ne_u32_e64 s[28:29], 0, v13
	v_cmp_ne_u32_e64 s[36:37], 0, v18
	;; [unrolled: 1-line block ×3, first 2 shown]
	s_bcnt1_i32_b64 s19, s[24:25]
	s_bcnt1_i32_b64 s23, s[34:35]
	;; [unrolled: 1-line block ×3, first 2 shown]
	s_add_i32 s0, s66, s0
	s_add_i32 s18, s67, s18
	;; [unrolled: 1-line block ×4, first 2 shown]
	v_cmp_ne_u32_e64 s[38:39], 0, v30
	v_cmp_ne_u32_e64 s[46:47], 0, v52
	s_bcnt1_i32_b64 s21, s[28:29]
	s_bcnt1_i32_b64 s24, s[36:37]
	s_bcnt1_i32_b64 s28, s[44:45]
	s_add_i32 s18, s18, s19
	s_add_i32 s0, s0, s1
	;; [unrolled: 1-line block ×4, first 2 shown]
	v_add_u32_e32 v48, s33, v48
	s_bcnt1_i32_b64 s25, s[38:39]
	s_bcnt1_i32_b64 s29, s[46:47]
	s_add_i32 s0, s0, s2
	s_add_i32 s2, s18, s20
	s_add_i32 s18, s19, s24
	s_add_i32 s1, s1, s28
	v_cmp_le_u32_e32 vcc, s15, v48
	s_add_i32 s67, s2, s21
	s_add_i32 s66, s0, s3
	;; [unrolled: 1-line block ×4, first 2 shown]
	v_add_u32_e32 v2, s75, v2
	s_or_b64 s[60:61], vcc, s[60:61]
	v_mov_b64_e32 v[8:9], s[66:67]
	v_mov_b64_e32 v[10:11], s[64:65]
	s_andn2_b64 exec, exec, s[60:61]
	s_cbranch_execnz .LBB112_70
; %bb.71:                               ;   in Loop: Header=BB112_20 Depth=1
	s_or_b64 exec, exec, s[60:61]
.LBB112_72:                             ;   in Loop: Header=BB112_20 Depth=1
	s_or_b64 exec, exec, s[98:99]
	v_add_u32_e32 v2, s15, v0
	v_cmp_gt_u32_e32 vcc, s14, v2
	s_and_saveexec_b64 s[24:25], vcc
	s_cbranch_execz .LBB112_76
; %bb.73:                               ;   in Loop: Header=BB112_20 Depth=1
	v_lshlrev_b32_e32 v4, 3, v2
	s_mov_b64 s[26:27], 0
.LBB112_74:                             ;   Parent Loop BB112_20 Depth=1
                                        ; =>  This Inner Loop Header: Depth=2
	ds_read_b64 v[12:13], v4
	v_add_u32_e32 v2, s59, v2
	v_cmp_le_u32_e32 vcc, s14, v2
	v_add_u32_e32 v4, s79, v4
	s_waitcnt lgkmcnt(0)
	v_ashrrev_i32_e32 v5, 31, v13
	v_or_b32_e32 v14, 0x80000000, v5
	v_xor_b32_e32 v5, v5, v12
	v_xor_b32_e32 v14, v14, v13
	v_cmp_o_f64_e64 s[0:1], v[12:13], v[12:13]
	s_nop 1
	v_cndmask_b32_e64 v13, -1, v14, s[0:1]
	v_cndmask_b32_e64 v12, -1, v5, s[0:1]
	v_and_b32_e32 v15, v13, v29
	v_and_b32_e32 v14, v12, v28
	v_lshrrev_b64 v[12:13], s76, v[12:13]
	v_and_b32_e32 v18, 3, v12
	v_cmp_eq_u64_e64 s[0:1], v[14:15], v[26:27]
	v_cmp_eq_u64_e64 s[2:3], 0, v[18:19]
	;; [unrolled: 1-line block ×3, first 2 shown]
	s_and_b64 s[2:3], s[0:1], s[2:3]
	v_cmp_eq_u64_e64 s[20:21], 2, v[18:19]
	v_cmp_eq_u64_e64 s[22:23], 3, v[18:19]
	v_cndmask_b32_e64 v5, 0, 1, s[2:3]
	s_and_b64 s[2:3], s[0:1], s[18:19]
	v_cndmask_b32_e64 v12, 0, 1, s[2:3]
	s_and_b64 s[2:3], s[0:1], s[20:21]
	s_and_b64 s[0:1], s[0:1], s[22:23]
	v_cndmask_b32_e64 v13, 0, 1, s[2:3]
	v_cndmask_b32_e64 v14, 0, 1, s[0:1]
	v_cmp_ne_u32_e64 s[0:1], 0, v5
	v_cmp_ne_u32_e64 s[2:3], 0, v12
	;; [unrolled: 1-line block ×4, first 2 shown]
	s_bcnt1_i32_b64 s0, s[0:1]
	s_bcnt1_i32_b64 s1, s[2:3]
	;; [unrolled: 1-line block ×4, first 2 shown]
	v_add_u32_e32 v9, s1, v9
	v_add_u32_e32 v8, s0, v8
	;; [unrolled: 1-line block ×3, first 2 shown]
	s_or_b64 s[26:27], vcc, s[26:27]
	v_add_u32_e32 v10, s2, v10
	s_andn2_b64 exec, exec, s[26:27]
	s_cbranch_execnz .LBB112_74
; %bb.75:                               ;   in Loop: Header=BB112_20 Depth=1
	s_or_b64 exec, exec, s[26:27]
.LBB112_76:                             ;   in Loop: Header=BB112_20 Depth=1
	s_or_b64 exec, exec, s[24:25]
	s_lshl_b32 s14, s77, 6
	s_and_saveexec_b64 s[0:1], s[4:5]
	s_cbranch_execnz .LBB112_50
	s_branch .LBB112_51
.LBB112_77:                             ;   in Loop: Header=BB112_20 Depth=1
	v_mov_b32_e32 v4, 0
	s_mov_b32 s15, 0
	s_cbranch_execnz .LBB112_85
	s_branch .LBB112_87
.LBB112_78:                             ;   in Loop: Header=BB112_20 Depth=1
	s_or_b64 exec, exec, s[20:21]
	s_waitcnt lgkmcnt(0)
	s_barrier
	s_and_saveexec_b64 s[0:1], s[16:17]
	s_cbranch_execz .LBB112_80
; %bb.79:                               ;   in Loop: Header=BB112_20 Depth=1
	ds_read_b32 v2, v19 offset:4112
	s_waitcnt lgkmcnt(0)
	ds_write_b32 v19, v2 offset:4104
.LBB112_80:                             ;   in Loop: Header=BB112_20 Depth=1
	s_or_b64 exec, exec, s[0:1]
	s_waitcnt lgkmcnt(0)
	s_barrier
	s_mov_b64 s[0:1], -1
	s_and_b64 vcc, exec, s[18:19]
	s_cbranch_vccnz .LBB112_36
	s_branch .LBB112_45
.LBB112_81:                             ;   in Loop: Header=BB112_20 Depth=1
	v_mov_b32_e32 v18, v19
	s_mov_b32 s2, 0
	v_mov_b64_e32 v[4:5], v[18:19]
	s_mov_b32 s3, 1
.LBB112_82:                             ;   in Loop: Header=BB112_20 Depth=1
	v_readlane_b32 s18, v60, 17
	v_readlane_b32 s19, v60, 18
	s_andn2_b64 vcc, exec, s[18:19]
	v_readlane_b32 s15, v60, 16
	s_cbranch_vccnz .LBB112_84
.LBB112_83:                             ;   Parent Loop BB112_20 Depth=1
                                        ; =>  This Inner Loop Header: Depth=2
	v_lshl_add_u32 v9, s2, 4, v8
	v_lshl_add_u32 v10, s3, 4, v8
	ds_read_b32 v10, v10
	ds_read_b32 v9, v9
	s_add_i32 s3, s3, 2
	s_add_i32 s2, s2, 2
	s_add_i32 s15, s15, -1
	s_cmp_lg_u32 s15, 0
	s_waitcnt lgkmcnt(1)
	v_add_u32_e32 v5, v10, v5
	s_waitcnt lgkmcnt(0)
	v_add_u32_e32 v4, v9, v4
	s_cbranch_scc1 .LBB112_83
.LBB112_84:                             ;   in Loop: Header=BB112_20 Depth=1
	v_readlane_b32 s2, v60, 21
	v_add_u32_e32 v4, v4, v5
	v_readlane_b32 s15, v60, 20
	v_readlane_b32 s3, v60, 22
	s_and_b64 vcc, exec, s[2:3]
	s_cbranch_vccz .LBB112_87
.LBB112_85:                             ;   in Loop: Header=BB112_20 Depth=1
	s_lshl_b32 s2, s77, 8
	s_lshl_b32 s3, s15, 4
	s_add_i32 s2, s2, s3
	v_add_u32_e32 v5, s2, v45
	v_readlane_b32 s2, v60, 19
	s_sub_i32 s2, s2, s15
.LBB112_86:                             ;   Parent Loop BB112_20 Depth=1
                                        ; =>  This Inner Loop Header: Depth=2
	ds_read_b32 v8, v5
	s_add_i32 s2, s2, -1
	v_add_u32_e32 v5, 16, v5
	s_cmp_eq_u32 s2, 0
	s_waitcnt lgkmcnt(0)
	v_add_u32_e32 v4, v8, v4
	s_cbranch_scc0 .LBB112_86
.LBB112_87:                             ;   in Loop: Header=BB112_20 Depth=1
	v_lshlrev_b32_e32 v2, 2, v2
	ds_write_b32 v2, v4 offset:3072
.LBB112_88:                             ;   in Loop: Header=BB112_20 Depth=1
	s_or_b64 exec, exec, s[0:1]
	s_lshl_b32 s0, s14, 2
	v_mov_b32_e32 v2, s0
	s_waitcnt lgkmcnt(0)
	s_barrier
	ds_read_b128 v[8:11], v2 offset:3072
	s_lshl_b64 s[0:1], 3, s76
	s_not_b64 s[26:27], s[0:1]
	v_cmp_eq_u32_e32 vcc, 1, v47
	s_mov_b64 s[18:19], -1
	s_waitcnt lgkmcnt(0)
	v_readfirstlane_b32 s15, v8
	s_cmp_eq_u32 s15, 1
	s_cselect_b64 s[2:3], -1, 0
	v_readfirstlane_b32 s14, v9
	v_readfirstlane_b32 s54, v10
	;; [unrolled: 1-line block ×3, first 2 shown]
	s_and_b64 s[20:21], s[2:3], vcc
	s_mov_b64 s[28:29], -1
                                        ; implicit-def: $sgpr24_sgpr25
                                        ; implicit-def: $sgpr22_sgpr23
	s_and_saveexec_b64 s[2:3], s[20:21]
	s_cbranch_execz .LBB112_116
; %bb.89:                               ;   in Loop: Header=BB112_20 Depth=1
	ds_read_b32 v2, v19 offset:4104
	s_waitcnt lgkmcnt(0)
	s_barrier
	v_readfirstlane_b32 s42, v2
	s_and_saveexec_b64 s[22:23], s[6:7]
; %bb.90:                               ;   in Loop: Header=BB112_20 Depth=1
	ds_write_b64 v36, v[50:51]
; %bb.91:                               ;   in Loop: Header=BB112_20 Depth=1
	s_or_b64 exec, exec, s[22:23]
	v_and_b32_e32 v27, s27, v27
	v_and_b32_e32 v26, s26, v26
	v_or_b32_e32 v29, s1, v29
	v_or_b32_e32 v28, s0, v28
	s_mov_b64 s[22:23], -1
	s_mov_b64 s[24:25], 0
	s_cmp_eq_u32 s42, 0
	s_mov_b64 s[28:29], 0
	s_mov_b64 s[30:31], -1
	s_waitcnt lgkmcnt(0)
	s_barrier
                                        ; implicit-def: $vgpr6_vgpr7
	s_cbranch_scc1 .LBB112_103
; %bb.92:                               ;   in Loop: Header=BB112_20 Depth=1
	s_add_i32 s28, s42, s78
	s_mul_hi_u32 s29, s28, s80
	s_mul_i32 s29, s29, s59
	s_sub_i32 s29, s28, s29
	s_sub_i32 s30, s29, s59
	s_cmp_ge_u32 s29, s59
	s_cselect_b32 s29, s30, s29
	s_sub_i32 s30, s29, s59
	s_cmp_ge_u32 s29, s59
	s_cselect_b32 s29, s30, s29
	s_sub_i32 s43, s28, s29
	v_cmp_gt_u32_e32 vcc, s43, v0
	s_mov_b64 s[30:31], 0
	s_mov_b64 s[28:29], 0
                                        ; implicit-def: $vgpr6_vgpr7
	s_and_saveexec_b64 s[34:35], vcc
	s_cbranch_execz .LBB112_102
; %bb.93:                               ;   in Loop: Header=BB112_20 Depth=1
	v_mov_b32_e32 v8, v35
	v_mov_b32_e32 v9, v0
                                        ; implicit-def: $sgpr36_sgpr37
	s_branch .LBB112_97
.LBB112_94:                             ;   in Loop: Header=BB112_97 Depth=2
	s_or_b64 exec, exec, s[38:39]
	s_waitcnt lgkmcnt(0)
	s_barrier
	ds_read_b128 v[4:7], v19 offset:3072
	s_waitcnt lgkmcnt(0)
	s_barrier
	v_cmp_neq_f64_e32 vcc, 0, v[4:5]
	s_cbranch_vccnz .LBB112_100
; %bb.95:                               ;   in Loop: Header=BB112_97 Depth=2
	v_add_u32_e32 v9, s59, v9
	v_cmp_le_u32_e32 vcc, s43, v9
	v_add_u32_e32 v8, s79, v8
	s_mov_b64 s[38:39], 0
	s_orn2_b64 s[40:41], vcc, exec
.LBB112_96:                             ;   in Loop: Header=BB112_97 Depth=2
	s_and_b64 s[40:41], exec, s[40:41]
	s_or_b64 s[28:29], s[40:41], s[28:29]
	s_andn2_b64 s[36:37], s[36:37], exec
	s_and_b64 s[38:39], s[38:39], exec
	s_or_b64 s[36:37], s[36:37], s[38:39]
	s_andn2_b64 exec, exec, s[28:29]
	s_cbranch_execz .LBB112_101
.LBB112_97:                             ;   Parent Loop BB112_20 Depth=1
                                        ; =>  This Inner Loop Header: Depth=2
	v_cmp_gt_u32_e32 vcc, s42, v9
	s_and_saveexec_b64 s[38:39], vcc
	s_cbranch_execz .LBB112_94
; %bb.98:                               ;   in Loop: Header=BB112_97 Depth=2
	ds_read_b64 v[4:5], v8
	s_waitcnt lgkmcnt(0)
	v_ashrrev_i32_e32 v2, 31, v5
	v_or_b32_e32 v6, 0x80000000, v2
	v_xor_b32_e32 v2, v2, v4
	v_xor_b32_e32 v6, v6, v5
	v_cmp_o_f64_e32 vcc, v[4:5], v[4:5]
	s_nop 1
	v_cndmask_b32_e32 v2, -1, v2, vcc
	v_cndmask_b32_e32 v6, -1, v6, vcc
	v_and_b32_e32 v7, v6, v29
	v_and_b32_e32 v6, v2, v28
	v_cmp_eq_u64_e32 vcc, v[6:7], v[26:27]
	s_and_b64 exec, exec, vcc
	s_cbranch_execz .LBB112_94
; %bb.99:                               ;   in Loop: Header=BB112_97 Depth=2
	v_mov_b32_e32 v2, v19
	ds_write_b128 v19, v[2:5] offset:3072
	s_branch .LBB112_94
.LBB112_100:                            ;   in Loop: Header=BB112_97 Depth=2
	s_mov_b64 s[40:41], -1
                                        ; implicit-def: $vgpr9
                                        ; implicit-def: $vgpr8
	s_mov_b64 s[38:39], -1
	s_branch .LBB112_96
.LBB112_101:                            ;   in Loop: Header=BB112_20 Depth=1
	s_or_b64 exec, exec, s[28:29]
	s_and_b64 s[28:29], s[36:37], exec
.LBB112_102:                            ;   in Loop: Header=BB112_20 Depth=1
	s_or_b64 exec, exec, s[34:35]
.LBB112_103:                            ;   in Loop: Header=BB112_20 Depth=1
	s_and_b64 vcc, exec, s[30:31]
	s_cbranch_vccz .LBB112_115
; %bb.104:                              ;   in Loop: Header=BB112_20 Depth=1
                                        ; implicit-def: $vgpr6_vgpr7
	s_and_saveexec_b64 s[22:23], s[12:13]
	s_cbranch_execz .LBB112_114
; %bb.105:                              ;   in Loop: Header=BB112_20 Depth=1
	s_mov_b64 s[30:31], 0
	v_mov_b32_e32 v18, v16
	v_mov_b32_e32 v8, v0
                                        ; implicit-def: $sgpr24_sgpr25
	s_branch .LBB112_109
.LBB112_106:                            ;   in Loop: Header=BB112_109 Depth=2
	s_or_b64 exec, exec, s[34:35]
	s_waitcnt lgkmcnt(0)
	s_barrier
	ds_read_b128 v[4:7], v19 offset:3072
	s_waitcnt lgkmcnt(0)
	s_barrier
	v_cmp_neq_f64_e32 vcc, 0, v[4:5]
	s_cbranch_vccnz .LBB112_112
; %bb.107:                              ;   in Loop: Header=BB112_109 Depth=2
	v_add_u32_e32 v8, s59, v8
	v_cmp_le_u32_e32 vcc, s81, v8
	v_add_u32_e32 v18, s57, v18
	s_mov_b64 s[34:35], 0
	s_orn2_b64 s[36:37], vcc, exec
.LBB112_108:                            ;   in Loop: Header=BB112_109 Depth=2
	s_and_b64 s[36:37], exec, s[36:37]
	s_or_b64 s[30:31], s[36:37], s[30:31]
	s_andn2_b64 s[24:25], s[24:25], exec
	s_and_b64 s[34:35], s[34:35], exec
	s_or_b64 s[24:25], s[24:25], s[34:35]
	s_andn2_b64 exec, exec, s[30:31]
	s_cbranch_execz .LBB112_113
.LBB112_109:                            ;   Parent Loop BB112_20 Depth=1
                                        ; =>  This Inner Loop Header: Depth=2
	v_cmp_gt_u32_e32 vcc, s56, v8
	s_and_saveexec_b64 s[34:35], vcc
	s_cbranch_execz .LBB112_106
; %bb.110:                              ;   in Loop: Header=BB112_109 Depth=2
	v_lshl_add_u64 v[4:5], v[18:19], 3, s[62:63]
	global_load_dwordx2 v[4:5], v[4:5], off
	s_waitcnt vmcnt(0)
	v_ashrrev_i32_e32 v2, 31, v5
	v_or_b32_e32 v6, 0x80000000, v2
	v_xor_b32_e32 v2, v2, v4
	v_xor_b32_e32 v6, v6, v5
	v_cmp_o_f64_e32 vcc, v[4:5], v[4:5]
	s_nop 1
	v_cndmask_b32_e32 v6, -1, v6, vcc
	v_cndmask_b32_e32 v2, -1, v2, vcc
	v_and_b32_e32 v7, v6, v29
	v_and_b32_e32 v6, v2, v28
	v_cmp_eq_u64_e32 vcc, v[6:7], v[26:27]
	s_and_b64 exec, exec, vcc
	s_cbranch_execz .LBB112_106
; %bb.111:                              ;   in Loop: Header=BB112_109 Depth=2
	v_mov_b32_e32 v2, v19
	ds_write_b128 v19, v[2:5] offset:3072
	s_branch .LBB112_106
.LBB112_112:                            ;   in Loop: Header=BB112_109 Depth=2
	s_mov_b64 s[36:37], -1
                                        ; implicit-def: $vgpr8
	s_mov_b64 s[34:35], -1
	s_branch .LBB112_108
.LBB112_113:                            ;   in Loop: Header=BB112_20 Depth=1
	s_or_b64 exec, exec, s[30:31]
	s_andn2_b64 s[28:29], s[28:29], exec
	s_and_b64 s[24:25], s[24:25], exec
	s_or_b64 s[28:29], s[28:29], s[24:25]
.LBB112_114:                            ;   in Loop: Header=BB112_20 Depth=1
	s_or_b64 exec, exec, s[22:23]
	s_mov_b64 s[22:23], 0
	s_mov_b64 s[24:25], -1
.LBB112_115:                            ;   in Loop: Header=BB112_20 Depth=1
	s_orn2_b64 s[28:29], s[28:29], exec
.LBB112_116:                            ;   in Loop: Header=BB112_20 Depth=1
	s_or_b64 exec, exec, s[2:3]
	s_andn2_b64 s[2:3], s[96:97], exec
	s_and_b64 s[24:25], s[24:25], exec
	s_or_b64 s[96:97], s[2:3], s[24:25]
	s_andn2_b64 s[2:3], s[94:95], exec
	s_and_b64 s[22:23], s[22:23], exec
	v_readfirstlane_b32 s30, v0
	v_readfirstlane_b32 s31, v0
	s_andn2_b64 s[92:93], s[92:93], exec
	s_or_b64 s[94:95], s[2:3], s[22:23]
                                        ; implicit-def: $vgpr9
	s_and_saveexec_b64 s[2:3], s[28:29]
	s_cbranch_execz .LBB112_19
; %bb.117:                              ;   in Loop: Header=BB112_20 Depth=1
	s_xor_b64 s[22:23], s[20:21], -1
	s_mov_b64 s[20:21], 0
	v_mov_b32_e32 v9, 1
	v_mov_b32_e32 v8, 1
	s_and_saveexec_b64 s[18:19], s[22:23]
	s_cbranch_execz .LBB112_126
; %bb.118:                              ;   in Loop: Header=BB112_20 Depth=1
	v_cmp_ge_u32_e32 vcc, s15, v47
	s_and_saveexec_b64 s[20:21], vcc
	s_xor_b64 s[20:21], exec, s[20:21]
	s_cbranch_execz .LBB112_123
; %bb.119:                              ;   in Loop: Header=BB112_20 Depth=1
	ds_read_b32 v2, v19 offset:4104
	v_and_b32_e32 v27, s27, v27
	v_and_b32_e32 v26, s26, v26
	v_or_b32_e32 v29, s1, v29
	v_or_b32_e32 v28, s0, v28
	s_waitcnt lgkmcnt(0)
	v_cmp_ne_u32_e32 vcc, 0, v2
	s_cbranch_vccnz .LBB112_123
; %bb.120:                              ;   in Loop: Header=BB112_20 Depth=1
	s_and_saveexec_b64 s[22:23], s[16:17]
; %bb.121:                              ;   in Loop: Header=BB112_20 Depth=1
	v_mov_b32_e32 v2, s15
	ds_write_b32 v19, v2 offset:4108
; %bb.122:                              ;   in Loop: Header=BB112_20 Depth=1
	s_or_b64 exec, exec, s[22:23]
	s_waitcnt lgkmcnt(0)
	s_barrier
.LBB112_123:                            ;   in Loop: Header=BB112_20 Depth=1
	s_or_saveexec_b64 s[20:21], s[20:21]
	s_mov_b64 s[22:23], 0
	v_mov_b32_e32 v8, 8
	s_xor_b64 exec, exec, s[20:21]
; %bb.124:                              ;   in Loop: Header=BB112_20 Depth=1
	s_mov_b64 s[22:23], exec
	v_subrev_u32_e32 v47, s15, v47
	v_mov_b32_e32 v8, 0
; %bb.125:                              ;   in Loop: Header=BB112_20 Depth=1
	s_or_b64 exec, exec, s[20:21]
	s_and_b64 s[20:21], s[22:23], exec
	v_mov_b32_e32 v9, v47
.LBB112_126:                            ;   in Loop: Header=BB112_20 Depth=1
	s_or_b64 exec, exec, s[18:19]
	s_mov_b64 s[18:19], -1
	s_mov_b64 s[28:29], -1
                                        ; implicit-def: $sgpr22_sgpr23
                                        ; implicit-def: $sgpr24_sgpr25
	s_and_saveexec_b64 s[30:31], s[20:21]
	s_xor_b64 s[20:21], exec, s[30:31]
	s_cbranch_execz .LBB112_249
; %bb.127:                              ;   in Loop: Header=BB112_20 Depth=1
	s_cmp_eq_u32 s14, 1
	s_cselect_b64 s[22:23], -1, 0
	v_cmp_eq_u32_e32 vcc, 1, v9
	s_and_b64 s[30:31], s[22:23], vcc
	s_mov_b64 s[34:35], -1
                                        ; implicit-def: $sgpr24_sgpr25
                                        ; implicit-def: $sgpr22_sgpr23
	s_and_saveexec_b64 s[28:29], s[30:31]
	s_cbranch_execz .LBB112_155
; %bb.128:                              ;   in Loop: Header=BB112_20 Depth=1
	ds_read_b32 v2, v19 offset:4104
	s_waitcnt lgkmcnt(0)
	s_barrier
	v_readfirstlane_b32 s15, v2
	s_and_saveexec_b64 s[22:23], s[6:7]
; %bb.129:                              ;   in Loop: Header=BB112_20 Depth=1
	ds_write_b64 v36, v[50:51]
; %bb.130:                              ;   in Loop: Header=BB112_20 Depth=1
	s_or_b64 exec, exec, s[22:23]
	s_lshl_b64 s[22:23], 1, s76
	v_and_b32_e32 v2, s27, v27
	v_and_b32_e32 v4, s26, v26
	v_or_b32_e32 v27, s23, v2
	v_or_b32_e32 v26, s22, v4
	;; [unrolled: 1-line block ×4, first 2 shown]
	s_mov_b64 s[22:23], -1
	s_mov_b64 s[24:25], 0
	s_cmp_eq_u32 s15, 0
	s_mov_b64 s[34:35], 0
	s_mov_b64 s[36:37], -1
	s_waitcnt lgkmcnt(0)
	s_barrier
                                        ; implicit-def: $vgpr6_vgpr7
	s_cbranch_scc1 .LBB112_142
; %bb.131:                              ;   in Loop: Header=BB112_20 Depth=1
	s_add_i32 s34, s15, s78
	s_mul_hi_u32 s35, s34, s80
	s_mul_i32 s35, s35, s59
	s_sub_i32 s35, s34, s35
	s_sub_i32 s36, s35, s59
	s_cmp_ge_u32 s35, s59
	s_cselect_b32 s35, s36, s35
	s_sub_i32 s36, s35, s59
	s_cmp_ge_u32 s35, s59
	s_cselect_b32 s35, s36, s35
	s_sub_i32 s46, s34, s35
	v_cmp_gt_u32_e32 vcc, s46, v0
	s_mov_b64 s[36:37], 0
	s_mov_b64 s[34:35], 0
                                        ; implicit-def: $vgpr6_vgpr7
	s_and_saveexec_b64 s[38:39], vcc
	s_cbranch_execz .LBB112_141
; %bb.132:                              ;   in Loop: Header=BB112_20 Depth=1
	v_mov_b32_e32 v10, v35
	v_mov_b32_e32 v11, v0
                                        ; implicit-def: $sgpr40_sgpr41
	s_branch .LBB112_136
.LBB112_133:                            ;   in Loop: Header=BB112_136 Depth=2
	s_or_b64 exec, exec, s[42:43]
	s_waitcnt lgkmcnt(0)
	s_barrier
	ds_read_b128 v[4:7], v19 offset:3072
	s_waitcnt lgkmcnt(0)
	s_barrier
	v_cmp_neq_f64_e32 vcc, 0, v[4:5]
	s_cbranch_vccnz .LBB112_139
; %bb.134:                              ;   in Loop: Header=BB112_136 Depth=2
	v_add_u32_e32 v11, s59, v11
	v_cmp_le_u32_e32 vcc, s46, v11
	v_add_u32_e32 v10, s79, v10
	s_mov_b64 s[42:43], 0
	s_orn2_b64 s[44:45], vcc, exec
.LBB112_135:                            ;   in Loop: Header=BB112_136 Depth=2
	s_and_b64 s[44:45], exec, s[44:45]
	s_or_b64 s[34:35], s[44:45], s[34:35]
	s_andn2_b64 s[40:41], s[40:41], exec
	s_and_b64 s[42:43], s[42:43], exec
	s_or_b64 s[40:41], s[40:41], s[42:43]
	s_andn2_b64 exec, exec, s[34:35]
	s_cbranch_execz .LBB112_140
.LBB112_136:                            ;   Parent Loop BB112_20 Depth=1
                                        ; =>  This Inner Loop Header: Depth=2
	v_cmp_gt_u32_e32 vcc, s15, v11
	s_and_saveexec_b64 s[42:43], vcc
	s_cbranch_execz .LBB112_133
; %bb.137:                              ;   in Loop: Header=BB112_136 Depth=2
	ds_read_b64 v[4:5], v10
	s_waitcnt lgkmcnt(0)
	v_ashrrev_i32_e32 v2, 31, v5
	v_or_b32_e32 v6, 0x80000000, v2
	v_xor_b32_e32 v2, v2, v4
	v_xor_b32_e32 v6, v6, v5
	v_cmp_o_f64_e32 vcc, v[4:5], v[4:5]
	s_nop 1
	v_cndmask_b32_e32 v2, -1, v2, vcc
	v_cndmask_b32_e32 v6, -1, v6, vcc
	v_and_b32_e32 v7, v6, v29
	v_and_b32_e32 v6, v2, v28
	v_cmp_eq_u64_e32 vcc, v[6:7], v[26:27]
	s_and_b64 exec, exec, vcc
	s_cbranch_execz .LBB112_133
; %bb.138:                              ;   in Loop: Header=BB112_136 Depth=2
	v_mov_b32_e32 v2, v19
	ds_write_b128 v19, v[2:5] offset:3072
	s_branch .LBB112_133
.LBB112_139:                            ;   in Loop: Header=BB112_136 Depth=2
	s_mov_b64 s[44:45], -1
                                        ; implicit-def: $vgpr11
                                        ; implicit-def: $vgpr10
	s_mov_b64 s[42:43], -1
	s_branch .LBB112_135
.LBB112_140:                            ;   in Loop: Header=BB112_20 Depth=1
	s_or_b64 exec, exec, s[34:35]
	s_and_b64 s[34:35], s[40:41], exec
.LBB112_141:                            ;   in Loop: Header=BB112_20 Depth=1
	s_or_b64 exec, exec, s[38:39]
.LBB112_142:                            ;   in Loop: Header=BB112_20 Depth=1
	s_and_b64 vcc, exec, s[36:37]
	s_cbranch_vccz .LBB112_154
; %bb.143:                              ;   in Loop: Header=BB112_20 Depth=1
                                        ; implicit-def: $vgpr6_vgpr7
	s_and_saveexec_b64 s[22:23], s[12:13]
	s_cbranch_execz .LBB112_153
; %bb.144:                              ;   in Loop: Header=BB112_20 Depth=1
	s_mov_b64 s[24:25], 0
	v_mov_b32_e32 v18, v16
	v_mov_b32_e32 v10, v0
                                        ; implicit-def: $sgpr36_sgpr37
	s_branch .LBB112_148
.LBB112_145:                            ;   in Loop: Header=BB112_148 Depth=2
	s_or_b64 exec, exec, s[38:39]
	s_waitcnt lgkmcnt(0)
	s_barrier
	ds_read_b128 v[4:7], v19 offset:3072
	s_waitcnt lgkmcnt(0)
	s_barrier
	v_cmp_eq_f64_e32 vcc, 0, v[4:5]
	s_cbranch_vccz .LBB112_151
; %bb.146:                              ;   in Loop: Header=BB112_148 Depth=2
	v_add_u32_e32 v10, s59, v10
	v_cmp_le_u32_e32 vcc, s81, v10
	v_add_u32_e32 v18, s57, v18
	s_mov_b64 s[38:39], 0
	s_orn2_b64 s[40:41], vcc, exec
.LBB112_147:                            ;   in Loop: Header=BB112_148 Depth=2
	s_and_b64 s[40:41], exec, s[40:41]
	s_or_b64 s[24:25], s[40:41], s[24:25]
	s_andn2_b64 s[36:37], s[36:37], exec
	s_and_b64 s[38:39], s[38:39], exec
	s_or_b64 s[36:37], s[36:37], s[38:39]
	s_andn2_b64 exec, exec, s[24:25]
	s_cbranch_execz .LBB112_152
.LBB112_148:                            ;   Parent Loop BB112_20 Depth=1
                                        ; =>  This Inner Loop Header: Depth=2
	v_cmp_gt_u32_e32 vcc, s56, v10
	s_and_saveexec_b64 s[38:39], vcc
	s_cbranch_execz .LBB112_145
; %bb.149:                              ;   in Loop: Header=BB112_148 Depth=2
	v_lshl_add_u64 v[4:5], v[18:19], 3, s[62:63]
	global_load_dwordx2 v[4:5], v[4:5], off
	s_waitcnt vmcnt(0)
	v_ashrrev_i32_e32 v2, 31, v5
	v_or_b32_e32 v6, 0x80000000, v2
	v_xor_b32_e32 v2, v2, v4
	v_xor_b32_e32 v6, v6, v5
	v_cmp_o_f64_e32 vcc, v[4:5], v[4:5]
	s_nop 1
	v_cndmask_b32_e32 v2, -1, v2, vcc
	v_cndmask_b32_e32 v6, -1, v6, vcc
	v_and_b32_e32 v7, v6, v29
	v_and_b32_e32 v6, v2, v28
	v_cmp_eq_u64_e32 vcc, v[6:7], v[26:27]
	s_and_b64 exec, exec, vcc
	s_cbranch_execz .LBB112_145
; %bb.150:                              ;   in Loop: Header=BB112_148 Depth=2
	v_mov_b32_e32 v2, v19
	ds_write_b128 v19, v[2:5] offset:3072
	s_branch .LBB112_145
.LBB112_151:                            ;   in Loop: Header=BB112_148 Depth=2
	s_mov_b64 s[40:41], -1
                                        ; implicit-def: $vgpr10
	s_mov_b64 s[38:39], -1
	s_branch .LBB112_147
.LBB112_152:                            ;   in Loop: Header=BB112_20 Depth=1
	s_or_b64 exec, exec, s[24:25]
	s_andn2_b64 s[24:25], s[34:35], exec
	s_and_b64 s[34:35], s[36:37], exec
	s_or_b64 s[34:35], s[24:25], s[34:35]
.LBB112_153:                            ;   in Loop: Header=BB112_20 Depth=1
	s_or_b64 exec, exec, s[22:23]
	s_mov_b64 s[22:23], 0
	s_mov_b64 s[24:25], -1
.LBB112_154:                            ;   in Loop: Header=BB112_20 Depth=1
	s_orn2_b64 s[34:35], s[34:35], exec
.LBB112_155:                            ;   in Loop: Header=BB112_20 Depth=1
	s_or_b64 exec, exec, s[28:29]
	s_mov_b64 s[36:37], 0
	s_and_saveexec_b64 s[28:29], s[34:35]
	s_cbranch_execz .LBB112_248
; %bb.156:                              ;   in Loop: Header=BB112_20 Depth=1
	s_xor_b64 s[34:35], s[30:31], -1
	s_mov_b64 s[40:41], 0
	v_mov_b32_e32 v10, 1
	v_mov_b32_e32 v8, 1
	s_and_saveexec_b64 s[30:31], s[34:35]
	s_cbranch_execz .LBB112_165
; %bb.157:                              ;   in Loop: Header=BB112_20 Depth=1
	v_cmp_ge_u32_e32 vcc, s14, v9
	s_and_saveexec_b64 s[34:35], vcc
	s_xor_b64 s[34:35], exec, s[34:35]
	s_cbranch_execz .LBB112_162
; %bb.158:                              ;   in Loop: Header=BB112_20 Depth=1
	ds_read_b32 v4, v19 offset:4104
	s_lshl_b64 s[36:37], 1, s76
	v_and_b32_e32 v2, s27, v27
	v_and_b32_e32 v5, s26, v26
	v_or_b32_e32 v27, s37, v2
	s_waitcnt lgkmcnt(0)
	v_cmp_ne_u32_e32 vcc, 0, v4
	v_or_b32_e32 v26, s36, v5
	v_or_b32_e32 v29, s1, v29
	v_or_b32_e32 v28, s0, v28
	s_cbranch_vccnz .LBB112_162
; %bb.159:                              ;   in Loop: Header=BB112_20 Depth=1
	s_and_saveexec_b64 s[36:37], s[16:17]
; %bb.160:                              ;   in Loop: Header=BB112_20 Depth=1
	v_mov_b32_e32 v2, s14
	ds_write_b32 v19, v2 offset:4108
; %bb.161:                              ;   in Loop: Header=BB112_20 Depth=1
	s_or_b64 exec, exec, s[36:37]
	s_waitcnt lgkmcnt(0)
	s_barrier
.LBB112_162:                            ;   in Loop: Header=BB112_20 Depth=1
	s_or_saveexec_b64 s[34:35], s[34:35]
	s_mov_b64 s[36:37], 0
	v_mov_b32_e32 v8, 8
	s_xor_b64 exec, exec, s[34:35]
; %bb.163:                              ;   in Loop: Header=BB112_20 Depth=1
	s_mov_b64 s[36:37], exec
	v_subrev_u32_e32 v9, s14, v9
	v_mov_b32_e32 v8, 0
; %bb.164:                              ;   in Loop: Header=BB112_20 Depth=1
	s_or_b64 exec, exec, s[34:35]
	s_and_b64 s[40:41], s[36:37], exec
	v_mov_b32_e32 v10, v9
.LBB112_165:                            ;   in Loop: Header=BB112_20 Depth=1
	s_or_b64 exec, exec, s[30:31]
	s_mov_b64 s[38:39], -1
                                        ; implicit-def: $sgpr34_sgpr35
                                        ; implicit-def: $sgpr36_sgpr37
	s_and_saveexec_b64 s[30:31], s[40:41]
	s_cbranch_execz .LBB112_247
; %bb.166:                              ;   in Loop: Header=BB112_20 Depth=1
	s_cmp_eq_u32 s54, 1
	s_cselect_b64 s[14:15], -1, 0
	v_cmp_eq_u32_e32 vcc, 1, v10
	s_and_b64 s[40:41], s[14:15], vcc
	s_mov_b64 s[42:43], -1
                                        ; implicit-def: $sgpr36_sgpr37
                                        ; implicit-def: $sgpr34_sgpr35
	s_and_saveexec_b64 s[38:39], s[40:41]
	s_cbranch_execz .LBB112_194
; %bb.167:                              ;   in Loop: Header=BB112_20 Depth=1
	ds_read_b32 v2, v19 offset:4104
	s_waitcnt lgkmcnt(0)
	s_barrier
	v_readfirstlane_b32 s14, v2
	s_and_saveexec_b64 s[34:35], s[6:7]
; %bb.168:                              ;   in Loop: Header=BB112_20 Depth=1
	ds_write_b64 v36, v[50:51]
; %bb.169:                              ;   in Loop: Header=BB112_20 Depth=1
	s_or_b64 exec, exec, s[34:35]
	s_lshl_b64 s[34:35], 2, s76
	v_and_b32_e32 v2, s27, v27
	v_and_b32_e32 v4, s26, v26
	v_or_b32_e32 v27, s35, v2
	v_or_b32_e32 v26, s34, v4
	v_or_b32_e32 v29, s1, v29
	v_or_b32_e32 v28, s0, v28
	s_mov_b64 s[34:35], -1
	s_mov_b64 s[36:37], 0
	s_cmp_eq_u32 s14, 0
	s_mov_b64 s[42:43], 0
	s_mov_b64 s[44:45], -1
	s_waitcnt lgkmcnt(0)
	s_barrier
                                        ; implicit-def: $vgpr6_vgpr7
	s_cbranch_scc1 .LBB112_181
; %bb.170:                              ;   in Loop: Header=BB112_20 Depth=1
	s_add_i32 s15, s14, s78
	s_mul_hi_u32 s42, s15, s80
	s_mul_i32 s42, s42, s59
	s_sub_i32 s42, s15, s42
	s_sub_i32 s43, s42, s59
	s_cmp_ge_u32 s42, s59
	s_cselect_b32 s42, s43, s42
	s_sub_i32 s43, s42, s59
	s_cmp_ge_u32 s42, s59
	s_cselect_b32 s42, s43, s42
	s_sub_i32 s15, s15, s42
	v_cmp_gt_u32_e32 vcc, s15, v0
	s_mov_b64 s[44:45], 0
	s_mov_b64 s[42:43], 0
                                        ; implicit-def: $vgpr6_vgpr7
	s_and_saveexec_b64 s[46:47], vcc
	s_cbranch_execz .LBB112_180
; %bb.171:                              ;   in Loop: Header=BB112_20 Depth=1
	v_mov_b32_e32 v9, v35
	v_mov_b32_e32 v11, v0
                                        ; implicit-def: $sgpr48_sgpr49
	s_branch .LBB112_175
.LBB112_172:                            ;   in Loop: Header=BB112_175 Depth=2
	s_or_b64 exec, exec, s[50:51]
	s_waitcnt lgkmcnt(0)
	s_barrier
	ds_read_b128 v[4:7], v19 offset:3072
	s_waitcnt lgkmcnt(0)
	s_barrier
	v_cmp_neq_f64_e32 vcc, 0, v[4:5]
	s_cbranch_vccnz .LBB112_178
; %bb.173:                              ;   in Loop: Header=BB112_175 Depth=2
	v_add_u32_e32 v11, s59, v11
	v_cmp_le_u32_e32 vcc, s15, v11
	v_add_u32_e32 v9, s79, v9
	s_mov_b64 s[50:51], 0
	s_orn2_b64 s[52:53], vcc, exec
.LBB112_174:                            ;   in Loop: Header=BB112_175 Depth=2
	s_and_b64 s[52:53], exec, s[52:53]
	s_or_b64 s[42:43], s[52:53], s[42:43]
	s_andn2_b64 s[48:49], s[48:49], exec
	s_and_b64 s[50:51], s[50:51], exec
	s_or_b64 s[48:49], s[48:49], s[50:51]
	s_andn2_b64 exec, exec, s[42:43]
	s_cbranch_execz .LBB112_179
.LBB112_175:                            ;   Parent Loop BB112_20 Depth=1
                                        ; =>  This Inner Loop Header: Depth=2
	v_cmp_gt_u32_e32 vcc, s14, v11
	s_and_saveexec_b64 s[50:51], vcc
	s_cbranch_execz .LBB112_172
; %bb.176:                              ;   in Loop: Header=BB112_175 Depth=2
	ds_read_b64 v[4:5], v9
	s_waitcnt lgkmcnt(0)
	v_ashrrev_i32_e32 v2, 31, v5
	v_or_b32_e32 v6, 0x80000000, v2
	v_xor_b32_e32 v2, v2, v4
	v_xor_b32_e32 v6, v6, v5
	v_cmp_o_f64_e32 vcc, v[4:5], v[4:5]
	s_nop 1
	v_cndmask_b32_e32 v2, -1, v2, vcc
	v_cndmask_b32_e32 v6, -1, v6, vcc
	v_and_b32_e32 v7, v6, v29
	v_and_b32_e32 v6, v2, v28
	v_cmp_eq_u64_e32 vcc, v[6:7], v[26:27]
	s_and_b64 exec, exec, vcc
	s_cbranch_execz .LBB112_172
; %bb.177:                              ;   in Loop: Header=BB112_175 Depth=2
	v_mov_b32_e32 v2, v19
	ds_write_b128 v19, v[2:5] offset:3072
	s_branch .LBB112_172
.LBB112_178:                            ;   in Loop: Header=BB112_175 Depth=2
	s_mov_b64 s[52:53], -1
                                        ; implicit-def: $vgpr11
                                        ; implicit-def: $vgpr9
	s_mov_b64 s[50:51], -1
	s_branch .LBB112_174
.LBB112_179:                            ;   in Loop: Header=BB112_20 Depth=1
	s_or_b64 exec, exec, s[42:43]
	s_and_b64 s[42:43], s[48:49], exec
.LBB112_180:                            ;   in Loop: Header=BB112_20 Depth=1
	s_or_b64 exec, exec, s[46:47]
.LBB112_181:                            ;   in Loop: Header=BB112_20 Depth=1
	s_and_b64 vcc, exec, s[44:45]
	s_cbranch_vccz .LBB112_193
; %bb.182:                              ;   in Loop: Header=BB112_20 Depth=1
                                        ; implicit-def: $vgpr6_vgpr7
	s_and_saveexec_b64 s[34:35], s[12:13]
	s_cbranch_execz .LBB112_192
; %bb.183:                              ;   in Loop: Header=BB112_20 Depth=1
	s_mov_b64 s[36:37], 0
	v_mov_b32_e32 v18, v16
	v_mov_b32_e32 v9, v0
                                        ; implicit-def: $sgpr44_sgpr45
	s_branch .LBB112_187
.LBB112_184:                            ;   in Loop: Header=BB112_187 Depth=2
	s_or_b64 exec, exec, s[46:47]
	s_waitcnt lgkmcnt(0)
	s_barrier
	ds_read_b128 v[4:7], v19 offset:3072
	s_waitcnt lgkmcnt(0)
	s_barrier
	v_cmp_eq_f64_e32 vcc, 0, v[4:5]
	s_cbranch_vccz .LBB112_190
; %bb.185:                              ;   in Loop: Header=BB112_187 Depth=2
	v_add_u32_e32 v9, s59, v9
	v_cmp_le_u32_e32 vcc, s81, v9
	v_add_u32_e32 v18, s57, v18
	s_mov_b64 s[46:47], 0
	s_orn2_b64 s[48:49], vcc, exec
.LBB112_186:                            ;   in Loop: Header=BB112_187 Depth=2
	s_and_b64 s[14:15], exec, s[48:49]
	s_or_b64 s[36:37], s[14:15], s[36:37]
	s_andn2_b64 s[14:15], s[44:45], exec
	s_and_b64 s[44:45], s[46:47], exec
	s_or_b64 s[44:45], s[14:15], s[44:45]
	s_andn2_b64 exec, exec, s[36:37]
	s_cbranch_execz .LBB112_191
.LBB112_187:                            ;   Parent Loop BB112_20 Depth=1
                                        ; =>  This Inner Loop Header: Depth=2
	v_cmp_gt_u32_e32 vcc, s56, v9
	s_and_saveexec_b64 s[46:47], vcc
	s_cbranch_execz .LBB112_184
; %bb.188:                              ;   in Loop: Header=BB112_187 Depth=2
	v_lshl_add_u64 v[4:5], v[18:19], 3, s[62:63]
	global_load_dwordx2 v[4:5], v[4:5], off
	s_waitcnt vmcnt(0)
	v_ashrrev_i32_e32 v2, 31, v5
	v_or_b32_e32 v6, 0x80000000, v2
	v_xor_b32_e32 v2, v2, v4
	v_xor_b32_e32 v6, v6, v5
	v_cmp_o_f64_e32 vcc, v[4:5], v[4:5]
	s_nop 1
	v_cndmask_b32_e32 v2, -1, v2, vcc
	v_cndmask_b32_e32 v6, -1, v6, vcc
	v_and_b32_e32 v7, v6, v29
	v_and_b32_e32 v6, v2, v28
	v_cmp_eq_u64_e32 vcc, v[6:7], v[26:27]
	s_and_b64 exec, exec, vcc
	s_cbranch_execz .LBB112_184
; %bb.189:                              ;   in Loop: Header=BB112_187 Depth=2
	v_mov_b32_e32 v2, v19
	ds_write_b128 v19, v[2:5] offset:3072
	s_branch .LBB112_184
.LBB112_190:                            ;   in Loop: Header=BB112_187 Depth=2
	s_mov_b64 s[48:49], -1
                                        ; implicit-def: $vgpr9
	s_mov_b64 s[46:47], -1
	s_branch .LBB112_186
.LBB112_191:                            ;   in Loop: Header=BB112_20 Depth=1
	s_or_b64 exec, exec, s[36:37]
	s_andn2_b64 s[14:15], s[42:43], exec
	s_and_b64 s[36:37], s[44:45], exec
	s_or_b64 s[42:43], s[14:15], s[36:37]
.LBB112_192:                            ;   in Loop: Header=BB112_20 Depth=1
	s_or_b64 exec, exec, s[34:35]
	s_mov_b64 s[34:35], 0
	s_mov_b64 s[36:37], -1
.LBB112_193:                            ;   in Loop: Header=BB112_20 Depth=1
	s_orn2_b64 s[42:43], s[42:43], exec
.LBB112_194:                            ;   in Loop: Header=BB112_20 Depth=1
	s_or_b64 exec, exec, s[38:39]
	s_mov_b64 s[44:45], 0
	s_and_saveexec_b64 s[38:39], s[42:43]
	s_cbranch_execz .LBB112_246
; %bb.195:                              ;   in Loop: Header=BB112_20 Depth=1
	s_xor_b64 s[14:15], s[40:41], -1
	s_mov_b64 s[46:47], 0
	v_mov_b32_e32 v9, 1
	v_mov_b32_e32 v8, 1
	s_and_saveexec_b64 s[40:41], s[14:15]
	s_cbranch_execz .LBB112_204
; %bb.196:                              ;   in Loop: Header=BB112_20 Depth=1
	v_cmp_ge_u32_e32 vcc, s54, v10
	s_and_saveexec_b64 s[14:15], vcc
	s_xor_b64 s[42:43], exec, s[14:15]
	s_cbranch_execz .LBB112_201
; %bb.197:                              ;   in Loop: Header=BB112_20 Depth=1
	ds_read_b32 v4, v19 offset:4104
	s_lshl_b64 s[14:15], 2, s76
	v_and_b32_e32 v2, s27, v27
	v_and_b32_e32 v5, s26, v26
	v_or_b32_e32 v27, s15, v2
	s_waitcnt lgkmcnt(0)
	v_cmp_ne_u32_e32 vcc, 0, v4
	v_or_b32_e32 v26, s14, v5
	v_or_b32_e32 v29, s1, v29
	;; [unrolled: 1-line block ×3, first 2 shown]
	s_cbranch_vccnz .LBB112_201
; %bb.198:                              ;   in Loop: Header=BB112_20 Depth=1
	s_and_saveexec_b64 s[26:27], s[16:17]
; %bb.199:                              ;   in Loop: Header=BB112_20 Depth=1
	v_mov_b32_e32 v2, s54
	ds_write_b32 v19, v2 offset:4108
; %bb.200:                              ;   in Loop: Header=BB112_20 Depth=1
	s_or_b64 exec, exec, s[26:27]
	s_waitcnt lgkmcnt(0)
	s_barrier
.LBB112_201:                            ;   in Loop: Header=BB112_20 Depth=1
	s_or_saveexec_b64 s[26:27], s[42:43]
	s_mov_b64 s[42:43], 0
	v_mov_b32_e32 v8, 8
	s_xor_b64 exec, exec, s[26:27]
; %bb.202:                              ;   in Loop: Header=BB112_20 Depth=1
	s_mov_b64 s[42:43], exec
	v_subrev_u32_e32 v10, s54, v10
	v_mov_b32_e32 v8, 0
; %bb.203:                              ;   in Loop: Header=BB112_20 Depth=1
	s_or_b64 exec, exec, s[26:27]
	s_and_b64 s[46:47], s[42:43], exec
	v_mov_b32_e32 v9, v10
.LBB112_204:                            ;   in Loop: Header=BB112_20 Depth=1
	s_or_b64 exec, exec, s[40:41]
	s_mov_b64 s[40:41], -1
                                        ; implicit-def: $sgpr44_sgpr45
                                        ; implicit-def: $sgpr42_sgpr43
	s_and_saveexec_b64 s[26:27], s[46:47]
	s_cbranch_execz .LBB112_245
; %bb.205:                              ;   in Loop: Header=BB112_20 Depth=1
	s_cmp_eq_u32 s66, 1
	s_cselect_b64 s[14:15], -1, 0
	v_cmp_eq_u32_e32 vcc, 1, v9
	s_and_b64 s[40:41], s[14:15], vcc
	s_mov_b64 s[48:49], -1
                                        ; implicit-def: $sgpr44_sgpr45
                                        ; implicit-def: $sgpr42_sgpr43
	s_and_saveexec_b64 s[46:47], s[40:41]
	s_cbranch_execz .LBB112_233
; %bb.206:                              ;   in Loop: Header=BB112_20 Depth=1
	ds_read_b32 v2, v19 offset:4104
	s_waitcnt lgkmcnt(0)
	s_barrier
	v_readfirstlane_b32 s14, v2
	s_and_saveexec_b64 s[42:43], s[6:7]
; %bb.207:                              ;   in Loop: Header=BB112_20 Depth=1
	ds_write_b64 v36, v[50:51]
; %bb.208:                              ;   in Loop: Header=BB112_20 Depth=1
	s_or_b64 exec, exec, s[42:43]
	v_or_b32_e32 v27, s1, v27
	v_or_b32_e32 v26, s0, v26
	;; [unrolled: 1-line block ×4, first 2 shown]
	s_mov_b64 s[42:43], -1
	s_mov_b64 s[44:45], 0
	s_cmp_eq_u32 s14, 0
	s_mov_b64 s[48:49], 0
	s_mov_b64 s[50:51], -1
	s_waitcnt lgkmcnt(0)
	s_barrier
                                        ; implicit-def: $vgpr6_vgpr7
	s_cbranch_scc1 .LBB112_220
; %bb.209:                              ;   in Loop: Header=BB112_20 Depth=1
	s_add_i32 s15, s14, s78
	s_mul_hi_u32 s48, s15, s80
	s_mul_i32 s48, s48, s59
	s_sub_i32 s48, s15, s48
	s_sub_i32 s49, s48, s59
	s_cmp_ge_u32 s48, s59
	s_cselect_b32 s48, s49, s48
	s_sub_i32 s49, s48, s59
	s_cmp_ge_u32 s48, s59
	s_cselect_b32 s48, s49, s48
	s_sub_i32 s15, s15, s48
	v_cmp_gt_u32_e32 vcc, s15, v0
	s_mov_b64 s[50:51], 0
	s_mov_b64 s[48:49], 0
                                        ; implicit-def: $vgpr6_vgpr7
	s_and_saveexec_b64 s[52:53], vcc
	s_cbranch_execz .LBB112_219
; %bb.210:                              ;   in Loop: Header=BB112_20 Depth=1
	v_mov_b32_e32 v10, v35
	v_mov_b32_e32 v11, v0
                                        ; implicit-def: $sgpr54_sgpr55
	s_branch .LBB112_214
.LBB112_211:                            ;   in Loop: Header=BB112_214 Depth=2
	s_or_b64 exec, exec, s[60:61]
	s_waitcnt lgkmcnt(0)
	s_barrier
	ds_read_b128 v[4:7], v19 offset:3072
	s_waitcnt lgkmcnt(0)
	s_barrier
	v_cmp_neq_f64_e32 vcc, 0, v[4:5]
	s_cbranch_vccnz .LBB112_217
; %bb.212:                              ;   in Loop: Header=BB112_214 Depth=2
	v_add_u32_e32 v11, s59, v11
	v_cmp_le_u32_e32 vcc, s15, v11
	v_add_u32_e32 v10, s79, v10
	s_mov_b64 s[60:61], 0
	s_orn2_b64 s[64:65], vcc, exec
.LBB112_213:                            ;   in Loop: Header=BB112_214 Depth=2
	s_and_b64 s[64:65], exec, s[64:65]
	s_or_b64 s[48:49], s[64:65], s[48:49]
	s_andn2_b64 s[54:55], s[54:55], exec
	s_and_b64 s[60:61], s[60:61], exec
	s_or_b64 s[54:55], s[54:55], s[60:61]
	s_andn2_b64 exec, exec, s[48:49]
	s_cbranch_execz .LBB112_218
.LBB112_214:                            ;   Parent Loop BB112_20 Depth=1
                                        ; =>  This Inner Loop Header: Depth=2
	v_cmp_gt_u32_e32 vcc, s14, v11
	s_and_saveexec_b64 s[60:61], vcc
	s_cbranch_execz .LBB112_211
; %bb.215:                              ;   in Loop: Header=BB112_214 Depth=2
	ds_read_b64 v[4:5], v10
	s_waitcnt lgkmcnt(0)
	v_ashrrev_i32_e32 v2, 31, v5
	v_or_b32_e32 v6, 0x80000000, v2
	v_xor_b32_e32 v2, v2, v4
	v_xor_b32_e32 v6, v6, v5
	v_cmp_o_f64_e32 vcc, v[4:5], v[4:5]
	s_nop 1
	v_cndmask_b32_e32 v2, -1, v2, vcc
	v_cndmask_b32_e32 v6, -1, v6, vcc
	v_and_b32_e32 v7, v6, v29
	v_and_b32_e32 v6, v2, v28
	v_cmp_eq_u64_e32 vcc, v[6:7], v[26:27]
	s_and_b64 exec, exec, vcc
	s_cbranch_execz .LBB112_211
; %bb.216:                              ;   in Loop: Header=BB112_214 Depth=2
	v_mov_b32_e32 v2, v19
	ds_write_b128 v19, v[2:5] offset:3072
	s_branch .LBB112_211
.LBB112_217:                            ;   in Loop: Header=BB112_214 Depth=2
	s_mov_b64 s[64:65], -1
                                        ; implicit-def: $vgpr11
                                        ; implicit-def: $vgpr10
	s_mov_b64 s[60:61], -1
	s_branch .LBB112_213
.LBB112_218:                            ;   in Loop: Header=BB112_20 Depth=1
	s_or_b64 exec, exec, s[48:49]
	s_and_b64 s[48:49], s[54:55], exec
.LBB112_219:                            ;   in Loop: Header=BB112_20 Depth=1
	s_or_b64 exec, exec, s[52:53]
.LBB112_220:                            ;   in Loop: Header=BB112_20 Depth=1
	s_and_b64 vcc, exec, s[50:51]
	s_cbranch_vccz .LBB112_232
; %bb.221:                              ;   in Loop: Header=BB112_20 Depth=1
                                        ; implicit-def: $vgpr6_vgpr7
	s_and_saveexec_b64 s[42:43], s[12:13]
	s_cbranch_execz .LBB112_231
; %bb.222:                              ;   in Loop: Header=BB112_20 Depth=1
	s_mov_b64 s[44:45], 0
	v_mov_b32_e32 v18, v16
	v_mov_b32_e32 v10, v0
                                        ; implicit-def: $sgpr50_sgpr51
	s_branch .LBB112_226
.LBB112_223:                            ;   in Loop: Header=BB112_226 Depth=2
	s_or_b64 exec, exec, s[52:53]
	s_waitcnt lgkmcnt(0)
	s_barrier
	ds_read_b128 v[4:7], v19 offset:3072
	s_waitcnt lgkmcnt(0)
	s_barrier
	v_cmp_eq_f64_e32 vcc, 0, v[4:5]
	s_cbranch_vccz .LBB112_229
; %bb.224:                              ;   in Loop: Header=BB112_226 Depth=2
	v_add_u32_e32 v10, s59, v10
	v_cmp_le_u32_e32 vcc, s81, v10
	v_add_u32_e32 v18, s57, v18
	s_mov_b64 s[52:53], 0
	s_orn2_b64 s[54:55], vcc, exec
.LBB112_225:                            ;   in Loop: Header=BB112_226 Depth=2
	s_and_b64 s[14:15], exec, s[54:55]
	s_or_b64 s[44:45], s[14:15], s[44:45]
	s_andn2_b64 s[14:15], s[50:51], exec
	s_and_b64 s[50:51], s[52:53], exec
	s_or_b64 s[50:51], s[14:15], s[50:51]
	s_andn2_b64 exec, exec, s[44:45]
	s_cbranch_execz .LBB112_230
.LBB112_226:                            ;   Parent Loop BB112_20 Depth=1
                                        ; =>  This Inner Loop Header: Depth=2
	v_cmp_gt_u32_e32 vcc, s56, v10
	s_and_saveexec_b64 s[52:53], vcc
	s_cbranch_execz .LBB112_223
; %bb.227:                              ;   in Loop: Header=BB112_226 Depth=2
	v_lshl_add_u64 v[4:5], v[18:19], 3, s[62:63]
	global_load_dwordx2 v[4:5], v[4:5], off
	s_waitcnt vmcnt(0)
	v_ashrrev_i32_e32 v2, 31, v5
	v_or_b32_e32 v6, 0x80000000, v2
	v_xor_b32_e32 v2, v2, v4
	v_xor_b32_e32 v6, v6, v5
	v_cmp_o_f64_e32 vcc, v[4:5], v[4:5]
	s_nop 1
	v_cndmask_b32_e32 v2, -1, v2, vcc
	v_cndmask_b32_e32 v6, -1, v6, vcc
	v_and_b32_e32 v7, v6, v29
	v_and_b32_e32 v6, v2, v28
	v_cmp_eq_u64_e32 vcc, v[6:7], v[26:27]
	s_and_b64 exec, exec, vcc
	s_cbranch_execz .LBB112_223
; %bb.228:                              ;   in Loop: Header=BB112_226 Depth=2
	v_mov_b32_e32 v2, v19
	ds_write_b128 v19, v[2:5] offset:3072
	s_branch .LBB112_223
.LBB112_229:                            ;   in Loop: Header=BB112_226 Depth=2
	s_mov_b64 s[54:55], -1
                                        ; implicit-def: $vgpr10
	s_mov_b64 s[52:53], -1
	s_branch .LBB112_225
.LBB112_230:                            ;   in Loop: Header=BB112_20 Depth=1
	s_or_b64 exec, exec, s[44:45]
	s_andn2_b64 s[14:15], s[48:49], exec
	s_and_b64 s[44:45], s[50:51], exec
	s_or_b64 s[48:49], s[14:15], s[44:45]
.LBB112_231:                            ;   in Loop: Header=BB112_20 Depth=1
	s_or_b64 exec, exec, s[42:43]
	s_mov_b64 s[42:43], 0
	s_mov_b64 s[44:45], -1
.LBB112_232:                            ;   in Loop: Header=BB112_20 Depth=1
	s_orn2_b64 s[48:49], s[48:49], exec
.LBB112_233:                            ;   in Loop: Header=BB112_20 Depth=1
	s_or_b64 exec, exec, s[46:47]
	s_mov_b64 s[50:51], 0
	s_and_saveexec_b64 s[46:47], s[48:49]
	s_cbranch_execz .LBB112_244
; %bb.234:                              ;   in Loop: Header=BB112_20 Depth=1
	s_xor_b64 s[14:15], s[40:41], -1
	v_mov_b32_e32 v8, 1
	v_mov_b32_e32 v2, 1
	s_and_saveexec_b64 s[40:41], s[14:15]
	s_cbranch_execz .LBB112_243
; %bb.235:                              ;   in Loop: Header=BB112_20 Depth=1
	v_cmp_ge_u32_e32 vcc, s66, v9
	s_and_saveexec_b64 s[14:15], vcc
	s_xor_b64 s[48:49], exec, s[14:15]
	s_cbranch_execz .LBB112_240
; %bb.236:                              ;   in Loop: Header=BB112_20 Depth=1
	ds_read_b32 v2, v19 offset:4104
	v_or_b32_e32 v27, s1, v27
	v_or_b32_e32 v26, s0, v26
	;; [unrolled: 1-line block ×4, first 2 shown]
	s_waitcnt lgkmcnt(0)
	v_cmp_ne_u32_e32 vcc, 0, v2
	s_cbranch_vccnz .LBB112_240
; %bb.237:                              ;   in Loop: Header=BB112_20 Depth=1
	s_and_saveexec_b64 s[0:1], s[16:17]
; %bb.238:                              ;   in Loop: Header=BB112_20 Depth=1
	v_mov_b32_e32 v2, s66
	ds_write_b32 v19, v2 offset:4108
; %bb.239:                              ;   in Loop: Header=BB112_20 Depth=1
	s_or_b64 exec, exec, s[0:1]
	s_waitcnt lgkmcnt(0)
	s_barrier
.LBB112_240:                            ;   in Loop: Header=BB112_20 Depth=1
	s_andn2_saveexec_b64 s[0:1], s[48:49]
; %bb.241:                              ;   in Loop: Header=BB112_20 Depth=1
	v_subrev_u32_e32 v9, s66, v9
; %bb.242:                              ;   in Loop: Header=BB112_20 Depth=1
	s_or_b64 exec, exec, s[0:1]
	v_mov_b32_e32 v8, 8
	v_mov_b32_e32 v2, v9
.LBB112_243:                            ;   in Loop: Header=BB112_20 Depth=1
	s_or_b64 exec, exec, s[40:41]
	s_mov_b64 s[50:51], exec
	v_mov_b32_e32 v9, v2
.LBB112_244:                            ;   in Loop: Header=BB112_20 Depth=1
	s_or_b64 exec, exec, s[46:47]
	s_orn2_b64 s[40:41], s[50:51], exec
.LBB112_245:                            ;   in Loop: Header=BB112_20 Depth=1
	s_or_b64 exec, exec, s[26:27]
	s_andn2_b64 s[0:1], s[36:37], exec
	s_and_b64 s[14:15], s[44:45], exec
	s_or_b64 s[36:37], s[0:1], s[14:15]
	s_andn2_b64 s[0:1], s[34:35], exec
	s_and_b64 s[14:15], s[42:43], exec
	s_or_b64 s[34:35], s[0:1], s[14:15]
	s_and_b64 s[44:45], s[40:41], exec
	v_mov_b32_e32 v10, v9
.LBB112_246:                            ;   in Loop: Header=BB112_20 Depth=1
	s_or_b64 exec, exec, s[38:39]
	s_orn2_b64 s[38:39], s[44:45], exec
.LBB112_247:                            ;   in Loop: Header=BB112_20 Depth=1
	s_or_b64 exec, exec, s[30:31]
	s_andn2_b64 s[0:1], s[24:25], exec
	s_and_b64 s[14:15], s[36:37], exec
	s_or_b64 s[24:25], s[0:1], s[14:15]
	s_andn2_b64 s[0:1], s[22:23], exec
	s_and_b64 s[14:15], s[34:35], exec
	s_or_b64 s[22:23], s[0:1], s[14:15]
	s_and_b64 s[36:37], s[38:39], exec
	v_mov_b32_e32 v9, v10
.LBB112_248:                            ;   in Loop: Header=BB112_20 Depth=1
	s_or_b64 exec, exec, s[28:29]
	s_orn2_b64 s[28:29], s[36:37], exec
.LBB112_249:                            ;   in Loop: Header=BB112_20 Depth=1
	s_or_b64 exec, exec, s[20:21]
	s_mov_b64 s[20:21], 0
                                        ; implicit-def: $sgpr30
                                        ; implicit-def: $sgpr31
	s_and_saveexec_b64 s[0:1], s[28:29]
	s_xor_b64 s[0:1], exec, s[0:1]
	s_cbranch_execz .LBB112_18
; %bb.250:                              ;   in Loop: Header=BB112_20 Depth=1
	v_and_b32_e32 v2, 7, v8
	v_cmp_eq_u32_e32 vcc, 0, v2
	s_mov_b64 s[18:19], -1
	s_mov_b64 s[20:21], -1
                                        ; implicit-def: $sgpr30
                                        ; implicit-def: $sgpr31
	s_and_saveexec_b64 s[26:27], vcc
	s_cbranch_execz .LBB112_17
; %bb.251:                              ;   in Loop: Header=BB112_20 Depth=1
	s_xor_b32 s31, s77, 1
	s_add_i32 s30, s76, -2
	s_cmp_eq_u32 s76, 0
	s_cselect_b64 s[14:15], -1, 0
	s_xor_b64 s[20:21], exec, -1
	s_orn2_b64 s[18:19], s[14:15], exec
	s_branch .LBB112_17
.LBB112_252:
	s_or_b64 exec, exec, s[84:85]
	s_xor_b64 s[4:5], s[90:91], -1
	s_xor_b64 s[2:3], s[86:87], -1
	;; [unrolled: 1-line block ×3, first 2 shown]
	s_mov_b64 s[0:1], 0
	s_and_saveexec_b64 s[8:9], s[2:3]
	s_xor_b64 s[2:3], exec, s[8:9]
	s_cbranch_execnz .LBB112_257
; %bb.253:
	s_andn2_saveexec_b64 s[2:3], s[2:3]
	s_cbranch_execnz .LBB112_270
.LBB112_254:
	s_or_b64 exec, exec, s[2:3]
	s_and_saveexec_b64 s[2:3], s[0:1]
.LBB112_255:
	; divergent unreachable
.LBB112_256:
	s_endpgm
.LBB112_257:
	s_and_saveexec_b64 s[0:1], s[4:5]
	s_xor_b64 s[4:5], exec, s[0:1]
	s_cbranch_execz .LBB112_268
; %bb.258:
	s_and_saveexec_b64 s[0:1], s[6:7]
	s_xor_b64 s[0:1], exec, s[0:1]
; %bb.259:
	v_lshrrev_b32_e32 v2, 31, v27
	v_mov_b32_e32 v3, 0
	v_lshl_add_u64 v[2:3], v[2:3], 0, -1
	v_or_b32_e32 v1, 0x80000000, v3
	v_xor_b32_e32 v7, v1, v27
	v_xor_b32_e32 v6, v2, v26
; %bb.260:
	s_or_b64 exec, exec, s[0:1]
	v_readlane_b32 s0, v60, 4
	v_readlane_b32 s1, v60, 8
	s_mul_i32 s0, s1, s0
	s_mov_b32 s1, 0
	s_lshl_b64 s[0:1], s[0:1], 3
	v_readlane_b32 s6, v60, 2
	v_readlane_b32 s7, v60, 3
	s_add_u32 s0, s6, s0
	s_addc_u32 s1, s7, s1
	v_mov_b32_e32 v17, 0
	global_store_dwordx2 v17, v[6:7], s[0:1]
	s_mov_b64 s[6:7], exec
	v_readlane_b32 s0, v60, 5
	v_readlane_b32 s1, v60, 6
	s_and_b64 s[0:1], s[6:7], s[0:1]
	s_mov_b64 exec, s[0:1]
	s_cbranch_execz .LBB112_267
; %bb.261:
	v_cmp_u_f64_e32 vcc, v[6:7], v[6:7]
	s_mov_b64 s[8:9], 0
	s_xor_b64 s[12:13], vcc, -1
                                        ; implicit-def: $sgpr10_sgpr11
                                        ; implicit-def: $sgpr16_sgpr17
                                        ; implicit-def: $sgpr14_sgpr15
	s_branch .LBB112_263
.LBB112_262:                            ;   in Loop: Header=BB112_263 Depth=1
	s_or_b64 exec, exec, s[0:1]
	s_and_b64 s[0:1], exec, s[16:17]
	s_or_b64 s[8:9], s[0:1], s[8:9]
	s_andn2_b64 s[0:1], s[10:11], exec
	s_and_b64 s[10:11], s[14:15], exec
	s_or_b64 s[10:11], s[0:1], s[10:11]
	s_andn2_b64 exec, exec, s[8:9]
	s_cbranch_execz .LBB112_265
.LBB112_263:                            ; =>This Inner Loop Header: Depth=1
	v_lshl_add_u64 v[2:3], v[16:17], 3, s[62:63]
	global_load_dwordx2 v[4:5], v[2:3], off
	v_mov_b32_e32 v2, v0
	s_or_b64 s[14:15], s[14:15], exec
	s_or_b64 s[16:17], s[16:17], exec
                                        ; implicit-def: $vgpr0
	s_waitcnt vmcnt(0)
	v_cmp_o_f64_e64 s[0:1], v[4:5], v[4:5]
	v_cmp_neq_f64_e32 vcc, v[4:5], v[6:7]
	s_or_b64 s[0:1], s[0:1], s[12:13]
	s_and_b64 s[18:19], vcc, s[0:1]
	s_and_saveexec_b64 s[0:1], s[18:19]
	s_cbranch_execz .LBB112_262
; %bb.264:                              ;   in Loop: Header=BB112_263 Depth=1
	v_add_u32_e32 v0, s59, v2
	v_cmp_le_u32_e32 vcc, s56, v0
	s_andn2_b64 s[16:17], s[16:17], exec
	s_and_b64 s[18:19], vcc, exec
	v_add_u32_e32 v16, s57, v16
	s_andn2_b64 s[14:15], s[14:15], exec
	s_or_b64 s[16:17], s[16:17], s[18:19]
	s_branch .LBB112_262
.LBB112_265:
	s_or_b64 exec, exec, s[8:9]
	s_and_saveexec_b64 s[0:1], s[10:11]
	s_xor_b64 s[0:1], exec, s[0:1]
	s_cbranch_execz .LBB112_267
; %bb.266:
	v_readlane_b32 s0, v60, 4
	v_readlane_b32 s1, v60, 7
	s_mul_i32 s0, s1, s0
	s_mov_b32 s1, 0
	s_lshl_b64 s[0:1], s[0:1], 3
	v_readlane_b32 s8, v60, 0
	v_readlane_b32 s9, v60, 1
	s_add_u32 s0, s8, s0
	s_addc_u32 s1, s9, s1
	v_mov_b32_e32 v3, 0
	global_store_dwordx2 v3, v[2:3], s[0:1]
.LBB112_267:
	s_or_b64 exec, exec, s[6:7]
.LBB112_268:
	s_or_saveexec_b64 s[0:1], s[4:5]
	s_mov_b64 s[4:5], 0
	s_xor_b64 exec, exec, s[0:1]
	s_cbranch_execnz .LBB112_271
.LBB112_269:
	s_or_b64 exec, exec, s[0:1]
	s_and_b64 s[0:1], s[4:5], exec
	s_andn2_saveexec_b64 s[2:3], s[2:3]
	s_cbranch_execz .LBB112_254
.LBB112_270:
	s_or_b64 s[0:1], s[0:1], exec
	s_trap 2
	s_or_b64 exec, exec, s[2:3]
	s_and_saveexec_b64 s[2:3], s[0:1]
	s_cbranch_execnz .LBB112_255
	s_branch .LBB112_256
.LBB112_271:
	s_mov_b64 s[4:5], exec
	s_trap 2
	s_branch .LBB112_269
	.section	.rodata,"a",@progbits
	.p2align	6, 0x0
	.amdhsa_kernel _ZN2at6native12_GLOBAL__N_112gatherMedianIdjLi1EEEvNS_4cuda6detail10TensorInfoIT_T0_EENS5_IlS7_EENS5_IKS6_S7_EES7_S7_S7_b
		.amdhsa_group_segment_fixed_size 4120
		.amdhsa_private_segment_fixed_size 0
		.amdhsa_kernarg_size 920
		.amdhsa_user_sgpr_count 2
		.amdhsa_user_sgpr_dispatch_ptr 0
		.amdhsa_user_sgpr_queue_ptr 0
		.amdhsa_user_sgpr_kernarg_segment_ptr 1
		.amdhsa_user_sgpr_dispatch_id 0
		.amdhsa_user_sgpr_kernarg_preload_length 0
		.amdhsa_user_sgpr_kernarg_preload_offset 0
		.amdhsa_user_sgpr_private_segment_size 0
		.amdhsa_uses_dynamic_stack 0
		.amdhsa_enable_private_segment 0
		.amdhsa_system_sgpr_workgroup_id_x 1
		.amdhsa_system_sgpr_workgroup_id_y 1
		.amdhsa_system_sgpr_workgroup_id_z 1
		.amdhsa_system_sgpr_workgroup_info 0
		.amdhsa_system_vgpr_workitem_id 0
		.amdhsa_next_free_vgpr 61
		.amdhsa_next_free_sgpr 100
		.amdhsa_accum_offset 64
		.amdhsa_reserve_vcc 1
		.amdhsa_float_round_mode_32 0
		.amdhsa_float_round_mode_16_64 0
		.amdhsa_float_denorm_mode_32 3
		.amdhsa_float_denorm_mode_16_64 3
		.amdhsa_dx10_clamp 1
		.amdhsa_ieee_mode 1
		.amdhsa_fp16_overflow 0
		.amdhsa_tg_split 0
		.amdhsa_exception_fp_ieee_invalid_op 0
		.amdhsa_exception_fp_denorm_src 0
		.amdhsa_exception_fp_ieee_div_zero 0
		.amdhsa_exception_fp_ieee_overflow 0
		.amdhsa_exception_fp_ieee_underflow 0
		.amdhsa_exception_fp_ieee_inexact 0
		.amdhsa_exception_int_div_zero 0
	.end_amdhsa_kernel
	.section	.text._ZN2at6native12_GLOBAL__N_112gatherMedianIdjLi1EEEvNS_4cuda6detail10TensorInfoIT_T0_EENS5_IlS7_EENS5_IKS6_S7_EES7_S7_S7_b,"axG",@progbits,_ZN2at6native12_GLOBAL__N_112gatherMedianIdjLi1EEEvNS_4cuda6detail10TensorInfoIT_T0_EENS5_IlS7_EENS5_IKS6_S7_EES7_S7_S7_b,comdat
.Lfunc_end112:
	.size	_ZN2at6native12_GLOBAL__N_112gatherMedianIdjLi1EEEvNS_4cuda6detail10TensorInfoIT_T0_EENS5_IlS7_EENS5_IKS6_S7_EES7_S7_S7_b, .Lfunc_end112-_ZN2at6native12_GLOBAL__N_112gatherMedianIdjLi1EEEvNS_4cuda6detail10TensorInfoIT_T0_EENS5_IlS7_EENS5_IKS6_S7_EES7_S7_S7_b
                                        ; -- End function
	.set _ZN2at6native12_GLOBAL__N_112gatherMedianIdjLi1EEEvNS_4cuda6detail10TensorInfoIT_T0_EENS5_IlS7_EENS5_IKS6_S7_EES7_S7_S7_b.num_vgpr, 61
	.set _ZN2at6native12_GLOBAL__N_112gatherMedianIdjLi1EEEvNS_4cuda6detail10TensorInfoIT_T0_EENS5_IlS7_EENS5_IKS6_S7_EES7_S7_S7_b.num_agpr, 0
	.set _ZN2at6native12_GLOBAL__N_112gatherMedianIdjLi1EEEvNS_4cuda6detail10TensorInfoIT_T0_EENS5_IlS7_EENS5_IKS6_S7_EES7_S7_S7_b.numbered_sgpr, 100
	.set _ZN2at6native12_GLOBAL__N_112gatherMedianIdjLi1EEEvNS_4cuda6detail10TensorInfoIT_T0_EENS5_IlS7_EENS5_IKS6_S7_EES7_S7_S7_b.num_named_barrier, 0
	.set _ZN2at6native12_GLOBAL__N_112gatherMedianIdjLi1EEEvNS_4cuda6detail10TensorInfoIT_T0_EENS5_IlS7_EENS5_IKS6_S7_EES7_S7_S7_b.private_seg_size, 0
	.set _ZN2at6native12_GLOBAL__N_112gatherMedianIdjLi1EEEvNS_4cuda6detail10TensorInfoIT_T0_EENS5_IlS7_EENS5_IKS6_S7_EES7_S7_S7_b.uses_vcc, 1
	.set _ZN2at6native12_GLOBAL__N_112gatherMedianIdjLi1EEEvNS_4cuda6detail10TensorInfoIT_T0_EENS5_IlS7_EENS5_IKS6_S7_EES7_S7_S7_b.uses_flat_scratch, 0
	.set _ZN2at6native12_GLOBAL__N_112gatherMedianIdjLi1EEEvNS_4cuda6detail10TensorInfoIT_T0_EENS5_IlS7_EENS5_IKS6_S7_EES7_S7_S7_b.has_dyn_sized_stack, 0
	.set _ZN2at6native12_GLOBAL__N_112gatherMedianIdjLi1EEEvNS_4cuda6detail10TensorInfoIT_T0_EENS5_IlS7_EENS5_IKS6_S7_EES7_S7_S7_b.has_recursion, 0
	.set _ZN2at6native12_GLOBAL__N_112gatherMedianIdjLi1EEEvNS_4cuda6detail10TensorInfoIT_T0_EENS5_IlS7_EENS5_IKS6_S7_EES7_S7_S7_b.has_indirect_call, 0
	.section	.AMDGPU.csdata,"",@progbits
; Kernel info:
; codeLenInByte = 9824
; TotalNumSgprs: 106
; NumVgprs: 61
; NumAgprs: 0
; TotalNumVgprs: 61
; ScratchSize: 0
; MemoryBound: 0
; FloatMode: 240
; IeeeMode: 1
; LDSByteSize: 4120 bytes/workgroup (compile time only)
; SGPRBlocks: 13
; VGPRBlocks: 7
; NumSGPRsForWavesPerEU: 106
; NumVGPRsForWavesPerEU: 61
; AccumOffset: 64
; Occupancy: 7
; WaveLimiterHint : 1
; COMPUTE_PGM_RSRC2:SCRATCH_EN: 0
; COMPUTE_PGM_RSRC2:USER_SGPR: 2
; COMPUTE_PGM_RSRC2:TRAP_HANDLER: 0
; COMPUTE_PGM_RSRC2:TGID_X_EN: 1
; COMPUTE_PGM_RSRC2:TGID_Y_EN: 1
; COMPUTE_PGM_RSRC2:TGID_Z_EN: 1
; COMPUTE_PGM_RSRC2:TIDIG_COMP_CNT: 0
; COMPUTE_PGM_RSRC3_GFX90A:ACCUM_OFFSET: 15
; COMPUTE_PGM_RSRC3_GFX90A:TG_SPLIT: 0
	.section	.text._ZN2at6native12_GLOBAL__N_112gatherMedianIdjLi2EEEvNS_4cuda6detail10TensorInfoIT_T0_EENS5_IlS7_EENS5_IKS6_S7_EES7_S7_S7_b,"axG",@progbits,_ZN2at6native12_GLOBAL__N_112gatherMedianIdjLi2EEEvNS_4cuda6detail10TensorInfoIT_T0_EENS5_IlS7_EENS5_IKS6_S7_EES7_S7_S7_b,comdat
	.globl	_ZN2at6native12_GLOBAL__N_112gatherMedianIdjLi2EEEvNS_4cuda6detail10TensorInfoIT_T0_EENS5_IlS7_EENS5_IKS6_S7_EES7_S7_S7_b ; -- Begin function _ZN2at6native12_GLOBAL__N_112gatherMedianIdjLi2EEEvNS_4cuda6detail10TensorInfoIT_T0_EENS5_IlS7_EENS5_IKS6_S7_EES7_S7_S7_b
	.p2align	8
	.type	_ZN2at6native12_GLOBAL__N_112gatherMedianIdjLi2EEEvNS_4cuda6detail10TensorInfoIT_T0_EENS5_IlS7_EENS5_IKS6_S7_EES7_S7_S7_b,@function
_ZN2at6native12_GLOBAL__N_112gatherMedianIdjLi2EEEvNS_4cuda6detail10TensorInfoIT_T0_EENS5_IlS7_EENS5_IKS6_S7_EES7_S7_S7_b: ; @_ZN2at6native12_GLOBAL__N_112gatherMedianIdjLi2EEEvNS_4cuda6detail10TensorInfoIT_T0_EENS5_IlS7_EENS5_IKS6_S7_EES7_S7_S7_b
; %bb.0:
	s_load_dwordx2 s[10:11], s[0:1], 0x298
	s_load_dwordx4 s[56:59], s[0:1], 0x288
	s_add_u32 s8, s0, 0x298
	s_addc_u32 s9, s1, 0
	s_waitcnt lgkmcnt(0)
	s_mul_i32 s4, s11, s4
	s_add_i32 s3, s4, s3
	s_mul_i32 s3, s3, s10
	s_add_i32 s4, s3, s2
	s_cmp_ge_u32 s4, s57
	s_cbranch_scc1 .LBB113_256
; %bb.1:
	s_load_dword s13, s[0:1], 0xc
	s_load_dword s12, s[0:1], 0xe4
	s_mov_b32 s11, s4
	s_load_dwordx2 s[4:5], s[0:1], 0x1b0
	s_load_dwordx2 s[6:7], s[0:1], 0x144
                                        ; implicit-def: $vgpr62 : SGPR spill to VGPR lane
	s_load_dword s3, s[0:1], 0x1bc
	s_waitcnt lgkmcnt(0)
	v_cvt_f32_u32_e32 v1, s13
	v_cvt_f32_u32_e32 v2, s12
                                        ; kill: killed $sgpr0 killed $sgpr1
	v_writelane_b32 v62, s6, 0
	v_rcp_iflag_f32_e32 v1, v1
	s_nop 0
	v_writelane_b32 v62, s7, 1
	s_load_dwordx2 s[6:7], s[0:1], 0xd8
	v_rcp_iflag_f32_e32 v2, v2
	v_mul_f32_e32 v1, 0x4f7ffffe, v1
	v_cvt_u32_f32_e32 v1, v1
	s_waitcnt lgkmcnt(0)
	v_writelane_b32 v62, s6, 2
	v_mul_f32_e32 v2, 0x4f7ffffe, v2
	s_nop 0
	v_writelane_b32 v62, s7, 3
	s_load_dwordx2 s[6:7], s[0:1], 0x6c
	s_waitcnt lgkmcnt(0)
	v_writelane_b32 v62, s6, 4
	s_nop 1
	v_writelane_b32 v62, s7, 5
	s_load_dwordx2 s[6:7], s[0:1], 0x0
	v_cvt_f32_u32_e32 v3, s3
	s_waitcnt lgkmcnt(0)
	v_writelane_b32 v62, s6, 6
	s_nop 1
	v_writelane_b32 v62, s7, 7
	s_load_dwordx2 s[6:7], s[0:1], 0x21c
	s_sub_i32 s0, 0, s13
	v_readfirstlane_b32 s1, v1
	s_mul_i32 s0, s0, s1
	v_cvt_u32_f32_e32 v1, v2
	s_mul_hi_u32 s0, s1, s0
	v_rcp_iflag_f32_e32 v2, v3
	s_add_i32 s1, s1, s0
	v_writelane_b32 v62, s13, 8
	s_mul_hi_u32 s0, s11, s1
	v_writelane_b32 v62, s0, 9
	s_sub_i32 s0, 0, s12
	v_readfirstlane_b32 s1, v1
	s_mul_i32 s0, s0, s1
	v_mul_f32_e32 v1, 0x4f7ffffe, v2
	s_mul_hi_u32 s0, s1, s0
	v_cvt_u32_f32_e32 v1, v1
	s_add_i32 s1, s1, s0
	v_writelane_b32 v62, s12, 10
	s_mul_hi_u32 s0, s11, s1
	v_writelane_b32 v62, s0, 11
	s_sub_i32 s0, 0, s3
	v_mul_lo_u32 v2, s0, v1
	v_mul_hi_u32 v2, v1, v2
	v_add_u32_e32 v1, v1, v2
	v_mul_hi_u32 v1, s11, v1
	v_mul_lo_u32 v2, v1, s3
	v_sub_u32_e32 v2, s11, v2
	v_add_u32_e32 v3, 1, v1
	v_subrev_u32_e32 v4, s3, v2
	v_cmp_le_u32_e32 vcc, s3, v2
	v_cmp_gt_u32_e64 s[0:1], s56, v0
	v_writelane_b32 v62, s11, 12
	v_cndmask_b32_e32 v1, v1, v3, vcc
	v_cndmask_b32_e32 v2, v2, v4, vcc
	v_add_u32_e32 v3, 1, v1
	v_cmp_le_u32_e32 vcc, s3, v2
	s_nop 1
	v_cndmask_b32_e32 v1, v1, v3, vcc
	v_mul_lo_u32 v2, v1, s3
	v_sub_u32_e32 v2, s11, v2
	s_waitcnt lgkmcnt(0)
	v_mul_lo_u32 v2, v2, s7
	v_mul_lo_u32 v1, v1, s6
	v_add_u32_e32 v2, v1, v2
	v_mov_b32_e32 v3, 0
	v_lshlrev_b64 v[4:5], 3, v[2:3]
	v_lshl_add_u64 v[16:17], s[4:5], 0, v[4:5]
	s_and_saveexec_b64 s[4:5], s[0:1]
	s_cbranch_execz .LBB113_5
; %bb.2:
	s_load_dword s3, s[8:9], 0xc
	v_mul_lo_u32 v2, v0, s58
	s_mov_b64 s[6:7], 0
	v_mov_b32_e32 v1, v3
	v_mov_b32_e32 v4, v0
	s_waitcnt lgkmcnt(0)
	s_and_b32 s3, s3, 0xffff
	s_mul_i32 s11, s58, s3
.LBB113_3:                              ; =>This Inner Loop Header: Depth=1
	v_lshl_add_u64 v[6:7], v[2:3], 3, v[16:17]
	global_load_dwordx2 v[6:7], v[6:7], off
	v_add_u32_e32 v4, s3, v4
	v_cmp_le_u32_e32 vcc, s56, v4
	s_or_b64 s[6:7], vcc, s[6:7]
	v_add_u32_e32 v2, s11, v2
	s_waitcnt vmcnt(0)
	v_cmp_u_f64_e32 vcc, v[6:7], v[6:7]
	s_nop 1
	v_addc_co_u32_e32 v1, vcc, 0, v1, vcc
	s_andn2_b64 exec, exec, s[6:7]
	s_cbranch_execnz .LBB113_3
; %bb.4:
	s_or_b64 exec, exec, s[6:7]
	v_mov_b32_e32 v3, v1
.LBB113_5:
	s_or_b64 exec, exec, s[4:5]
	v_cmp_eq_u32_e64 s[16:17], 0, v0
	s_and_saveexec_b64 s[4:5], s[16:17]
; %bb.6:
	v_mov_b32_e32 v4, 0
	v_mov_b32_e32 v5, v4
	ds_write_b64 v4, v[4:5] offset:4096
; %bb.7:
	s_or_b64 exec, exec, s[4:5]
	v_cmp_ne_u32_e32 vcc, 0, v3
	s_waitcnt lgkmcnt(0)
	s_barrier
	s_and_saveexec_b64 s[4:5], vcc
	s_cbranch_execz .LBB113_12
; %bb.8:
	s_mov_b64 s[12:13], exec
	v_mov_b32_e32 v1, 0
	v_mov_b32_e32 v2, v3
	s_mov_b64 s[6:7], 0
.LBB113_9:                              ; =>This Inner Loop Header: Depth=1
	s_ff1_i32_b64 s3, s[12:13]
	v_readlane_b32 s14, v2, s3
	v_readlane_b32 s11, v1, s3
	s_add_u32 s6, s6, s14
	s_addc_u32 s7, s7, s11
	s_lshl_b64 s[14:15], 1, s3
	s_andn2_b64 s[12:13], s[12:13], s[14:15]
	s_cmp_lg_u64 s[12:13], 0
	s_cbranch_scc1 .LBB113_9
; %bb.10:
	v_mbcnt_lo_u32_b32 v1, exec_lo, 0
	v_mbcnt_hi_u32_b32 v1, exec_hi, v1
	v_cmp_eq_u32_e32 vcc, 0, v1
	s_and_saveexec_b64 s[12:13], vcc
	s_xor_b64 s[12:13], exec, s[12:13]
; %bb.11:
	v_mov_b32_e32 v1, 0
	v_mov_b64_e32 v[2:3], s[6:7]
	ds_add_u64 v1, v[2:3] offset:4096
.LBB113_12:
	s_or_b64 exec, exec, s[4:5]
	v_mov_b32_e32 v1, 0
	s_waitcnt lgkmcnt(0)
	s_barrier
	ds_read_b64 v[2:3], v1 offset:4096
	s_bitcmp1_b32 s59, 0
	s_cselect_b64 s[6:7], -1, 0
	s_mov_b32 s3, s56
	s_waitcnt lgkmcnt(0)
	v_readfirstlane_b32 s4, v2
	v_readfirstlane_b32 s5, v3
	s_nop 1
	v_cmp_lt_i64_e64 s[12:13], s[4:5], 1
	s_or_b64 s[6:7], s[6:7], s[12:13]
	s_andn2_b64 vcc, exec, s[6:7]
	s_cbranch_vccnz .LBB113_14
; %bb.13:
	s_not_b64 s[4:5], s[4:5]
	s_add_u32 s3, s4, s56
	s_addc_u32 s5, s5, 0
	s_lshr_b32 s4, s5, 31
	s_add_u32 s4, s3, s4
	s_addc_u32 s5, s5, 0
	s_lshr_b64 s[4:5], s[4:5], 1
	s_add_i32 s3, s4, 1
.LBB113_14:
	s_and_saveexec_b64 s[4:5], s[16:17]
	s_cbranch_execz .LBB113_16
; %bb.15:
	v_mov_b32_e32 v2, 0
	v_mov_b32_e32 v3, s56
	ds_write_b32 v2, v2 offset:4112
	ds_write_b64 v2, v[2:3] offset:4104
.LBB113_16:
	s_or_b64 exec, exec, s[4:5]
	s_waitcnt lgkmcnt(0)
	s_barrier
	s_load_dword s11, s[8:9], 0xc
	v_mbcnt_lo_u32_b32 v1, -1, 0
	v_mbcnt_hi_u32_b32 v36, -1, v1
	v_cmp_gt_u32_e32 vcc, 64, v0
	v_cmp_gt_i32_e64 s[6:7], 4, v36
	s_waitcnt lgkmcnt(0)
	s_and_b32 s59, s11, 0xffff
	s_add_i32 s68, s59, -1
	s_lshl_b32 s57, s59, 2
	s_and_b64 s[70:71], vcc, s[6:7]
	s_add_i32 s12, s68, s56
	s_cmpk_gt_u32 s56, 0x180
	s_cselect_b64 s[72:73], -1, 0
	s_cmp_gt_u32 s59, 63
	s_cselect_b64 s[74:75], -1, 0
	s_cmp_lt_u32 s2, s10
	s_cselect_b32 s2, 12, 18
	s_add_u32 s8, s8, s2
	s_addc_u32 s9, s9, 0
	v_writelane_b32 v62, s8, 13
	v_lshlrev_b64 v[2:3], v36, -1
	v_not_b32_e32 v24, v2
	v_writelane_b32 v62, s9, 14
	s_bfe_u32 s9, s11, 0xa0006
	s_add_i32 s2, s9, -2
	s_lshr_b32 s8, s2, 1
	s_add_i32 s8, s8, 1
	v_lshrrev_b32_e32 v2, 2, v0
	s_cmpk_gt_u32 s59, 0x7f
	v_and_b32_e32 v2, 0xf0, v2
	s_cselect_b64 s[10:11], -1, 0
	v_or_b32_e32 v39, 0xc00, v2
	v_writelane_b32 v62, s10, 15
	v_cvt_f32_u32_e32 v2, s57
	v_lshlrev_b32_e32 v25, 2, v0
	v_writelane_b32 v62, s11, 16
	s_and_b32 s10, s9, 0x3fe
	s_and_b32 s11, s8, 7
	s_cmp_gt_u32 s2, 13
	s_cselect_b64 s[14:15], -1, 0
	v_writelane_b32 v62, s14, 17
	v_rcp_iflag_f32_e32 v2, v2
	s_and_b32 s2, s8, -8
	v_writelane_b32 v62, s15, 18
	v_writelane_b32 v62, s2, 19
	s_cmp_lg_u32 s11, 0
	v_writelane_b32 v62, s11, 20
	s_cselect_b64 s[14:15], -1, 0
	v_writelane_b32 v62, s14, 21
	v_mul_f32_e32 v2, 0x4f7ffffe, v2
	v_cvt_u32_f32_e32 v2, v2
	v_writelane_b32 v62, s15, 22
	v_writelane_b32 v62, s9, 23
	s_cmp_lg_u32 s10, s9
	v_writelane_b32 v62, s10, 24
	s_cselect_b64 s[8:9], -1, 0
	v_writelane_b32 v62, s8, 25
	s_sub_i32 s2, 0, s57
	v_mov_b32_e32 v21, 0
	v_writelane_b32 v62, s9, 26
	v_readfirstlane_b32 s8, v2
	v_cvt_f32_u32_e32 v2, s59
	s_mul_i32 s2, s2, s8
	s_mul_hi_u32 s2, s8, s2
	s_add_i32 s83, s8, s2
	v_rcp_iflag_f32_e32 v2, v2
	s_mul_hi_u32 s2, s56, s83
	s_mul_i32 s2, s2, s57
	s_sub_i32 s2, s56, s2
	s_sub_i32 s8, s2, s57
	v_mul_f32_e32 v2, 0x4f7ffffe, v2
	s_cmp_ge_u32 s2, s57
	v_cvt_u32_f32_e32 v2, v2
	s_cselect_b32 s2, s8, s2
	s_sub_i32 s8, s2, s57
	s_cmp_ge_u32 s2, s57
	s_cselect_b32 s2, s8, s2
	s_sub_i32 s13, 0, s59
	v_readfirstlane_b32 s14, v2
	s_mul_i32 s13, s13, s14
	s_mul_hi_u32 s13, s14, s13
	s_add_i32 s85, s14, s13
	s_mul_hi_u32 s13, s12, s85
	s_mul_i32 s13, s13, s59
	s_sub_i32 s13, s12, s13
	s_sub_i32 s84, s56, s2
	;; [unrolled: 1-line block ×3, first 2 shown]
	s_cmp_ge_u32 s13, s59
	s_cselect_b32 s13, s14, s13
	s_sub_i32 s14, s13, s59
	v_mul_lo_u32 v2, s58, v25
	s_cmp_ge_u32 s13, s59
	v_add_u32_e32 v41, s58, v2
	v_or_b32_e32 v2, 2, v25
	s_cselect_b32 s13, s14, s13
	v_mul_lo_u32 v42, s58, v2
	v_or_b32_e32 v2, 3, v25
	s_add_i32 s14, s59, s56
	v_add_u32_e32 v40, s84, v0
	v_mul_lo_u32 v43, s58, v2
	v_add_u32_e32 v2, s14, v0
	s_mov_b32 s18, 0
	v_lshlrev_b32_e32 v37, 3, v0
	v_mul_lo_u32 v18, s58, v0
	v_mov_b32_e32 v19, v21
	v_lshlrev_b32_e32 v4, 2, v36
	v_mul_lo_u32 v20, v40, s58
	s_sub_i32 s81, s12, s13
	s_mul_i32 s69, s58, s59
	v_subrev_u32_e32 v2, s2, v2
	s_mov_b32 s19, 1
	v_cmp_eq_u32_e64 s[4:5], 0, v36
	v_cmp_gt_u32_e64 s[6:7], 2, v0
	v_add_u32_e32 v38, 0xc00, v37
	v_lshl_add_u64 v[22:23], v[18:19], 3, v[16:17]
	v_and_b32_e32 v19, 0x100, v4
	v_not_b32_e32 v1, v3
	v_cmp_gt_u32_e64 s[8:9], s84, v25
	v_cmp_gt_u32_e64 s[10:11], s56, v40
	v_lshl_add_u64 v[26:27], v[20:21], 3, v[16:17]
	v_cmp_gt_u32_e64 s[12:13], s81, v0
	s_lshl_b32 s82, s69, 2
	v_lshlrev_b32_e32 v44, 2, v18
	v_mul_lo_u32 v45, s58, v2
	v_lshlrev_b32_e32 v46, 5, v0
	s_lshl_b32 s76, s59, 5
	s_lshl_b32 s77, s59, 3
	v_or_b32_e32 v47, 0xc00, v4
	s_mov_b32 s80, 62
	v_mov_b64_e32 v[6:7], 0
	s_mov_b64 s[86:87], 0
	v_mov_b32_e32 v49, s3
	v_mov_b64_e32 v[28:29], 0
	v_mov_b64_e32 v[30:31], 0
	v_mov_b32_e32 v51, s56
	v_mov_b32_e32 v3, 0x3ff00000
	;; [unrolled: 1-line block ×5, first 2 shown]
	s_mov_b32 s33, s18
                                        ; implicit-def: $sgpr88_sgpr89
                                        ; implicit-def: $sgpr92_sgpr93
                                        ; implicit-def: $sgpr90_sgpr91
                                        ; implicit-def: $sgpr96_sgpr97
                                        ; implicit-def: $sgpr98_sgpr99
                                        ; implicit-def: $sgpr94_sgpr95
	s_branch .LBB113_20
.LBB113_17:                             ;   in Loop: Header=BB113_20 Depth=1
	s_or_b64 exec, exec, s[26:27]
	s_and_b64 s[20:21], s[20:21], exec
	s_andn2_b64 s[24:25], s[24:25], exec
	s_andn2_b64 s[22:23], s[22:23], exec
	s_orn2_b64 s[18:19], s[18:19], exec
.LBB113_18:                             ;   in Loop: Header=BB113_20 Depth=1
	s_or_b64 exec, exec, s[2:3]
	s_andn2_b64 s[2:3], s[94:95], exec
	s_and_b64 s[20:21], s[20:21], exec
	s_or_b64 s[94:95], s[2:3], s[20:21]
	s_andn2_b64 s[2:3], s[98:99], exec
	s_and_b64 s[20:21], s[24:25], exec
	s_or_b64 s[98:99], s[2:3], s[20:21]
	;; [unrolled: 3-line block ×3, first 2 shown]
	s_orn2_b64 s[18:19], s[18:19], exec
.LBB113_19:                             ;   in Loop: Header=BB113_20 Depth=1
	s_or_b64 exec, exec, s[14:15]
	s_and_b64 s[2:3], exec, s[18:19]
	s_or_b64 s[86:87], s[2:3], s[86:87]
	s_andn2_b64 s[2:3], s[90:91], exec
	s_and_b64 s[14:15], s[94:95], exec
	s_or_b64 s[90:91], s[2:3], s[14:15]
	s_andn2_b64 s[2:3], s[92:93], exec
	s_and_b64 s[14:15], s[98:99], exec
	;; [unrolled: 3-line block ×3, first 2 shown]
	s_or_b64 s[88:89], s[2:3], s[14:15]
	s_mov_b32 s33, s31
	s_mov_b32 s80, s30
	v_mov_b32_e32 v49, v9
	s_andn2_b64 exec, exec, s[86:87]
	s_cbranch_execz .LBB113_252
.LBB113_20:                             ; =>This Loop Header: Depth=1
                                        ;     Child Loop BB113_26 Depth 2
                                        ;     Child Loop BB113_39 Depth 2
	;; [unrolled: 1-line block ×17, first 2 shown]
	ds_read_b64 v[4:5], v21 offset:4104
	s_waitcnt lgkmcnt(0)
	v_readfirstlane_b32 s78, v4
	s_cmp_lg_u32 s78, 0
	s_cbranch_scc1 .LBB113_47
; %bb.21:                               ;   in Loop: Header=BB113_20 Depth=1
	s_and_b64 vcc, exec, s[72:73]
	s_cbranch_vccz .LBB113_34
; %bb.22:                               ;   in Loop: Header=BB113_20 Depth=1
	s_movk_i32 s2, 0x181
	v_cmp_gt_u32_e32 vcc, s2, v5
	s_mov_b64 s[18:19], 0
	s_mov_b64 s[2:3], 0
	s_cbranch_vccz .LBB113_35
; %bb.23:                               ;   in Loop: Header=BB113_20 Depth=1
	s_and_saveexec_b64 s[20:21], s[0:1]
	s_cbranch_execz .LBB113_78
; %bb.24:                               ;   in Loop: Header=BB113_20 Depth=1
	v_readlane_b32 s2, v62, 13
	v_readlane_b32 s3, v62, 14
	s_nop 4
	global_load_ushort v2, v21, s[2:3]
	global_load_dwordx2 v[4:5], v[22:23], off
	s_mov_b64 s[22:23], 0
	v_mov_b32_e32 v11, v0
	s_waitcnt vmcnt(1)
	v_add_u32_e32 v8, v0, v2
	v_mul_lo_u32 v10, s58, v2
	v_mul_lo_u32 v20, s58, v8
	s_branch .LBB113_26
.LBB113_25:                             ;   in Loop: Header=BB113_26 Depth=2
	s_or_b64 exec, exec, s[2:3]
	v_add_u32_e32 v20, v20, v10
	v_mov_b64_e32 v[4:5], v[8:9]
	s_andn2_b64 exec, exec, s[22:23]
	s_cbranch_execz .LBB113_78
.LBB113_26:                             ;   Parent Loop BB113_20 Depth=1
                                        ; =>  This Inner Loop Header: Depth=2
	v_add_u32_e32 v11, v11, v2
	v_cmp_gt_u32_e64 s[2:3], s56, v11
	v_cmp_le_u32_e32 vcc, s56, v11
	v_mov_b64_e32 v[8:9], 0
	s_and_saveexec_b64 s[14:15], s[2:3]
	s_cbranch_execz .LBB113_28
; %bb.27:                               ;   in Loop: Header=BB113_26 Depth=2
	v_lshl_add_u64 v[8:9], v[20:21], 3, v[16:17]
	global_load_dwordx2 v[8:9], v[8:9], off
.LBB113_28:                             ;   in Loop: Header=BB113_26 Depth=2
	s_or_b64 exec, exec, s[14:15]
	s_waitcnt vmcnt(0) lgkmcnt(0)
	v_ashrrev_i32_e32 v12, 31, v5
	v_or_b32_e32 v13, 0x80000000, v12
	v_xor_b32_e32 v13, v13, v5
	v_xor_b32_e32 v12, v12, v4
	v_cmp_o_f64_e64 s[2:3], v[4:5], v[4:5]
	s_nop 1
	v_cndmask_b32_e64 v13, -1, v13, s[2:3]
	v_cndmask_b32_e64 v12, -1, v12, s[2:3]
	v_and_b32_e32 v13, v13, v31
	v_and_b32_e32 v12, v12, v30
	v_cmp_eq_u64_e64 s[14:15], v[12:13], v[28:29]
	s_cmp_lg_u64 s[14:15], 0
	s_cselect_b64 s[2:3], -1, 0
	s_and_b64 s[2:3], s[4:5], s[2:3]
	v_mov_b32_e32 v12, 0
	s_and_saveexec_b64 s[24:25], s[2:3]
	s_cbranch_execz .LBB113_32
; %bb.29:                               ;   in Loop: Header=BB113_26 Depth=2
	s_mov_b64 s[28:29], exec
	v_mbcnt_lo_u32_b32 v12, s28, 0
	v_mbcnt_hi_u32_b32 v12, s29, v12
	s_bcnt1_i32_b64 s30, s[14:15]
	v_cmp_eq_u32_e64 s[2:3], 0, v12
                                        ; implicit-def: $vgpr13
	s_and_saveexec_b64 s[26:27], s[2:3]
; %bb.30:                               ;   in Loop: Header=BB113_26 Depth=2
	s_bcnt1_i32_b64 s2, s[28:29]
	s_mul_i32 s2, s30, s2
	v_mov_b32_e32 v13, s2
	ds_add_rtn_u32 v13, v21, v13 offset:4112
; %bb.31:                               ;   in Loop: Header=BB113_26 Depth=2
	s_or_b64 exec, exec, s[26:27]
	s_waitcnt lgkmcnt(0)
	v_readfirstlane_b32 s2, v13
	s_nop 1
	v_mov_b32_e32 v13, s2
	v_mad_u32_u24 v12, s30, v12, v13
.LBB113_32:                             ;   in Loop: Header=BB113_26 Depth=2
	s_or_b64 exec, exec, s[24:25]
	ds_bpermute_b32 v12, v19, v12
	s_and_b64 s[2:3], exec, vcc
	s_or_b64 s[22:23], s[2:3], s[22:23]
	s_and_saveexec_b64 s[2:3], s[14:15]
	s_cbranch_execz .LBB113_25
; %bb.33:                               ;   in Loop: Header=BB113_26 Depth=2
	v_and_b32_e32 v14, s14, v24
	v_and_b32_e32 v13, s15, v1
	v_bcnt_u32_b32 v14, v14, 0
	v_bcnt_u32_b32 v13, v13, v14
	v_lshlrev_b32_e32 v13, 3, v13
	s_waitcnt lgkmcnt(0)
	v_lshl_add_u32 v12, v12, 3, v13
	ds_write_b64 v12, v[4:5]
	s_branch .LBB113_25
.LBB113_34:                             ;   in Loop: Header=BB113_20 Depth=1
	s_mov_b64 s[18:19], -1
	s_mov_b64 s[2:3], 0
.LBB113_35:                             ;   in Loop: Header=BB113_20 Depth=1
	s_and_b64 vcc, exec, s[18:19]
	s_cbranch_vccz .LBB113_45
.LBB113_36:                             ;   in Loop: Header=BB113_20 Depth=1
	s_and_saveexec_b64 s[2:3], s[0:1]
	s_cbranch_execz .LBB113_42
; %bb.37:                               ;   in Loop: Header=BB113_20 Depth=1
	v_readlane_b32 s14, v62, 13
	v_readlane_b32 s15, v62, 14
	s_nop 4
	global_load_ushort v2, v21, s[14:15]
	global_load_dwordx2 v[4:5], v[22:23], off
	v_mov_b32_e32 v10, v0
	s_waitcnt vmcnt(1)
	v_add_u32_e32 v8, v0, v2
	v_cmp_gt_u32_e32 vcc, s56, v8
	s_and_saveexec_b64 s[14:15], vcc
	s_cbranch_execz .LBB113_41
; %bb.38:                               ;   in Loop: Header=BB113_20 Depth=1
	v_lshlrev_b32_e32 v11, 3, v2
	v_mul_lo_u32 v20, s58, v8
	v_mul_lo_u32 v12, s58, v2
	s_mov_b64 s[18:19], 0
	v_mov_b32_e32 v13, v37
	v_mov_b32_e32 v10, v0
.LBB113_39:                             ;   Parent Loop BB113_20 Depth=1
                                        ; =>  This Inner Loop Header: Depth=2
	v_lshl_add_u64 v[8:9], v[20:21], 3, v[16:17]
	global_load_dwordx2 v[8:9], v[8:9], off
	v_add_u32_e32 v10, v10, v2
	s_waitcnt vmcnt(1)
	ds_write_b64 v13, v[4:5]
	v_add_u32_e32 v4, v2, v10
	v_cmp_le_u32_e32 vcc, s56, v4
	v_add_u32_e32 v13, v13, v11
	v_add_u32_e32 v20, v20, v12
	s_or_b64 s[18:19], vcc, s[18:19]
	s_waitcnt vmcnt(0)
	v_mov_b64_e32 v[4:5], v[8:9]
	s_andn2_b64 exec, exec, s[18:19]
	s_cbranch_execnz .LBB113_39
; %bb.40:                               ;   in Loop: Header=BB113_20 Depth=1
	s_or_b64 exec, exec, s[18:19]
	v_mov_b64_e32 v[4:5], v[8:9]
.LBB113_41:                             ;   in Loop: Header=BB113_20 Depth=1
	s_or_b64 exec, exec, s[14:15]
	v_lshlrev_b32_e32 v2, 3, v10
	s_waitcnt vmcnt(0)
	ds_write_b64 v2, v[4:5]
.LBB113_42:                             ;   in Loop: Header=BB113_20 Depth=1
	s_or_b64 exec, exec, s[2:3]
	s_waitcnt lgkmcnt(0)
	s_barrier
	s_and_saveexec_b64 s[2:3], s[16:17]
; %bb.43:                               ;   in Loop: Header=BB113_20 Depth=1
	ds_write_b32 v21, v51 offset:4104
; %bb.44:                               ;   in Loop: Header=BB113_20 Depth=1
	s_or_b64 exec, exec, s[2:3]
	s_mov_b64 s[2:3], -1
	s_waitcnt lgkmcnt(0)
	s_barrier
.LBB113_45:                             ;   in Loop: Header=BB113_20 Depth=1
	s_mov_b32 s78, 0
	s_and_b64 vcc, exec, s[2:3]
	s_cbranch_vccz .LBB113_47
; %bb.46:                               ;   in Loop: Header=BB113_20 Depth=1
	ds_read_b32 v2, v21 offset:4104
	s_waitcnt lgkmcnt(0)
	v_readfirstlane_b32 s78, v2
.LBB113_47:                             ;   in Loop: Header=BB113_20 Depth=1
	s_cmp_lt_i32 s78, 1
	s_mov_b64 s[2:3], -1
                                        ; implicit-def: $vgpr10_vgpr11
	s_cbranch_scc1 .LBB113_57
; %bb.48:                               ;   in Loop: Header=BB113_20 Depth=1
	s_and_b64 vcc, exec, s[2:3]
	s_cbranch_vccnz .LBB113_68
.LBB113_49:                             ;   in Loop: Header=BB113_20 Depth=1
	s_lshl_b32 s18, s33, 6
	s_and_saveexec_b64 s[2:3], s[4:5]
.LBB113_50:                             ;   in Loop: Header=BB113_20 Depth=1
	v_lshl_add_u32 v2, s18, 2, v39
	ds_write_b128 v2, v[8:11]
.LBB113_51:                             ;   in Loop: Header=BB113_20 Depth=1
	s_or_b64 exec, exec, s[2:3]
	s_waitcnt lgkmcnt(0)
	s_barrier
	s_and_saveexec_b64 s[2:3], s[70:71]
	s_cbranch_execz .LBB113_88
; %bb.52:                               ;   in Loop: Header=BB113_20 Depth=1
	v_add_u32_e32 v2, s18, v36
	s_andn2_b64 vcc, exec, s[74:75]
	v_mov_b32_e32 v4, 0
	s_cbranch_vccnz .LBB113_87
; %bb.53:                               ;   in Loop: Header=BB113_20 Depth=1
	v_readlane_b32 s14, v62, 15
	v_readlane_b32 s15, v62, 16
	s_andn2_b64 vcc, exec, s[14:15]
	s_cbranch_vccnz .LBB113_77
; %bb.54:                               ;   in Loop: Header=BB113_20 Depth=1
	v_readlane_b32 s14, v62, 17
	v_readlane_b32 s15, v62, 18
	s_andn2_b64 vcc, exec, s[14:15]
	v_lshl_add_u32 v8, v2, 2, v48
	s_cbranch_vccnz .LBB113_81
; %bb.55:                               ;   in Loop: Header=BB113_20 Depth=1
	s_mov_b32 s15, 1
	s_mov_b32 s14, 0
	v_mov_b32_e32 v4, 0
	v_mov_b32_e32 v5, 0
	v_readlane_b32 s19, v62, 19
.LBB113_56:                             ;   Parent Loop BB113_20 Depth=1
                                        ; =>  This Inner Loop Header: Depth=2
	v_lshl_add_u32 v9, s14, 4, v8
	v_lshl_add_u32 v20, s15, 4, v8
	ds_read2_b32 v[10:11], v9 offset1:8
	ds_read2_b32 v[12:13], v20 offset1:8
	ds_read2_b32 v[14:15], v9 offset0:16 offset1:24
	ds_read2_b32 v[32:33], v20 offset0:16 offset1:24
	;; [unrolled: 1-line block ×6, first 2 shown]
	s_waitcnt lgkmcnt(7)
	v_add3_u32 v4, v10, v4, v11
	s_waitcnt lgkmcnt(6)
	v_add3_u32 v5, v12, v5, v13
	;; [unrolled: 2-line block ×3, first 2 shown]
	v_add3_u32 v4, v14, v4, v15
	s_add_i32 s15, s15, 16
	s_add_i32 s14, s14, 16
	s_add_i32 s19, s19, -8
	s_waitcnt lgkmcnt(3)
	v_add3_u32 v4, v34, v4, v35
	s_waitcnt lgkmcnt(2)
	v_add3_u32 v5, v54, v5, v55
	s_cmp_lg_u32 s19, 0
	s_waitcnt lgkmcnt(0)
	v_add3_u32 v5, v58, v5, v59
	v_add3_u32 v4, v56, v4, v57
	s_cbranch_scc1 .LBB113_56
	s_branch .LBB113_82
.LBB113_57:                             ;   in Loop: Header=BB113_20 Depth=1
	v_mov_b32_e32 v20, v21
	v_mov_b64_e32 v[10:11], v[20:21]
	v_mov_b64_e32 v[8:9], v[20:21]
	s_and_saveexec_b64 s[44:45], s[8:9]
	s_cbranch_execz .LBB113_61
; %bb.58:                               ;   in Loop: Header=BB113_20 Depth=1
	s_mov_b32 s52, 0
	s_mov_b64 s[46:47], 0
	v_mov_b32_e32 v2, v25
	s_mov_b32 s50, 0
	s_mov_b32 s51, s52
	;; [unrolled: 1-line block ×4, first 2 shown]
.LBB113_59:                             ;   Parent Loop BB113_20 Depth=1
                                        ; =>  This Inner Loop Header: Depth=2
	v_add_u32_e32 v20, s52, v44
	v_lshl_add_u64 v[12:13], v[20:21], 3, v[16:17]
	v_add_u32_e32 v20, s52, v41
	global_load_dwordx2 v[12:13], v[12:13], off
	v_lshl_add_u64 v[14:15], v[20:21], 3, v[16:17]
	v_add_u32_e32 v20, s52, v42
	global_load_dwordx2 v[14:15], v[14:15], off
	v_lshl_add_u64 v[32:33], v[20:21], 3, v[16:17]
	global_load_dwordx2 v[32:33], v[32:33], off
	v_add_u32_e32 v20, s52, v43
	v_lshl_add_u64 v[34:35], v[20:21], 3, v[16:17]
	global_load_dwordx2 v[34:35], v[34:35], off
	v_mov_b32_e32 v11, v21
	v_mov_b32_e32 v9, v21
	;; [unrolled: 1-line block ×3, first 2 shown]
	v_add_u32_e32 v2, s57, v2
	v_cmp_le_u32_e32 vcc, s84, v2
	s_add_i32 s52, s52, s82
	s_waitcnt vmcnt(3)
	v_ashrrev_i32_e32 v4, 31, v13
	v_xor_b32_e32 v8, v4, v12
	v_or_b32_e32 v4, 0x80000000, v4
	s_waitcnt vmcnt(2)
	v_ashrrev_i32_e32 v10, 31, v15
	v_cmp_o_f64_e64 s[2:3], v[12:13], v[12:13]
	v_xor_b32_e32 v20, v10, v14
	v_cmp_o_f64_e64 s[14:15], v[14:15], v[14:15]
	v_xor_b32_e32 v4, v4, v13
	v_or_b32_e32 v10, 0x80000000, v10
	s_waitcnt vmcnt(1)
	v_ashrrev_i32_e32 v14, 31, v33
	v_cndmask_b32_e64 v12, -1, v8, s[2:3]
	v_cndmask_b32_e64 v13, -1, v4, s[2:3]
	v_xor_b32_e32 v4, v10, v15
	v_or_b32_e32 v10, 0x80000000, v14
	v_xor_b32_e32 v8, v14, v32
	v_cmp_o_f64_e64 s[18:19], v[32:33], v[32:33]
	v_and_b32_e32 v32, v12, v30
	v_cndmask_b32_e64 v15, -1, v4, s[14:15]
	v_xor_b32_e32 v4, v10, v33
	v_and_b32_e32 v33, v13, v31
	v_lshrrev_b64 v[12:13], s80, v[12:13]
	s_waitcnt vmcnt(0)
	v_ashrrev_i32_e32 v50, 31, v35
	v_cndmask_b32_e64 v14, -1, v20, s[14:15]
	v_and_b32_e32 v20, 3, v12
	v_or_b32_e32 v10, 0x80000000, v50
	v_cndmask_b32_e64 v54, -1, v8, s[18:19]
	v_cndmask_b32_e64 v55, -1, v4, s[18:19]
	v_cmp_eq_u64_e64 s[14:15], v[32:33], v[28:29]
	v_lshrrev_b64 v[12:13], s80, v[14:15]
	v_cmp_eq_u64_e64 s[18:19], 0, v[20:21]
	v_xor_b32_e32 v56, v50, v34
	v_cmp_o_f64_e64 s[2:3], v[34:35], v[34:35]
	v_xor_b32_e32 v4, v10, v35
	v_and_b32_e32 v10, 3, v12
	v_cmp_eq_u64_e64 s[20:21], 1, v[20:21]
	s_and_b64 s[18:19], s[14:15], s[18:19]
	v_and_b32_e32 v34, v14, v30
	v_and_b32_e32 v35, v15, v31
	v_cndmask_b32_e64 v14, -1, v56, s[2:3]
	v_cndmask_b32_e64 v15, -1, v4, s[2:3]
	v_lshrrev_b64 v[12:13], s80, v[54:55]
	v_cmp_eq_u64_e64 s[22:23], 2, v[20:21]
	v_cmp_eq_u64_e64 s[28:29], 0, v[10:11]
	;; [unrolled: 1-line block ×5, first 2 shown]
	v_cndmask_b32_e64 v10, 0, 1, s[18:19]
	s_and_b64 s[18:19], s[14:15], s[20:21]
	v_and_b32_e32 v32, v54, v30
	v_cmp_eq_u64_e64 s[2:3], v[34:35], v[28:29]
	v_and_b32_e32 v33, v55, v31
	v_cmp_eq_u64_e64 s[24:25], 3, v[20:21]
	v_and_b32_e32 v8, 3, v12
	v_lshrrev_b64 v[12:13], s80, v[14:15]
	v_cndmask_b32_e64 v11, 0, 1, s[18:19]
	s_and_b64 s[18:19], s[14:15], s[22:23]
	v_cmp_eq_u64_e64 s[26:27], v[32:33], v[28:29]
	v_cndmask_b32_e64 v13, 0, 1, s[18:19]
	s_and_b64 s[14:15], s[14:15], s[24:25]
	v_cmp_eq_u64_e64 s[18:19], 0, v[8:9]
	v_cmp_eq_u64_e64 s[20:21], 1, v[8:9]
	s_and_b64 s[30:31], s[2:3], s[30:31]
	s_and_b64 s[34:35], s[2:3], s[34:35]
	v_and_b32_e32 v34, v14, v30
	v_and_b32_e32 v35, v15, v31
	v_cndmask_b32_e64 v14, 0, 1, s[14:15]
	v_and_b32_e32 v4, 3, v12
	v_cmp_eq_u64_e64 s[22:23], 2, v[8:9]
	v_cmp_eq_u64_e64 s[24:25], 3, v[8:9]
	v_cmp_ne_u32_e64 s[38:39], 0, v10
	s_and_b64 s[28:29], s[2:3], s[28:29]
	v_cndmask_b32_e64 v9, 0, 1, s[30:31]
	v_cndmask_b32_e64 v10, 0, 1, s[34:35]
	s_and_b64 s[2:3], s[2:3], s[36:37]
	s_and_b64 s[18:19], s[26:27], s[18:19]
	;; [unrolled: 1-line block ×3, first 2 shown]
	v_cmp_eq_u64_e64 s[14:15], v[34:35], v[28:29]
	v_cndmask_b32_e64 v8, 0, 1, s[28:29]
	v_cmp_ne_u32_e64 s[28:29], 0, v11
	v_cmp_ne_u32_e64 s[30:31], 0, v13
	;; [unrolled: 1-line block ×3, first 2 shown]
	v_cndmask_b32_e64 v11, 0, 1, s[2:3]
	v_cmp_eq_u64_e64 s[2:3], 0, v[4:5]
	v_cmp_eq_u64_e64 s[36:37], 1, v[4:5]
	v_cmp_eq_u64_e64 s[40:41], 2, v[4:5]
	v_cmp_eq_u64_e64 s[42:43], 3, v[4:5]
	v_cndmask_b32_e64 v4, 0, 1, s[18:19]
	v_cmp_ne_u32_e64 s[18:19], 0, v9
	v_cndmask_b32_e64 v5, 0, 1, s[20:21]
	v_cmp_ne_u32_e64 s[20:21], 0, v10
	s_and_b64 s[22:23], s[26:27], s[22:23]
	s_and_b64 s[24:25], s[26:27], s[24:25]
	s_bcnt1_i32_b64 s53, s[38:39]
	v_cmp_ne_u32_e64 s[38:39], 0, v8
	s_bcnt1_i32_b64 s28, s[28:29]
	s_bcnt1_i32_b64 s29, s[30:31]
	v_cndmask_b32_e64 v8, 0, 1, s[22:23]
	s_bcnt1_i32_b64 s30, s[34:35]
	v_cmp_ne_u32_e64 s[22:23], 0, v11
	v_cndmask_b32_e64 v9, 0, 1, s[24:25]
	s_and_b64 s[2:3], s[14:15], s[2:3]
	s_bcnt1_i32_b64 s27, s[18:19]
	s_and_b64 s[18:19], s[14:15], s[36:37]
	s_bcnt1_i32_b64 s34, s[20:21]
	s_and_b64 s[20:21], s[14:15], s[40:41]
	s_and_b64 s[14:15], s[14:15], s[42:43]
	s_bcnt1_i32_b64 s26, s[38:39]
	v_cmp_ne_u32_e64 s[24:25], 0, v4
	v_cndmask_b32_e64 v4, 0, 1, s[2:3]
	v_cmp_ne_u32_e64 s[2:3], 0, v5
	v_cndmask_b32_e64 v5, 0, 1, s[18:19]
	s_add_i32 s31, s50, s53
	s_add_i32 s28, s51, s28
	v_cmp_ne_u32_e64 s[18:19], 0, v8
	v_cndmask_b32_e64 v8, 0, 1, s[20:21]
	s_bcnt1_i32_b64 s22, s[22:23]
	v_cmp_ne_u32_e64 s[20:21], 0, v9
	v_cndmask_b32_e64 v9, 0, 1, s[14:15]
	s_add_i32 s23, s48, s29
	s_add_i32 s29, s49, s30
	s_bcnt1_i32_b64 s24, s[24:25]
	v_cmp_ne_u32_e64 s[14:15], 0, v4
	s_bcnt1_i32_b64 s25, s[2:3]
	v_cmp_ne_u32_e64 s[2:3], 0, v5
	s_add_i32 s27, s28, s27
	s_add_i32 s26, s31, s26
	s_bcnt1_i32_b64 s28, s[18:19]
	v_cmp_ne_u32_e64 s[18:19], 0, v8
	s_bcnt1_i32_b64 s30, s[20:21]
	v_cmp_ne_u32_e64 s[20:21], 0, v9
	s_add_i32 s22, s29, s22
	s_add_i32 s23, s23, s34
	s_bcnt1_i32_b64 s14, s[14:15]
	s_bcnt1_i32_b64 s2, s[2:3]
	s_add_i32 s3, s26, s24
	s_add_i32 s15, s27, s25
	s_bcnt1_i32_b64 s18, s[18:19]
	s_bcnt1_i32_b64 s19, s[20:21]
	s_add_i32 s20, s23, s28
	s_add_i32 s21, s22, s30
	;; [unrolled: 1-line block ×6, first 2 shown]
	s_or_b64 s[46:47], vcc, s[46:47]
	v_mov_b64_e32 v[8:9], s[50:51]
	v_mov_b64_e32 v[10:11], s[48:49]
	s_andn2_b64 exec, exec, s[46:47]
	s_cbranch_execnz .LBB113_59
; %bb.60:                               ;   in Loop: Header=BB113_20 Depth=1
	s_or_b64 exec, exec, s[46:47]
.LBB113_61:                             ;   in Loop: Header=BB113_20 Depth=1
	s_or_b64 exec, exec, s[44:45]
	s_and_saveexec_b64 s[14:15], s[10:11]
	s_cbranch_execz .LBB113_67
; %bb.62:                               ;   in Loop: Header=BB113_20 Depth=1
	global_load_dwordx2 v[14:15], v[26:27], off
	s_mov_b64 s[18:19], 0
	v_mov_b32_e32 v4, v45
	v_mov_b32_e32 v2, v40
	s_branch .LBB113_64
.LBB113_63:                             ;   in Loop: Header=BB113_64 Depth=2
	s_or_b64 exec, exec, s[20:21]
	s_waitcnt vmcnt(0)
	v_ashrrev_i32_e32 v5, 31, v15
	v_or_b32_e32 v20, 0x80000000, v5
	s_and_b64 s[2:3], exec, vcc
	v_xor_b32_e32 v20, v20, v15
	v_xor_b32_e32 v5, v5, v14
	v_cmp_o_f64_e32 vcc, v[14:15], v[14:15]
	s_or_b64 s[18:19], s[2:3], s[18:19]
	v_add_u32_e32 v4, s69, v4
	v_cndmask_b32_e32 v15, -1, v20, vcc
	v_cndmask_b32_e32 v14, -1, v5, vcc
	v_and_b32_e32 v33, v15, v31
	v_and_b32_e32 v32, v14, v30
	v_lshrrev_b64 v[14:15], s80, v[14:15]
	v_and_b32_e32 v20, 3, v14
	v_cmp_eq_u64_e32 vcc, v[32:33], v[28:29]
	v_cmp_eq_u64_e64 s[2:3], 0, v[20:21]
	s_and_b64 s[2:3], vcc, s[2:3]
	v_mov_b64_e32 v[14:15], v[12:13]
	v_cndmask_b32_e64 v5, 0, 1, s[2:3]
	v_cmp_ne_u32_e64 s[2:3], 0, v5
	s_bcnt1_i32_b64 s20, s[2:3]
	v_cmp_eq_u64_e64 s[2:3], 1, v[20:21]
	s_and_b64 s[2:3], vcc, s[2:3]
	v_add_u32_e32 v8, s20, v8
	v_cndmask_b32_e64 v5, 0, 1, s[2:3]
	v_cmp_ne_u32_e64 s[2:3], 0, v5
	s_bcnt1_i32_b64 s2, s[2:3]
	s_nop 0
	v_add_u32_e32 v9, s2, v9
	v_cmp_eq_u64_e64 s[2:3], 2, v[20:21]
	s_and_b64 s[2:3], vcc, s[2:3]
	s_nop 0
	v_cndmask_b32_e64 v5, 0, 1, s[2:3]
	v_cmp_ne_u32_e64 s[2:3], 0, v5
	s_bcnt1_i32_b64 s20, s[2:3]
	v_cmp_eq_u64_e64 s[2:3], 3, v[20:21]
	s_and_b64 s[2:3], vcc, s[2:3]
	v_add_u32_e32 v10, s20, v10
	v_cndmask_b32_e64 v5, 0, 1, s[2:3]
	v_cmp_ne_u32_e32 vcc, 0, v5
	s_bcnt1_i32_b64 s2, vcc
	v_add_u32_e32 v11, s2, v11
	s_andn2_b64 exec, exec, s[18:19]
	s_cbranch_execz .LBB113_66
.LBB113_64:                             ;   Parent Loop BB113_20 Depth=1
                                        ; =>  This Inner Loop Header: Depth=2
	v_add_u32_e32 v2, s59, v2
	v_cmp_gt_u32_e64 s[2:3], s56, v2
	v_cmp_le_u32_e32 vcc, s56, v2
	v_mov_b64_e32 v[12:13], 0
	s_and_saveexec_b64 s[20:21], s[2:3]
	s_cbranch_execz .LBB113_63
; %bb.65:                               ;   in Loop: Header=BB113_64 Depth=2
	v_mov_b32_e32 v5, v21
	v_lshl_add_u64 v[12:13], v[4:5], 3, v[16:17]
	global_load_dwordx2 v[12:13], v[12:13], off
	s_branch .LBB113_63
.LBB113_66:                             ;   in Loop: Header=BB113_20 Depth=1
	s_or_b64 exec, exec, s[18:19]
.LBB113_67:                             ;   in Loop: Header=BB113_20 Depth=1
	s_or_b64 exec, exec, s[14:15]
	s_branch .LBB113_49
.LBB113_68:                             ;   in Loop: Header=BB113_20 Depth=1
	s_mul_hi_u32 s2, s78, s83
	s_mul_i32 s2, s2, s57
	s_sub_i32 s2, s78, s2
	s_sub_i32 s3, s2, s57
	s_cmp_ge_u32 s2, s57
	s_cselect_b32 s2, s3, s2
	s_sub_i32 s3, s2, s57
	s_cmp_ge_u32 s2, s57
	s_cselect_b32 s2, s3, s2
	s_sub_i32 s79, s78, s2
	v_mov_b32_e32 v20, v21
	v_cmp_gt_u32_e32 vcc, s79, v25
	v_mov_b64_e32 v[10:11], v[20:21]
	v_mov_b64_e32 v[8:9], v[20:21]
	s_and_saveexec_b64 s[60:61], vcc
	s_cbranch_execz .LBB113_72
; %bb.69:                               ;   in Loop: Header=BB113_20 Depth=1
	s_mov_b32 s66, 0
	s_mov_b64 s[62:63], 0
	v_mov_b32_e32 v2, v46
	v_mov_b32_e32 v50, v25
	s_mov_b32 s67, s66
	s_mov_b32 s64, s66
	;; [unrolled: 1-line block ×3, first 2 shown]
.LBB113_70:                             ;   Parent Loop BB113_20 Depth=1
                                        ; =>  This Inner Loop Header: Depth=2
	ds_read_b128 v[12:15], v2
	ds_read_b128 v[8:11], v2 offset:16
	v_mov_b32_e32 v5, v21
	v_mov_b32_e32 v33, v21
	;; [unrolled: 1-line block ×3, first 2 shown]
	s_waitcnt lgkmcnt(1)
	v_ashrrev_i32_e32 v4, 31, v13
	v_ashrrev_i32_e32 v20, 31, v15
	s_waitcnt lgkmcnt(0)
	v_ashrrev_i32_e32 v32, 31, v9
	v_ashrrev_i32_e32 v34, 31, v11
	v_xor_b32_e32 v54, v20, v14
	v_cmp_o_f64_e64 s[2:3], v[14:15], v[14:15]
	v_xor_b32_e32 v14, v32, v8
	v_cmp_o_f64_e64 s[14:15], v[8:9], v[8:9]
	v_xor_b32_e32 v8, v4, v12
	v_or_b32_e32 v4, 0x80000000, v4
	v_xor_b32_e32 v55, v34, v10
	v_cmp_o_f64_e64 s[18:19], v[10:11], v[10:11]
	v_cmp_o_f64_e64 s[20:21], v[12:13], v[12:13]
	v_or_b32_e32 v10, 0x80000000, v20
	v_or_b32_e32 v12, 0x80000000, v32
	v_xor_b32_e32 v4, v4, v13
	v_or_b32_e32 v20, 0x80000000, v34
	v_xor_b32_e32 v13, v10, v15
	v_xor_b32_e32 v15, v12, v9
	v_cndmask_b32_e64 v8, -1, v8, s[20:21]
	v_cndmask_b32_e64 v9, -1, v4, s[20:21]
	v_xor_b32_e32 v20, v20, v11
	v_cndmask_b32_e64 v10, -1, v54, s[2:3]
	v_cndmask_b32_e64 v12, -1, v14, s[14:15]
	;; [unrolled: 1-line block ×4, first 2 shown]
	v_and_b32_e32 v54, v8, v30
	v_and_b32_e32 v55, v9, v31
	v_lshrrev_b64 v[8:9], s80, v[8:9]
	v_cndmask_b32_e64 v13, -1, v15, s[14:15]
	v_cndmask_b32_e64 v15, -1, v20, s[18:19]
	v_and_b32_e32 v56, v10, v30
	v_and_b32_e32 v57, v11, v31
	v_lshrrev_b64 v[10:11], s80, v[10:11]
	v_and_b32_e32 v20, 3, v8
	v_and_b32_e32 v58, v12, v30
	;; [unrolled: 1-line block ×3, first 2 shown]
	v_lshrrev_b64 v[12:13], s80, v[12:13]
	v_cmp_eq_u64_e64 s[2:3], v[54:55], v[28:29]
	v_and_b32_e32 v4, 3, v10
	v_cmp_eq_u64_e64 s[22:23], 0, v[20:21]
	v_and_b32_e32 v60, v14, v30
	v_and_b32_e32 v61, v15, v31
	v_lshrrev_b64 v[14:15], s80, v[14:15]
	v_cmp_eq_u64_e64 s[14:15], v[56:57], v[28:29]
	v_and_b32_e32 v32, 3, v12
	v_cmp_eq_u64_e64 s[24:25], 0, v[4:5]
	s_and_b64 s[22:23], s[2:3], s[22:23]
	v_cmp_eq_u64_e64 s[18:19], v[58:59], v[28:29]
	v_and_b32_e32 v34, 3, v14
	v_cmp_eq_u64_e64 s[26:27], 0, v[32:33]
	v_cmp_eq_u64_e64 s[34:35], 1, v[4:5]
	;; [unrolled: 1-line block ×4, first 2 shown]
	v_cndmask_b32_e64 v4, 0, 1, s[22:23]
	s_and_b64 s[22:23], s[14:15], s[24:25]
	v_cmp_eq_u64_e64 s[20:21], v[60:61], v[28:29]
	v_cmp_eq_u64_e64 s[28:29], 0, v[34:35]
	v_cndmask_b32_e64 v5, 0, 1, s[22:23]
	s_and_b64 s[22:23], s[18:19], s[26:27]
	v_cmp_eq_u64_e64 s[30:31], 1, v[20:21]
	v_cndmask_b32_e64 v8, 0, 1, s[22:23]
	s_and_b64 s[22:23], s[20:21], s[28:29]
	v_cndmask_b32_e64 v9, 0, 1, s[22:23]
	s_and_b64 s[22:23], s[2:3], s[30:31]
	v_cmp_eq_u64_e64 s[36:37], 1, v[32:33]
	v_cndmask_b32_e64 v10, 0, 1, s[22:23]
	s_and_b64 s[22:23], s[14:15], s[34:35]
	v_cmp_eq_u64_e64 s[38:39], 1, v[34:35]
	;; [unrolled: 3-line block ×3, first 2 shown]
	v_cmp_eq_u64_e64 s[48:49], 3, v[20:21]
	v_cndmask_b32_e64 v12, 0, 1, s[22:23]
	s_and_b64 s[22:23], s[20:21], s[38:39]
	v_cndmask_b32_e64 v13, 0, 1, s[22:23]
	s_and_b64 s[22:23], s[2:3], s[40:41]
	s_and_b64 s[2:3], s[2:3], s[48:49]
	v_cmp_eq_u64_e64 s[44:45], 2, v[32:33]
	v_cmp_eq_u64_e64 s[52:53], 3, v[32:33]
	v_cndmask_b32_e64 v14, 0, 1, s[22:23]
	s_and_b64 s[22:23], s[14:15], s[42:43]
	v_cndmask_b32_e64 v33, 0, 1, s[2:3]
	s_and_b64 s[2:3], s[14:15], s[50:51]
	v_cmp_eq_u64_e64 s[46:47], 2, v[34:35]
	v_cmp_eq_u64_e64 s[54:55], 3, v[34:35]
	v_cndmask_b32_e64 v15, 0, 1, s[22:23]
	s_and_b64 s[22:23], s[18:19], s[44:45]
	v_cndmask_b32_e64 v34, 0, 1, s[2:3]
	s_and_b64 s[2:3], s[18:19], s[52:53]
	;; [unrolled: 2-line block ×4, first 2 shown]
	v_cndmask_b32_e64 v32, 0, 1, s[22:23]
	v_cndmask_b32_e64 v54, 0, 1, s[2:3]
	v_cmp_ne_u32_e64 s[2:3], 0, v4
	v_cmp_ne_u32_e64 s[14:15], 0, v5
	;; [unrolled: 1-line block ×11, first 2 shown]
	s_bcnt1_i32_b64 s2, s[2:3]
	s_bcnt1_i32_b64 s3, s[14:15]
	;; [unrolled: 1-line block ×8, first 2 shown]
	v_cmp_ne_u32_e64 s[28:29], 0, v13
	v_cmp_ne_u32_e64 s[36:37], 0, v20
	;; [unrolled: 1-line block ×3, first 2 shown]
	s_bcnt1_i32_b64 s19, s[24:25]
	s_bcnt1_i32_b64 s23, s[34:35]
	;; [unrolled: 1-line block ×3, first 2 shown]
	s_add_i32 s2, s66, s2
	s_add_i32 s18, s67, s18
	;; [unrolled: 1-line block ×4, first 2 shown]
	v_cmp_ne_u32_e64 s[38:39], 0, v32
	v_cmp_ne_u32_e64 s[46:47], 0, v54
	s_bcnt1_i32_b64 s21, s[28:29]
	s_bcnt1_i32_b64 s24, s[36:37]
	;; [unrolled: 1-line block ×3, first 2 shown]
	s_add_i32 s18, s18, s19
	s_add_i32 s2, s2, s3
	;; [unrolled: 1-line block ×4, first 2 shown]
	v_add_u32_e32 v50, s57, v50
	s_bcnt1_i32_b64 s25, s[38:39]
	s_bcnt1_i32_b64 s29, s[46:47]
	s_add_i32 s2, s2, s14
	s_add_i32 s14, s18, s20
	;; [unrolled: 1-line block ×4, first 2 shown]
	v_cmp_le_u32_e32 vcc, s79, v50
	s_add_i32 s67, s14, s21
	s_add_i32 s66, s2, s15
	;; [unrolled: 1-line block ×4, first 2 shown]
	v_add_u32_e32 v2, s76, v2
	s_or_b64 s[62:63], vcc, s[62:63]
	v_mov_b64_e32 v[8:9], s[66:67]
	v_mov_b64_e32 v[10:11], s[64:65]
	s_andn2_b64 exec, exec, s[62:63]
	s_cbranch_execnz .LBB113_70
; %bb.71:                               ;   in Loop: Header=BB113_20 Depth=1
	s_or_b64 exec, exec, s[62:63]
.LBB113_72:                             ;   in Loop: Header=BB113_20 Depth=1
	s_or_b64 exec, exec, s[60:61]
	v_add_u32_e32 v2, s79, v0
	v_cmp_gt_u32_e32 vcc, s78, v2
	s_and_saveexec_b64 s[24:25], vcc
	s_cbranch_execz .LBB113_76
; %bb.73:                               ;   in Loop: Header=BB113_20 Depth=1
	v_lshlrev_b32_e32 v4, 3, v2
	s_mov_b64 s[26:27], 0
.LBB113_74:                             ;   Parent Loop BB113_20 Depth=1
                                        ; =>  This Inner Loop Header: Depth=2
	ds_read_b64 v[12:13], v4
	v_add_u32_e32 v2, s59, v2
	v_cmp_le_u32_e32 vcc, s78, v2
	v_add_u32_e32 v4, s77, v4
	s_waitcnt lgkmcnt(0)
	v_ashrrev_i32_e32 v5, 31, v13
	v_or_b32_e32 v14, 0x80000000, v5
	v_xor_b32_e32 v5, v5, v12
	v_xor_b32_e32 v14, v14, v13
	v_cmp_o_f64_e64 s[2:3], v[12:13], v[12:13]
	s_nop 1
	v_cndmask_b32_e64 v13, -1, v14, s[2:3]
	v_cndmask_b32_e64 v12, -1, v5, s[2:3]
	v_and_b32_e32 v15, v13, v31
	v_and_b32_e32 v14, v12, v30
	v_lshrrev_b64 v[12:13], s80, v[12:13]
	v_and_b32_e32 v20, 3, v12
	v_cmp_eq_u64_e64 s[2:3], v[14:15], v[28:29]
	v_cmp_eq_u64_e64 s[14:15], 0, v[20:21]
	;; [unrolled: 1-line block ×3, first 2 shown]
	s_and_b64 s[14:15], s[2:3], s[14:15]
	v_cmp_eq_u64_e64 s[20:21], 2, v[20:21]
	v_cmp_eq_u64_e64 s[22:23], 3, v[20:21]
	v_cndmask_b32_e64 v5, 0, 1, s[14:15]
	s_and_b64 s[14:15], s[2:3], s[18:19]
	v_cndmask_b32_e64 v12, 0, 1, s[14:15]
	s_and_b64 s[14:15], s[2:3], s[20:21]
	s_and_b64 s[2:3], s[2:3], s[22:23]
	v_cndmask_b32_e64 v13, 0, 1, s[14:15]
	v_cndmask_b32_e64 v14, 0, 1, s[2:3]
	v_cmp_ne_u32_e64 s[2:3], 0, v5
	v_cmp_ne_u32_e64 s[14:15], 0, v12
	;; [unrolled: 1-line block ×4, first 2 shown]
	s_bcnt1_i32_b64 s2, s[2:3]
	s_bcnt1_i32_b64 s3, s[14:15]
	;; [unrolled: 1-line block ×4, first 2 shown]
	v_add_u32_e32 v9, s3, v9
	v_add_u32_e32 v8, s2, v8
	v_add_u32_e32 v11, s15, v11
	s_or_b64 s[26:27], vcc, s[26:27]
	v_add_u32_e32 v10, s14, v10
	s_andn2_b64 exec, exec, s[26:27]
	s_cbranch_execnz .LBB113_74
; %bb.75:                               ;   in Loop: Header=BB113_20 Depth=1
	s_or_b64 exec, exec, s[26:27]
.LBB113_76:                             ;   in Loop: Header=BB113_20 Depth=1
	s_or_b64 exec, exec, s[24:25]
	s_lshl_b32 s18, s33, 6
	s_and_saveexec_b64 s[2:3], s[4:5]
	s_cbranch_execnz .LBB113_50
	s_branch .LBB113_51
.LBB113_77:                             ;   in Loop: Header=BB113_20 Depth=1
	v_mov_b32_e32 v4, 0
	s_mov_b32 s19, 0
	s_cbranch_execnz .LBB113_85
	s_branch .LBB113_87
.LBB113_78:                             ;   in Loop: Header=BB113_20 Depth=1
	s_or_b64 exec, exec, s[20:21]
	s_waitcnt lgkmcnt(0)
	s_barrier
	s_and_saveexec_b64 s[2:3], s[16:17]
	s_cbranch_execz .LBB113_80
; %bb.79:                               ;   in Loop: Header=BB113_20 Depth=1
	ds_read_b32 v2, v21 offset:4112
	s_waitcnt lgkmcnt(0)
	ds_write_b32 v21, v2 offset:4104
.LBB113_80:                             ;   in Loop: Header=BB113_20 Depth=1
	s_or_b64 exec, exec, s[2:3]
	s_waitcnt lgkmcnt(0)
	s_barrier
	s_mov_b64 s[2:3], -1
	s_and_b64 vcc, exec, s[18:19]
	s_cbranch_vccnz .LBB113_36
	s_branch .LBB113_45
.LBB113_81:                             ;   in Loop: Header=BB113_20 Depth=1
	v_mov_b32_e32 v20, v21
	s_mov_b32 s14, 0
	v_mov_b64_e32 v[4:5], v[20:21]
	s_mov_b32 s15, 1
.LBB113_82:                             ;   in Loop: Header=BB113_20 Depth=1
	v_readlane_b32 s20, v62, 21
	v_readlane_b32 s21, v62, 22
	s_andn2_b64 vcc, exec, s[20:21]
	v_readlane_b32 s19, v62, 20
	s_cbranch_vccnz .LBB113_84
.LBB113_83:                             ;   Parent Loop BB113_20 Depth=1
                                        ; =>  This Inner Loop Header: Depth=2
	v_lshl_add_u32 v9, s14, 4, v8
	v_lshl_add_u32 v10, s15, 4, v8
	ds_read_b32 v10, v10
	ds_read_b32 v9, v9
	s_add_i32 s15, s15, 2
	s_add_i32 s14, s14, 2
	s_add_i32 s19, s19, -1
	s_cmp_lg_u32 s19, 0
	s_waitcnt lgkmcnt(1)
	v_add_u32_e32 v5, v10, v5
	s_waitcnt lgkmcnt(0)
	v_add_u32_e32 v4, v9, v4
	s_cbranch_scc1 .LBB113_83
.LBB113_84:                             ;   in Loop: Header=BB113_20 Depth=1
	v_readlane_b32 s14, v62, 25
	v_add_u32_e32 v4, v4, v5
	v_readlane_b32 s19, v62, 24
	v_readlane_b32 s15, v62, 26
	s_and_b64 vcc, exec, s[14:15]
	s_cbranch_vccz .LBB113_87
.LBB113_85:                             ;   in Loop: Header=BB113_20 Depth=1
	s_lshl_b32 s14, s33, 8
	s_lshl_b32 s15, s19, 4
	s_add_i32 s14, s14, s15
	v_add_u32_e32 v5, s14, v47
	v_readlane_b32 s14, v62, 23
	s_sub_i32 s14, s14, s19
.LBB113_86:                             ;   Parent Loop BB113_20 Depth=1
                                        ; =>  This Inner Loop Header: Depth=2
	ds_read_b32 v8, v5
	s_add_i32 s14, s14, -1
	v_add_u32_e32 v5, 16, v5
	s_cmp_eq_u32 s14, 0
	s_waitcnt lgkmcnt(0)
	v_add_u32_e32 v4, v8, v4
	s_cbranch_scc0 .LBB113_86
.LBB113_87:                             ;   in Loop: Header=BB113_20 Depth=1
	v_lshlrev_b32_e32 v2, 2, v2
	ds_write_b32 v2, v4 offset:3072
.LBB113_88:                             ;   in Loop: Header=BB113_20 Depth=1
	s_or_b64 exec, exec, s[2:3]
	s_lshl_b32 s2, s18, 2
	v_mov_b32_e32 v2, s2
	s_waitcnt lgkmcnt(0)
	s_barrier
	ds_read_b128 v[8:11], v2 offset:3072
	s_lshl_b64 s[2:3], 3, s80
	s_not_b64 s[26:27], s[2:3]
	v_cmp_eq_u32_e32 vcc, 1, v49
	s_mov_b64 s[18:19], -1
	s_waitcnt lgkmcnt(0)
	v_readfirstlane_b32 s42, v8
	s_cmp_eq_u32 s42, 1
	s_cselect_b64 s[14:15], -1, 0
	v_readfirstlane_b32 s46, v9
	v_readfirstlane_b32 s54, v10
	;; [unrolled: 1-line block ×3, first 2 shown]
	s_and_b64 s[20:21], s[14:15], vcc
	s_mov_b64 s[28:29], -1
                                        ; implicit-def: $sgpr24_sgpr25
                                        ; implicit-def: $sgpr22_sgpr23
	s_and_saveexec_b64 s[14:15], s[20:21]
	s_cbranch_execz .LBB113_116
; %bb.89:                               ;   in Loop: Header=BB113_20 Depth=1
	ds_read_b32 v2, v21 offset:4104
	s_waitcnt lgkmcnt(0)
	s_barrier
	v_readfirstlane_b32 s43, v2
	s_and_saveexec_b64 s[22:23], s[6:7]
; %bb.90:                               ;   in Loop: Header=BB113_20 Depth=1
	ds_write_b64 v38, v[52:53]
; %bb.91:                               ;   in Loop: Header=BB113_20 Depth=1
	s_or_b64 exec, exec, s[22:23]
	v_and_b32_e32 v29, s27, v29
	v_and_b32_e32 v28, s26, v28
	v_or_b32_e32 v31, s3, v31
	v_or_b32_e32 v30, s2, v30
	s_mov_b64 s[22:23], -1
	s_mov_b64 s[24:25], 0
	s_cmp_eq_u32 s43, 0
	s_mov_b64 s[28:29], 0
	s_mov_b64 s[30:31], -1
	s_waitcnt lgkmcnt(0)
	s_barrier
                                        ; implicit-def: $vgpr6_vgpr7
	s_cbranch_scc1 .LBB113_103
; %bb.92:                               ;   in Loop: Header=BB113_20 Depth=1
	s_add_i32 s28, s43, s68
	s_mul_hi_u32 s29, s28, s85
	s_mul_i32 s29, s29, s59
	s_sub_i32 s29, s28, s29
	s_sub_i32 s30, s29, s59
	s_cmp_ge_u32 s29, s59
	s_cselect_b32 s29, s30, s29
	s_sub_i32 s30, s29, s59
	s_cmp_ge_u32 s29, s59
	s_cselect_b32 s29, s30, s29
	s_sub_i32 s44, s28, s29
	v_cmp_gt_u32_e32 vcc, s44, v0
	s_mov_b64 s[30:31], 0
	s_mov_b64 s[28:29], 0
                                        ; implicit-def: $vgpr6_vgpr7
	s_and_saveexec_b64 s[34:35], vcc
	s_cbranch_execz .LBB113_102
; %bb.93:                               ;   in Loop: Header=BB113_20 Depth=1
	v_mov_b32_e32 v8, v37
	v_mov_b32_e32 v9, v0
                                        ; implicit-def: $sgpr36_sgpr37
	s_branch .LBB113_97
.LBB113_94:                             ;   in Loop: Header=BB113_97 Depth=2
	s_or_b64 exec, exec, s[38:39]
	s_waitcnt lgkmcnt(0)
	s_barrier
	ds_read_b128 v[4:7], v21 offset:3072
	s_waitcnt lgkmcnt(0)
	s_barrier
	v_cmp_neq_f64_e32 vcc, 0, v[4:5]
	s_cbranch_vccnz .LBB113_100
; %bb.95:                               ;   in Loop: Header=BB113_97 Depth=2
	v_add_u32_e32 v9, s59, v9
	v_cmp_le_u32_e32 vcc, s44, v9
	v_add_u32_e32 v8, s77, v8
	s_mov_b64 s[38:39], 0
	s_orn2_b64 s[40:41], vcc, exec
.LBB113_96:                             ;   in Loop: Header=BB113_97 Depth=2
	s_and_b64 s[40:41], exec, s[40:41]
	s_or_b64 s[28:29], s[40:41], s[28:29]
	s_andn2_b64 s[36:37], s[36:37], exec
	s_and_b64 s[38:39], s[38:39], exec
	s_or_b64 s[36:37], s[36:37], s[38:39]
	s_andn2_b64 exec, exec, s[28:29]
	s_cbranch_execz .LBB113_101
.LBB113_97:                             ;   Parent Loop BB113_20 Depth=1
                                        ; =>  This Inner Loop Header: Depth=2
	v_cmp_gt_u32_e32 vcc, s43, v9
	s_and_saveexec_b64 s[38:39], vcc
	s_cbranch_execz .LBB113_94
; %bb.98:                               ;   in Loop: Header=BB113_97 Depth=2
	ds_read_b64 v[4:5], v8
	s_waitcnt lgkmcnt(0)
	v_ashrrev_i32_e32 v2, 31, v5
	v_or_b32_e32 v6, 0x80000000, v2
	v_xor_b32_e32 v2, v2, v4
	v_xor_b32_e32 v6, v6, v5
	v_cmp_o_f64_e32 vcc, v[4:5], v[4:5]
	s_nop 1
	v_cndmask_b32_e32 v2, -1, v2, vcc
	v_cndmask_b32_e32 v6, -1, v6, vcc
	v_and_b32_e32 v7, v6, v31
	v_and_b32_e32 v6, v2, v30
	v_cmp_eq_u64_e32 vcc, v[6:7], v[28:29]
	s_and_b64 exec, exec, vcc
	s_cbranch_execz .LBB113_94
; %bb.99:                               ;   in Loop: Header=BB113_97 Depth=2
	v_mov_b32_e32 v2, v21
	ds_write_b128 v21, v[2:5] offset:3072
	s_branch .LBB113_94
.LBB113_100:                            ;   in Loop: Header=BB113_97 Depth=2
	s_mov_b64 s[40:41], -1
                                        ; implicit-def: $vgpr9
                                        ; implicit-def: $vgpr8
	s_mov_b64 s[38:39], -1
	s_branch .LBB113_96
.LBB113_101:                            ;   in Loop: Header=BB113_20 Depth=1
	s_or_b64 exec, exec, s[28:29]
	s_and_b64 s[28:29], s[36:37], exec
.LBB113_102:                            ;   in Loop: Header=BB113_20 Depth=1
	s_or_b64 exec, exec, s[34:35]
.LBB113_103:                            ;   in Loop: Header=BB113_20 Depth=1
	s_and_b64 vcc, exec, s[30:31]
	s_cbranch_vccz .LBB113_115
; %bb.104:                              ;   in Loop: Header=BB113_20 Depth=1
                                        ; implicit-def: $vgpr6_vgpr7
	s_and_saveexec_b64 s[22:23], s[12:13]
	s_cbranch_execz .LBB113_114
; %bb.105:                              ;   in Loop: Header=BB113_20 Depth=1
	s_mov_b64 s[30:31], 0
	v_mov_b32_e32 v20, v18
	v_mov_b32_e32 v8, v0
                                        ; implicit-def: $sgpr24_sgpr25
	s_branch .LBB113_109
.LBB113_106:                            ;   in Loop: Header=BB113_109 Depth=2
	s_or_b64 exec, exec, s[34:35]
	s_waitcnt lgkmcnt(0)
	s_barrier
	ds_read_b128 v[4:7], v21 offset:3072
	s_waitcnt lgkmcnt(0)
	s_barrier
	v_cmp_neq_f64_e32 vcc, 0, v[4:5]
	s_cbranch_vccnz .LBB113_112
; %bb.107:                              ;   in Loop: Header=BB113_109 Depth=2
	v_add_u32_e32 v8, s59, v8
	v_cmp_le_u32_e32 vcc, s81, v8
	v_add_u32_e32 v20, s69, v20
	s_mov_b64 s[34:35], 0
	s_orn2_b64 s[36:37], vcc, exec
.LBB113_108:                            ;   in Loop: Header=BB113_109 Depth=2
	s_and_b64 s[36:37], exec, s[36:37]
	s_or_b64 s[30:31], s[36:37], s[30:31]
	s_andn2_b64 s[24:25], s[24:25], exec
	s_and_b64 s[34:35], s[34:35], exec
	s_or_b64 s[24:25], s[24:25], s[34:35]
	s_andn2_b64 exec, exec, s[30:31]
	s_cbranch_execz .LBB113_113
.LBB113_109:                            ;   Parent Loop BB113_20 Depth=1
                                        ; =>  This Inner Loop Header: Depth=2
	v_cmp_gt_u32_e32 vcc, s56, v8
	s_and_saveexec_b64 s[34:35], vcc
	s_cbranch_execz .LBB113_106
; %bb.110:                              ;   in Loop: Header=BB113_109 Depth=2
	v_lshl_add_u64 v[4:5], v[20:21], 3, v[16:17]
	global_load_dwordx2 v[4:5], v[4:5], off
	s_waitcnt vmcnt(0)
	v_ashrrev_i32_e32 v2, 31, v5
	v_or_b32_e32 v6, 0x80000000, v2
	v_xor_b32_e32 v2, v2, v4
	v_xor_b32_e32 v6, v6, v5
	v_cmp_o_f64_e32 vcc, v[4:5], v[4:5]
	s_nop 1
	v_cndmask_b32_e32 v2, -1, v2, vcc
	v_cndmask_b32_e32 v6, -1, v6, vcc
	v_and_b32_e32 v7, v6, v31
	v_and_b32_e32 v6, v2, v30
	v_cmp_eq_u64_e32 vcc, v[6:7], v[28:29]
	s_and_b64 exec, exec, vcc
	s_cbranch_execz .LBB113_106
; %bb.111:                              ;   in Loop: Header=BB113_109 Depth=2
	v_mov_b32_e32 v2, v21
	ds_write_b128 v21, v[2:5] offset:3072
	s_branch .LBB113_106
.LBB113_112:                            ;   in Loop: Header=BB113_109 Depth=2
	s_mov_b64 s[36:37], -1
                                        ; implicit-def: $vgpr8
	s_mov_b64 s[34:35], -1
	s_branch .LBB113_108
.LBB113_113:                            ;   in Loop: Header=BB113_20 Depth=1
	s_or_b64 exec, exec, s[30:31]
	s_andn2_b64 s[28:29], s[28:29], exec
	s_and_b64 s[24:25], s[24:25], exec
	s_or_b64 s[28:29], s[28:29], s[24:25]
.LBB113_114:                            ;   in Loop: Header=BB113_20 Depth=1
	s_or_b64 exec, exec, s[22:23]
	s_mov_b64 s[22:23], 0
	s_mov_b64 s[24:25], -1
.LBB113_115:                            ;   in Loop: Header=BB113_20 Depth=1
	s_orn2_b64 s[28:29], s[28:29], exec
.LBB113_116:                            ;   in Loop: Header=BB113_20 Depth=1
	s_or_b64 exec, exec, s[14:15]
	s_andn2_b64 s[14:15], s[98:99], exec
	s_and_b64 s[24:25], s[24:25], exec
	s_or_b64 s[98:99], s[14:15], s[24:25]
	s_andn2_b64 s[14:15], s[96:97], exec
	s_and_b64 s[22:23], s[22:23], exec
	v_readfirstlane_b32 s30, v0
	v_readfirstlane_b32 s31, v0
	s_andn2_b64 s[94:95], s[94:95], exec
	s_or_b64 s[96:97], s[14:15], s[22:23]
                                        ; implicit-def: $vgpr9
	s_and_saveexec_b64 s[14:15], s[28:29]
	s_cbranch_execz .LBB113_19
; %bb.117:                              ;   in Loop: Header=BB113_20 Depth=1
	s_xor_b64 s[22:23], s[20:21], -1
	s_mov_b64 s[20:21], 0
	v_mov_b32_e32 v9, 1
	v_mov_b32_e32 v8, 1
	s_and_saveexec_b64 s[18:19], s[22:23]
	s_cbranch_execz .LBB113_126
; %bb.118:                              ;   in Loop: Header=BB113_20 Depth=1
	v_cmp_ge_u32_e32 vcc, s42, v49
	s_and_saveexec_b64 s[20:21], vcc
	s_xor_b64 s[20:21], exec, s[20:21]
	s_cbranch_execz .LBB113_123
; %bb.119:                              ;   in Loop: Header=BB113_20 Depth=1
	ds_read_b32 v2, v21 offset:4104
	v_and_b32_e32 v29, s27, v29
	v_and_b32_e32 v28, s26, v28
	v_or_b32_e32 v31, s3, v31
	v_or_b32_e32 v30, s2, v30
	s_waitcnt lgkmcnt(0)
	v_cmp_ne_u32_e32 vcc, 0, v2
	s_cbranch_vccnz .LBB113_123
; %bb.120:                              ;   in Loop: Header=BB113_20 Depth=1
	s_and_saveexec_b64 s[22:23], s[16:17]
; %bb.121:                              ;   in Loop: Header=BB113_20 Depth=1
	v_mov_b32_e32 v2, s42
	ds_write_b32 v21, v2 offset:4108
; %bb.122:                              ;   in Loop: Header=BB113_20 Depth=1
	s_or_b64 exec, exec, s[22:23]
	s_waitcnt lgkmcnt(0)
	s_barrier
.LBB113_123:                            ;   in Loop: Header=BB113_20 Depth=1
	s_or_saveexec_b64 s[20:21], s[20:21]
	s_mov_b64 s[22:23], 0
	v_mov_b32_e32 v8, 8
	s_xor_b64 exec, exec, s[20:21]
; %bb.124:                              ;   in Loop: Header=BB113_20 Depth=1
	s_mov_b64 s[22:23], exec
	v_subrev_u32_e32 v49, s42, v49
	v_mov_b32_e32 v8, 0
; %bb.125:                              ;   in Loop: Header=BB113_20 Depth=1
	s_or_b64 exec, exec, s[20:21]
	s_and_b64 s[20:21], s[22:23], exec
	v_mov_b32_e32 v9, v49
.LBB113_126:                            ;   in Loop: Header=BB113_20 Depth=1
	s_or_b64 exec, exec, s[18:19]
	s_mov_b64 s[18:19], -1
	s_mov_b64 s[28:29], -1
                                        ; implicit-def: $sgpr22_sgpr23
                                        ; implicit-def: $sgpr24_sgpr25
	s_and_saveexec_b64 s[30:31], s[20:21]
	s_xor_b64 s[20:21], exec, s[30:31]
	s_cbranch_execz .LBB113_249
; %bb.127:                              ;   in Loop: Header=BB113_20 Depth=1
	s_cmp_eq_u32 s46, 1
	s_cselect_b64 s[22:23], -1, 0
	v_cmp_eq_u32_e32 vcc, 1, v9
	s_and_b64 s[30:31], s[22:23], vcc
	s_mov_b64 s[34:35], -1
                                        ; implicit-def: $sgpr24_sgpr25
                                        ; implicit-def: $sgpr22_sgpr23
	s_and_saveexec_b64 s[28:29], s[30:31]
	s_cbranch_execz .LBB113_155
; %bb.128:                              ;   in Loop: Header=BB113_20 Depth=1
	ds_read_b32 v2, v21 offset:4104
	s_waitcnt lgkmcnt(0)
	s_barrier
	v_readfirstlane_b32 s47, v2
	s_and_saveexec_b64 s[22:23], s[6:7]
; %bb.129:                              ;   in Loop: Header=BB113_20 Depth=1
	ds_write_b64 v38, v[52:53]
; %bb.130:                              ;   in Loop: Header=BB113_20 Depth=1
	s_or_b64 exec, exec, s[22:23]
	s_lshl_b64 s[22:23], 1, s80
	v_and_b32_e32 v2, s27, v29
	v_and_b32_e32 v4, s26, v28
	v_or_b32_e32 v29, s23, v2
	v_or_b32_e32 v28, s22, v4
	v_or_b32_e32 v31, s3, v31
	v_or_b32_e32 v30, s2, v30
	s_mov_b64 s[22:23], -1
	s_mov_b64 s[24:25], 0
	s_cmp_eq_u32 s47, 0
	s_mov_b64 s[34:35], 0
	s_mov_b64 s[36:37], -1
	s_waitcnt lgkmcnt(0)
	s_barrier
                                        ; implicit-def: $vgpr6_vgpr7
	s_cbranch_scc1 .LBB113_142
; %bb.131:                              ;   in Loop: Header=BB113_20 Depth=1
	s_add_i32 s34, s47, s68
	s_mul_hi_u32 s35, s34, s85
	s_mul_i32 s35, s35, s59
	s_sub_i32 s35, s34, s35
	s_sub_i32 s36, s35, s59
	s_cmp_ge_u32 s35, s59
	s_cselect_b32 s35, s36, s35
	s_sub_i32 s36, s35, s59
	s_cmp_ge_u32 s35, s59
	s_cselect_b32 s35, s36, s35
	s_sub_i32 s48, s34, s35
	v_cmp_gt_u32_e32 vcc, s48, v0
	s_mov_b64 s[36:37], 0
	s_mov_b64 s[34:35], 0
                                        ; implicit-def: $vgpr6_vgpr7
	s_and_saveexec_b64 s[38:39], vcc
	s_cbranch_execz .LBB113_141
; %bb.132:                              ;   in Loop: Header=BB113_20 Depth=1
	v_mov_b32_e32 v10, v37
	v_mov_b32_e32 v11, v0
                                        ; implicit-def: $sgpr40_sgpr41
	s_branch .LBB113_136
.LBB113_133:                            ;   in Loop: Header=BB113_136 Depth=2
	s_or_b64 exec, exec, s[42:43]
	s_waitcnt lgkmcnt(0)
	s_barrier
	ds_read_b128 v[4:7], v21 offset:3072
	s_waitcnt lgkmcnt(0)
	s_barrier
	v_cmp_neq_f64_e32 vcc, 0, v[4:5]
	s_cbranch_vccnz .LBB113_139
; %bb.134:                              ;   in Loop: Header=BB113_136 Depth=2
	v_add_u32_e32 v11, s59, v11
	v_cmp_le_u32_e32 vcc, s48, v11
	v_add_u32_e32 v10, s77, v10
	s_mov_b64 s[42:43], 0
	s_orn2_b64 s[44:45], vcc, exec
.LBB113_135:                            ;   in Loop: Header=BB113_136 Depth=2
	s_and_b64 s[44:45], exec, s[44:45]
	s_or_b64 s[34:35], s[44:45], s[34:35]
	s_andn2_b64 s[40:41], s[40:41], exec
	s_and_b64 s[42:43], s[42:43], exec
	s_or_b64 s[40:41], s[40:41], s[42:43]
	s_andn2_b64 exec, exec, s[34:35]
	s_cbranch_execz .LBB113_140
.LBB113_136:                            ;   Parent Loop BB113_20 Depth=1
                                        ; =>  This Inner Loop Header: Depth=2
	v_cmp_gt_u32_e32 vcc, s47, v11
	s_and_saveexec_b64 s[42:43], vcc
	s_cbranch_execz .LBB113_133
; %bb.137:                              ;   in Loop: Header=BB113_136 Depth=2
	ds_read_b64 v[4:5], v10
	s_waitcnt lgkmcnt(0)
	v_ashrrev_i32_e32 v2, 31, v5
	v_or_b32_e32 v6, 0x80000000, v2
	v_xor_b32_e32 v2, v2, v4
	v_xor_b32_e32 v6, v6, v5
	v_cmp_o_f64_e32 vcc, v[4:5], v[4:5]
	s_nop 1
	v_cndmask_b32_e32 v2, -1, v2, vcc
	v_cndmask_b32_e32 v6, -1, v6, vcc
	v_and_b32_e32 v7, v6, v31
	v_and_b32_e32 v6, v2, v30
	v_cmp_eq_u64_e32 vcc, v[6:7], v[28:29]
	s_and_b64 exec, exec, vcc
	s_cbranch_execz .LBB113_133
; %bb.138:                              ;   in Loop: Header=BB113_136 Depth=2
	v_mov_b32_e32 v2, v21
	ds_write_b128 v21, v[2:5] offset:3072
	s_branch .LBB113_133
.LBB113_139:                            ;   in Loop: Header=BB113_136 Depth=2
	s_mov_b64 s[44:45], -1
                                        ; implicit-def: $vgpr11
                                        ; implicit-def: $vgpr10
	s_mov_b64 s[42:43], -1
	s_branch .LBB113_135
.LBB113_140:                            ;   in Loop: Header=BB113_20 Depth=1
	s_or_b64 exec, exec, s[34:35]
	s_and_b64 s[34:35], s[40:41], exec
.LBB113_141:                            ;   in Loop: Header=BB113_20 Depth=1
	s_or_b64 exec, exec, s[38:39]
.LBB113_142:                            ;   in Loop: Header=BB113_20 Depth=1
	s_and_b64 vcc, exec, s[36:37]
	s_cbranch_vccz .LBB113_154
; %bb.143:                              ;   in Loop: Header=BB113_20 Depth=1
                                        ; implicit-def: $vgpr6_vgpr7
	s_and_saveexec_b64 s[22:23], s[12:13]
	s_cbranch_execz .LBB113_153
; %bb.144:                              ;   in Loop: Header=BB113_20 Depth=1
	s_mov_b64 s[24:25], 0
	v_mov_b32_e32 v20, v18
	v_mov_b32_e32 v10, v0
                                        ; implicit-def: $sgpr36_sgpr37
	s_branch .LBB113_148
.LBB113_145:                            ;   in Loop: Header=BB113_148 Depth=2
	s_or_b64 exec, exec, s[38:39]
	s_waitcnt lgkmcnt(0)
	s_barrier
	ds_read_b128 v[4:7], v21 offset:3072
	s_waitcnt lgkmcnt(0)
	s_barrier
	v_cmp_eq_f64_e32 vcc, 0, v[4:5]
	s_cbranch_vccz .LBB113_151
; %bb.146:                              ;   in Loop: Header=BB113_148 Depth=2
	v_add_u32_e32 v10, s59, v10
	v_cmp_le_u32_e32 vcc, s81, v10
	v_add_u32_e32 v20, s69, v20
	s_mov_b64 s[38:39], 0
	s_orn2_b64 s[40:41], vcc, exec
.LBB113_147:                            ;   in Loop: Header=BB113_148 Depth=2
	s_and_b64 s[40:41], exec, s[40:41]
	s_or_b64 s[24:25], s[40:41], s[24:25]
	s_andn2_b64 s[36:37], s[36:37], exec
	s_and_b64 s[38:39], s[38:39], exec
	s_or_b64 s[36:37], s[36:37], s[38:39]
	s_andn2_b64 exec, exec, s[24:25]
	s_cbranch_execz .LBB113_152
.LBB113_148:                            ;   Parent Loop BB113_20 Depth=1
                                        ; =>  This Inner Loop Header: Depth=2
	v_cmp_gt_u32_e32 vcc, s56, v10
	s_and_saveexec_b64 s[38:39], vcc
	s_cbranch_execz .LBB113_145
; %bb.149:                              ;   in Loop: Header=BB113_148 Depth=2
	v_lshl_add_u64 v[4:5], v[20:21], 3, v[16:17]
	global_load_dwordx2 v[4:5], v[4:5], off
	s_waitcnt vmcnt(0)
	v_ashrrev_i32_e32 v2, 31, v5
	v_or_b32_e32 v6, 0x80000000, v2
	v_xor_b32_e32 v2, v2, v4
	v_xor_b32_e32 v6, v6, v5
	v_cmp_o_f64_e32 vcc, v[4:5], v[4:5]
	s_nop 1
	v_cndmask_b32_e32 v2, -1, v2, vcc
	v_cndmask_b32_e32 v6, -1, v6, vcc
	v_and_b32_e32 v7, v6, v31
	v_and_b32_e32 v6, v2, v30
	v_cmp_eq_u64_e32 vcc, v[6:7], v[28:29]
	s_and_b64 exec, exec, vcc
	s_cbranch_execz .LBB113_145
; %bb.150:                              ;   in Loop: Header=BB113_148 Depth=2
	v_mov_b32_e32 v2, v21
	ds_write_b128 v21, v[2:5] offset:3072
	s_branch .LBB113_145
.LBB113_151:                            ;   in Loop: Header=BB113_148 Depth=2
	s_mov_b64 s[40:41], -1
                                        ; implicit-def: $vgpr10
	s_mov_b64 s[38:39], -1
	s_branch .LBB113_147
.LBB113_152:                            ;   in Loop: Header=BB113_20 Depth=1
	s_or_b64 exec, exec, s[24:25]
	s_andn2_b64 s[24:25], s[34:35], exec
	s_and_b64 s[34:35], s[36:37], exec
	s_or_b64 s[34:35], s[24:25], s[34:35]
.LBB113_153:                            ;   in Loop: Header=BB113_20 Depth=1
	s_or_b64 exec, exec, s[22:23]
	s_mov_b64 s[22:23], 0
	s_mov_b64 s[24:25], -1
.LBB113_154:                            ;   in Loop: Header=BB113_20 Depth=1
	s_orn2_b64 s[34:35], s[34:35], exec
.LBB113_155:                            ;   in Loop: Header=BB113_20 Depth=1
	s_or_b64 exec, exec, s[28:29]
	s_mov_b64 s[36:37], 0
	s_and_saveexec_b64 s[28:29], s[34:35]
	s_cbranch_execz .LBB113_248
; %bb.156:                              ;   in Loop: Header=BB113_20 Depth=1
	s_xor_b64 s[34:35], s[30:31], -1
	s_mov_b64 s[40:41], 0
	v_mov_b32_e32 v10, 1
	v_mov_b32_e32 v8, 1
	s_and_saveexec_b64 s[30:31], s[34:35]
	s_cbranch_execz .LBB113_165
; %bb.157:                              ;   in Loop: Header=BB113_20 Depth=1
	v_cmp_ge_u32_e32 vcc, s46, v9
	s_and_saveexec_b64 s[34:35], vcc
	s_xor_b64 s[34:35], exec, s[34:35]
	s_cbranch_execz .LBB113_162
; %bb.158:                              ;   in Loop: Header=BB113_20 Depth=1
	ds_read_b32 v4, v21 offset:4104
	s_lshl_b64 s[36:37], 1, s80
	v_and_b32_e32 v2, s27, v29
	v_and_b32_e32 v5, s26, v28
	v_or_b32_e32 v29, s37, v2
	s_waitcnt lgkmcnt(0)
	v_cmp_ne_u32_e32 vcc, 0, v4
	v_or_b32_e32 v28, s36, v5
	v_or_b32_e32 v31, s3, v31
	;; [unrolled: 1-line block ×3, first 2 shown]
	s_cbranch_vccnz .LBB113_162
; %bb.159:                              ;   in Loop: Header=BB113_20 Depth=1
	s_and_saveexec_b64 s[36:37], s[16:17]
; %bb.160:                              ;   in Loop: Header=BB113_20 Depth=1
	v_mov_b32_e32 v2, s46
	ds_write_b32 v21, v2 offset:4108
; %bb.161:                              ;   in Loop: Header=BB113_20 Depth=1
	s_or_b64 exec, exec, s[36:37]
	s_waitcnt lgkmcnt(0)
	s_barrier
.LBB113_162:                            ;   in Loop: Header=BB113_20 Depth=1
	s_or_saveexec_b64 s[34:35], s[34:35]
	s_mov_b64 s[36:37], 0
	v_mov_b32_e32 v8, 8
	s_xor_b64 exec, exec, s[34:35]
; %bb.163:                              ;   in Loop: Header=BB113_20 Depth=1
	s_mov_b64 s[36:37], exec
	v_subrev_u32_e32 v9, s46, v9
	v_mov_b32_e32 v8, 0
; %bb.164:                              ;   in Loop: Header=BB113_20 Depth=1
	s_or_b64 exec, exec, s[34:35]
	s_and_b64 s[40:41], s[36:37], exec
	v_mov_b32_e32 v10, v9
.LBB113_165:                            ;   in Loop: Header=BB113_20 Depth=1
	s_or_b64 exec, exec, s[30:31]
	s_mov_b64 s[38:39], -1
                                        ; implicit-def: $sgpr34_sgpr35
                                        ; implicit-def: $sgpr36_sgpr37
	s_and_saveexec_b64 s[30:31], s[40:41]
	s_cbranch_execz .LBB113_247
; %bb.166:                              ;   in Loop: Header=BB113_20 Depth=1
	s_cmp_eq_u32 s54, 1
	s_cselect_b64 s[34:35], -1, 0
	v_cmp_eq_u32_e32 vcc, 1, v10
	s_and_b64 s[40:41], s[34:35], vcc
	s_mov_b64 s[42:43], -1
                                        ; implicit-def: $sgpr36_sgpr37
                                        ; implicit-def: $sgpr34_sgpr35
	s_and_saveexec_b64 s[38:39], s[40:41]
	s_cbranch_execz .LBB113_194
; %bb.167:                              ;   in Loop: Header=BB113_20 Depth=1
	ds_read_b32 v2, v21 offset:4104
	s_waitcnt lgkmcnt(0)
	s_barrier
	v_readfirstlane_b32 s55, v2
	s_and_saveexec_b64 s[34:35], s[6:7]
; %bb.168:                              ;   in Loop: Header=BB113_20 Depth=1
	ds_write_b64 v38, v[52:53]
; %bb.169:                              ;   in Loop: Header=BB113_20 Depth=1
	s_or_b64 exec, exec, s[34:35]
	s_lshl_b64 s[34:35], 2, s80
	v_and_b32_e32 v2, s27, v29
	v_and_b32_e32 v4, s26, v28
	v_or_b32_e32 v29, s35, v2
	v_or_b32_e32 v28, s34, v4
	;; [unrolled: 1-line block ×4, first 2 shown]
	s_mov_b64 s[34:35], -1
	s_mov_b64 s[36:37], 0
	s_cmp_eq_u32 s55, 0
	s_mov_b64 s[42:43], 0
	s_mov_b64 s[44:45], -1
	s_waitcnt lgkmcnt(0)
	s_barrier
                                        ; implicit-def: $vgpr6_vgpr7
	s_cbranch_scc1 .LBB113_181
; %bb.170:                              ;   in Loop: Header=BB113_20 Depth=1
	s_add_i32 s42, s55, s68
	s_mul_hi_u32 s43, s42, s85
	s_mul_i32 s43, s43, s59
	s_sub_i32 s43, s42, s43
	s_sub_i32 s44, s43, s59
	s_cmp_ge_u32 s43, s59
	s_cselect_b32 s43, s44, s43
	s_sub_i32 s44, s43, s59
	s_cmp_ge_u32 s43, s59
	s_cselect_b32 s43, s44, s43
	s_sub_i32 s60, s42, s43
	v_cmp_gt_u32_e32 vcc, s60, v0
	s_mov_b64 s[44:45], 0
	s_mov_b64 s[42:43], 0
                                        ; implicit-def: $vgpr6_vgpr7
	s_and_saveexec_b64 s[46:47], vcc
	s_cbranch_execz .LBB113_180
; %bb.171:                              ;   in Loop: Header=BB113_20 Depth=1
	v_mov_b32_e32 v9, v37
	v_mov_b32_e32 v11, v0
                                        ; implicit-def: $sgpr48_sgpr49
	s_branch .LBB113_175
.LBB113_172:                            ;   in Loop: Header=BB113_175 Depth=2
	s_or_b64 exec, exec, s[50:51]
	s_waitcnt lgkmcnt(0)
	s_barrier
	ds_read_b128 v[4:7], v21 offset:3072
	s_waitcnt lgkmcnt(0)
	s_barrier
	v_cmp_neq_f64_e32 vcc, 0, v[4:5]
	s_cbranch_vccnz .LBB113_178
; %bb.173:                              ;   in Loop: Header=BB113_175 Depth=2
	v_add_u32_e32 v11, s59, v11
	v_cmp_le_u32_e32 vcc, s60, v11
	v_add_u32_e32 v9, s77, v9
	s_mov_b64 s[50:51], 0
	s_orn2_b64 s[52:53], vcc, exec
.LBB113_174:                            ;   in Loop: Header=BB113_175 Depth=2
	s_and_b64 s[52:53], exec, s[52:53]
	s_or_b64 s[42:43], s[52:53], s[42:43]
	s_andn2_b64 s[48:49], s[48:49], exec
	s_and_b64 s[50:51], s[50:51], exec
	s_or_b64 s[48:49], s[48:49], s[50:51]
	s_andn2_b64 exec, exec, s[42:43]
	s_cbranch_execz .LBB113_179
.LBB113_175:                            ;   Parent Loop BB113_20 Depth=1
                                        ; =>  This Inner Loop Header: Depth=2
	v_cmp_gt_u32_e32 vcc, s55, v11
	s_and_saveexec_b64 s[50:51], vcc
	s_cbranch_execz .LBB113_172
; %bb.176:                              ;   in Loop: Header=BB113_175 Depth=2
	ds_read_b64 v[4:5], v9
	s_waitcnt lgkmcnt(0)
	v_ashrrev_i32_e32 v2, 31, v5
	v_or_b32_e32 v6, 0x80000000, v2
	v_xor_b32_e32 v2, v2, v4
	v_xor_b32_e32 v6, v6, v5
	v_cmp_o_f64_e32 vcc, v[4:5], v[4:5]
	s_nop 1
	v_cndmask_b32_e32 v2, -1, v2, vcc
	v_cndmask_b32_e32 v6, -1, v6, vcc
	v_and_b32_e32 v7, v6, v31
	v_and_b32_e32 v6, v2, v30
	v_cmp_eq_u64_e32 vcc, v[6:7], v[28:29]
	s_and_b64 exec, exec, vcc
	s_cbranch_execz .LBB113_172
; %bb.177:                              ;   in Loop: Header=BB113_175 Depth=2
	v_mov_b32_e32 v2, v21
	ds_write_b128 v21, v[2:5] offset:3072
	s_branch .LBB113_172
.LBB113_178:                            ;   in Loop: Header=BB113_175 Depth=2
	s_mov_b64 s[52:53], -1
                                        ; implicit-def: $vgpr11
                                        ; implicit-def: $vgpr9
	s_mov_b64 s[50:51], -1
	s_branch .LBB113_174
.LBB113_179:                            ;   in Loop: Header=BB113_20 Depth=1
	s_or_b64 exec, exec, s[42:43]
	s_and_b64 s[42:43], s[48:49], exec
.LBB113_180:                            ;   in Loop: Header=BB113_20 Depth=1
	s_or_b64 exec, exec, s[46:47]
.LBB113_181:                            ;   in Loop: Header=BB113_20 Depth=1
	s_and_b64 vcc, exec, s[44:45]
	s_cbranch_vccz .LBB113_193
; %bb.182:                              ;   in Loop: Header=BB113_20 Depth=1
                                        ; implicit-def: $vgpr6_vgpr7
	s_and_saveexec_b64 s[34:35], s[12:13]
	s_cbranch_execz .LBB113_192
; %bb.183:                              ;   in Loop: Header=BB113_20 Depth=1
	s_mov_b64 s[36:37], 0
	v_mov_b32_e32 v20, v18
	v_mov_b32_e32 v9, v0
                                        ; implicit-def: $sgpr44_sgpr45
	s_branch .LBB113_187
.LBB113_184:                            ;   in Loop: Header=BB113_187 Depth=2
	s_or_b64 exec, exec, s[46:47]
	s_waitcnt lgkmcnt(0)
	s_barrier
	ds_read_b128 v[4:7], v21 offset:3072
	s_waitcnt lgkmcnt(0)
	s_barrier
	v_cmp_eq_f64_e32 vcc, 0, v[4:5]
	s_cbranch_vccz .LBB113_190
; %bb.185:                              ;   in Loop: Header=BB113_187 Depth=2
	v_add_u32_e32 v9, s59, v9
	v_cmp_le_u32_e32 vcc, s81, v9
	v_add_u32_e32 v20, s69, v20
	s_mov_b64 s[46:47], 0
	s_orn2_b64 s[48:49], vcc, exec
.LBB113_186:                            ;   in Loop: Header=BB113_187 Depth=2
	s_and_b64 s[48:49], exec, s[48:49]
	s_or_b64 s[36:37], s[48:49], s[36:37]
	s_andn2_b64 s[44:45], s[44:45], exec
	s_and_b64 s[46:47], s[46:47], exec
	s_or_b64 s[44:45], s[44:45], s[46:47]
	s_andn2_b64 exec, exec, s[36:37]
	s_cbranch_execz .LBB113_191
.LBB113_187:                            ;   Parent Loop BB113_20 Depth=1
                                        ; =>  This Inner Loop Header: Depth=2
	v_cmp_gt_u32_e32 vcc, s56, v9
	s_and_saveexec_b64 s[46:47], vcc
	s_cbranch_execz .LBB113_184
; %bb.188:                              ;   in Loop: Header=BB113_187 Depth=2
	v_lshl_add_u64 v[4:5], v[20:21], 3, v[16:17]
	global_load_dwordx2 v[4:5], v[4:5], off
	s_waitcnt vmcnt(0)
	v_ashrrev_i32_e32 v2, 31, v5
	v_or_b32_e32 v6, 0x80000000, v2
	v_xor_b32_e32 v2, v2, v4
	v_xor_b32_e32 v6, v6, v5
	v_cmp_o_f64_e32 vcc, v[4:5], v[4:5]
	s_nop 1
	v_cndmask_b32_e32 v2, -1, v2, vcc
	v_cndmask_b32_e32 v6, -1, v6, vcc
	v_and_b32_e32 v7, v6, v31
	v_and_b32_e32 v6, v2, v30
	v_cmp_eq_u64_e32 vcc, v[6:7], v[28:29]
	s_and_b64 exec, exec, vcc
	s_cbranch_execz .LBB113_184
; %bb.189:                              ;   in Loop: Header=BB113_187 Depth=2
	v_mov_b32_e32 v2, v21
	ds_write_b128 v21, v[2:5] offset:3072
	s_branch .LBB113_184
.LBB113_190:                            ;   in Loop: Header=BB113_187 Depth=2
	s_mov_b64 s[48:49], -1
                                        ; implicit-def: $vgpr9
	s_mov_b64 s[46:47], -1
	s_branch .LBB113_186
.LBB113_191:                            ;   in Loop: Header=BB113_20 Depth=1
	s_or_b64 exec, exec, s[36:37]
	s_andn2_b64 s[36:37], s[42:43], exec
	s_and_b64 s[42:43], s[44:45], exec
	s_or_b64 s[42:43], s[36:37], s[42:43]
.LBB113_192:                            ;   in Loop: Header=BB113_20 Depth=1
	s_or_b64 exec, exec, s[34:35]
	s_mov_b64 s[34:35], 0
	s_mov_b64 s[36:37], -1
.LBB113_193:                            ;   in Loop: Header=BB113_20 Depth=1
	s_orn2_b64 s[42:43], s[42:43], exec
.LBB113_194:                            ;   in Loop: Header=BB113_20 Depth=1
	s_or_b64 exec, exec, s[38:39]
	s_mov_b64 s[44:45], 0
	s_and_saveexec_b64 s[38:39], s[42:43]
	s_cbranch_execz .LBB113_246
; %bb.195:                              ;   in Loop: Header=BB113_20 Depth=1
	s_xor_b64 s[42:43], s[40:41], -1
	s_mov_b64 s[46:47], 0
	v_mov_b32_e32 v9, 1
	v_mov_b32_e32 v8, 1
	s_and_saveexec_b64 s[40:41], s[42:43]
	s_cbranch_execz .LBB113_204
; %bb.196:                              ;   in Loop: Header=BB113_20 Depth=1
	v_cmp_ge_u32_e32 vcc, s54, v10
	s_and_saveexec_b64 s[42:43], vcc
	s_xor_b64 s[42:43], exec, s[42:43]
	s_cbranch_execz .LBB113_201
; %bb.197:                              ;   in Loop: Header=BB113_20 Depth=1
	ds_read_b32 v4, v21 offset:4104
	s_lshl_b64 s[44:45], 2, s80
	v_and_b32_e32 v2, s27, v29
	v_and_b32_e32 v5, s26, v28
	v_or_b32_e32 v29, s45, v2
	s_waitcnt lgkmcnt(0)
	v_cmp_ne_u32_e32 vcc, 0, v4
	v_or_b32_e32 v28, s44, v5
	v_or_b32_e32 v31, s3, v31
	;; [unrolled: 1-line block ×3, first 2 shown]
	s_cbranch_vccnz .LBB113_201
; %bb.198:                              ;   in Loop: Header=BB113_20 Depth=1
	s_and_saveexec_b64 s[26:27], s[16:17]
; %bb.199:                              ;   in Loop: Header=BB113_20 Depth=1
	v_mov_b32_e32 v2, s54
	ds_write_b32 v21, v2 offset:4108
; %bb.200:                              ;   in Loop: Header=BB113_20 Depth=1
	s_or_b64 exec, exec, s[26:27]
	s_waitcnt lgkmcnt(0)
	s_barrier
.LBB113_201:                            ;   in Loop: Header=BB113_20 Depth=1
	s_or_saveexec_b64 s[26:27], s[42:43]
	s_mov_b64 s[42:43], 0
	v_mov_b32_e32 v8, 8
	s_xor_b64 exec, exec, s[26:27]
; %bb.202:                              ;   in Loop: Header=BB113_20 Depth=1
	s_mov_b64 s[42:43], exec
	v_subrev_u32_e32 v10, s54, v10
	v_mov_b32_e32 v8, 0
; %bb.203:                              ;   in Loop: Header=BB113_20 Depth=1
	s_or_b64 exec, exec, s[26:27]
	s_and_b64 s[46:47], s[42:43], exec
	v_mov_b32_e32 v9, v10
.LBB113_204:                            ;   in Loop: Header=BB113_20 Depth=1
	s_or_b64 exec, exec, s[40:41]
	s_mov_b64 s[40:41], -1
                                        ; implicit-def: $sgpr44_sgpr45
                                        ; implicit-def: $sgpr42_sgpr43
	s_and_saveexec_b64 s[26:27], s[46:47]
	s_cbranch_execz .LBB113_245
; %bb.205:                              ;   in Loop: Header=BB113_20 Depth=1
	s_cmp_eq_u32 s64, 1
	s_cselect_b64 s[40:41], -1, 0
	v_cmp_eq_u32_e32 vcc, 1, v9
	s_and_b64 s[40:41], s[40:41], vcc
	s_mov_b64 s[48:49], -1
                                        ; implicit-def: $sgpr44_sgpr45
                                        ; implicit-def: $sgpr42_sgpr43
	s_and_saveexec_b64 s[46:47], s[40:41]
	s_cbranch_execz .LBB113_233
; %bb.206:                              ;   in Loop: Header=BB113_20 Depth=1
	ds_read_b32 v2, v21 offset:4104
	s_waitcnt lgkmcnt(0)
	s_barrier
	v_readfirstlane_b32 s65, v2
	s_and_saveexec_b64 s[42:43], s[6:7]
; %bb.207:                              ;   in Loop: Header=BB113_20 Depth=1
	ds_write_b64 v38, v[52:53]
; %bb.208:                              ;   in Loop: Header=BB113_20 Depth=1
	s_or_b64 exec, exec, s[42:43]
	v_or_b32_e32 v29, s3, v29
	v_or_b32_e32 v28, s2, v28
	;; [unrolled: 1-line block ×4, first 2 shown]
	s_mov_b64 s[42:43], -1
	s_mov_b64 s[44:45], 0
	s_cmp_eq_u32 s65, 0
	s_mov_b64 s[48:49], 0
	s_mov_b64 s[50:51], -1
	s_waitcnt lgkmcnt(0)
	s_barrier
                                        ; implicit-def: $vgpr6_vgpr7
	s_cbranch_scc1 .LBB113_220
; %bb.209:                              ;   in Loop: Header=BB113_20 Depth=1
	s_add_i32 s48, s65, s68
	s_mul_hi_u32 s49, s48, s85
	s_mul_i32 s49, s49, s59
	s_sub_i32 s49, s48, s49
	s_sub_i32 s50, s49, s59
	s_cmp_ge_u32 s49, s59
	s_cselect_b32 s49, s50, s49
	s_sub_i32 s50, s49, s59
	s_cmp_ge_u32 s49, s59
	s_cselect_b32 s49, s50, s49
	s_sub_i32 s66, s48, s49
	v_cmp_gt_u32_e32 vcc, s66, v0
	s_mov_b64 s[50:51], 0
	s_mov_b64 s[48:49], 0
                                        ; implicit-def: $vgpr6_vgpr7
	s_and_saveexec_b64 s[52:53], vcc
	s_cbranch_execz .LBB113_219
; %bb.210:                              ;   in Loop: Header=BB113_20 Depth=1
	v_mov_b32_e32 v10, v37
	v_mov_b32_e32 v11, v0
                                        ; implicit-def: $sgpr54_sgpr55
	s_branch .LBB113_214
.LBB113_211:                            ;   in Loop: Header=BB113_214 Depth=2
	s_or_b64 exec, exec, s[60:61]
	s_waitcnt lgkmcnt(0)
	s_barrier
	ds_read_b128 v[4:7], v21 offset:3072
	s_waitcnt lgkmcnt(0)
	s_barrier
	v_cmp_neq_f64_e32 vcc, 0, v[4:5]
	s_cbranch_vccnz .LBB113_217
; %bb.212:                              ;   in Loop: Header=BB113_214 Depth=2
	v_add_u32_e32 v11, s59, v11
	v_cmp_le_u32_e32 vcc, s66, v11
	v_add_u32_e32 v10, s77, v10
	s_mov_b64 s[60:61], 0
	s_orn2_b64 s[62:63], vcc, exec
.LBB113_213:                            ;   in Loop: Header=BB113_214 Depth=2
	s_and_b64 s[62:63], exec, s[62:63]
	s_or_b64 s[48:49], s[62:63], s[48:49]
	s_andn2_b64 s[54:55], s[54:55], exec
	s_and_b64 s[60:61], s[60:61], exec
	s_or_b64 s[54:55], s[54:55], s[60:61]
	s_andn2_b64 exec, exec, s[48:49]
	s_cbranch_execz .LBB113_218
.LBB113_214:                            ;   Parent Loop BB113_20 Depth=1
                                        ; =>  This Inner Loop Header: Depth=2
	v_cmp_gt_u32_e32 vcc, s65, v11
	s_and_saveexec_b64 s[60:61], vcc
	s_cbranch_execz .LBB113_211
; %bb.215:                              ;   in Loop: Header=BB113_214 Depth=2
	ds_read_b64 v[4:5], v10
	s_waitcnt lgkmcnt(0)
	v_ashrrev_i32_e32 v2, 31, v5
	v_or_b32_e32 v6, 0x80000000, v2
	v_xor_b32_e32 v2, v2, v4
	v_xor_b32_e32 v6, v6, v5
	v_cmp_o_f64_e32 vcc, v[4:5], v[4:5]
	s_nop 1
	v_cndmask_b32_e32 v2, -1, v2, vcc
	v_cndmask_b32_e32 v6, -1, v6, vcc
	v_and_b32_e32 v7, v6, v31
	v_and_b32_e32 v6, v2, v30
	v_cmp_eq_u64_e32 vcc, v[6:7], v[28:29]
	s_and_b64 exec, exec, vcc
	s_cbranch_execz .LBB113_211
; %bb.216:                              ;   in Loop: Header=BB113_214 Depth=2
	v_mov_b32_e32 v2, v21
	ds_write_b128 v21, v[2:5] offset:3072
	s_branch .LBB113_211
.LBB113_217:                            ;   in Loop: Header=BB113_214 Depth=2
	s_mov_b64 s[62:63], -1
                                        ; implicit-def: $vgpr11
                                        ; implicit-def: $vgpr10
	s_mov_b64 s[60:61], -1
	s_branch .LBB113_213
.LBB113_218:                            ;   in Loop: Header=BB113_20 Depth=1
	s_or_b64 exec, exec, s[48:49]
	s_and_b64 s[48:49], s[54:55], exec
.LBB113_219:                            ;   in Loop: Header=BB113_20 Depth=1
	s_or_b64 exec, exec, s[52:53]
.LBB113_220:                            ;   in Loop: Header=BB113_20 Depth=1
	s_and_b64 vcc, exec, s[50:51]
	s_cbranch_vccz .LBB113_232
; %bb.221:                              ;   in Loop: Header=BB113_20 Depth=1
                                        ; implicit-def: $vgpr6_vgpr7
	s_and_saveexec_b64 s[42:43], s[12:13]
	s_cbranch_execz .LBB113_231
; %bb.222:                              ;   in Loop: Header=BB113_20 Depth=1
	s_mov_b64 s[44:45], 0
	v_mov_b32_e32 v20, v18
	v_mov_b32_e32 v10, v0
                                        ; implicit-def: $sgpr50_sgpr51
	s_branch .LBB113_226
.LBB113_223:                            ;   in Loop: Header=BB113_226 Depth=2
	s_or_b64 exec, exec, s[52:53]
	s_waitcnt lgkmcnt(0)
	s_barrier
	ds_read_b128 v[4:7], v21 offset:3072
	s_waitcnt lgkmcnt(0)
	s_barrier
	v_cmp_eq_f64_e32 vcc, 0, v[4:5]
	s_cbranch_vccz .LBB113_229
; %bb.224:                              ;   in Loop: Header=BB113_226 Depth=2
	v_add_u32_e32 v10, s59, v10
	v_cmp_le_u32_e32 vcc, s81, v10
	v_add_u32_e32 v20, s69, v20
	s_mov_b64 s[52:53], 0
	s_orn2_b64 s[54:55], vcc, exec
.LBB113_225:                            ;   in Loop: Header=BB113_226 Depth=2
	s_and_b64 s[54:55], exec, s[54:55]
	s_or_b64 s[44:45], s[54:55], s[44:45]
	s_andn2_b64 s[50:51], s[50:51], exec
	s_and_b64 s[52:53], s[52:53], exec
	s_or_b64 s[50:51], s[50:51], s[52:53]
	s_andn2_b64 exec, exec, s[44:45]
	s_cbranch_execz .LBB113_230
.LBB113_226:                            ;   Parent Loop BB113_20 Depth=1
                                        ; =>  This Inner Loop Header: Depth=2
	v_cmp_gt_u32_e32 vcc, s56, v10
	s_and_saveexec_b64 s[52:53], vcc
	s_cbranch_execz .LBB113_223
; %bb.227:                              ;   in Loop: Header=BB113_226 Depth=2
	v_lshl_add_u64 v[4:5], v[20:21], 3, v[16:17]
	global_load_dwordx2 v[4:5], v[4:5], off
	s_waitcnt vmcnt(0)
	v_ashrrev_i32_e32 v2, 31, v5
	v_or_b32_e32 v6, 0x80000000, v2
	v_xor_b32_e32 v2, v2, v4
	v_xor_b32_e32 v6, v6, v5
	v_cmp_o_f64_e32 vcc, v[4:5], v[4:5]
	s_nop 1
	v_cndmask_b32_e32 v2, -1, v2, vcc
	v_cndmask_b32_e32 v6, -1, v6, vcc
	v_and_b32_e32 v7, v6, v31
	v_and_b32_e32 v6, v2, v30
	v_cmp_eq_u64_e32 vcc, v[6:7], v[28:29]
	s_and_b64 exec, exec, vcc
	s_cbranch_execz .LBB113_223
; %bb.228:                              ;   in Loop: Header=BB113_226 Depth=2
	v_mov_b32_e32 v2, v21
	ds_write_b128 v21, v[2:5] offset:3072
	s_branch .LBB113_223
.LBB113_229:                            ;   in Loop: Header=BB113_226 Depth=2
	s_mov_b64 s[54:55], -1
                                        ; implicit-def: $vgpr10
	s_mov_b64 s[52:53], -1
	s_branch .LBB113_225
.LBB113_230:                            ;   in Loop: Header=BB113_20 Depth=1
	s_or_b64 exec, exec, s[44:45]
	s_andn2_b64 s[44:45], s[48:49], exec
	s_and_b64 s[48:49], s[50:51], exec
	s_or_b64 s[48:49], s[44:45], s[48:49]
.LBB113_231:                            ;   in Loop: Header=BB113_20 Depth=1
	s_or_b64 exec, exec, s[42:43]
	s_mov_b64 s[42:43], 0
	s_mov_b64 s[44:45], -1
.LBB113_232:                            ;   in Loop: Header=BB113_20 Depth=1
	s_orn2_b64 s[48:49], s[48:49], exec
.LBB113_233:                            ;   in Loop: Header=BB113_20 Depth=1
	s_or_b64 exec, exec, s[46:47]
	s_mov_b64 s[50:51], 0
	s_and_saveexec_b64 s[46:47], s[48:49]
	s_cbranch_execz .LBB113_244
; %bb.234:                              ;   in Loop: Header=BB113_20 Depth=1
	s_xor_b64 s[48:49], s[40:41], -1
	v_mov_b32_e32 v8, 1
	v_mov_b32_e32 v2, 1
	s_and_saveexec_b64 s[40:41], s[48:49]
	s_cbranch_execz .LBB113_243
; %bb.235:                              ;   in Loop: Header=BB113_20 Depth=1
	v_cmp_ge_u32_e32 vcc, s64, v9
	s_and_saveexec_b64 s[48:49], vcc
	s_xor_b64 s[48:49], exec, s[48:49]
	s_cbranch_execz .LBB113_240
; %bb.236:                              ;   in Loop: Header=BB113_20 Depth=1
	ds_read_b32 v2, v21 offset:4104
	v_or_b32_e32 v29, s3, v29
	v_or_b32_e32 v28, s2, v28
	v_or_b32_e32 v31, s3, v31
	v_or_b32_e32 v30, s2, v30
	s_waitcnt lgkmcnt(0)
	v_cmp_ne_u32_e32 vcc, 0, v2
	s_cbranch_vccnz .LBB113_240
; %bb.237:                              ;   in Loop: Header=BB113_20 Depth=1
	s_and_saveexec_b64 s[2:3], s[16:17]
; %bb.238:                              ;   in Loop: Header=BB113_20 Depth=1
	v_mov_b32_e32 v2, s64
	ds_write_b32 v21, v2 offset:4108
; %bb.239:                              ;   in Loop: Header=BB113_20 Depth=1
	s_or_b64 exec, exec, s[2:3]
	s_waitcnt lgkmcnt(0)
	s_barrier
.LBB113_240:                            ;   in Loop: Header=BB113_20 Depth=1
	s_andn2_saveexec_b64 s[2:3], s[48:49]
; %bb.241:                              ;   in Loop: Header=BB113_20 Depth=1
	v_subrev_u32_e32 v9, s64, v9
; %bb.242:                              ;   in Loop: Header=BB113_20 Depth=1
	s_or_b64 exec, exec, s[2:3]
	v_mov_b32_e32 v8, 8
	v_mov_b32_e32 v2, v9
.LBB113_243:                            ;   in Loop: Header=BB113_20 Depth=1
	s_or_b64 exec, exec, s[40:41]
	s_mov_b64 s[50:51], exec
	v_mov_b32_e32 v9, v2
.LBB113_244:                            ;   in Loop: Header=BB113_20 Depth=1
	s_or_b64 exec, exec, s[46:47]
	s_orn2_b64 s[40:41], s[50:51], exec
.LBB113_245:                            ;   in Loop: Header=BB113_20 Depth=1
	s_or_b64 exec, exec, s[26:27]
	s_andn2_b64 s[2:3], s[36:37], exec
	s_and_b64 s[26:27], s[44:45], exec
	s_or_b64 s[36:37], s[2:3], s[26:27]
	s_andn2_b64 s[2:3], s[34:35], exec
	s_and_b64 s[26:27], s[42:43], exec
	s_or_b64 s[34:35], s[2:3], s[26:27]
	s_and_b64 s[44:45], s[40:41], exec
	v_mov_b32_e32 v10, v9
.LBB113_246:                            ;   in Loop: Header=BB113_20 Depth=1
	s_or_b64 exec, exec, s[38:39]
	s_orn2_b64 s[38:39], s[44:45], exec
.LBB113_247:                            ;   in Loop: Header=BB113_20 Depth=1
	s_or_b64 exec, exec, s[30:31]
	s_andn2_b64 s[2:3], s[24:25], exec
	s_and_b64 s[24:25], s[36:37], exec
	s_or_b64 s[24:25], s[2:3], s[24:25]
	s_andn2_b64 s[2:3], s[22:23], exec
	s_and_b64 s[22:23], s[34:35], exec
	s_or_b64 s[22:23], s[2:3], s[22:23]
	s_and_b64 s[36:37], s[38:39], exec
	v_mov_b32_e32 v9, v10
.LBB113_248:                            ;   in Loop: Header=BB113_20 Depth=1
	s_or_b64 exec, exec, s[28:29]
	s_orn2_b64 s[28:29], s[36:37], exec
.LBB113_249:                            ;   in Loop: Header=BB113_20 Depth=1
	s_or_b64 exec, exec, s[20:21]
	s_mov_b64 s[20:21], 0
                                        ; implicit-def: $sgpr30
                                        ; implicit-def: $sgpr31
	s_and_saveexec_b64 s[2:3], s[28:29]
	s_xor_b64 s[2:3], exec, s[2:3]
	s_cbranch_execz .LBB113_18
; %bb.250:                              ;   in Loop: Header=BB113_20 Depth=1
	v_and_b32_e32 v2, 7, v8
	v_cmp_eq_u32_e32 vcc, 0, v2
	s_mov_b64 s[18:19], -1
	s_mov_b64 s[20:21], -1
                                        ; implicit-def: $sgpr30
                                        ; implicit-def: $sgpr31
	s_and_saveexec_b64 s[26:27], vcc
	s_cbranch_execz .LBB113_17
; %bb.251:                              ;   in Loop: Header=BB113_20 Depth=1
	s_xor_b32 s31, s33, 1
	s_add_i32 s30, s80, -2
	s_cmp_eq_u32 s80, 0
	s_cselect_b64 s[18:19], -1, 0
	s_xor_b64 s[20:21], exec, -1
	s_orn2_b64 s[18:19], s[18:19], exec
	s_branch .LBB113_17
.LBB113_252:
	s_or_b64 exec, exec, s[86:87]
	s_xor_b64 s[8:9], s[92:93], -1
	s_xor_b64 s[2:3], s[88:89], -1
	;; [unrolled: 1-line block ×3, first 2 shown]
	s_mov_b64 s[4:5], 0
	s_and_saveexec_b64 s[10:11], s[2:3]
	s_xor_b64 s[2:3], exec, s[10:11]
	s_cbranch_execnz .LBB113_257
; %bb.253:
	s_andn2_saveexec_b64 s[0:1], s[2:3]
	s_cbranch_execnz .LBB113_270
.LBB113_254:
	s_or_b64 exec, exec, s[0:1]
	s_and_saveexec_b64 s[0:1], s[4:5]
.LBB113_255:
	; divergent unreachable
.LBB113_256:
	s_endpgm
.LBB113_257:
	s_and_saveexec_b64 s[4:5], s[8:9]
	s_xor_b64 s[4:5], exec, s[4:5]
	s_cbranch_execz .LBB113_268
; %bb.258:
	s_and_saveexec_b64 s[8:9], s[6:7]
	s_xor_b64 s[6:7], exec, s[8:9]
; %bb.259:
	v_lshrrev_b32_e32 v2, 31, v29
	v_mov_b32_e32 v3, 0
	v_lshl_add_u64 v[2:3], v[2:3], 0, -1
	v_or_b32_e32 v1, 0x80000000, v3
	v_xor_b32_e32 v7, v1, v29
	v_xor_b32_e32 v6, v2, v28
; %bb.260:
	s_or_b64 exec, exec, s[6:7]
	v_readlane_b32 s10, v62, 8
	v_readlane_b32 s11, v62, 9
	s_mul_i32 s6, s11, s10
	v_readlane_b32 s9, v62, 12
	s_sub_i32 s6, s9, s6
	s_add_i32 s7, s11, 1
	s_sub_i32 s8, s6, s10
	s_cmp_ge_u32 s6, s10
	s_cselect_b32 s7, s7, s11
	s_cselect_b32 s6, s8, s6
	s_add_i32 s8, s7, 1
	s_cmp_ge_u32 s6, s10
	s_cselect_b32 s6, s8, s7
	s_mul_i32 s7, s6, s10
	s_sub_i32 s7, s9, s7
	v_readlane_b32 s8, v62, 4
	v_readlane_b32 s9, v62, 5
	s_mul_i32 s7, s7, s9
	s_mul_i32 s6, s6, s8
	s_add_i32 s6, s6, s7
	s_mov_b32 s7, 0
	s_lshl_b64 s[6:7], s[6:7], 3
	v_readlane_b32 s8, v62, 6
	v_readlane_b32 s9, v62, 7
	s_add_u32 s6, s8, s6
	s_addc_u32 s7, s9, s7
	v_mov_b32_e32 v19, 0
	global_store_dwordx2 v19, v[6:7], s[6:7]
	s_and_saveexec_b64 s[6:7], s[0:1]
	s_cbranch_execz .LBB113_267
; %bb.261:
	v_cmp_u_f64_e32 vcc, v[6:7], v[6:7]
	s_mov_b64 s[8:9], 0
	s_xor_b64 s[12:13], vcc, -1
                                        ; implicit-def: $sgpr10_sgpr11
                                        ; implicit-def: $sgpr16_sgpr17
                                        ; implicit-def: $sgpr14_sgpr15
	s_branch .LBB113_263
.LBB113_262:                            ;   in Loop: Header=BB113_263 Depth=1
	s_or_b64 exec, exec, s[0:1]
	s_and_b64 s[0:1], exec, s[16:17]
	s_or_b64 s[8:9], s[0:1], s[8:9]
	s_andn2_b64 s[0:1], s[10:11], exec
	s_and_b64 s[10:11], s[14:15], exec
	s_or_b64 s[10:11], s[0:1], s[10:11]
	s_andn2_b64 exec, exec, s[8:9]
	s_cbranch_execz .LBB113_265
.LBB113_263:                            ; =>This Inner Loop Header: Depth=1
	v_lshl_add_u64 v[2:3], v[18:19], 3, v[16:17]
	global_load_dwordx2 v[4:5], v[2:3], off
	v_mov_b32_e32 v2, v0
	s_or_b64 s[14:15], s[14:15], exec
	s_or_b64 s[16:17], s[16:17], exec
                                        ; implicit-def: $vgpr0
	s_waitcnt vmcnt(0)
	v_cmp_o_f64_e64 s[0:1], v[4:5], v[4:5]
	v_cmp_neq_f64_e32 vcc, v[4:5], v[6:7]
	s_or_b64 s[0:1], s[0:1], s[12:13]
	s_and_b64 s[18:19], vcc, s[0:1]
	s_and_saveexec_b64 s[0:1], s[18:19]
	s_cbranch_execz .LBB113_262
; %bb.264:                              ;   in Loop: Header=BB113_263 Depth=1
	v_add_u32_e32 v0, s59, v2
	v_cmp_le_u32_e32 vcc, s56, v0
	s_andn2_b64 s[16:17], s[16:17], exec
	s_and_b64 s[18:19], vcc, exec
	v_add_u32_e32 v18, s69, v18
	s_andn2_b64 s[14:15], s[14:15], exec
	s_or_b64 s[16:17], s[16:17], s[18:19]
	s_branch .LBB113_262
.LBB113_265:
	s_or_b64 exec, exec, s[8:9]
	s_and_saveexec_b64 s[0:1], s[10:11]
	s_xor_b64 s[0:1], exec, s[0:1]
	s_cbranch_execz .LBB113_267
; %bb.266:
	v_readlane_b32 s10, v62, 10
	v_readlane_b32 s11, v62, 11
	s_mul_i32 s0, s11, s10
	v_readlane_b32 s9, v62, 12
	s_sub_i32 s0, s9, s0
	s_add_i32 s1, s11, 1
	s_sub_i32 s8, s0, s10
	s_cmp_ge_u32 s0, s10
	s_cselect_b32 s1, s1, s11
	s_cselect_b32 s0, s8, s0
	s_add_i32 s8, s1, 1
	s_cmp_ge_u32 s0, s10
	s_cselect_b32 s0, s8, s1
	s_mul_i32 s1, s0, s10
	s_sub_i32 s1, s9, s1
	v_readlane_b32 s8, v62, 0
	v_readlane_b32 s9, v62, 1
	s_mul_i32 s1, s1, s9
	s_mul_i32 s0, s0, s8
	s_add_i32 s0, s0, s1
	s_mov_b32 s1, 0
	s_lshl_b64 s[0:1], s[0:1], 3
	v_readlane_b32 s8, v62, 2
	v_readlane_b32 s9, v62, 3
	s_add_u32 s0, s8, s0
	s_addc_u32 s1, s9, s1
	v_mov_b32_e32 v3, 0
	global_store_dwordx2 v3, v[2:3], s[0:1]
.LBB113_267:
	s_or_b64 exec, exec, s[6:7]
.LBB113_268:
	s_or_saveexec_b64 s[0:1], s[4:5]
	s_mov_b64 s[4:5], 0
	s_xor_b64 exec, exec, s[0:1]
	s_cbranch_execnz .LBB113_271
.LBB113_269:
	s_or_b64 exec, exec, s[0:1]
	s_and_b64 s[4:5], s[4:5], exec
	s_andn2_saveexec_b64 s[0:1], s[2:3]
	s_cbranch_execz .LBB113_254
.LBB113_270:
	s_or_b64 s[4:5], s[4:5], exec
	s_trap 2
	s_or_b64 exec, exec, s[0:1]
	s_and_saveexec_b64 s[0:1], s[4:5]
	s_cbranch_execnz .LBB113_255
	s_branch .LBB113_256
.LBB113_271:
	s_mov_b64 s[4:5], exec
	s_trap 2
	s_branch .LBB113_269
	.section	.rodata,"a",@progbits
	.p2align	6, 0x0
	.amdhsa_kernel _ZN2at6native12_GLOBAL__N_112gatherMedianIdjLi2EEEvNS_4cuda6detail10TensorInfoIT_T0_EENS5_IlS7_EENS5_IKS6_S7_EES7_S7_S7_b
		.amdhsa_group_segment_fixed_size 4120
		.amdhsa_private_segment_fixed_size 0
		.amdhsa_kernarg_size 920
		.amdhsa_user_sgpr_count 2
		.amdhsa_user_sgpr_dispatch_ptr 0
		.amdhsa_user_sgpr_queue_ptr 0
		.amdhsa_user_sgpr_kernarg_segment_ptr 1
		.amdhsa_user_sgpr_dispatch_id 0
		.amdhsa_user_sgpr_kernarg_preload_length 0
		.amdhsa_user_sgpr_kernarg_preload_offset 0
		.amdhsa_user_sgpr_private_segment_size 0
		.amdhsa_uses_dynamic_stack 0
		.amdhsa_enable_private_segment 0
		.amdhsa_system_sgpr_workgroup_id_x 1
		.amdhsa_system_sgpr_workgroup_id_y 1
		.amdhsa_system_sgpr_workgroup_id_z 1
		.amdhsa_system_sgpr_workgroup_info 0
		.amdhsa_system_vgpr_workitem_id 0
		.amdhsa_next_free_vgpr 63
		.amdhsa_next_free_sgpr 100
		.amdhsa_accum_offset 64
		.amdhsa_reserve_vcc 1
		.amdhsa_float_round_mode_32 0
		.amdhsa_float_round_mode_16_64 0
		.amdhsa_float_denorm_mode_32 3
		.amdhsa_float_denorm_mode_16_64 3
		.amdhsa_dx10_clamp 1
		.amdhsa_ieee_mode 1
		.amdhsa_fp16_overflow 0
		.amdhsa_tg_split 0
		.amdhsa_exception_fp_ieee_invalid_op 0
		.amdhsa_exception_fp_denorm_src 0
		.amdhsa_exception_fp_ieee_div_zero 0
		.amdhsa_exception_fp_ieee_overflow 0
		.amdhsa_exception_fp_ieee_underflow 0
		.amdhsa_exception_fp_ieee_inexact 0
		.amdhsa_exception_int_div_zero 0
	.end_amdhsa_kernel
	.section	.text._ZN2at6native12_GLOBAL__N_112gatherMedianIdjLi2EEEvNS_4cuda6detail10TensorInfoIT_T0_EENS5_IlS7_EENS5_IKS6_S7_EES7_S7_S7_b,"axG",@progbits,_ZN2at6native12_GLOBAL__N_112gatherMedianIdjLi2EEEvNS_4cuda6detail10TensorInfoIT_T0_EENS5_IlS7_EENS5_IKS6_S7_EES7_S7_S7_b,comdat
.Lfunc_end113:
	.size	_ZN2at6native12_GLOBAL__N_112gatherMedianIdjLi2EEEvNS_4cuda6detail10TensorInfoIT_T0_EENS5_IlS7_EENS5_IKS6_S7_EES7_S7_S7_b, .Lfunc_end113-_ZN2at6native12_GLOBAL__N_112gatherMedianIdjLi2EEEvNS_4cuda6detail10TensorInfoIT_T0_EENS5_IlS7_EENS5_IKS6_S7_EES7_S7_S7_b
                                        ; -- End function
	.set _ZN2at6native12_GLOBAL__N_112gatherMedianIdjLi2EEEvNS_4cuda6detail10TensorInfoIT_T0_EENS5_IlS7_EENS5_IKS6_S7_EES7_S7_S7_b.num_vgpr, 63
	.set _ZN2at6native12_GLOBAL__N_112gatherMedianIdjLi2EEEvNS_4cuda6detail10TensorInfoIT_T0_EENS5_IlS7_EENS5_IKS6_S7_EES7_S7_S7_b.num_agpr, 0
	.set _ZN2at6native12_GLOBAL__N_112gatherMedianIdjLi2EEEvNS_4cuda6detail10TensorInfoIT_T0_EENS5_IlS7_EENS5_IKS6_S7_EES7_S7_S7_b.numbered_sgpr, 100
	.set _ZN2at6native12_GLOBAL__N_112gatherMedianIdjLi2EEEvNS_4cuda6detail10TensorInfoIT_T0_EENS5_IlS7_EENS5_IKS6_S7_EES7_S7_S7_b.num_named_barrier, 0
	.set _ZN2at6native12_GLOBAL__N_112gatherMedianIdjLi2EEEvNS_4cuda6detail10TensorInfoIT_T0_EENS5_IlS7_EENS5_IKS6_S7_EES7_S7_S7_b.private_seg_size, 0
	.set _ZN2at6native12_GLOBAL__N_112gatherMedianIdjLi2EEEvNS_4cuda6detail10TensorInfoIT_T0_EENS5_IlS7_EENS5_IKS6_S7_EES7_S7_S7_b.uses_vcc, 1
	.set _ZN2at6native12_GLOBAL__N_112gatherMedianIdjLi2EEEvNS_4cuda6detail10TensorInfoIT_T0_EENS5_IlS7_EENS5_IKS6_S7_EES7_S7_S7_b.uses_flat_scratch, 0
	.set _ZN2at6native12_GLOBAL__N_112gatherMedianIdjLi2EEEvNS_4cuda6detail10TensorInfoIT_T0_EENS5_IlS7_EENS5_IKS6_S7_EES7_S7_S7_b.has_dyn_sized_stack, 0
	.set _ZN2at6native12_GLOBAL__N_112gatherMedianIdjLi2EEEvNS_4cuda6detail10TensorInfoIT_T0_EENS5_IlS7_EENS5_IKS6_S7_EES7_S7_S7_b.has_recursion, 0
	.set _ZN2at6native12_GLOBAL__N_112gatherMedianIdjLi2EEEvNS_4cuda6detail10TensorInfoIT_T0_EENS5_IlS7_EENS5_IKS6_S7_EES7_S7_S7_b.has_indirect_call, 0
	.section	.AMDGPU.csdata,"",@progbits
; Kernel info:
; codeLenInByte = 10188
; TotalNumSgprs: 106
; NumVgprs: 63
; NumAgprs: 0
; TotalNumVgprs: 63
; ScratchSize: 0
; MemoryBound: 0
; FloatMode: 240
; IeeeMode: 1
; LDSByteSize: 4120 bytes/workgroup (compile time only)
; SGPRBlocks: 13
; VGPRBlocks: 7
; NumSGPRsForWavesPerEU: 106
; NumVGPRsForWavesPerEU: 63
; AccumOffset: 64
; Occupancy: 7
; WaveLimiterHint : 1
; COMPUTE_PGM_RSRC2:SCRATCH_EN: 0
; COMPUTE_PGM_RSRC2:USER_SGPR: 2
; COMPUTE_PGM_RSRC2:TRAP_HANDLER: 0
; COMPUTE_PGM_RSRC2:TGID_X_EN: 1
; COMPUTE_PGM_RSRC2:TGID_Y_EN: 1
; COMPUTE_PGM_RSRC2:TGID_Z_EN: 1
; COMPUTE_PGM_RSRC2:TIDIG_COMP_CNT: 0
; COMPUTE_PGM_RSRC3_GFX90A:ACCUM_OFFSET: 15
; COMPUTE_PGM_RSRC3_GFX90A:TG_SPLIT: 0
	.section	.text._ZN2at6native12_GLOBAL__N_112gatherMedianIdjLi3EEEvNS_4cuda6detail10TensorInfoIT_T0_EENS5_IlS7_EENS5_IKS6_S7_EES7_S7_S7_b,"axG",@progbits,_ZN2at6native12_GLOBAL__N_112gatherMedianIdjLi3EEEvNS_4cuda6detail10TensorInfoIT_T0_EENS5_IlS7_EENS5_IKS6_S7_EES7_S7_S7_b,comdat
	.globl	_ZN2at6native12_GLOBAL__N_112gatherMedianIdjLi3EEEvNS_4cuda6detail10TensorInfoIT_T0_EENS5_IlS7_EENS5_IKS6_S7_EES7_S7_S7_b ; -- Begin function _ZN2at6native12_GLOBAL__N_112gatherMedianIdjLi3EEEvNS_4cuda6detail10TensorInfoIT_T0_EENS5_IlS7_EENS5_IKS6_S7_EES7_S7_S7_b
	.p2align	8
	.type	_ZN2at6native12_GLOBAL__N_112gatherMedianIdjLi3EEEvNS_4cuda6detail10TensorInfoIT_T0_EENS5_IlS7_EENS5_IKS6_S7_EES7_S7_S7_b,@function
_ZN2at6native12_GLOBAL__N_112gatherMedianIdjLi3EEEvNS_4cuda6detail10TensorInfoIT_T0_EENS5_IlS7_EENS5_IKS6_S7_EES7_S7_S7_b: ; @_ZN2at6native12_GLOBAL__N_112gatherMedianIdjLi3EEEvNS_4cuda6detail10TensorInfoIT_T0_EENS5_IlS7_EENS5_IKS6_S7_EES7_S7_S7_b
; %bb.0:
	s_load_dwordx2 s[10:11], s[0:1], 0x298
	s_load_dwordx4 s[56:59], s[0:1], 0x288
	s_add_u32 s8, s0, 0x298
	s_addc_u32 s9, s1, 0
	s_waitcnt lgkmcnt(0)
	s_mul_i32 s4, s11, s4
	s_add_i32 s3, s4, s3
	s_mul_i32 s3, s3, s10
	s_add_i32 s3, s3, s2
	s_cmp_ge_u32 s3, s57
	s_cbranch_scc1 .LBB114_256
; %bb.1:
	s_load_dwordx2 s[20:21], s[0:1], 0xc
	s_load_dwordx2 s[4:5], s[0:1], 0x0
	s_load_dwordx4 s[16:19], s[0:1], 0x144
                                        ; implicit-def: $vgpr62 : SGPR spill to VGPR lane
                                        ; kill: killed $sgpr0 killed $sgpr1
	s_mov_b32 s11, s3
	s_load_dwordx4 s[24:27], s[0:1], 0x6c
	s_waitcnt lgkmcnt(0)
	v_cvt_f32_u32_e32 v1, s21
	v_writelane_b32 v62, s4, 0
	v_cvt_f32_u32_e32 v2, s20
	v_rcp_iflag_f32_e32 v1, v1
	v_writelane_b32 v62, s5, 1
	v_writelane_b32 v62, s16, 2
	v_rcp_iflag_f32_e32 v2, v2
	v_mul_f32_e32 v1, 0x4f7ffffe, v1
	v_writelane_b32 v62, s17, 3
	v_cvt_u32_f32_e32 v1, v1
	v_writelane_b32 v62, s18, 4
	v_writelane_b32 v62, s19, 5
	s_load_dwordx2 s[16:17], s[0:1], 0xe4
	s_load_dwordx4 s[4:7], s[0:1], 0x21c
	s_load_dwordx2 s[14:15], s[0:1], 0x1bc
	s_load_dwordx2 s[12:13], s[0:1], 0x1b0
	;; [unrolled: 1-line block ×3, first 2 shown]
	s_sub_i32 s0, 0, s21
	v_readfirstlane_b32 s1, v1
	s_mul_i32 s0, s0, s1
	s_mul_hi_u32 s0, s1, s0
	s_add_i32 s1, s1, s0
	v_mul_f32_e32 v1, 0x4f7ffffe, v2
	s_waitcnt lgkmcnt(0)
	v_cvt_f32_u32_e32 v2, s17
	s_mul_hi_u32 s0, s3, s1
	s_mul_i32 s1, s0, s21
	v_writelane_b32 v62, s18, 6
	s_sub_i32 s1, s11, s1
	s_add_i32 s3, s0, 1
	v_writelane_b32 v62, s19, 7
	s_sub_i32 s7, s1, s21
	v_cvt_u32_f32_e32 v1, v1
	v_rcp_iflag_f32_e32 v2, v2
	v_writelane_b32 v62, s24, 8
	s_cmp_ge_u32 s1, s21
	s_cselect_b32 s0, s3, s0
	v_writelane_b32 v62, s25, 9
	v_writelane_b32 v62, s26, 10
	s_cselect_b32 s1, s7, s1
	s_add_i32 s3, s0, 1
	v_writelane_b32 v62, s27, 11
	s_cmp_ge_u32 s1, s21
	v_readfirstlane_b32 s1, v1
	v_mul_f32_e32 v1, 0x4f7ffffe, v2
	s_cselect_b32 s3, s3, s0
	v_writelane_b32 v62, s20, 12
	s_sub_i32 s0, 0, s20
	v_cvt_u32_f32_e32 v1, v1
	s_mul_i32 s0, s0, s1
	s_mul_hi_u32 s0, s1, s0
	v_writelane_b32 v62, s21, 13
	s_add_i32 s1, s1, s0
	v_writelane_b32 v62, s3, 14
	s_mul_hi_u32 s0, s3, s1
	v_readfirstlane_b32 s1, v1
	v_cvt_f32_u32_e32 v1, s16
	v_writelane_b32 v62, s0, 15
	s_sub_i32 s0, 0, s17
	s_mul_i32 s0, s0, s1
	s_mul_hi_u32 s0, s1, s0
	s_add_i32 s1, s1, s0
	v_rcp_iflag_f32_e32 v1, v1
	s_mul_hi_u32 s0, s11, s1
	s_mul_i32 s1, s0, s17
	v_cvt_f32_u32_e32 v2, s15
	s_sub_i32 s1, s11, s1
	s_add_i32 s3, s0, 1
	s_sub_i32 s7, s1, s17
	v_mul_f32_e32 v1, 0x4f7ffffe, v1
	s_cmp_ge_u32 s1, s17
	v_cvt_u32_f32_e32 v1, v1
	s_cselect_b32 s0, s3, s0
	v_rcp_iflag_f32_e32 v2, v2
	s_cselect_b32 s1, s7, s1
	s_add_i32 s3, s0, 1
	s_cmp_ge_u32 s1, s17
	s_cselect_b32 s3, s3, s0
	v_writelane_b32 v62, s16, 16
	s_sub_i32 s0, 0, s16
	v_readfirstlane_b32 s1, v1
	s_mul_i32 s0, s0, s1
	v_mul_f32_e32 v1, 0x4f7ffffe, v2
	s_mul_hi_u32 s0, s1, s0
	v_cvt_u32_f32_e32 v1, v1
	v_writelane_b32 v62, s17, 17
	s_add_i32 s1, s1, s0
	v_writelane_b32 v62, s3, 18
	s_mul_hi_u32 s0, s3, s1
	v_writelane_b32 v62, s0, 19
	s_sub_i32 s0, 0, s15
	v_mul_lo_u32 v2, s0, v1
	v_mul_hi_u32 v2, v1, v2
	v_add_u32_e32 v1, v1, v2
	v_mul_hi_u32 v1, s11, v1
	v_cvt_f32_u32_e32 v5, s14
	v_mul_lo_u32 v2, v1, s15
	v_sub_u32_e32 v2, s11, v2
	v_subrev_u32_e32 v4, s15, v2
	v_cmp_le_u32_e32 vcc, s15, v2
	v_add_u32_e32 v3, 1, v1
	s_sub_i32 s0, 0, s14
	v_cndmask_b32_e32 v2, v2, v4, vcc
	v_rcp_iflag_f32_e32 v4, v5
	v_cndmask_b32_e32 v1, v1, v3, vcc
	v_add_u32_e32 v3, 1, v1
	v_cmp_le_u32_e32 vcc, s15, v2
	v_writelane_b32 v62, s11, 20
	s_nop 0
	v_cndmask_b32_e32 v1, v1, v3, vcc
	v_mul_f32_e32 v3, 0x4f7ffffe, v4
	v_cvt_u32_f32_e32 v3, v3
	v_mul_lo_u32 v2, v1, s15
	v_sub_u32_e32 v2, s11, v2
	v_mul_lo_u32 v2, v2, s6
	v_mul_lo_u32 v4, s0, v3
	v_mul_hi_u32 v4, v3, v4
	v_add_u32_e32 v3, v3, v4
	v_mul_hi_u32 v3, v1, v3
	v_mul_lo_u32 v4, v3, s14
	v_sub_u32_e32 v4, v1, v4
	v_add_u32_e32 v5, 1, v3
	v_subrev_u32_e32 v6, s14, v4
	v_cmp_le_u32_e32 vcc, s14, v4
	v_cmp_gt_u32_e64 s[0:1], s56, v0
	s_nop 0
	v_cndmask_b32_e32 v3, v3, v5, vcc
	v_cndmask_b32_e32 v4, v4, v6, vcc
	v_add_u32_e32 v5, 1, v3
	v_cmp_le_u32_e32 vcc, s14, v4
	s_nop 1
	v_cndmask_b32_e32 v3, v3, v5, vcc
	v_mul_lo_u32 v4, v3, s14
	v_sub_u32_e32 v1, v1, v4
	v_mul_lo_u32 v1, v1, s5
	v_add_u32_e32 v1, v1, v2
	v_mul_lo_u32 v2, v3, s4
	v_add_u32_e32 v2, v1, v2
	v_mov_b32_e32 v3, 0
	v_lshlrev_b64 v[4:5], 3, v[2:3]
	v_lshl_add_u64 v[16:17], s[12:13], 0, v[4:5]
	s_and_saveexec_b64 s[4:5], s[0:1]
	s_cbranch_execz .LBB114_5
; %bb.2:
	s_load_dword s3, s[8:9], 0xc
	v_mul_lo_u32 v2, v0, s58
	s_mov_b64 s[6:7], 0
	v_mov_b32_e32 v1, v3
	v_mov_b32_e32 v4, v0
	s_waitcnt lgkmcnt(0)
	s_and_b32 s3, s3, 0xffff
	s_mul_i32 s11, s58, s3
.LBB114_3:                              ; =>This Inner Loop Header: Depth=1
	v_lshl_add_u64 v[6:7], v[2:3], 3, v[16:17]
	global_load_dwordx2 v[6:7], v[6:7], off
	v_add_u32_e32 v4, s3, v4
	v_cmp_le_u32_e32 vcc, s56, v4
	s_or_b64 s[6:7], vcc, s[6:7]
	v_add_u32_e32 v2, s11, v2
	s_waitcnt vmcnt(0)
	v_cmp_u_f64_e32 vcc, v[6:7], v[6:7]
	s_nop 1
	v_addc_co_u32_e32 v1, vcc, 0, v1, vcc
	s_andn2_b64 exec, exec, s[6:7]
	s_cbranch_execnz .LBB114_3
; %bb.4:
	s_or_b64 exec, exec, s[6:7]
	v_mov_b32_e32 v3, v1
.LBB114_5:
	s_or_b64 exec, exec, s[4:5]
	v_cmp_eq_u32_e64 s[16:17], 0, v0
	s_and_saveexec_b64 s[4:5], s[16:17]
; %bb.6:
	v_mov_b32_e32 v4, 0
	v_mov_b32_e32 v5, v4
	ds_write_b64 v4, v[4:5] offset:4096
; %bb.7:
	s_or_b64 exec, exec, s[4:5]
	v_cmp_ne_u32_e32 vcc, 0, v3
	s_waitcnt lgkmcnt(0)
	s_barrier
	s_and_saveexec_b64 s[4:5], vcc
	s_cbranch_execz .LBB114_12
; %bb.8:
	s_mov_b64 s[12:13], exec
	v_mov_b32_e32 v1, 0
	v_mov_b32_e32 v2, v3
	s_mov_b64 s[6:7], 0
.LBB114_9:                              ; =>This Inner Loop Header: Depth=1
	s_ff1_i32_b64 s3, s[12:13]
	v_readlane_b32 s14, v2, s3
	v_readlane_b32 s11, v1, s3
	s_add_u32 s6, s6, s14
	s_addc_u32 s7, s7, s11
	s_lshl_b64 s[14:15], 1, s3
	s_andn2_b64 s[12:13], s[12:13], s[14:15]
	s_cmp_lg_u64 s[12:13], 0
	s_cbranch_scc1 .LBB114_9
; %bb.10:
	v_mbcnt_lo_u32_b32 v1, exec_lo, 0
	v_mbcnt_hi_u32_b32 v1, exec_hi, v1
	v_cmp_eq_u32_e32 vcc, 0, v1
	s_and_saveexec_b64 s[12:13], vcc
	s_xor_b64 s[12:13], exec, s[12:13]
; %bb.11:
	v_mov_b32_e32 v1, 0
	v_mov_b64_e32 v[2:3], s[6:7]
	ds_add_u64 v1, v[2:3] offset:4096
.LBB114_12:
	s_or_b64 exec, exec, s[4:5]
	v_mov_b32_e32 v1, 0
	s_waitcnt lgkmcnt(0)
	s_barrier
	ds_read_b64 v[2:3], v1 offset:4096
	s_bitcmp1_b32 s59, 0
	s_cselect_b64 s[6:7], -1, 0
	s_mov_b32 s3, s56
	s_waitcnt lgkmcnt(0)
	v_readfirstlane_b32 s4, v2
	v_readfirstlane_b32 s5, v3
	s_nop 1
	v_cmp_lt_i64_e64 s[12:13], s[4:5], 1
	s_or_b64 s[6:7], s[6:7], s[12:13]
	s_andn2_b64 vcc, exec, s[6:7]
	s_cbranch_vccnz .LBB114_14
; %bb.13:
	s_not_b64 s[4:5], s[4:5]
	s_add_u32 s3, s4, s56
	s_addc_u32 s5, s5, 0
	s_lshr_b32 s4, s5, 31
	s_add_u32 s4, s3, s4
	s_addc_u32 s5, s5, 0
	s_lshr_b64 s[4:5], s[4:5], 1
	s_add_i32 s3, s4, 1
.LBB114_14:
	s_and_saveexec_b64 s[4:5], s[16:17]
	s_cbranch_execz .LBB114_16
; %bb.15:
	v_mov_b32_e32 v2, 0
	v_mov_b32_e32 v3, s56
	ds_write_b32 v2, v2 offset:4112
	ds_write_b64 v2, v[2:3] offset:4104
.LBB114_16:
	s_or_b64 exec, exec, s[4:5]
	s_waitcnt lgkmcnt(0)
	s_barrier
	s_load_dword s11, s[8:9], 0xc
	v_mbcnt_lo_u32_b32 v1, -1, 0
	v_mbcnt_hi_u32_b32 v36, -1, v1
	v_cmp_gt_u32_e32 vcc, 64, v0
	v_cmp_gt_i32_e64 s[6:7], 4, v36
	s_waitcnt lgkmcnt(0)
	s_and_b32 s59, s11, 0xffff
	s_add_i32 s91, s59, -1
	s_lshl_b32 s90, s59, 2
	s_and_b64 s[78:79], vcc, s[6:7]
	s_add_i32 s12, s91, s56
	s_cmpk_gt_u32 s56, 0x180
	s_cselect_b64 s[80:81], -1, 0
	s_cmp_gt_u32 s59, 63
	s_cselect_b64 s[82:83], -1, 0
	s_cmp_lt_u32 s2, s10
	s_cselect_b32 s2, 12, 18
	s_add_u32 s8, s8, s2
	s_addc_u32 s9, s9, 0
	v_writelane_b32 v62, s8, 21
	v_lshlrev_b64 v[2:3], v36, -1
	v_not_b32_e32 v24, v2
	v_writelane_b32 v62, s9, 22
	s_bfe_u32 s9, s11, 0xa0006
	s_add_i32 s2, s9, -2
	s_lshr_b32 s8, s2, 1
	s_add_i32 s8, s8, 1
	v_lshrrev_b32_e32 v2, 2, v0
	s_cmpk_gt_u32 s59, 0x7f
	v_and_b32_e32 v2, 0xf0, v2
	s_cselect_b64 s[10:11], -1, 0
	v_or_b32_e32 v39, 0xc00, v2
	v_writelane_b32 v62, s10, 23
	v_cvt_f32_u32_e32 v2, s90
	v_lshlrev_b32_e32 v25, 2, v0
	v_writelane_b32 v62, s11, 24
	s_and_b32 s10, s9, 0x3fe
	s_and_b32 s11, s8, 7
	s_cmp_gt_u32 s2, 13
	s_cselect_b64 s[14:15], -1, 0
	v_writelane_b32 v62, s14, 25
	v_rcp_iflag_f32_e32 v2, v2
	s_and_b32 s2, s8, -8
	v_writelane_b32 v62, s15, 26
	v_writelane_b32 v62, s2, 27
	s_cmp_lg_u32 s11, 0
	v_writelane_b32 v62, s11, 28
	s_cselect_b64 s[14:15], -1, 0
	v_writelane_b32 v62, s14, 29
	v_mul_f32_e32 v2, 0x4f7ffffe, v2
	v_cvt_u32_f32_e32 v2, v2
	v_writelane_b32 v62, s15, 30
	v_writelane_b32 v62, s9, 31
	s_cmp_lg_u32 s10, s9
	v_writelane_b32 v62, s10, 32
	s_cselect_b64 s[8:9], -1, 0
	v_writelane_b32 v62, s8, 33
	s_sub_i32 s2, 0, s90
	v_mov_b32_e32 v21, 0
	v_writelane_b32 v62, s9, 34
	v_readfirstlane_b32 s8, v2
	v_cvt_f32_u32_e32 v2, s59
	s_mul_i32 s2, s2, s8
	s_mul_hi_u32 s2, s8, s2
	s_add_i32 s93, s8, s2
	v_rcp_iflag_f32_e32 v2, v2
	s_mul_hi_u32 s2, s56, s93
	s_mul_i32 s2, s2, s90
	s_sub_i32 s2, s56, s2
	s_sub_i32 s8, s2, s90
	v_mul_f32_e32 v2, 0x4f7ffffe, v2
	s_cmp_ge_u32 s2, s90
	v_cvt_u32_f32_e32 v2, v2
	s_cselect_b32 s2, s8, s2
	s_sub_i32 s8, s2, s90
	s_cmp_ge_u32 s2, s90
	s_cselect_b32 s2, s8, s2
	s_sub_i32 s13, 0, s59
	v_readfirstlane_b32 s14, v2
	s_mul_i32 s13, s13, s14
	s_mul_hi_u32 s13, s14, s13
	s_add_i32 s85, s14, s13
	s_mul_hi_u32 s13, s12, s85
	s_mul_i32 s13, s13, s59
	s_sub_i32 s13, s12, s13
	s_sub_i32 s84, s56, s2
	;; [unrolled: 1-line block ×3, first 2 shown]
	s_cmp_ge_u32 s13, s59
	s_cselect_b32 s13, s14, s13
	s_sub_i32 s14, s13, s59
	v_mul_lo_u32 v2, s58, v25
	s_cmp_ge_u32 s13, s59
	v_add_u32_e32 v41, s58, v2
	v_or_b32_e32 v2, 2, v25
	s_cselect_b32 s13, s14, s13
	v_mul_lo_u32 v42, s58, v2
	v_or_b32_e32 v2, 3, v25
	s_add_i32 s14, s59, s56
	v_add_u32_e32 v40, s84, v0
	v_mul_lo_u32 v43, s58, v2
	v_add_u32_e32 v2, s14, v0
	s_mov_b32 s18, 0
	v_lshlrev_b32_e32 v37, 3, v0
	v_mul_lo_u32 v18, s58, v0
	v_mov_b32_e32 v19, v21
	v_lshlrev_b32_e32 v4, 2, v36
	v_mul_lo_u32 v20, v40, s58
	s_sub_i32 s92, s12, s13
	s_mul_i32 s57, s58, s59
	v_subrev_u32_e32 v2, s2, v2
	s_mov_b32 s19, 1
	v_cmp_eq_u32_e64 s[4:5], 0, v36
	v_cmp_gt_u32_e64 s[6:7], 2, v0
	v_add_u32_e32 v38, 0xc00, v37
	v_lshl_add_u64 v[22:23], v[18:19], 3, v[16:17]
	v_and_b32_e32 v19, 0x100, v4
	v_not_b32_e32 v1, v3
	v_cmp_gt_u32_e64 s[8:9], s84, v25
	v_cmp_gt_u32_e64 s[10:11], s56, v40
	v_lshl_add_u64 v[26:27], v[20:21], 3, v[16:17]
	v_cmp_gt_u32_e64 s[12:13], s92, v0
	s_lshl_b32 s68, s57, 2
	v_lshlrev_b32_e32 v44, 2, v18
	v_mul_lo_u32 v45, s58, v2
	v_lshlrev_b32_e32 v46, 5, v0
	s_lshl_b32 s69, s59, 5
	s_lshl_b32 s86, s59, 3
	v_or_b32_e32 v47, 0xc00, v4
	s_mov_b32 s87, 62
	v_mov_b64_e32 v[6:7], 0
	s_mov_b64 s[94:95], 0
	v_mov_b32_e32 v49, s3
	v_mov_b64_e32 v[28:29], 0
	v_mov_b64_e32 v[30:31], 0
	v_mov_b32_e32 v51, s56
	v_mov_b32_e32 v3, 0x3ff00000
	;; [unrolled: 1-line block ×5, first 2 shown]
	s_mov_b32 s74, s18
                                        ; implicit-def: $sgpr96_sgpr97
                                        ; implicit-def: $sgpr70_sgpr71
                                        ; implicit-def: $sgpr98_sgpr99
                                        ; implicit-def: $sgpr62_sgpr63
                                        ; implicit-def: $sgpr72_sgpr73
                                        ; implicit-def: $sgpr60_sgpr61
	s_branch .LBB114_20
.LBB114_17:                             ;   in Loop: Header=BB114_20 Depth=1
	s_or_b64 exec, exec, s[26:27]
	s_and_b64 s[20:21], s[20:21], exec
	s_andn2_b64 s[24:25], s[24:25], exec
	s_andn2_b64 s[22:23], s[22:23], exec
	s_orn2_b64 s[18:19], s[18:19], exec
.LBB114_18:                             ;   in Loop: Header=BB114_20 Depth=1
	s_or_b64 exec, exec, s[2:3]
	s_andn2_b64 s[2:3], s[60:61], exec
	s_and_b64 s[20:21], s[20:21], exec
	s_or_b64 s[60:61], s[2:3], s[20:21]
	s_andn2_b64 s[2:3], s[72:73], exec
	s_and_b64 s[20:21], s[24:25], exec
	s_or_b64 s[72:73], s[2:3], s[20:21]
	s_andn2_b64 s[2:3], s[62:63], exec
	s_and_b64 s[20:21], s[22:23], exec
	s_or_b64 s[62:63], s[2:3], s[20:21]
	s_orn2_b64 s[18:19], s[18:19], exec
.LBB114_19:                             ;   in Loop: Header=BB114_20 Depth=1
	s_or_b64 exec, exec, s[14:15]
	s_and_b64 s[2:3], exec, s[18:19]
	s_or_b64 s[94:95], s[2:3], s[94:95]
	s_andn2_b64 s[2:3], s[98:99], exec
	s_and_b64 s[14:15], s[60:61], exec
	s_or_b64 s[98:99], s[2:3], s[14:15]
	s_andn2_b64 s[2:3], s[70:71], exec
	s_and_b64 s[14:15], s[72:73], exec
	;; [unrolled: 3-line block ×3, first 2 shown]
	s_or_b64 s[96:97], s[2:3], s[14:15]
	s_mov_b32 s74, s31
	s_mov_b32 s87, s30
	v_mov_b32_e32 v49, v9
	s_andn2_b64 exec, exec, s[94:95]
	s_cbranch_execz .LBB114_252
.LBB114_20:                             ; =>This Loop Header: Depth=1
                                        ;     Child Loop BB114_26 Depth 2
                                        ;     Child Loop BB114_39 Depth 2
                                        ;     Child Loop BB114_70 Depth 2
                                        ;     Child Loop BB114_74 Depth 2
                                        ;     Child Loop BB114_59 Depth 2
                                        ;     Child Loop BB114_64 Depth 2
                                        ;     Child Loop BB114_56 Depth 2
                                        ;     Child Loop BB114_83 Depth 2
                                        ;     Child Loop BB114_86 Depth 2
                                        ;     Child Loop BB114_97 Depth 2
                                        ;     Child Loop BB114_109 Depth 2
                                        ;     Child Loop BB114_136 Depth 2
                                        ;     Child Loop BB114_148 Depth 2
                                        ;     Child Loop BB114_175 Depth 2
                                        ;     Child Loop BB114_187 Depth 2
                                        ;     Child Loop BB114_214 Depth 2
                                        ;     Child Loop BB114_226 Depth 2
	ds_read_b64 v[4:5], v21 offset:4104
	s_waitcnt lgkmcnt(0)
	v_readfirstlane_b32 s75, v4
	s_cmp_lg_u32 s75, 0
	s_cbranch_scc1 .LBB114_47
; %bb.21:                               ;   in Loop: Header=BB114_20 Depth=1
	s_and_b64 vcc, exec, s[80:81]
	s_cbranch_vccz .LBB114_34
; %bb.22:                               ;   in Loop: Header=BB114_20 Depth=1
	s_movk_i32 s2, 0x181
	v_cmp_gt_u32_e32 vcc, s2, v5
	s_mov_b64 s[18:19], 0
	s_mov_b64 s[2:3], 0
	s_cbranch_vccz .LBB114_35
; %bb.23:                               ;   in Loop: Header=BB114_20 Depth=1
	s_and_saveexec_b64 s[20:21], s[0:1]
	s_cbranch_execz .LBB114_78
; %bb.24:                               ;   in Loop: Header=BB114_20 Depth=1
	v_readlane_b32 s2, v62, 21
	v_readlane_b32 s3, v62, 22
	s_nop 4
	global_load_ushort v2, v21, s[2:3]
	global_load_dwordx2 v[4:5], v[22:23], off
	s_mov_b64 s[22:23], 0
	v_mov_b32_e32 v11, v0
	s_waitcnt vmcnt(1)
	v_add_u32_e32 v8, v0, v2
	v_mul_lo_u32 v10, s58, v2
	v_mul_lo_u32 v20, s58, v8
	s_branch .LBB114_26
.LBB114_25:                             ;   in Loop: Header=BB114_26 Depth=2
	s_or_b64 exec, exec, s[2:3]
	v_add_u32_e32 v20, v20, v10
	v_mov_b64_e32 v[4:5], v[8:9]
	s_andn2_b64 exec, exec, s[22:23]
	s_cbranch_execz .LBB114_78
.LBB114_26:                             ;   Parent Loop BB114_20 Depth=1
                                        ; =>  This Inner Loop Header: Depth=2
	v_add_u32_e32 v11, v11, v2
	v_cmp_gt_u32_e64 s[2:3], s56, v11
	v_cmp_le_u32_e32 vcc, s56, v11
	v_mov_b64_e32 v[8:9], 0
	s_and_saveexec_b64 s[14:15], s[2:3]
	s_cbranch_execz .LBB114_28
; %bb.27:                               ;   in Loop: Header=BB114_26 Depth=2
	v_lshl_add_u64 v[8:9], v[20:21], 3, v[16:17]
	global_load_dwordx2 v[8:9], v[8:9], off
.LBB114_28:                             ;   in Loop: Header=BB114_26 Depth=2
	s_or_b64 exec, exec, s[14:15]
	s_waitcnt vmcnt(0) lgkmcnt(0)
	v_ashrrev_i32_e32 v12, 31, v5
	v_or_b32_e32 v13, 0x80000000, v12
	v_xor_b32_e32 v13, v13, v5
	v_xor_b32_e32 v12, v12, v4
	v_cmp_o_f64_e64 s[2:3], v[4:5], v[4:5]
	s_nop 1
	v_cndmask_b32_e64 v13, -1, v13, s[2:3]
	v_cndmask_b32_e64 v12, -1, v12, s[2:3]
	v_and_b32_e32 v13, v13, v31
	v_and_b32_e32 v12, v12, v30
	v_cmp_eq_u64_e64 s[14:15], v[12:13], v[28:29]
	s_cmp_lg_u64 s[14:15], 0
	s_cselect_b64 s[2:3], -1, 0
	s_and_b64 s[2:3], s[4:5], s[2:3]
	v_mov_b32_e32 v12, 0
	s_and_saveexec_b64 s[24:25], s[2:3]
	s_cbranch_execz .LBB114_32
; %bb.29:                               ;   in Loop: Header=BB114_26 Depth=2
	s_mov_b64 s[28:29], exec
	v_mbcnt_lo_u32_b32 v12, s28, 0
	v_mbcnt_hi_u32_b32 v12, s29, v12
	s_bcnt1_i32_b64 s30, s[14:15]
	v_cmp_eq_u32_e64 s[2:3], 0, v12
                                        ; implicit-def: $vgpr13
	s_and_saveexec_b64 s[26:27], s[2:3]
; %bb.30:                               ;   in Loop: Header=BB114_26 Depth=2
	s_bcnt1_i32_b64 s2, s[28:29]
	s_mul_i32 s2, s30, s2
	v_mov_b32_e32 v13, s2
	ds_add_rtn_u32 v13, v21, v13 offset:4112
; %bb.31:                               ;   in Loop: Header=BB114_26 Depth=2
	s_or_b64 exec, exec, s[26:27]
	s_waitcnt lgkmcnt(0)
	v_readfirstlane_b32 s2, v13
	s_nop 1
	v_mov_b32_e32 v13, s2
	v_mad_u32_u24 v12, s30, v12, v13
.LBB114_32:                             ;   in Loop: Header=BB114_26 Depth=2
	s_or_b64 exec, exec, s[24:25]
	ds_bpermute_b32 v12, v19, v12
	s_and_b64 s[2:3], exec, vcc
	s_or_b64 s[22:23], s[2:3], s[22:23]
	s_and_saveexec_b64 s[2:3], s[14:15]
	s_cbranch_execz .LBB114_25
; %bb.33:                               ;   in Loop: Header=BB114_26 Depth=2
	v_and_b32_e32 v14, s14, v24
	v_and_b32_e32 v13, s15, v1
	v_bcnt_u32_b32 v14, v14, 0
	v_bcnt_u32_b32 v13, v13, v14
	v_lshlrev_b32_e32 v13, 3, v13
	s_waitcnt lgkmcnt(0)
	v_lshl_add_u32 v12, v12, 3, v13
	ds_write_b64 v12, v[4:5]
	s_branch .LBB114_25
.LBB114_34:                             ;   in Loop: Header=BB114_20 Depth=1
	s_mov_b64 s[18:19], -1
	s_mov_b64 s[2:3], 0
.LBB114_35:                             ;   in Loop: Header=BB114_20 Depth=1
	s_and_b64 vcc, exec, s[18:19]
	s_cbranch_vccz .LBB114_45
.LBB114_36:                             ;   in Loop: Header=BB114_20 Depth=1
	s_and_saveexec_b64 s[2:3], s[0:1]
	s_cbranch_execz .LBB114_42
; %bb.37:                               ;   in Loop: Header=BB114_20 Depth=1
	v_readlane_b32 s14, v62, 21
	v_readlane_b32 s15, v62, 22
	s_nop 4
	global_load_ushort v2, v21, s[14:15]
	global_load_dwordx2 v[4:5], v[22:23], off
	v_mov_b32_e32 v10, v0
	s_waitcnt vmcnt(1)
	v_add_u32_e32 v8, v0, v2
	v_cmp_gt_u32_e32 vcc, s56, v8
	s_and_saveexec_b64 s[14:15], vcc
	s_cbranch_execz .LBB114_41
; %bb.38:                               ;   in Loop: Header=BB114_20 Depth=1
	v_lshlrev_b32_e32 v11, 3, v2
	v_mul_lo_u32 v20, s58, v8
	v_mul_lo_u32 v12, s58, v2
	s_mov_b64 s[18:19], 0
	v_mov_b32_e32 v13, v37
	v_mov_b32_e32 v10, v0
.LBB114_39:                             ;   Parent Loop BB114_20 Depth=1
                                        ; =>  This Inner Loop Header: Depth=2
	v_lshl_add_u64 v[8:9], v[20:21], 3, v[16:17]
	global_load_dwordx2 v[8:9], v[8:9], off
	v_add_u32_e32 v10, v10, v2
	s_waitcnt vmcnt(1)
	ds_write_b64 v13, v[4:5]
	v_add_u32_e32 v4, v2, v10
	v_cmp_le_u32_e32 vcc, s56, v4
	v_add_u32_e32 v13, v13, v11
	v_add_u32_e32 v20, v20, v12
	s_or_b64 s[18:19], vcc, s[18:19]
	s_waitcnt vmcnt(0)
	v_mov_b64_e32 v[4:5], v[8:9]
	s_andn2_b64 exec, exec, s[18:19]
	s_cbranch_execnz .LBB114_39
; %bb.40:                               ;   in Loop: Header=BB114_20 Depth=1
	s_or_b64 exec, exec, s[18:19]
	v_mov_b64_e32 v[4:5], v[8:9]
.LBB114_41:                             ;   in Loop: Header=BB114_20 Depth=1
	s_or_b64 exec, exec, s[14:15]
	v_lshlrev_b32_e32 v2, 3, v10
	s_waitcnt vmcnt(0)
	ds_write_b64 v2, v[4:5]
.LBB114_42:                             ;   in Loop: Header=BB114_20 Depth=1
	s_or_b64 exec, exec, s[2:3]
	s_waitcnt lgkmcnt(0)
	s_barrier
	s_and_saveexec_b64 s[2:3], s[16:17]
; %bb.43:                               ;   in Loop: Header=BB114_20 Depth=1
	ds_write_b32 v21, v51 offset:4104
; %bb.44:                               ;   in Loop: Header=BB114_20 Depth=1
	s_or_b64 exec, exec, s[2:3]
	s_mov_b64 s[2:3], -1
	s_waitcnt lgkmcnt(0)
	s_barrier
.LBB114_45:                             ;   in Loop: Header=BB114_20 Depth=1
	s_mov_b32 s75, 0
	s_and_b64 vcc, exec, s[2:3]
	s_cbranch_vccz .LBB114_47
; %bb.46:                               ;   in Loop: Header=BB114_20 Depth=1
	ds_read_b32 v2, v21 offset:4104
	s_waitcnt lgkmcnt(0)
	v_readfirstlane_b32 s75, v2
.LBB114_47:                             ;   in Loop: Header=BB114_20 Depth=1
	s_cmp_lt_i32 s75, 1
	s_mov_b64 s[2:3], -1
                                        ; implicit-def: $vgpr10_vgpr11
	s_cbranch_scc1 .LBB114_57
; %bb.48:                               ;   in Loop: Header=BB114_20 Depth=1
	s_and_b64 vcc, exec, s[2:3]
	s_cbranch_vccnz .LBB114_68
.LBB114_49:                             ;   in Loop: Header=BB114_20 Depth=1
	s_lshl_b32 s18, s74, 6
	s_and_saveexec_b64 s[2:3], s[4:5]
.LBB114_50:                             ;   in Loop: Header=BB114_20 Depth=1
	v_lshl_add_u32 v2, s18, 2, v39
	ds_write_b128 v2, v[8:11]
.LBB114_51:                             ;   in Loop: Header=BB114_20 Depth=1
	s_or_b64 exec, exec, s[2:3]
	s_waitcnt lgkmcnt(0)
	s_barrier
	s_and_saveexec_b64 s[2:3], s[78:79]
	s_cbranch_execz .LBB114_88
; %bb.52:                               ;   in Loop: Header=BB114_20 Depth=1
	v_add_u32_e32 v2, s18, v36
	s_andn2_b64 vcc, exec, s[82:83]
	v_mov_b32_e32 v4, 0
	s_cbranch_vccnz .LBB114_87
; %bb.53:                               ;   in Loop: Header=BB114_20 Depth=1
	v_readlane_b32 s14, v62, 23
	v_readlane_b32 s15, v62, 24
	s_andn2_b64 vcc, exec, s[14:15]
	s_cbranch_vccnz .LBB114_77
; %bb.54:                               ;   in Loop: Header=BB114_20 Depth=1
	v_readlane_b32 s14, v62, 25
	v_readlane_b32 s15, v62, 26
	s_andn2_b64 vcc, exec, s[14:15]
	v_lshl_add_u32 v8, v2, 2, v48
	s_cbranch_vccnz .LBB114_81
; %bb.55:                               ;   in Loop: Header=BB114_20 Depth=1
	s_mov_b32 s15, 1
	s_mov_b32 s14, 0
	v_mov_b32_e32 v4, 0
	v_mov_b32_e32 v5, 0
	v_readlane_b32 s19, v62, 27
.LBB114_56:                             ;   Parent Loop BB114_20 Depth=1
                                        ; =>  This Inner Loop Header: Depth=2
	v_lshl_add_u32 v9, s14, 4, v8
	v_lshl_add_u32 v20, s15, 4, v8
	ds_read2_b32 v[10:11], v9 offset1:8
	ds_read2_b32 v[12:13], v20 offset1:8
	ds_read2_b32 v[14:15], v9 offset0:16 offset1:24
	ds_read2_b32 v[32:33], v20 offset0:16 offset1:24
	;; [unrolled: 1-line block ×6, first 2 shown]
	s_waitcnt lgkmcnt(7)
	v_add3_u32 v4, v10, v4, v11
	s_waitcnt lgkmcnt(6)
	v_add3_u32 v5, v12, v5, v13
	;; [unrolled: 2-line block ×3, first 2 shown]
	v_add3_u32 v4, v14, v4, v15
	s_add_i32 s15, s15, 16
	s_add_i32 s14, s14, 16
	s_add_i32 s19, s19, -8
	s_waitcnt lgkmcnt(3)
	v_add3_u32 v4, v34, v4, v35
	s_waitcnt lgkmcnt(2)
	v_add3_u32 v5, v54, v5, v55
	s_cmp_lg_u32 s19, 0
	s_waitcnt lgkmcnt(0)
	v_add3_u32 v5, v58, v5, v59
	v_add3_u32 v4, v56, v4, v57
	s_cbranch_scc1 .LBB114_56
	s_branch .LBB114_82
.LBB114_57:                             ;   in Loop: Header=BB114_20 Depth=1
	v_mov_b32_e32 v20, v21
	v_mov_b64_e32 v[10:11], v[20:21]
	v_mov_b64_e32 v[8:9], v[20:21]
	s_and_saveexec_b64 s[44:45], s[8:9]
	s_cbranch_execz .LBB114_61
; %bb.58:                               ;   in Loop: Header=BB114_20 Depth=1
	s_mov_b32 s52, 0
	s_mov_b64 s[46:47], 0
	v_mov_b32_e32 v2, v25
	s_mov_b32 s50, 0
	s_mov_b32 s51, s52
	s_mov_b32 s48, 0
	s_mov_b32 s49, s52
.LBB114_59:                             ;   Parent Loop BB114_20 Depth=1
                                        ; =>  This Inner Loop Header: Depth=2
	v_add_u32_e32 v20, s52, v44
	v_lshl_add_u64 v[12:13], v[20:21], 3, v[16:17]
	v_add_u32_e32 v20, s52, v41
	global_load_dwordx2 v[12:13], v[12:13], off
	v_lshl_add_u64 v[14:15], v[20:21], 3, v[16:17]
	v_add_u32_e32 v20, s52, v42
	global_load_dwordx2 v[14:15], v[14:15], off
	v_lshl_add_u64 v[32:33], v[20:21], 3, v[16:17]
	global_load_dwordx2 v[32:33], v[32:33], off
	v_add_u32_e32 v20, s52, v43
	v_lshl_add_u64 v[34:35], v[20:21], 3, v[16:17]
	global_load_dwordx2 v[34:35], v[34:35], off
	v_mov_b32_e32 v11, v21
	v_mov_b32_e32 v9, v21
	;; [unrolled: 1-line block ×3, first 2 shown]
	v_add_u32_e32 v2, s90, v2
	v_cmp_le_u32_e32 vcc, s84, v2
	s_add_i32 s52, s52, s68
	s_waitcnt vmcnt(3)
	v_ashrrev_i32_e32 v4, 31, v13
	v_xor_b32_e32 v8, v4, v12
	v_or_b32_e32 v4, 0x80000000, v4
	s_waitcnt vmcnt(2)
	v_ashrrev_i32_e32 v10, 31, v15
	v_cmp_o_f64_e64 s[2:3], v[12:13], v[12:13]
	v_xor_b32_e32 v20, v10, v14
	v_cmp_o_f64_e64 s[14:15], v[14:15], v[14:15]
	v_xor_b32_e32 v4, v4, v13
	v_or_b32_e32 v10, 0x80000000, v10
	s_waitcnt vmcnt(1)
	v_ashrrev_i32_e32 v14, 31, v33
	v_cndmask_b32_e64 v12, -1, v8, s[2:3]
	v_cndmask_b32_e64 v13, -1, v4, s[2:3]
	v_xor_b32_e32 v4, v10, v15
	v_or_b32_e32 v10, 0x80000000, v14
	v_xor_b32_e32 v8, v14, v32
	v_cmp_o_f64_e64 s[18:19], v[32:33], v[32:33]
	v_and_b32_e32 v32, v12, v30
	v_cndmask_b32_e64 v15, -1, v4, s[14:15]
	v_xor_b32_e32 v4, v10, v33
	v_and_b32_e32 v33, v13, v31
	v_lshrrev_b64 v[12:13], s87, v[12:13]
	s_waitcnt vmcnt(0)
	v_ashrrev_i32_e32 v50, 31, v35
	v_cndmask_b32_e64 v14, -1, v20, s[14:15]
	v_and_b32_e32 v20, 3, v12
	v_or_b32_e32 v10, 0x80000000, v50
	v_cndmask_b32_e64 v54, -1, v8, s[18:19]
	v_cndmask_b32_e64 v55, -1, v4, s[18:19]
	v_cmp_eq_u64_e64 s[14:15], v[32:33], v[28:29]
	v_lshrrev_b64 v[12:13], s87, v[14:15]
	v_cmp_eq_u64_e64 s[18:19], 0, v[20:21]
	v_xor_b32_e32 v56, v50, v34
	v_cmp_o_f64_e64 s[2:3], v[34:35], v[34:35]
	v_xor_b32_e32 v4, v10, v35
	v_and_b32_e32 v10, 3, v12
	v_cmp_eq_u64_e64 s[20:21], 1, v[20:21]
	s_and_b64 s[18:19], s[14:15], s[18:19]
	v_and_b32_e32 v34, v14, v30
	v_and_b32_e32 v35, v15, v31
	v_cndmask_b32_e64 v14, -1, v56, s[2:3]
	v_cndmask_b32_e64 v15, -1, v4, s[2:3]
	v_lshrrev_b64 v[12:13], s87, v[54:55]
	v_cmp_eq_u64_e64 s[22:23], 2, v[20:21]
	v_cmp_eq_u64_e64 s[28:29], 0, v[10:11]
	;; [unrolled: 1-line block ×5, first 2 shown]
	v_cndmask_b32_e64 v10, 0, 1, s[18:19]
	s_and_b64 s[18:19], s[14:15], s[20:21]
	v_and_b32_e32 v32, v54, v30
	v_cmp_eq_u64_e64 s[2:3], v[34:35], v[28:29]
	v_and_b32_e32 v33, v55, v31
	v_cmp_eq_u64_e64 s[24:25], 3, v[20:21]
	v_and_b32_e32 v8, 3, v12
	v_lshrrev_b64 v[12:13], s87, v[14:15]
	v_cndmask_b32_e64 v11, 0, 1, s[18:19]
	s_and_b64 s[18:19], s[14:15], s[22:23]
	v_cmp_eq_u64_e64 s[26:27], v[32:33], v[28:29]
	v_cndmask_b32_e64 v13, 0, 1, s[18:19]
	s_and_b64 s[14:15], s[14:15], s[24:25]
	v_cmp_eq_u64_e64 s[18:19], 0, v[8:9]
	v_cmp_eq_u64_e64 s[20:21], 1, v[8:9]
	s_and_b64 s[30:31], s[2:3], s[30:31]
	s_and_b64 s[34:35], s[2:3], s[34:35]
	v_and_b32_e32 v34, v14, v30
	v_and_b32_e32 v35, v15, v31
	v_cndmask_b32_e64 v14, 0, 1, s[14:15]
	v_and_b32_e32 v4, 3, v12
	v_cmp_eq_u64_e64 s[22:23], 2, v[8:9]
	v_cmp_eq_u64_e64 s[24:25], 3, v[8:9]
	v_cmp_ne_u32_e64 s[38:39], 0, v10
	s_and_b64 s[28:29], s[2:3], s[28:29]
	v_cndmask_b32_e64 v9, 0, 1, s[30:31]
	v_cndmask_b32_e64 v10, 0, 1, s[34:35]
	s_and_b64 s[2:3], s[2:3], s[36:37]
	s_and_b64 s[18:19], s[26:27], s[18:19]
	;; [unrolled: 1-line block ×3, first 2 shown]
	v_cmp_eq_u64_e64 s[14:15], v[34:35], v[28:29]
	v_cndmask_b32_e64 v8, 0, 1, s[28:29]
	v_cmp_ne_u32_e64 s[28:29], 0, v11
	v_cmp_ne_u32_e64 s[30:31], 0, v13
	v_cmp_ne_u32_e64 s[34:35], 0, v14
	v_cndmask_b32_e64 v11, 0, 1, s[2:3]
	v_cmp_eq_u64_e64 s[2:3], 0, v[4:5]
	v_cmp_eq_u64_e64 s[36:37], 1, v[4:5]
	;; [unrolled: 1-line block ×4, first 2 shown]
	s_bcnt1_i32_b64 s33, s[38:39]
	v_cndmask_b32_e64 v4, 0, 1, s[18:19]
	v_cmp_ne_u32_e64 s[18:19], 0, v9
	v_cndmask_b32_e64 v5, 0, 1, s[20:21]
	v_cmp_ne_u32_e64 s[20:21], 0, v10
	s_and_b64 s[22:23], s[26:27], s[22:23]
	s_and_b64 s[24:25], s[26:27], s[24:25]
	v_cmp_ne_u32_e64 s[38:39], 0, v8
	s_bcnt1_i32_b64 s28, s[28:29]
	s_bcnt1_i32_b64 s29, s[30:31]
	v_cndmask_b32_e64 v8, 0, 1, s[22:23]
	s_bcnt1_i32_b64 s30, s[34:35]
	v_cmp_ne_u32_e64 s[22:23], 0, v11
	v_cndmask_b32_e64 v9, 0, 1, s[24:25]
	s_and_b64 s[2:3], s[14:15], s[2:3]
	s_bcnt1_i32_b64 s27, s[18:19]
	s_and_b64 s[18:19], s[14:15], s[36:37]
	s_add_i32 s31, s50, s33
	s_bcnt1_i32_b64 s33, s[20:21]
	s_and_b64 s[20:21], s[14:15], s[40:41]
	s_and_b64 s[14:15], s[14:15], s[42:43]
	s_bcnt1_i32_b64 s26, s[38:39]
	v_cmp_ne_u32_e64 s[24:25], 0, v4
	v_cndmask_b32_e64 v4, 0, 1, s[2:3]
	v_cmp_ne_u32_e64 s[2:3], 0, v5
	v_cndmask_b32_e64 v5, 0, 1, s[18:19]
	s_add_i32 s28, s51, s28
	v_cmp_ne_u32_e64 s[18:19], 0, v8
	v_cndmask_b32_e64 v8, 0, 1, s[20:21]
	s_bcnt1_i32_b64 s22, s[22:23]
	v_cmp_ne_u32_e64 s[20:21], 0, v9
	v_cndmask_b32_e64 v9, 0, 1, s[14:15]
	s_add_i32 s23, s48, s29
	s_add_i32 s29, s49, s30
	s_bcnt1_i32_b64 s24, s[24:25]
	v_cmp_ne_u32_e64 s[14:15], 0, v4
	s_bcnt1_i32_b64 s25, s[2:3]
	v_cmp_ne_u32_e64 s[2:3], 0, v5
	s_add_i32 s27, s28, s27
	s_add_i32 s26, s31, s26
	s_bcnt1_i32_b64 s28, s[18:19]
	v_cmp_ne_u32_e64 s[18:19], 0, v8
	s_bcnt1_i32_b64 s30, s[20:21]
	v_cmp_ne_u32_e64 s[20:21], 0, v9
	s_add_i32 s22, s29, s22
	s_add_i32 s23, s23, s33
	s_bcnt1_i32_b64 s14, s[14:15]
	s_bcnt1_i32_b64 s2, s[2:3]
	s_add_i32 s3, s26, s24
	s_add_i32 s15, s27, s25
	s_bcnt1_i32_b64 s18, s[18:19]
	s_bcnt1_i32_b64 s19, s[20:21]
	s_add_i32 s20, s23, s28
	s_add_i32 s21, s22, s30
	;; [unrolled: 1-line block ×6, first 2 shown]
	s_or_b64 s[46:47], vcc, s[46:47]
	v_mov_b64_e32 v[8:9], s[50:51]
	v_mov_b64_e32 v[10:11], s[48:49]
	s_andn2_b64 exec, exec, s[46:47]
	s_cbranch_execnz .LBB114_59
; %bb.60:                               ;   in Loop: Header=BB114_20 Depth=1
	s_or_b64 exec, exec, s[46:47]
.LBB114_61:                             ;   in Loop: Header=BB114_20 Depth=1
	s_or_b64 exec, exec, s[44:45]
	s_and_saveexec_b64 s[14:15], s[10:11]
	s_cbranch_execz .LBB114_67
; %bb.62:                               ;   in Loop: Header=BB114_20 Depth=1
	global_load_dwordx2 v[14:15], v[26:27], off
	s_mov_b64 s[18:19], 0
	v_mov_b32_e32 v4, v45
	v_mov_b32_e32 v2, v40
	s_branch .LBB114_64
.LBB114_63:                             ;   in Loop: Header=BB114_64 Depth=2
	s_or_b64 exec, exec, s[20:21]
	s_waitcnt vmcnt(0)
	v_ashrrev_i32_e32 v5, 31, v15
	v_or_b32_e32 v20, 0x80000000, v5
	s_and_b64 s[2:3], exec, vcc
	v_xor_b32_e32 v20, v20, v15
	v_xor_b32_e32 v5, v5, v14
	v_cmp_o_f64_e32 vcc, v[14:15], v[14:15]
	s_or_b64 s[18:19], s[2:3], s[18:19]
	v_add_u32_e32 v4, s57, v4
	v_cndmask_b32_e32 v15, -1, v20, vcc
	v_cndmask_b32_e32 v14, -1, v5, vcc
	v_and_b32_e32 v33, v15, v31
	v_and_b32_e32 v32, v14, v30
	v_lshrrev_b64 v[14:15], s87, v[14:15]
	v_and_b32_e32 v20, 3, v14
	v_cmp_eq_u64_e32 vcc, v[32:33], v[28:29]
	v_cmp_eq_u64_e64 s[2:3], 0, v[20:21]
	s_and_b64 s[2:3], vcc, s[2:3]
	v_mov_b64_e32 v[14:15], v[12:13]
	v_cndmask_b32_e64 v5, 0, 1, s[2:3]
	v_cmp_ne_u32_e64 s[2:3], 0, v5
	s_bcnt1_i32_b64 s20, s[2:3]
	v_cmp_eq_u64_e64 s[2:3], 1, v[20:21]
	s_and_b64 s[2:3], vcc, s[2:3]
	v_add_u32_e32 v8, s20, v8
	v_cndmask_b32_e64 v5, 0, 1, s[2:3]
	v_cmp_ne_u32_e64 s[2:3], 0, v5
	s_bcnt1_i32_b64 s2, s[2:3]
	s_nop 0
	v_add_u32_e32 v9, s2, v9
	v_cmp_eq_u64_e64 s[2:3], 2, v[20:21]
	s_and_b64 s[2:3], vcc, s[2:3]
	s_nop 0
	v_cndmask_b32_e64 v5, 0, 1, s[2:3]
	v_cmp_ne_u32_e64 s[2:3], 0, v5
	s_bcnt1_i32_b64 s20, s[2:3]
	v_cmp_eq_u64_e64 s[2:3], 3, v[20:21]
	s_and_b64 s[2:3], vcc, s[2:3]
	v_add_u32_e32 v10, s20, v10
	v_cndmask_b32_e64 v5, 0, 1, s[2:3]
	v_cmp_ne_u32_e32 vcc, 0, v5
	s_bcnt1_i32_b64 s2, vcc
	v_add_u32_e32 v11, s2, v11
	s_andn2_b64 exec, exec, s[18:19]
	s_cbranch_execz .LBB114_66
.LBB114_64:                             ;   Parent Loop BB114_20 Depth=1
                                        ; =>  This Inner Loop Header: Depth=2
	v_add_u32_e32 v2, s59, v2
	v_cmp_gt_u32_e64 s[2:3], s56, v2
	v_cmp_le_u32_e32 vcc, s56, v2
	v_mov_b64_e32 v[12:13], 0
	s_and_saveexec_b64 s[20:21], s[2:3]
	s_cbranch_execz .LBB114_63
; %bb.65:                               ;   in Loop: Header=BB114_64 Depth=2
	v_mov_b32_e32 v5, v21
	v_lshl_add_u64 v[12:13], v[4:5], 3, v[16:17]
	global_load_dwordx2 v[12:13], v[12:13], off
	s_branch .LBB114_63
.LBB114_66:                             ;   in Loop: Header=BB114_20 Depth=1
	s_or_b64 exec, exec, s[18:19]
.LBB114_67:                             ;   in Loop: Header=BB114_20 Depth=1
	s_or_b64 exec, exec, s[14:15]
	s_branch .LBB114_49
.LBB114_68:                             ;   in Loop: Header=BB114_20 Depth=1
	s_mul_hi_u32 s2, s75, s93
	s_mul_i32 s2, s2, s90
	s_sub_i32 s2, s75, s2
	s_sub_i32 s3, s2, s90
	s_cmp_ge_u32 s2, s90
	s_cselect_b32 s2, s3, s2
	s_sub_i32 s3, s2, s90
	s_cmp_ge_u32 s2, s90
	s_cselect_b32 s2, s3, s2
	s_sub_i32 s33, s75, s2
	v_mov_b32_e32 v20, v21
	v_cmp_gt_u32_e32 vcc, s33, v25
	v_mov_b64_e32 v[10:11], v[20:21]
	v_mov_b64_e32 v[8:9], v[20:21]
	s_and_saveexec_b64 s[64:65], vcc
	s_cbranch_execz .LBB114_72
; %bb.69:                               ;   in Loop: Header=BB114_20 Depth=1
	s_mov_b32 s88, 0
	s_mov_b64 s[66:67], 0
	v_mov_b32_e32 v2, v46
	v_mov_b32_e32 v50, v25
	s_mov_b32 s89, s88
	s_mov_b32 s76, s88
	;; [unrolled: 1-line block ×3, first 2 shown]
.LBB114_70:                             ;   Parent Loop BB114_20 Depth=1
                                        ; =>  This Inner Loop Header: Depth=2
	ds_read_b128 v[12:15], v2
	ds_read_b128 v[8:11], v2 offset:16
	v_mov_b32_e32 v5, v21
	v_mov_b32_e32 v33, v21
	;; [unrolled: 1-line block ×3, first 2 shown]
	s_waitcnt lgkmcnt(1)
	v_ashrrev_i32_e32 v4, 31, v13
	v_ashrrev_i32_e32 v20, 31, v15
	s_waitcnt lgkmcnt(0)
	v_ashrrev_i32_e32 v32, 31, v9
	v_ashrrev_i32_e32 v34, 31, v11
	v_xor_b32_e32 v54, v20, v14
	v_cmp_o_f64_e64 s[2:3], v[14:15], v[14:15]
	v_xor_b32_e32 v14, v32, v8
	v_cmp_o_f64_e64 s[14:15], v[8:9], v[8:9]
	v_xor_b32_e32 v8, v4, v12
	v_or_b32_e32 v4, 0x80000000, v4
	v_xor_b32_e32 v55, v34, v10
	v_cmp_o_f64_e64 s[18:19], v[10:11], v[10:11]
	v_cmp_o_f64_e64 s[20:21], v[12:13], v[12:13]
	v_or_b32_e32 v10, 0x80000000, v20
	v_or_b32_e32 v12, 0x80000000, v32
	v_xor_b32_e32 v4, v4, v13
	v_or_b32_e32 v20, 0x80000000, v34
	v_xor_b32_e32 v13, v10, v15
	v_xor_b32_e32 v15, v12, v9
	v_cndmask_b32_e64 v8, -1, v8, s[20:21]
	v_cndmask_b32_e64 v9, -1, v4, s[20:21]
	v_xor_b32_e32 v20, v20, v11
	v_cndmask_b32_e64 v10, -1, v54, s[2:3]
	v_cndmask_b32_e64 v12, -1, v14, s[14:15]
	;; [unrolled: 1-line block ×4, first 2 shown]
	v_and_b32_e32 v54, v8, v30
	v_and_b32_e32 v55, v9, v31
	v_lshrrev_b64 v[8:9], s87, v[8:9]
	v_cndmask_b32_e64 v13, -1, v15, s[14:15]
	v_cndmask_b32_e64 v15, -1, v20, s[18:19]
	v_and_b32_e32 v56, v10, v30
	v_and_b32_e32 v57, v11, v31
	v_lshrrev_b64 v[10:11], s87, v[10:11]
	v_and_b32_e32 v20, 3, v8
	v_and_b32_e32 v58, v12, v30
	v_and_b32_e32 v59, v13, v31
	v_lshrrev_b64 v[12:13], s87, v[12:13]
	v_cmp_eq_u64_e64 s[2:3], v[54:55], v[28:29]
	v_and_b32_e32 v4, 3, v10
	v_cmp_eq_u64_e64 s[22:23], 0, v[20:21]
	v_and_b32_e32 v60, v14, v30
	v_and_b32_e32 v61, v15, v31
	v_lshrrev_b64 v[14:15], s87, v[14:15]
	v_cmp_eq_u64_e64 s[14:15], v[56:57], v[28:29]
	v_and_b32_e32 v32, 3, v12
	v_cmp_eq_u64_e64 s[24:25], 0, v[4:5]
	s_and_b64 s[22:23], s[2:3], s[22:23]
	v_cmp_eq_u64_e64 s[18:19], v[58:59], v[28:29]
	v_and_b32_e32 v34, 3, v14
	v_cmp_eq_u64_e64 s[26:27], 0, v[32:33]
	v_cmp_eq_u64_e64 s[34:35], 1, v[4:5]
	;; [unrolled: 1-line block ×4, first 2 shown]
	v_cndmask_b32_e64 v4, 0, 1, s[22:23]
	s_and_b64 s[22:23], s[14:15], s[24:25]
	v_cmp_eq_u64_e64 s[20:21], v[60:61], v[28:29]
	v_cmp_eq_u64_e64 s[28:29], 0, v[34:35]
	v_cndmask_b32_e64 v5, 0, 1, s[22:23]
	s_and_b64 s[22:23], s[18:19], s[26:27]
	v_cmp_eq_u64_e64 s[30:31], 1, v[20:21]
	v_cndmask_b32_e64 v8, 0, 1, s[22:23]
	s_and_b64 s[22:23], s[20:21], s[28:29]
	v_cndmask_b32_e64 v9, 0, 1, s[22:23]
	s_and_b64 s[22:23], s[2:3], s[30:31]
	v_cmp_eq_u64_e64 s[36:37], 1, v[32:33]
	v_cndmask_b32_e64 v10, 0, 1, s[22:23]
	s_and_b64 s[22:23], s[14:15], s[34:35]
	v_cmp_eq_u64_e64 s[38:39], 1, v[34:35]
	;; [unrolled: 3-line block ×3, first 2 shown]
	v_cmp_eq_u64_e64 s[48:49], 3, v[20:21]
	v_cndmask_b32_e64 v12, 0, 1, s[22:23]
	s_and_b64 s[22:23], s[20:21], s[38:39]
	v_cndmask_b32_e64 v13, 0, 1, s[22:23]
	s_and_b64 s[22:23], s[2:3], s[40:41]
	s_and_b64 s[2:3], s[2:3], s[48:49]
	v_cmp_eq_u64_e64 s[44:45], 2, v[32:33]
	v_cmp_eq_u64_e64 s[52:53], 3, v[32:33]
	v_cndmask_b32_e64 v14, 0, 1, s[22:23]
	s_and_b64 s[22:23], s[14:15], s[42:43]
	v_cndmask_b32_e64 v33, 0, 1, s[2:3]
	s_and_b64 s[2:3], s[14:15], s[50:51]
	v_cmp_eq_u64_e64 s[46:47], 2, v[34:35]
	v_cmp_eq_u64_e64 s[54:55], 3, v[34:35]
	v_cndmask_b32_e64 v15, 0, 1, s[22:23]
	s_and_b64 s[22:23], s[18:19], s[44:45]
	v_cndmask_b32_e64 v34, 0, 1, s[2:3]
	s_and_b64 s[2:3], s[18:19], s[52:53]
	;; [unrolled: 2-line block ×4, first 2 shown]
	v_cndmask_b32_e64 v32, 0, 1, s[22:23]
	v_cndmask_b32_e64 v54, 0, 1, s[2:3]
	v_cmp_ne_u32_e64 s[2:3], 0, v4
	v_cmp_ne_u32_e64 s[14:15], 0, v5
	;; [unrolled: 1-line block ×11, first 2 shown]
	s_bcnt1_i32_b64 s2, s[2:3]
	s_bcnt1_i32_b64 s3, s[14:15]
	;; [unrolled: 1-line block ×8, first 2 shown]
	v_cmp_ne_u32_e64 s[28:29], 0, v13
	v_cmp_ne_u32_e64 s[36:37], 0, v20
	;; [unrolled: 1-line block ×3, first 2 shown]
	s_bcnt1_i32_b64 s19, s[24:25]
	s_bcnt1_i32_b64 s23, s[34:35]
	;; [unrolled: 1-line block ×3, first 2 shown]
	s_add_i32 s2, s88, s2
	s_add_i32 s18, s89, s18
	;; [unrolled: 1-line block ×4, first 2 shown]
	v_cmp_ne_u32_e64 s[38:39], 0, v32
	v_cmp_ne_u32_e64 s[46:47], 0, v54
	s_bcnt1_i32_b64 s21, s[28:29]
	s_bcnt1_i32_b64 s24, s[36:37]
	s_bcnt1_i32_b64 s28, s[44:45]
	s_add_i32 s18, s18, s19
	s_add_i32 s2, s2, s3
	;; [unrolled: 1-line block ×4, first 2 shown]
	v_add_u32_e32 v50, s90, v50
	s_bcnt1_i32_b64 s25, s[38:39]
	s_bcnt1_i32_b64 s29, s[46:47]
	s_add_i32 s2, s2, s14
	s_add_i32 s14, s18, s20
	;; [unrolled: 1-line block ×4, first 2 shown]
	v_cmp_le_u32_e32 vcc, s33, v50
	s_add_i32 s89, s14, s21
	s_add_i32 s88, s2, s15
	;; [unrolled: 1-line block ×4, first 2 shown]
	v_add_u32_e32 v2, s69, v2
	s_or_b64 s[66:67], vcc, s[66:67]
	v_mov_b64_e32 v[8:9], s[88:89]
	v_mov_b64_e32 v[10:11], s[76:77]
	s_andn2_b64 exec, exec, s[66:67]
	s_cbranch_execnz .LBB114_70
; %bb.71:                               ;   in Loop: Header=BB114_20 Depth=1
	s_or_b64 exec, exec, s[66:67]
.LBB114_72:                             ;   in Loop: Header=BB114_20 Depth=1
	s_or_b64 exec, exec, s[64:65]
	v_add_u32_e32 v2, s33, v0
	v_cmp_gt_u32_e32 vcc, s75, v2
	s_and_saveexec_b64 s[24:25], vcc
	s_cbranch_execz .LBB114_76
; %bb.73:                               ;   in Loop: Header=BB114_20 Depth=1
	v_lshlrev_b32_e32 v4, 3, v2
	s_mov_b64 s[26:27], 0
.LBB114_74:                             ;   Parent Loop BB114_20 Depth=1
                                        ; =>  This Inner Loop Header: Depth=2
	ds_read_b64 v[12:13], v4
	v_add_u32_e32 v2, s59, v2
	v_cmp_le_u32_e32 vcc, s75, v2
	v_add_u32_e32 v4, s86, v4
	s_waitcnt lgkmcnt(0)
	v_ashrrev_i32_e32 v5, 31, v13
	v_xor_b32_e32 v14, v5, v12
	v_or_b32_e32 v5, 0x80000000, v5
	v_cmp_o_f64_e64 s[2:3], v[12:13], v[12:13]
	v_xor_b32_e32 v5, v5, v13
	s_nop 0
	v_cndmask_b32_e64 v12, -1, v14, s[2:3]
	v_cndmask_b32_e64 v13, -1, v5, s[2:3]
	v_and_b32_e32 v14, v12, v30
	v_and_b32_e32 v15, v13, v31
	v_lshrrev_b64 v[12:13], s87, v[12:13]
	v_and_b32_e32 v20, 3, v12
	v_cmp_eq_u64_e64 s[2:3], v[14:15], v[28:29]
	v_cmp_eq_u64_e64 s[14:15], 0, v[20:21]
	;; [unrolled: 1-line block ×3, first 2 shown]
	s_and_b64 s[14:15], s[2:3], s[14:15]
	v_cmp_eq_u64_e64 s[20:21], 2, v[20:21]
	v_cmp_eq_u64_e64 s[22:23], 3, v[20:21]
	v_cndmask_b32_e64 v5, 0, 1, s[14:15]
	s_and_b64 s[14:15], s[2:3], s[18:19]
	v_cndmask_b32_e64 v12, 0, 1, s[14:15]
	s_and_b64 s[14:15], s[2:3], s[20:21]
	s_and_b64 s[2:3], s[2:3], s[22:23]
	v_cndmask_b32_e64 v13, 0, 1, s[14:15]
	v_cndmask_b32_e64 v14, 0, 1, s[2:3]
	v_cmp_ne_u32_e64 s[2:3], 0, v5
	v_cmp_ne_u32_e64 s[14:15], 0, v12
	;; [unrolled: 1-line block ×4, first 2 shown]
	s_bcnt1_i32_b64 s2, s[2:3]
	s_bcnt1_i32_b64 s3, s[14:15]
	;; [unrolled: 1-line block ×4, first 2 shown]
	v_add_u32_e32 v9, s3, v9
	v_add_u32_e32 v8, s2, v8
	;; [unrolled: 1-line block ×3, first 2 shown]
	s_or_b64 s[26:27], vcc, s[26:27]
	v_add_u32_e32 v10, s14, v10
	s_andn2_b64 exec, exec, s[26:27]
	s_cbranch_execnz .LBB114_74
; %bb.75:                               ;   in Loop: Header=BB114_20 Depth=1
	s_or_b64 exec, exec, s[26:27]
.LBB114_76:                             ;   in Loop: Header=BB114_20 Depth=1
	s_or_b64 exec, exec, s[24:25]
	s_lshl_b32 s18, s74, 6
	s_and_saveexec_b64 s[2:3], s[4:5]
	s_cbranch_execnz .LBB114_50
	s_branch .LBB114_51
.LBB114_77:                             ;   in Loop: Header=BB114_20 Depth=1
	v_mov_b32_e32 v4, 0
	s_mov_b32 s19, 0
	s_cbranch_execnz .LBB114_85
	s_branch .LBB114_87
.LBB114_78:                             ;   in Loop: Header=BB114_20 Depth=1
	s_or_b64 exec, exec, s[20:21]
	s_waitcnt lgkmcnt(0)
	s_barrier
	s_and_saveexec_b64 s[2:3], s[16:17]
	s_cbranch_execz .LBB114_80
; %bb.79:                               ;   in Loop: Header=BB114_20 Depth=1
	ds_read_b32 v2, v21 offset:4112
	s_waitcnt lgkmcnt(0)
	ds_write_b32 v21, v2 offset:4104
.LBB114_80:                             ;   in Loop: Header=BB114_20 Depth=1
	s_or_b64 exec, exec, s[2:3]
	s_waitcnt lgkmcnt(0)
	s_barrier
	s_mov_b64 s[2:3], -1
	s_and_b64 vcc, exec, s[18:19]
	s_cbranch_vccnz .LBB114_36
	s_branch .LBB114_45
.LBB114_81:                             ;   in Loop: Header=BB114_20 Depth=1
	v_mov_b32_e32 v20, v21
	s_mov_b32 s14, 0
	v_mov_b64_e32 v[4:5], v[20:21]
	s_mov_b32 s15, 1
.LBB114_82:                             ;   in Loop: Header=BB114_20 Depth=1
	v_readlane_b32 s20, v62, 29
	v_readlane_b32 s21, v62, 30
	s_andn2_b64 vcc, exec, s[20:21]
	v_readlane_b32 s19, v62, 28
	s_cbranch_vccnz .LBB114_84
.LBB114_83:                             ;   Parent Loop BB114_20 Depth=1
                                        ; =>  This Inner Loop Header: Depth=2
	v_lshl_add_u32 v9, s14, 4, v8
	v_lshl_add_u32 v10, s15, 4, v8
	ds_read_b32 v10, v10
	ds_read_b32 v9, v9
	s_add_i32 s15, s15, 2
	s_add_i32 s14, s14, 2
	s_add_i32 s19, s19, -1
	s_cmp_lg_u32 s19, 0
	s_waitcnt lgkmcnt(1)
	v_add_u32_e32 v5, v10, v5
	s_waitcnt lgkmcnt(0)
	v_add_u32_e32 v4, v9, v4
	s_cbranch_scc1 .LBB114_83
.LBB114_84:                             ;   in Loop: Header=BB114_20 Depth=1
	v_readlane_b32 s14, v62, 33
	v_add_u32_e32 v4, v4, v5
	v_readlane_b32 s19, v62, 32
	v_readlane_b32 s15, v62, 34
	s_and_b64 vcc, exec, s[14:15]
	s_cbranch_vccz .LBB114_87
.LBB114_85:                             ;   in Loop: Header=BB114_20 Depth=1
	s_lshl_b32 s14, s74, 8
	s_lshl_b32 s15, s19, 4
	s_add_i32 s14, s14, s15
	v_add_u32_e32 v5, s14, v47
	v_readlane_b32 s14, v62, 31
	s_sub_i32 s14, s14, s19
.LBB114_86:                             ;   Parent Loop BB114_20 Depth=1
                                        ; =>  This Inner Loop Header: Depth=2
	ds_read_b32 v8, v5
	s_add_i32 s14, s14, -1
	v_add_u32_e32 v5, 16, v5
	s_cmp_eq_u32 s14, 0
	s_waitcnt lgkmcnt(0)
	v_add_u32_e32 v4, v8, v4
	s_cbranch_scc0 .LBB114_86
.LBB114_87:                             ;   in Loop: Header=BB114_20 Depth=1
	v_lshlrev_b32_e32 v2, 2, v2
	ds_write_b32 v2, v4 offset:3072
.LBB114_88:                             ;   in Loop: Header=BB114_20 Depth=1
	s_or_b64 exec, exec, s[2:3]
	s_lshl_b32 s2, s18, 2
	v_mov_b32_e32 v2, s2
	s_waitcnt lgkmcnt(0)
	s_barrier
	ds_read_b128 v[8:11], v2 offset:3072
	s_lshl_b64 s[2:3], 3, s87
	s_not_b64 s[26:27], s[2:3]
	v_cmp_eq_u32_e32 vcc, 1, v49
	s_mov_b64 s[18:19], -1
	s_waitcnt lgkmcnt(0)
	v_readfirstlane_b32 s42, v8
	s_cmp_eq_u32 s42, 1
	s_cselect_b64 s[14:15], -1, 0
	v_readfirstlane_b32 s46, v9
	v_readfirstlane_b32 s54, v10
	;; [unrolled: 1-line block ×3, first 2 shown]
	s_and_b64 s[20:21], s[14:15], vcc
	s_mov_b64 s[28:29], -1
                                        ; implicit-def: $sgpr24_sgpr25
                                        ; implicit-def: $sgpr22_sgpr23
	s_and_saveexec_b64 s[14:15], s[20:21]
	s_cbranch_execz .LBB114_116
; %bb.89:                               ;   in Loop: Header=BB114_20 Depth=1
	ds_read_b32 v2, v21 offset:4104
	s_waitcnt lgkmcnt(0)
	s_barrier
	v_readfirstlane_b32 s33, v2
	s_and_saveexec_b64 s[22:23], s[6:7]
; %bb.90:                               ;   in Loop: Header=BB114_20 Depth=1
	ds_write_b64 v38, v[52:53]
; %bb.91:                               ;   in Loop: Header=BB114_20 Depth=1
	s_or_b64 exec, exec, s[22:23]
	v_and_b32_e32 v29, s27, v29
	v_and_b32_e32 v28, s26, v28
	v_or_b32_e32 v31, s3, v31
	v_or_b32_e32 v30, s2, v30
	s_mov_b64 s[22:23], -1
	s_mov_b64 s[24:25], 0
	s_cmp_eq_u32 s33, 0
	s_mov_b64 s[28:29], 0
	s_mov_b64 s[30:31], -1
	s_waitcnt lgkmcnt(0)
	s_barrier
                                        ; implicit-def: $vgpr6_vgpr7
	s_cbranch_scc1 .LBB114_103
; %bb.92:                               ;   in Loop: Header=BB114_20 Depth=1
	s_add_i32 s28, s33, s91
	s_mul_hi_u32 s29, s28, s85
	s_mul_i32 s29, s29, s59
	s_sub_i32 s29, s28, s29
	s_sub_i32 s30, s29, s59
	s_cmp_ge_u32 s29, s59
	s_cselect_b32 s29, s30, s29
	s_sub_i32 s30, s29, s59
	s_cmp_ge_u32 s29, s59
	s_cselect_b32 s29, s30, s29
	s_sub_i32 s43, s28, s29
	v_cmp_gt_u32_e32 vcc, s43, v0
	s_mov_b64 s[30:31], 0
	s_mov_b64 s[28:29], 0
                                        ; implicit-def: $vgpr6_vgpr7
	s_and_saveexec_b64 s[34:35], vcc
	s_cbranch_execz .LBB114_102
; %bb.93:                               ;   in Loop: Header=BB114_20 Depth=1
	v_mov_b32_e32 v8, v37
	v_mov_b32_e32 v9, v0
                                        ; implicit-def: $sgpr36_sgpr37
	s_branch .LBB114_97
.LBB114_94:                             ;   in Loop: Header=BB114_97 Depth=2
	s_or_b64 exec, exec, s[38:39]
	s_waitcnt lgkmcnt(0)
	s_barrier
	ds_read_b128 v[4:7], v21 offset:3072
	s_waitcnt lgkmcnt(0)
	s_barrier
	v_cmp_neq_f64_e32 vcc, 0, v[4:5]
	s_cbranch_vccnz .LBB114_100
; %bb.95:                               ;   in Loop: Header=BB114_97 Depth=2
	v_add_u32_e32 v9, s59, v9
	v_cmp_le_u32_e32 vcc, s43, v9
	v_add_u32_e32 v8, s86, v8
	s_mov_b64 s[38:39], 0
	s_orn2_b64 s[40:41], vcc, exec
.LBB114_96:                             ;   in Loop: Header=BB114_97 Depth=2
	s_and_b64 s[40:41], exec, s[40:41]
	s_or_b64 s[28:29], s[40:41], s[28:29]
	s_andn2_b64 s[36:37], s[36:37], exec
	s_and_b64 s[38:39], s[38:39], exec
	s_or_b64 s[36:37], s[36:37], s[38:39]
	s_andn2_b64 exec, exec, s[28:29]
	s_cbranch_execz .LBB114_101
.LBB114_97:                             ;   Parent Loop BB114_20 Depth=1
                                        ; =>  This Inner Loop Header: Depth=2
	v_cmp_gt_u32_e32 vcc, s33, v9
	s_and_saveexec_b64 s[38:39], vcc
	s_cbranch_execz .LBB114_94
; %bb.98:                               ;   in Loop: Header=BB114_97 Depth=2
	ds_read_b64 v[4:5], v8
	s_waitcnt lgkmcnt(0)
	v_ashrrev_i32_e32 v2, 31, v5
	v_or_b32_e32 v6, 0x80000000, v2
	v_xor_b32_e32 v2, v2, v4
	v_xor_b32_e32 v6, v6, v5
	v_cmp_o_f64_e32 vcc, v[4:5], v[4:5]
	s_nop 1
	v_cndmask_b32_e32 v2, -1, v2, vcc
	v_cndmask_b32_e32 v6, -1, v6, vcc
	v_and_b32_e32 v7, v6, v31
	v_and_b32_e32 v6, v2, v30
	v_cmp_eq_u64_e32 vcc, v[6:7], v[28:29]
	s_and_b64 exec, exec, vcc
	s_cbranch_execz .LBB114_94
; %bb.99:                               ;   in Loop: Header=BB114_97 Depth=2
	v_mov_b32_e32 v2, v21
	ds_write_b128 v21, v[2:5] offset:3072
	s_branch .LBB114_94
.LBB114_100:                            ;   in Loop: Header=BB114_97 Depth=2
	s_mov_b64 s[40:41], -1
                                        ; implicit-def: $vgpr9
                                        ; implicit-def: $vgpr8
	s_mov_b64 s[38:39], -1
	s_branch .LBB114_96
.LBB114_101:                            ;   in Loop: Header=BB114_20 Depth=1
	s_or_b64 exec, exec, s[28:29]
	s_and_b64 s[28:29], s[36:37], exec
.LBB114_102:                            ;   in Loop: Header=BB114_20 Depth=1
	s_or_b64 exec, exec, s[34:35]
.LBB114_103:                            ;   in Loop: Header=BB114_20 Depth=1
	s_and_b64 vcc, exec, s[30:31]
	s_cbranch_vccz .LBB114_115
; %bb.104:                              ;   in Loop: Header=BB114_20 Depth=1
                                        ; implicit-def: $vgpr6_vgpr7
	s_and_saveexec_b64 s[22:23], s[12:13]
	s_cbranch_execz .LBB114_114
; %bb.105:                              ;   in Loop: Header=BB114_20 Depth=1
	s_mov_b64 s[30:31], 0
	v_mov_b32_e32 v20, v18
	v_mov_b32_e32 v8, v0
                                        ; implicit-def: $sgpr24_sgpr25
	s_branch .LBB114_109
.LBB114_106:                            ;   in Loop: Header=BB114_109 Depth=2
	s_or_b64 exec, exec, s[34:35]
	s_waitcnt lgkmcnt(0)
	s_barrier
	ds_read_b128 v[4:7], v21 offset:3072
	s_waitcnt lgkmcnt(0)
	s_barrier
	v_cmp_neq_f64_e32 vcc, 0, v[4:5]
	s_cbranch_vccnz .LBB114_112
; %bb.107:                              ;   in Loop: Header=BB114_109 Depth=2
	v_add_u32_e32 v8, s59, v8
	v_cmp_le_u32_e32 vcc, s92, v8
	v_add_u32_e32 v20, s57, v20
	s_mov_b64 s[34:35], 0
	s_orn2_b64 s[36:37], vcc, exec
.LBB114_108:                            ;   in Loop: Header=BB114_109 Depth=2
	s_and_b64 s[36:37], exec, s[36:37]
	s_or_b64 s[30:31], s[36:37], s[30:31]
	s_andn2_b64 s[24:25], s[24:25], exec
	s_and_b64 s[34:35], s[34:35], exec
	s_or_b64 s[24:25], s[24:25], s[34:35]
	s_andn2_b64 exec, exec, s[30:31]
	s_cbranch_execz .LBB114_113
.LBB114_109:                            ;   Parent Loop BB114_20 Depth=1
                                        ; =>  This Inner Loop Header: Depth=2
	v_cmp_gt_u32_e32 vcc, s56, v8
	s_and_saveexec_b64 s[34:35], vcc
	s_cbranch_execz .LBB114_106
; %bb.110:                              ;   in Loop: Header=BB114_109 Depth=2
	v_lshl_add_u64 v[4:5], v[20:21], 3, v[16:17]
	global_load_dwordx2 v[4:5], v[4:5], off
	s_waitcnt vmcnt(0)
	v_ashrrev_i32_e32 v2, 31, v5
	v_or_b32_e32 v6, 0x80000000, v2
	v_xor_b32_e32 v2, v2, v4
	v_xor_b32_e32 v6, v6, v5
	v_cmp_o_f64_e32 vcc, v[4:5], v[4:5]
	s_nop 1
	v_cndmask_b32_e32 v2, -1, v2, vcc
	v_cndmask_b32_e32 v6, -1, v6, vcc
	v_and_b32_e32 v7, v6, v31
	v_and_b32_e32 v6, v2, v30
	v_cmp_eq_u64_e32 vcc, v[6:7], v[28:29]
	s_and_b64 exec, exec, vcc
	s_cbranch_execz .LBB114_106
; %bb.111:                              ;   in Loop: Header=BB114_109 Depth=2
	v_mov_b32_e32 v2, v21
	ds_write_b128 v21, v[2:5] offset:3072
	s_branch .LBB114_106
.LBB114_112:                            ;   in Loop: Header=BB114_109 Depth=2
	s_mov_b64 s[36:37], -1
                                        ; implicit-def: $vgpr8
	s_mov_b64 s[34:35], -1
	s_branch .LBB114_108
.LBB114_113:                            ;   in Loop: Header=BB114_20 Depth=1
	s_or_b64 exec, exec, s[30:31]
	s_andn2_b64 s[28:29], s[28:29], exec
	s_and_b64 s[24:25], s[24:25], exec
	s_or_b64 s[28:29], s[28:29], s[24:25]
.LBB114_114:                            ;   in Loop: Header=BB114_20 Depth=1
	s_or_b64 exec, exec, s[22:23]
	s_mov_b64 s[22:23], 0
	s_mov_b64 s[24:25], -1
.LBB114_115:                            ;   in Loop: Header=BB114_20 Depth=1
	s_orn2_b64 s[28:29], s[28:29], exec
.LBB114_116:                            ;   in Loop: Header=BB114_20 Depth=1
	s_or_b64 exec, exec, s[14:15]
	s_andn2_b64 s[14:15], s[72:73], exec
	s_and_b64 s[24:25], s[24:25], exec
	s_or_b64 s[72:73], s[14:15], s[24:25]
	s_andn2_b64 s[14:15], s[62:63], exec
	s_and_b64 s[22:23], s[22:23], exec
	v_readfirstlane_b32 s30, v0
	v_readfirstlane_b32 s31, v0
	s_andn2_b64 s[60:61], s[60:61], exec
	s_or_b64 s[62:63], s[14:15], s[22:23]
                                        ; implicit-def: $vgpr9
	s_and_saveexec_b64 s[14:15], s[28:29]
	s_cbranch_execz .LBB114_19
; %bb.117:                              ;   in Loop: Header=BB114_20 Depth=1
	s_xor_b64 s[22:23], s[20:21], -1
	s_mov_b64 s[20:21], 0
	v_mov_b32_e32 v9, 1
	v_mov_b32_e32 v8, 1
	s_and_saveexec_b64 s[18:19], s[22:23]
	s_cbranch_execz .LBB114_126
; %bb.118:                              ;   in Loop: Header=BB114_20 Depth=1
	v_cmp_ge_u32_e32 vcc, s42, v49
	s_and_saveexec_b64 s[20:21], vcc
	s_xor_b64 s[20:21], exec, s[20:21]
	s_cbranch_execz .LBB114_123
; %bb.119:                              ;   in Loop: Header=BB114_20 Depth=1
	ds_read_b32 v2, v21 offset:4104
	v_and_b32_e32 v29, s27, v29
	v_and_b32_e32 v28, s26, v28
	v_or_b32_e32 v31, s3, v31
	v_or_b32_e32 v30, s2, v30
	s_waitcnt lgkmcnt(0)
	v_cmp_ne_u32_e32 vcc, 0, v2
	s_cbranch_vccnz .LBB114_123
; %bb.120:                              ;   in Loop: Header=BB114_20 Depth=1
	s_and_saveexec_b64 s[22:23], s[16:17]
; %bb.121:                              ;   in Loop: Header=BB114_20 Depth=1
	v_mov_b32_e32 v2, s42
	ds_write_b32 v21, v2 offset:4108
; %bb.122:                              ;   in Loop: Header=BB114_20 Depth=1
	s_or_b64 exec, exec, s[22:23]
	s_waitcnt lgkmcnt(0)
	s_barrier
.LBB114_123:                            ;   in Loop: Header=BB114_20 Depth=1
	s_or_saveexec_b64 s[20:21], s[20:21]
	s_mov_b64 s[22:23], 0
	v_mov_b32_e32 v8, 8
	s_xor_b64 exec, exec, s[20:21]
; %bb.124:                              ;   in Loop: Header=BB114_20 Depth=1
	s_mov_b64 s[22:23], exec
	v_subrev_u32_e32 v49, s42, v49
	v_mov_b32_e32 v8, 0
; %bb.125:                              ;   in Loop: Header=BB114_20 Depth=1
	s_or_b64 exec, exec, s[20:21]
	s_and_b64 s[20:21], s[22:23], exec
	v_mov_b32_e32 v9, v49
.LBB114_126:                            ;   in Loop: Header=BB114_20 Depth=1
	s_or_b64 exec, exec, s[18:19]
	s_mov_b64 s[18:19], -1
	s_mov_b64 s[28:29], -1
                                        ; implicit-def: $sgpr22_sgpr23
                                        ; implicit-def: $sgpr24_sgpr25
	s_and_saveexec_b64 s[30:31], s[20:21]
	s_xor_b64 s[20:21], exec, s[30:31]
	s_cbranch_execz .LBB114_249
; %bb.127:                              ;   in Loop: Header=BB114_20 Depth=1
	s_cmp_eq_u32 s46, 1
	s_cselect_b64 s[22:23], -1, 0
	v_cmp_eq_u32_e32 vcc, 1, v9
	s_and_b64 s[30:31], s[22:23], vcc
	s_mov_b64 s[34:35], -1
                                        ; implicit-def: $sgpr24_sgpr25
                                        ; implicit-def: $sgpr22_sgpr23
	s_and_saveexec_b64 s[28:29], s[30:31]
	s_cbranch_execz .LBB114_155
; %bb.128:                              ;   in Loop: Header=BB114_20 Depth=1
	ds_read_b32 v2, v21 offset:4104
	s_waitcnt lgkmcnt(0)
	s_barrier
	v_readfirstlane_b32 s33, v2
	s_and_saveexec_b64 s[22:23], s[6:7]
; %bb.129:                              ;   in Loop: Header=BB114_20 Depth=1
	ds_write_b64 v38, v[52:53]
; %bb.130:                              ;   in Loop: Header=BB114_20 Depth=1
	s_or_b64 exec, exec, s[22:23]
	s_lshl_b64 s[22:23], 1, s87
	v_and_b32_e32 v2, s27, v29
	v_and_b32_e32 v4, s26, v28
	v_or_b32_e32 v29, s23, v2
	v_or_b32_e32 v28, s22, v4
	;; [unrolled: 1-line block ×4, first 2 shown]
	s_mov_b64 s[22:23], -1
	s_mov_b64 s[24:25], 0
	s_cmp_eq_u32 s33, 0
	s_mov_b64 s[34:35], 0
	s_mov_b64 s[36:37], -1
	s_waitcnt lgkmcnt(0)
	s_barrier
                                        ; implicit-def: $vgpr6_vgpr7
	s_cbranch_scc1 .LBB114_142
; %bb.131:                              ;   in Loop: Header=BB114_20 Depth=1
	s_add_i32 s34, s33, s91
	s_mul_hi_u32 s35, s34, s85
	s_mul_i32 s35, s35, s59
	s_sub_i32 s35, s34, s35
	s_sub_i32 s36, s35, s59
	s_cmp_ge_u32 s35, s59
	s_cselect_b32 s35, s36, s35
	s_sub_i32 s36, s35, s59
	s_cmp_ge_u32 s35, s59
	s_cselect_b32 s35, s36, s35
	s_sub_i32 s47, s34, s35
	v_cmp_gt_u32_e32 vcc, s47, v0
	s_mov_b64 s[36:37], 0
	s_mov_b64 s[34:35], 0
                                        ; implicit-def: $vgpr6_vgpr7
	s_and_saveexec_b64 s[38:39], vcc
	s_cbranch_execz .LBB114_141
; %bb.132:                              ;   in Loop: Header=BB114_20 Depth=1
	v_mov_b32_e32 v10, v37
	v_mov_b32_e32 v11, v0
                                        ; implicit-def: $sgpr40_sgpr41
	s_branch .LBB114_136
.LBB114_133:                            ;   in Loop: Header=BB114_136 Depth=2
	s_or_b64 exec, exec, s[42:43]
	s_waitcnt lgkmcnt(0)
	s_barrier
	ds_read_b128 v[4:7], v21 offset:3072
	s_waitcnt lgkmcnt(0)
	s_barrier
	v_cmp_neq_f64_e32 vcc, 0, v[4:5]
	s_cbranch_vccnz .LBB114_139
; %bb.134:                              ;   in Loop: Header=BB114_136 Depth=2
	v_add_u32_e32 v11, s59, v11
	v_cmp_le_u32_e32 vcc, s47, v11
	v_add_u32_e32 v10, s86, v10
	s_mov_b64 s[42:43], 0
	s_orn2_b64 s[44:45], vcc, exec
.LBB114_135:                            ;   in Loop: Header=BB114_136 Depth=2
	s_and_b64 s[44:45], exec, s[44:45]
	s_or_b64 s[34:35], s[44:45], s[34:35]
	s_andn2_b64 s[40:41], s[40:41], exec
	s_and_b64 s[42:43], s[42:43], exec
	s_or_b64 s[40:41], s[40:41], s[42:43]
	s_andn2_b64 exec, exec, s[34:35]
	s_cbranch_execz .LBB114_140
.LBB114_136:                            ;   Parent Loop BB114_20 Depth=1
                                        ; =>  This Inner Loop Header: Depth=2
	v_cmp_gt_u32_e32 vcc, s33, v11
	s_and_saveexec_b64 s[42:43], vcc
	s_cbranch_execz .LBB114_133
; %bb.137:                              ;   in Loop: Header=BB114_136 Depth=2
	ds_read_b64 v[4:5], v10
	s_waitcnt lgkmcnt(0)
	v_ashrrev_i32_e32 v2, 31, v5
	v_or_b32_e32 v6, 0x80000000, v2
	v_xor_b32_e32 v2, v2, v4
	v_xor_b32_e32 v6, v6, v5
	v_cmp_o_f64_e32 vcc, v[4:5], v[4:5]
	s_nop 1
	v_cndmask_b32_e32 v2, -1, v2, vcc
	v_cndmask_b32_e32 v6, -1, v6, vcc
	v_and_b32_e32 v7, v6, v31
	v_and_b32_e32 v6, v2, v30
	v_cmp_eq_u64_e32 vcc, v[6:7], v[28:29]
	s_and_b64 exec, exec, vcc
	s_cbranch_execz .LBB114_133
; %bb.138:                              ;   in Loop: Header=BB114_136 Depth=2
	v_mov_b32_e32 v2, v21
	ds_write_b128 v21, v[2:5] offset:3072
	s_branch .LBB114_133
.LBB114_139:                            ;   in Loop: Header=BB114_136 Depth=2
	s_mov_b64 s[44:45], -1
                                        ; implicit-def: $vgpr11
                                        ; implicit-def: $vgpr10
	s_mov_b64 s[42:43], -1
	s_branch .LBB114_135
.LBB114_140:                            ;   in Loop: Header=BB114_20 Depth=1
	s_or_b64 exec, exec, s[34:35]
	s_and_b64 s[34:35], s[40:41], exec
.LBB114_141:                            ;   in Loop: Header=BB114_20 Depth=1
	s_or_b64 exec, exec, s[38:39]
.LBB114_142:                            ;   in Loop: Header=BB114_20 Depth=1
	s_and_b64 vcc, exec, s[36:37]
	s_cbranch_vccz .LBB114_154
; %bb.143:                              ;   in Loop: Header=BB114_20 Depth=1
                                        ; implicit-def: $vgpr6_vgpr7
	s_and_saveexec_b64 s[22:23], s[12:13]
	s_cbranch_execz .LBB114_153
; %bb.144:                              ;   in Loop: Header=BB114_20 Depth=1
	s_mov_b64 s[24:25], 0
	v_mov_b32_e32 v20, v18
	v_mov_b32_e32 v10, v0
                                        ; implicit-def: $sgpr36_sgpr37
	s_branch .LBB114_148
.LBB114_145:                            ;   in Loop: Header=BB114_148 Depth=2
	s_or_b64 exec, exec, s[38:39]
	s_waitcnt lgkmcnt(0)
	s_barrier
	ds_read_b128 v[4:7], v21 offset:3072
	s_waitcnt lgkmcnt(0)
	s_barrier
	v_cmp_eq_f64_e32 vcc, 0, v[4:5]
	s_cbranch_vccz .LBB114_151
; %bb.146:                              ;   in Loop: Header=BB114_148 Depth=2
	v_add_u32_e32 v10, s59, v10
	v_cmp_le_u32_e32 vcc, s92, v10
	v_add_u32_e32 v20, s57, v20
	s_mov_b64 s[38:39], 0
	s_orn2_b64 s[40:41], vcc, exec
.LBB114_147:                            ;   in Loop: Header=BB114_148 Depth=2
	s_and_b64 s[40:41], exec, s[40:41]
	s_or_b64 s[24:25], s[40:41], s[24:25]
	s_andn2_b64 s[36:37], s[36:37], exec
	s_and_b64 s[38:39], s[38:39], exec
	s_or_b64 s[36:37], s[36:37], s[38:39]
	s_andn2_b64 exec, exec, s[24:25]
	s_cbranch_execz .LBB114_152
.LBB114_148:                            ;   Parent Loop BB114_20 Depth=1
                                        ; =>  This Inner Loop Header: Depth=2
	v_cmp_gt_u32_e32 vcc, s56, v10
	s_and_saveexec_b64 s[38:39], vcc
	s_cbranch_execz .LBB114_145
; %bb.149:                              ;   in Loop: Header=BB114_148 Depth=2
	v_lshl_add_u64 v[4:5], v[20:21], 3, v[16:17]
	global_load_dwordx2 v[4:5], v[4:5], off
	s_waitcnt vmcnt(0)
	v_ashrrev_i32_e32 v2, 31, v5
	v_or_b32_e32 v6, 0x80000000, v2
	v_xor_b32_e32 v2, v2, v4
	v_xor_b32_e32 v6, v6, v5
	v_cmp_o_f64_e32 vcc, v[4:5], v[4:5]
	s_nop 1
	v_cndmask_b32_e32 v2, -1, v2, vcc
	v_cndmask_b32_e32 v6, -1, v6, vcc
	v_and_b32_e32 v7, v6, v31
	v_and_b32_e32 v6, v2, v30
	v_cmp_eq_u64_e32 vcc, v[6:7], v[28:29]
	s_and_b64 exec, exec, vcc
	s_cbranch_execz .LBB114_145
; %bb.150:                              ;   in Loop: Header=BB114_148 Depth=2
	v_mov_b32_e32 v2, v21
	ds_write_b128 v21, v[2:5] offset:3072
	s_branch .LBB114_145
.LBB114_151:                            ;   in Loop: Header=BB114_148 Depth=2
	s_mov_b64 s[40:41], -1
                                        ; implicit-def: $vgpr10
	s_mov_b64 s[38:39], -1
	s_branch .LBB114_147
.LBB114_152:                            ;   in Loop: Header=BB114_20 Depth=1
	s_or_b64 exec, exec, s[24:25]
	s_andn2_b64 s[24:25], s[34:35], exec
	s_and_b64 s[34:35], s[36:37], exec
	s_or_b64 s[34:35], s[24:25], s[34:35]
.LBB114_153:                            ;   in Loop: Header=BB114_20 Depth=1
	s_or_b64 exec, exec, s[22:23]
	s_mov_b64 s[22:23], 0
	s_mov_b64 s[24:25], -1
.LBB114_154:                            ;   in Loop: Header=BB114_20 Depth=1
	s_orn2_b64 s[34:35], s[34:35], exec
.LBB114_155:                            ;   in Loop: Header=BB114_20 Depth=1
	s_or_b64 exec, exec, s[28:29]
	s_mov_b64 s[36:37], 0
	s_and_saveexec_b64 s[28:29], s[34:35]
	s_cbranch_execz .LBB114_248
; %bb.156:                              ;   in Loop: Header=BB114_20 Depth=1
	s_xor_b64 s[34:35], s[30:31], -1
	s_mov_b64 s[40:41], 0
	v_mov_b32_e32 v10, 1
	v_mov_b32_e32 v8, 1
	s_and_saveexec_b64 s[30:31], s[34:35]
	s_cbranch_execz .LBB114_165
; %bb.157:                              ;   in Loop: Header=BB114_20 Depth=1
	v_cmp_ge_u32_e32 vcc, s46, v9
	s_and_saveexec_b64 s[34:35], vcc
	s_xor_b64 s[34:35], exec, s[34:35]
	s_cbranch_execz .LBB114_162
; %bb.158:                              ;   in Loop: Header=BB114_20 Depth=1
	ds_read_b32 v4, v21 offset:4104
	s_lshl_b64 s[36:37], 1, s87
	v_and_b32_e32 v2, s27, v29
	v_and_b32_e32 v5, s26, v28
	v_or_b32_e32 v29, s37, v2
	s_waitcnt lgkmcnt(0)
	v_cmp_ne_u32_e32 vcc, 0, v4
	v_or_b32_e32 v28, s36, v5
	v_or_b32_e32 v31, s3, v31
	;; [unrolled: 1-line block ×3, first 2 shown]
	s_cbranch_vccnz .LBB114_162
; %bb.159:                              ;   in Loop: Header=BB114_20 Depth=1
	s_and_saveexec_b64 s[36:37], s[16:17]
; %bb.160:                              ;   in Loop: Header=BB114_20 Depth=1
	v_mov_b32_e32 v2, s46
	ds_write_b32 v21, v2 offset:4108
; %bb.161:                              ;   in Loop: Header=BB114_20 Depth=1
	s_or_b64 exec, exec, s[36:37]
	s_waitcnt lgkmcnt(0)
	s_barrier
.LBB114_162:                            ;   in Loop: Header=BB114_20 Depth=1
	s_or_saveexec_b64 s[34:35], s[34:35]
	s_mov_b64 s[36:37], 0
	v_mov_b32_e32 v8, 8
	s_xor_b64 exec, exec, s[34:35]
; %bb.163:                              ;   in Loop: Header=BB114_20 Depth=1
	s_mov_b64 s[36:37], exec
	v_subrev_u32_e32 v9, s46, v9
	v_mov_b32_e32 v8, 0
; %bb.164:                              ;   in Loop: Header=BB114_20 Depth=1
	s_or_b64 exec, exec, s[34:35]
	s_and_b64 s[40:41], s[36:37], exec
	v_mov_b32_e32 v10, v9
.LBB114_165:                            ;   in Loop: Header=BB114_20 Depth=1
	s_or_b64 exec, exec, s[30:31]
	s_mov_b64 s[38:39], -1
                                        ; implicit-def: $sgpr34_sgpr35
                                        ; implicit-def: $sgpr36_sgpr37
	s_and_saveexec_b64 s[30:31], s[40:41]
	s_cbranch_execz .LBB114_247
; %bb.166:                              ;   in Loop: Header=BB114_20 Depth=1
	s_cmp_eq_u32 s54, 1
	s_cselect_b64 s[34:35], -1, 0
	v_cmp_eq_u32_e32 vcc, 1, v10
	s_and_b64 s[40:41], s[34:35], vcc
	s_mov_b64 s[42:43], -1
                                        ; implicit-def: $sgpr36_sgpr37
                                        ; implicit-def: $sgpr34_sgpr35
	s_and_saveexec_b64 s[38:39], s[40:41]
	s_cbranch_execz .LBB114_194
; %bb.167:                              ;   in Loop: Header=BB114_20 Depth=1
	ds_read_b32 v2, v21 offset:4104
	s_waitcnt lgkmcnt(0)
	s_barrier
	v_readfirstlane_b32 s33, v2
	s_and_saveexec_b64 s[34:35], s[6:7]
; %bb.168:                              ;   in Loop: Header=BB114_20 Depth=1
	ds_write_b64 v38, v[52:53]
; %bb.169:                              ;   in Loop: Header=BB114_20 Depth=1
	s_or_b64 exec, exec, s[34:35]
	s_lshl_b64 s[34:35], 2, s87
	v_and_b32_e32 v2, s27, v29
	v_and_b32_e32 v4, s26, v28
	v_or_b32_e32 v29, s35, v2
	v_or_b32_e32 v28, s34, v4
	;; [unrolled: 1-line block ×4, first 2 shown]
	s_mov_b64 s[34:35], -1
	s_mov_b64 s[36:37], 0
	s_cmp_eq_u32 s33, 0
	s_mov_b64 s[42:43], 0
	s_mov_b64 s[44:45], -1
	s_waitcnt lgkmcnt(0)
	s_barrier
                                        ; implicit-def: $vgpr6_vgpr7
	s_cbranch_scc1 .LBB114_181
; %bb.170:                              ;   in Loop: Header=BB114_20 Depth=1
	s_add_i32 s42, s33, s91
	s_mul_hi_u32 s43, s42, s85
	s_mul_i32 s43, s43, s59
	s_sub_i32 s43, s42, s43
	s_sub_i32 s44, s43, s59
	s_cmp_ge_u32 s43, s59
	s_cselect_b32 s43, s44, s43
	s_sub_i32 s44, s43, s59
	s_cmp_ge_u32 s43, s59
	s_cselect_b32 s43, s44, s43
	s_sub_i32 s55, s42, s43
	v_cmp_gt_u32_e32 vcc, s55, v0
	s_mov_b64 s[44:45], 0
	s_mov_b64 s[42:43], 0
                                        ; implicit-def: $vgpr6_vgpr7
	s_and_saveexec_b64 s[46:47], vcc
	s_cbranch_execz .LBB114_180
; %bb.171:                              ;   in Loop: Header=BB114_20 Depth=1
	v_mov_b32_e32 v9, v37
	v_mov_b32_e32 v11, v0
                                        ; implicit-def: $sgpr48_sgpr49
	s_branch .LBB114_175
.LBB114_172:                            ;   in Loop: Header=BB114_175 Depth=2
	s_or_b64 exec, exec, s[50:51]
	s_waitcnt lgkmcnt(0)
	s_barrier
	ds_read_b128 v[4:7], v21 offset:3072
	s_waitcnt lgkmcnt(0)
	s_barrier
	v_cmp_neq_f64_e32 vcc, 0, v[4:5]
	s_cbranch_vccnz .LBB114_178
; %bb.173:                              ;   in Loop: Header=BB114_175 Depth=2
	v_add_u32_e32 v11, s59, v11
	v_cmp_le_u32_e32 vcc, s55, v11
	v_add_u32_e32 v9, s86, v9
	s_mov_b64 s[50:51], 0
	s_orn2_b64 s[52:53], vcc, exec
.LBB114_174:                            ;   in Loop: Header=BB114_175 Depth=2
	s_and_b64 s[52:53], exec, s[52:53]
	s_or_b64 s[42:43], s[52:53], s[42:43]
	s_andn2_b64 s[48:49], s[48:49], exec
	s_and_b64 s[50:51], s[50:51], exec
	s_or_b64 s[48:49], s[48:49], s[50:51]
	s_andn2_b64 exec, exec, s[42:43]
	s_cbranch_execz .LBB114_179
.LBB114_175:                            ;   Parent Loop BB114_20 Depth=1
                                        ; =>  This Inner Loop Header: Depth=2
	v_cmp_gt_u32_e32 vcc, s33, v11
	s_and_saveexec_b64 s[50:51], vcc
	s_cbranch_execz .LBB114_172
; %bb.176:                              ;   in Loop: Header=BB114_175 Depth=2
	ds_read_b64 v[4:5], v9
	s_waitcnt lgkmcnt(0)
	v_ashrrev_i32_e32 v2, 31, v5
	v_or_b32_e32 v6, 0x80000000, v2
	v_xor_b32_e32 v2, v2, v4
	v_xor_b32_e32 v6, v6, v5
	v_cmp_o_f64_e32 vcc, v[4:5], v[4:5]
	s_nop 1
	v_cndmask_b32_e32 v2, -1, v2, vcc
	v_cndmask_b32_e32 v6, -1, v6, vcc
	v_and_b32_e32 v7, v6, v31
	v_and_b32_e32 v6, v2, v30
	v_cmp_eq_u64_e32 vcc, v[6:7], v[28:29]
	s_and_b64 exec, exec, vcc
	s_cbranch_execz .LBB114_172
; %bb.177:                              ;   in Loop: Header=BB114_175 Depth=2
	v_mov_b32_e32 v2, v21
	ds_write_b128 v21, v[2:5] offset:3072
	s_branch .LBB114_172
.LBB114_178:                            ;   in Loop: Header=BB114_175 Depth=2
	s_mov_b64 s[52:53], -1
                                        ; implicit-def: $vgpr11
                                        ; implicit-def: $vgpr9
	s_mov_b64 s[50:51], -1
	s_branch .LBB114_174
.LBB114_179:                            ;   in Loop: Header=BB114_20 Depth=1
	s_or_b64 exec, exec, s[42:43]
	s_and_b64 s[42:43], s[48:49], exec
.LBB114_180:                            ;   in Loop: Header=BB114_20 Depth=1
	s_or_b64 exec, exec, s[46:47]
.LBB114_181:                            ;   in Loop: Header=BB114_20 Depth=1
	s_and_b64 vcc, exec, s[44:45]
	s_cbranch_vccz .LBB114_193
; %bb.182:                              ;   in Loop: Header=BB114_20 Depth=1
                                        ; implicit-def: $vgpr6_vgpr7
	s_and_saveexec_b64 s[34:35], s[12:13]
	s_cbranch_execz .LBB114_192
; %bb.183:                              ;   in Loop: Header=BB114_20 Depth=1
	s_mov_b64 s[36:37], 0
	v_mov_b32_e32 v20, v18
	v_mov_b32_e32 v9, v0
                                        ; implicit-def: $sgpr44_sgpr45
	s_branch .LBB114_187
.LBB114_184:                            ;   in Loop: Header=BB114_187 Depth=2
	s_or_b64 exec, exec, s[46:47]
	s_waitcnt lgkmcnt(0)
	s_barrier
	ds_read_b128 v[4:7], v21 offset:3072
	s_waitcnt lgkmcnt(0)
	s_barrier
	v_cmp_eq_f64_e32 vcc, 0, v[4:5]
	s_cbranch_vccz .LBB114_190
; %bb.185:                              ;   in Loop: Header=BB114_187 Depth=2
	v_add_u32_e32 v9, s59, v9
	v_cmp_le_u32_e32 vcc, s92, v9
	v_add_u32_e32 v20, s57, v20
	s_mov_b64 s[46:47], 0
	s_orn2_b64 s[48:49], vcc, exec
.LBB114_186:                            ;   in Loop: Header=BB114_187 Depth=2
	s_and_b64 s[48:49], exec, s[48:49]
	s_or_b64 s[36:37], s[48:49], s[36:37]
	s_andn2_b64 s[44:45], s[44:45], exec
	s_and_b64 s[46:47], s[46:47], exec
	s_or_b64 s[44:45], s[44:45], s[46:47]
	s_andn2_b64 exec, exec, s[36:37]
	s_cbranch_execz .LBB114_191
.LBB114_187:                            ;   Parent Loop BB114_20 Depth=1
                                        ; =>  This Inner Loop Header: Depth=2
	v_cmp_gt_u32_e32 vcc, s56, v9
	s_and_saveexec_b64 s[46:47], vcc
	s_cbranch_execz .LBB114_184
; %bb.188:                              ;   in Loop: Header=BB114_187 Depth=2
	v_lshl_add_u64 v[4:5], v[20:21], 3, v[16:17]
	global_load_dwordx2 v[4:5], v[4:5], off
	s_waitcnt vmcnt(0)
	v_ashrrev_i32_e32 v2, 31, v5
	v_or_b32_e32 v6, 0x80000000, v2
	v_xor_b32_e32 v2, v2, v4
	v_xor_b32_e32 v6, v6, v5
	v_cmp_o_f64_e32 vcc, v[4:5], v[4:5]
	s_nop 1
	v_cndmask_b32_e32 v2, -1, v2, vcc
	v_cndmask_b32_e32 v6, -1, v6, vcc
	v_and_b32_e32 v7, v6, v31
	v_and_b32_e32 v6, v2, v30
	v_cmp_eq_u64_e32 vcc, v[6:7], v[28:29]
	s_and_b64 exec, exec, vcc
	s_cbranch_execz .LBB114_184
; %bb.189:                              ;   in Loop: Header=BB114_187 Depth=2
	v_mov_b32_e32 v2, v21
	ds_write_b128 v21, v[2:5] offset:3072
	s_branch .LBB114_184
.LBB114_190:                            ;   in Loop: Header=BB114_187 Depth=2
	s_mov_b64 s[48:49], -1
                                        ; implicit-def: $vgpr9
	s_mov_b64 s[46:47], -1
	s_branch .LBB114_186
.LBB114_191:                            ;   in Loop: Header=BB114_20 Depth=1
	s_or_b64 exec, exec, s[36:37]
	s_andn2_b64 s[36:37], s[42:43], exec
	s_and_b64 s[42:43], s[44:45], exec
	s_or_b64 s[42:43], s[36:37], s[42:43]
.LBB114_192:                            ;   in Loop: Header=BB114_20 Depth=1
	s_or_b64 exec, exec, s[34:35]
	s_mov_b64 s[34:35], 0
	s_mov_b64 s[36:37], -1
.LBB114_193:                            ;   in Loop: Header=BB114_20 Depth=1
	s_orn2_b64 s[42:43], s[42:43], exec
.LBB114_194:                            ;   in Loop: Header=BB114_20 Depth=1
	s_or_b64 exec, exec, s[38:39]
	s_mov_b64 s[44:45], 0
	s_and_saveexec_b64 s[38:39], s[42:43]
	s_cbranch_execz .LBB114_246
; %bb.195:                              ;   in Loop: Header=BB114_20 Depth=1
	s_xor_b64 s[42:43], s[40:41], -1
	s_mov_b64 s[46:47], 0
	v_mov_b32_e32 v9, 1
	v_mov_b32_e32 v8, 1
	s_and_saveexec_b64 s[40:41], s[42:43]
	s_cbranch_execz .LBB114_204
; %bb.196:                              ;   in Loop: Header=BB114_20 Depth=1
	v_cmp_ge_u32_e32 vcc, s54, v10
	s_and_saveexec_b64 s[42:43], vcc
	s_xor_b64 s[42:43], exec, s[42:43]
	s_cbranch_execz .LBB114_201
; %bb.197:                              ;   in Loop: Header=BB114_20 Depth=1
	ds_read_b32 v4, v21 offset:4104
	s_lshl_b64 s[44:45], 2, s87
	v_and_b32_e32 v2, s27, v29
	v_and_b32_e32 v5, s26, v28
	v_or_b32_e32 v29, s45, v2
	s_waitcnt lgkmcnt(0)
	v_cmp_ne_u32_e32 vcc, 0, v4
	v_or_b32_e32 v28, s44, v5
	v_or_b32_e32 v31, s3, v31
	;; [unrolled: 1-line block ×3, first 2 shown]
	s_cbranch_vccnz .LBB114_201
; %bb.198:                              ;   in Loop: Header=BB114_20 Depth=1
	s_and_saveexec_b64 s[26:27], s[16:17]
; %bb.199:                              ;   in Loop: Header=BB114_20 Depth=1
	v_mov_b32_e32 v2, s54
	ds_write_b32 v21, v2 offset:4108
; %bb.200:                              ;   in Loop: Header=BB114_20 Depth=1
	s_or_b64 exec, exec, s[26:27]
	s_waitcnt lgkmcnt(0)
	s_barrier
.LBB114_201:                            ;   in Loop: Header=BB114_20 Depth=1
	s_or_saveexec_b64 s[26:27], s[42:43]
	s_mov_b64 s[42:43], 0
	v_mov_b32_e32 v8, 8
	s_xor_b64 exec, exec, s[26:27]
; %bb.202:                              ;   in Loop: Header=BB114_20 Depth=1
	s_mov_b64 s[42:43], exec
	v_subrev_u32_e32 v10, s54, v10
	v_mov_b32_e32 v8, 0
; %bb.203:                              ;   in Loop: Header=BB114_20 Depth=1
	s_or_b64 exec, exec, s[26:27]
	s_and_b64 s[46:47], s[42:43], exec
	v_mov_b32_e32 v9, v10
.LBB114_204:                            ;   in Loop: Header=BB114_20 Depth=1
	s_or_b64 exec, exec, s[40:41]
	s_mov_b64 s[40:41], -1
                                        ; implicit-def: $sgpr44_sgpr45
                                        ; implicit-def: $sgpr42_sgpr43
	s_and_saveexec_b64 s[26:27], s[46:47]
	s_cbranch_execz .LBB114_245
; %bb.205:                              ;   in Loop: Header=BB114_20 Depth=1
	s_cmp_eq_u32 s75, 1
	s_cselect_b64 s[40:41], -1, 0
	v_cmp_eq_u32_e32 vcc, 1, v9
	s_and_b64 s[40:41], s[40:41], vcc
	s_mov_b64 s[48:49], -1
                                        ; implicit-def: $sgpr44_sgpr45
                                        ; implicit-def: $sgpr42_sgpr43
	s_and_saveexec_b64 s[46:47], s[40:41]
	s_cbranch_execz .LBB114_233
; %bb.206:                              ;   in Loop: Header=BB114_20 Depth=1
	ds_read_b32 v2, v21 offset:4104
	s_waitcnt lgkmcnt(0)
	s_barrier
	v_readfirstlane_b32 s33, v2
	s_and_saveexec_b64 s[42:43], s[6:7]
; %bb.207:                              ;   in Loop: Header=BB114_20 Depth=1
	ds_write_b64 v38, v[52:53]
; %bb.208:                              ;   in Loop: Header=BB114_20 Depth=1
	s_or_b64 exec, exec, s[42:43]
	v_or_b32_e32 v29, s3, v29
	v_or_b32_e32 v28, s2, v28
	;; [unrolled: 1-line block ×4, first 2 shown]
	s_mov_b64 s[42:43], -1
	s_mov_b64 s[44:45], 0
	s_cmp_eq_u32 s33, 0
	s_mov_b64 s[48:49], 0
	s_mov_b64 s[50:51], -1
	s_waitcnt lgkmcnt(0)
	s_barrier
                                        ; implicit-def: $vgpr6_vgpr7
	s_cbranch_scc1 .LBB114_220
; %bb.209:                              ;   in Loop: Header=BB114_20 Depth=1
	s_add_i32 s48, s33, s91
	s_mul_hi_u32 s49, s48, s85
	s_mul_i32 s49, s49, s59
	s_sub_i32 s49, s48, s49
	s_sub_i32 s50, s49, s59
	s_cmp_ge_u32 s49, s59
	s_cselect_b32 s49, s50, s49
	s_sub_i32 s50, s49, s59
	s_cmp_ge_u32 s49, s59
	s_cselect_b32 s49, s50, s49
	s_sub_i32 s76, s48, s49
	v_cmp_gt_u32_e32 vcc, s76, v0
	s_mov_b64 s[50:51], 0
	s_mov_b64 s[48:49], 0
                                        ; implicit-def: $vgpr6_vgpr7
	s_and_saveexec_b64 s[52:53], vcc
	s_cbranch_execz .LBB114_219
; %bb.210:                              ;   in Loop: Header=BB114_20 Depth=1
	v_mov_b32_e32 v10, v37
	v_mov_b32_e32 v11, v0
                                        ; implicit-def: $sgpr54_sgpr55
	s_branch .LBB114_214
.LBB114_211:                            ;   in Loop: Header=BB114_214 Depth=2
	s_or_b64 exec, exec, s[64:65]
	s_waitcnt lgkmcnt(0)
	s_barrier
	ds_read_b128 v[4:7], v21 offset:3072
	s_waitcnt lgkmcnt(0)
	s_barrier
	v_cmp_neq_f64_e32 vcc, 0, v[4:5]
	s_cbranch_vccnz .LBB114_217
; %bb.212:                              ;   in Loop: Header=BB114_214 Depth=2
	v_add_u32_e32 v11, s59, v11
	v_cmp_le_u32_e32 vcc, s76, v11
	v_add_u32_e32 v10, s86, v10
	s_mov_b64 s[64:65], 0
	s_orn2_b64 s[66:67], vcc, exec
.LBB114_213:                            ;   in Loop: Header=BB114_214 Depth=2
	s_and_b64 s[66:67], exec, s[66:67]
	s_or_b64 s[48:49], s[66:67], s[48:49]
	s_andn2_b64 s[54:55], s[54:55], exec
	s_and_b64 s[64:65], s[64:65], exec
	s_or_b64 s[54:55], s[54:55], s[64:65]
	s_andn2_b64 exec, exec, s[48:49]
	s_cbranch_execz .LBB114_218
.LBB114_214:                            ;   Parent Loop BB114_20 Depth=1
                                        ; =>  This Inner Loop Header: Depth=2
	v_cmp_gt_u32_e32 vcc, s33, v11
	s_and_saveexec_b64 s[64:65], vcc
	s_cbranch_execz .LBB114_211
; %bb.215:                              ;   in Loop: Header=BB114_214 Depth=2
	ds_read_b64 v[4:5], v10
	s_waitcnt lgkmcnt(0)
	v_ashrrev_i32_e32 v2, 31, v5
	v_or_b32_e32 v6, 0x80000000, v2
	v_xor_b32_e32 v2, v2, v4
	v_xor_b32_e32 v6, v6, v5
	v_cmp_o_f64_e32 vcc, v[4:5], v[4:5]
	s_nop 1
	v_cndmask_b32_e32 v2, -1, v2, vcc
	v_cndmask_b32_e32 v6, -1, v6, vcc
	v_and_b32_e32 v7, v6, v31
	v_and_b32_e32 v6, v2, v30
	v_cmp_eq_u64_e32 vcc, v[6:7], v[28:29]
	s_and_b64 exec, exec, vcc
	s_cbranch_execz .LBB114_211
; %bb.216:                              ;   in Loop: Header=BB114_214 Depth=2
	v_mov_b32_e32 v2, v21
	ds_write_b128 v21, v[2:5] offset:3072
	s_branch .LBB114_211
.LBB114_217:                            ;   in Loop: Header=BB114_214 Depth=2
	s_mov_b64 s[66:67], -1
                                        ; implicit-def: $vgpr11
                                        ; implicit-def: $vgpr10
	s_mov_b64 s[64:65], -1
	s_branch .LBB114_213
.LBB114_218:                            ;   in Loop: Header=BB114_20 Depth=1
	s_or_b64 exec, exec, s[48:49]
	s_and_b64 s[48:49], s[54:55], exec
.LBB114_219:                            ;   in Loop: Header=BB114_20 Depth=1
	s_or_b64 exec, exec, s[52:53]
.LBB114_220:                            ;   in Loop: Header=BB114_20 Depth=1
	s_and_b64 vcc, exec, s[50:51]
	s_cbranch_vccz .LBB114_232
; %bb.221:                              ;   in Loop: Header=BB114_20 Depth=1
                                        ; implicit-def: $vgpr6_vgpr7
	s_and_saveexec_b64 s[42:43], s[12:13]
	s_cbranch_execz .LBB114_231
; %bb.222:                              ;   in Loop: Header=BB114_20 Depth=1
	s_mov_b64 s[44:45], 0
	v_mov_b32_e32 v20, v18
	v_mov_b32_e32 v10, v0
                                        ; implicit-def: $sgpr50_sgpr51
	s_branch .LBB114_226
.LBB114_223:                            ;   in Loop: Header=BB114_226 Depth=2
	s_or_b64 exec, exec, s[52:53]
	s_waitcnt lgkmcnt(0)
	s_barrier
	ds_read_b128 v[4:7], v21 offset:3072
	s_waitcnt lgkmcnt(0)
	s_barrier
	v_cmp_eq_f64_e32 vcc, 0, v[4:5]
	s_cbranch_vccz .LBB114_229
; %bb.224:                              ;   in Loop: Header=BB114_226 Depth=2
	v_add_u32_e32 v10, s59, v10
	v_cmp_le_u32_e32 vcc, s92, v10
	v_add_u32_e32 v20, s57, v20
	s_mov_b64 s[52:53], 0
	s_orn2_b64 s[54:55], vcc, exec
.LBB114_225:                            ;   in Loop: Header=BB114_226 Depth=2
	s_and_b64 s[54:55], exec, s[54:55]
	s_or_b64 s[44:45], s[54:55], s[44:45]
	s_andn2_b64 s[50:51], s[50:51], exec
	s_and_b64 s[52:53], s[52:53], exec
	s_or_b64 s[50:51], s[50:51], s[52:53]
	s_andn2_b64 exec, exec, s[44:45]
	s_cbranch_execz .LBB114_230
.LBB114_226:                            ;   Parent Loop BB114_20 Depth=1
                                        ; =>  This Inner Loop Header: Depth=2
	v_cmp_gt_u32_e32 vcc, s56, v10
	s_and_saveexec_b64 s[52:53], vcc
	s_cbranch_execz .LBB114_223
; %bb.227:                              ;   in Loop: Header=BB114_226 Depth=2
	v_lshl_add_u64 v[4:5], v[20:21], 3, v[16:17]
	global_load_dwordx2 v[4:5], v[4:5], off
	s_waitcnt vmcnt(0)
	v_ashrrev_i32_e32 v2, 31, v5
	v_or_b32_e32 v6, 0x80000000, v2
	v_xor_b32_e32 v2, v2, v4
	v_xor_b32_e32 v6, v6, v5
	v_cmp_o_f64_e32 vcc, v[4:5], v[4:5]
	s_nop 1
	v_cndmask_b32_e32 v2, -1, v2, vcc
	v_cndmask_b32_e32 v6, -1, v6, vcc
	v_and_b32_e32 v7, v6, v31
	v_and_b32_e32 v6, v2, v30
	v_cmp_eq_u64_e32 vcc, v[6:7], v[28:29]
	s_and_b64 exec, exec, vcc
	s_cbranch_execz .LBB114_223
; %bb.228:                              ;   in Loop: Header=BB114_226 Depth=2
	v_mov_b32_e32 v2, v21
	ds_write_b128 v21, v[2:5] offset:3072
	s_branch .LBB114_223
.LBB114_229:                            ;   in Loop: Header=BB114_226 Depth=2
	s_mov_b64 s[54:55], -1
                                        ; implicit-def: $vgpr10
	s_mov_b64 s[52:53], -1
	s_branch .LBB114_225
.LBB114_230:                            ;   in Loop: Header=BB114_20 Depth=1
	s_or_b64 exec, exec, s[44:45]
	s_andn2_b64 s[44:45], s[48:49], exec
	s_and_b64 s[48:49], s[50:51], exec
	s_or_b64 s[48:49], s[44:45], s[48:49]
.LBB114_231:                            ;   in Loop: Header=BB114_20 Depth=1
	s_or_b64 exec, exec, s[42:43]
	s_mov_b64 s[42:43], 0
	s_mov_b64 s[44:45], -1
.LBB114_232:                            ;   in Loop: Header=BB114_20 Depth=1
	s_orn2_b64 s[48:49], s[48:49], exec
.LBB114_233:                            ;   in Loop: Header=BB114_20 Depth=1
	s_or_b64 exec, exec, s[46:47]
	s_mov_b64 s[50:51], 0
	s_and_saveexec_b64 s[46:47], s[48:49]
	s_cbranch_execz .LBB114_244
; %bb.234:                              ;   in Loop: Header=BB114_20 Depth=1
	s_xor_b64 s[48:49], s[40:41], -1
	v_mov_b32_e32 v8, 1
	v_mov_b32_e32 v2, 1
	s_and_saveexec_b64 s[40:41], s[48:49]
	s_cbranch_execz .LBB114_243
; %bb.235:                              ;   in Loop: Header=BB114_20 Depth=1
	v_cmp_ge_u32_e32 vcc, s75, v9
	s_and_saveexec_b64 s[48:49], vcc
	s_xor_b64 s[48:49], exec, s[48:49]
	s_cbranch_execz .LBB114_240
; %bb.236:                              ;   in Loop: Header=BB114_20 Depth=1
	ds_read_b32 v2, v21 offset:4104
	v_or_b32_e32 v29, s3, v29
	v_or_b32_e32 v28, s2, v28
	;; [unrolled: 1-line block ×4, first 2 shown]
	s_waitcnt lgkmcnt(0)
	v_cmp_ne_u32_e32 vcc, 0, v2
	s_cbranch_vccnz .LBB114_240
; %bb.237:                              ;   in Loop: Header=BB114_20 Depth=1
	s_and_saveexec_b64 s[2:3], s[16:17]
; %bb.238:                              ;   in Loop: Header=BB114_20 Depth=1
	v_mov_b32_e32 v2, s75
	ds_write_b32 v21, v2 offset:4108
; %bb.239:                              ;   in Loop: Header=BB114_20 Depth=1
	s_or_b64 exec, exec, s[2:3]
	s_waitcnt lgkmcnt(0)
	s_barrier
.LBB114_240:                            ;   in Loop: Header=BB114_20 Depth=1
	s_andn2_saveexec_b64 s[2:3], s[48:49]
; %bb.241:                              ;   in Loop: Header=BB114_20 Depth=1
	v_subrev_u32_e32 v9, s75, v9
; %bb.242:                              ;   in Loop: Header=BB114_20 Depth=1
	s_or_b64 exec, exec, s[2:3]
	v_mov_b32_e32 v8, 8
	v_mov_b32_e32 v2, v9
.LBB114_243:                            ;   in Loop: Header=BB114_20 Depth=1
	s_or_b64 exec, exec, s[40:41]
	s_mov_b64 s[50:51], exec
	v_mov_b32_e32 v9, v2
.LBB114_244:                            ;   in Loop: Header=BB114_20 Depth=1
	s_or_b64 exec, exec, s[46:47]
	s_orn2_b64 s[40:41], s[50:51], exec
.LBB114_245:                            ;   in Loop: Header=BB114_20 Depth=1
	s_or_b64 exec, exec, s[26:27]
	s_andn2_b64 s[2:3], s[36:37], exec
	s_and_b64 s[26:27], s[44:45], exec
	s_or_b64 s[36:37], s[2:3], s[26:27]
	s_andn2_b64 s[2:3], s[34:35], exec
	s_and_b64 s[26:27], s[42:43], exec
	s_or_b64 s[34:35], s[2:3], s[26:27]
	s_and_b64 s[44:45], s[40:41], exec
	v_mov_b32_e32 v10, v9
.LBB114_246:                            ;   in Loop: Header=BB114_20 Depth=1
	s_or_b64 exec, exec, s[38:39]
	s_orn2_b64 s[38:39], s[44:45], exec
.LBB114_247:                            ;   in Loop: Header=BB114_20 Depth=1
	s_or_b64 exec, exec, s[30:31]
	s_andn2_b64 s[2:3], s[24:25], exec
	s_and_b64 s[24:25], s[36:37], exec
	s_or_b64 s[24:25], s[2:3], s[24:25]
	s_andn2_b64 s[2:3], s[22:23], exec
	s_and_b64 s[22:23], s[34:35], exec
	s_or_b64 s[22:23], s[2:3], s[22:23]
	s_and_b64 s[36:37], s[38:39], exec
	v_mov_b32_e32 v9, v10
.LBB114_248:                            ;   in Loop: Header=BB114_20 Depth=1
	s_or_b64 exec, exec, s[28:29]
	s_orn2_b64 s[28:29], s[36:37], exec
.LBB114_249:                            ;   in Loop: Header=BB114_20 Depth=1
	s_or_b64 exec, exec, s[20:21]
	s_mov_b64 s[20:21], 0
                                        ; implicit-def: $sgpr30
                                        ; implicit-def: $sgpr31
	s_and_saveexec_b64 s[2:3], s[28:29]
	s_xor_b64 s[2:3], exec, s[2:3]
	s_cbranch_execz .LBB114_18
; %bb.250:                              ;   in Loop: Header=BB114_20 Depth=1
	v_and_b32_e32 v2, 7, v8
	v_cmp_eq_u32_e32 vcc, 0, v2
	s_mov_b64 s[18:19], -1
	s_mov_b64 s[20:21], -1
                                        ; implicit-def: $sgpr30
                                        ; implicit-def: $sgpr31
	s_and_saveexec_b64 s[26:27], vcc
	s_cbranch_execz .LBB114_17
; %bb.251:                              ;   in Loop: Header=BB114_20 Depth=1
	s_xor_b32 s31, s74, 1
	s_add_i32 s30, s87, -2
	s_cmp_eq_u32 s87, 0
	s_cselect_b64 s[18:19], -1, 0
	s_xor_b64 s[20:21], exec, -1
	s_orn2_b64 s[18:19], s[18:19], exec
	s_branch .LBB114_17
.LBB114_252:
	s_or_b64 exec, exec, s[94:95]
	s_xor_b64 s[8:9], s[70:71], -1
	s_xor_b64 s[2:3], s[96:97], -1
	;; [unrolled: 1-line block ×3, first 2 shown]
	s_mov_b64 s[4:5], 0
	s_and_saveexec_b64 s[10:11], s[2:3]
	s_xor_b64 s[2:3], exec, s[10:11]
	s_cbranch_execnz .LBB114_257
; %bb.253:
	s_andn2_saveexec_b64 s[0:1], s[2:3]
	s_cbranch_execnz .LBB114_270
.LBB114_254:
	s_or_b64 exec, exec, s[0:1]
	s_and_saveexec_b64 s[0:1], s[4:5]
.LBB114_255:
	; divergent unreachable
.LBB114_256:
	s_endpgm
.LBB114_257:
	s_and_saveexec_b64 s[4:5], s[8:9]
	s_xor_b64 s[4:5], exec, s[4:5]
	s_cbranch_execz .LBB114_268
; %bb.258:
	s_and_saveexec_b64 s[8:9], s[6:7]
	s_xor_b64 s[6:7], exec, s[8:9]
; %bb.259:
	v_lshrrev_b32_e32 v2, 31, v29
	v_mov_b32_e32 v3, 0
	v_lshl_add_u64 v[2:3], v[2:3], 0, -1
	v_or_b32_e32 v1, 0x80000000, v3
	v_xor_b32_e32 v7, v1, v29
	v_xor_b32_e32 v6, v2, v28
; %bb.260:
	s_or_b64 exec, exec, s[6:7]
	v_readlane_b32 s10, v62, 12
	v_readlane_b32 s11, v62, 13
	;; [unrolled: 1-line block ×3, first 2 shown]
	s_mul_i32 s6, s16, s11
	v_readlane_b32 s7, v62, 20
	v_readlane_b32 s11, v62, 15
	s_sub_i32 s6, s7, s6
	s_mul_i32 s7, s11, s10
	s_sub_i32 s7, s16, s7
	s_add_i32 s8, s11, 1
	s_sub_i32 s9, s7, s10
	s_cmp_ge_u32 s7, s10
	s_cselect_b32 s8, s8, s11
	s_cselect_b32 s7, s9, s7
	s_add_i32 s9, s8, 1
	s_cmp_ge_u32 s7, s10
	s_cselect_b32 s7, s9, s8
	v_readlane_b32 s12, v62, 8
	s_mul_i32 s8, s7, s10
	v_readlane_b32 s13, v62, 9
	v_readlane_b32 s14, v62, 10
	s_sub_i32 s8, s16, s8
	s_mul_i32 s6, s6, s14
	s_mul_i32 s8, s8, s13
	s_add_i32 s6, s8, s6
	s_mul_i32 s7, s7, s12
	s_add_i32 s6, s6, s7
	s_mov_b32 s7, 0
	s_lshl_b64 s[6:7], s[6:7], 3
	v_readlane_b32 s8, v62, 0
	v_readlane_b32 s9, v62, 1
	s_add_u32 s6, s8, s6
	s_addc_u32 s7, s9, s7
	v_mov_b32_e32 v19, 0
	v_readlane_b32 s15, v62, 11
	global_store_dwordx2 v19, v[6:7], s[6:7]
	s_and_saveexec_b64 s[6:7], s[0:1]
	s_cbranch_execz .LBB114_267
; %bb.261:
	v_cmp_u_f64_e32 vcc, v[6:7], v[6:7]
	s_mov_b64 s[8:9], 0
	s_xor_b64 s[12:13], vcc, -1
                                        ; implicit-def: $sgpr10_sgpr11
                                        ; implicit-def: $sgpr16_sgpr17
                                        ; implicit-def: $sgpr14_sgpr15
	s_branch .LBB114_263
.LBB114_262:                            ;   in Loop: Header=BB114_263 Depth=1
	s_or_b64 exec, exec, s[0:1]
	s_and_b64 s[0:1], exec, s[16:17]
	s_or_b64 s[8:9], s[0:1], s[8:9]
	s_andn2_b64 s[0:1], s[10:11], exec
	s_and_b64 s[10:11], s[14:15], exec
	s_or_b64 s[10:11], s[0:1], s[10:11]
	s_andn2_b64 exec, exec, s[8:9]
	s_cbranch_execz .LBB114_265
.LBB114_263:                            ; =>This Inner Loop Header: Depth=1
	v_lshl_add_u64 v[2:3], v[18:19], 3, v[16:17]
	global_load_dwordx2 v[4:5], v[2:3], off
	v_mov_b32_e32 v2, v0
	s_or_b64 s[14:15], s[14:15], exec
	s_or_b64 s[16:17], s[16:17], exec
                                        ; implicit-def: $vgpr0
	s_waitcnt vmcnt(0)
	v_cmp_o_f64_e64 s[0:1], v[4:5], v[4:5]
	v_cmp_neq_f64_e32 vcc, v[4:5], v[6:7]
	s_or_b64 s[0:1], s[0:1], s[12:13]
	s_and_b64 s[18:19], vcc, s[0:1]
	s_and_saveexec_b64 s[0:1], s[18:19]
	s_cbranch_execz .LBB114_262
; %bb.264:                              ;   in Loop: Header=BB114_263 Depth=1
	v_add_u32_e32 v0, s59, v2
	v_cmp_le_u32_e32 vcc, s56, v0
	s_andn2_b64 s[16:17], s[16:17], exec
	s_and_b64 s[18:19], vcc, exec
	v_add_u32_e32 v18, s57, v18
	s_andn2_b64 s[14:15], s[14:15], exec
	s_or_b64 s[16:17], s[16:17], s[18:19]
	s_branch .LBB114_262
.LBB114_265:
	s_or_b64 exec, exec, s[8:9]
	s_and_saveexec_b64 s[0:1], s[10:11]
	s_xor_b64 s[0:1], exec, s[0:1]
	s_cbranch_execz .LBB114_267
; %bb.266:
	v_readlane_b32 s8, v62, 2
	v_readlane_b32 s16, v62, 16
	;; [unrolled: 1-line block ×6, first 2 shown]
	s_mov_b32 s14, s10
	s_mul_i32 s0, s15, s17
	v_readlane_b32 s1, v62, 20
	s_mov_b64 s[12:13], s[8:9]
	v_readlane_b32 s10, v62, 19
	s_sub_i32 s0, s1, s0
	s_mul_i32 s1, s10, s16
	s_sub_i32 s1, s15, s1
	s_add_i32 s8, s10, 1
	s_sub_i32 s9, s1, s16
	s_cmp_ge_u32 s1, s16
	s_cselect_b32 s8, s8, s10
	s_cselect_b32 s1, s9, s1
	s_add_i32 s9, s8, 1
	s_cmp_ge_u32 s1, s16
	s_cselect_b32 s1, s9, s8
	s_mul_i32 s8, s1, s16
	s_sub_i32 s8, s15, s8
	s_mul_i32 s0, s0, s14
	s_mul_i32 s8, s8, s13
	s_add_i32 s0, s8, s0
	s_mul_i32 s1, s1, s12
	s_add_i32 s0, s0, s1
	s_mov_b32 s1, 0
	s_lshl_b64 s[0:1], s[0:1], 3
	v_readlane_b32 s8, v62, 6
	v_readlane_b32 s9, v62, 7
	s_add_u32 s0, s8, s0
	s_addc_u32 s1, s9, s1
	v_mov_b32_e32 v3, 0
	v_readlane_b32 s11, v62, 5
	global_store_dwordx2 v3, v[2:3], s[0:1]
.LBB114_267:
	s_or_b64 exec, exec, s[6:7]
.LBB114_268:
	s_or_saveexec_b64 s[0:1], s[4:5]
	s_mov_b64 s[4:5], 0
	s_xor_b64 exec, exec, s[0:1]
	s_cbranch_execnz .LBB114_271
.LBB114_269:
	s_or_b64 exec, exec, s[0:1]
	s_and_b64 s[4:5], s[4:5], exec
	s_andn2_saveexec_b64 s[0:1], s[2:3]
	s_cbranch_execz .LBB114_254
.LBB114_270:
	s_or_b64 s[4:5], s[4:5], exec
	s_trap 2
	s_or_b64 exec, exec, s[0:1]
	s_and_saveexec_b64 s[0:1], s[4:5]
	s_cbranch_execnz .LBB114_255
	s_branch .LBB114_256
.LBB114_271:
	s_mov_b64 s[4:5], exec
	s_trap 2
	s_branch .LBB114_269
	.section	.rodata,"a",@progbits
	.p2align	6, 0x0
	.amdhsa_kernel _ZN2at6native12_GLOBAL__N_112gatherMedianIdjLi3EEEvNS_4cuda6detail10TensorInfoIT_T0_EENS5_IlS7_EENS5_IKS6_S7_EES7_S7_S7_b
		.amdhsa_group_segment_fixed_size 4120
		.amdhsa_private_segment_fixed_size 0
		.amdhsa_kernarg_size 920
		.amdhsa_user_sgpr_count 2
		.amdhsa_user_sgpr_dispatch_ptr 0
		.amdhsa_user_sgpr_queue_ptr 0
		.amdhsa_user_sgpr_kernarg_segment_ptr 1
		.amdhsa_user_sgpr_dispatch_id 0
		.amdhsa_user_sgpr_kernarg_preload_length 0
		.amdhsa_user_sgpr_kernarg_preload_offset 0
		.amdhsa_user_sgpr_private_segment_size 0
		.amdhsa_uses_dynamic_stack 0
		.amdhsa_enable_private_segment 0
		.amdhsa_system_sgpr_workgroup_id_x 1
		.amdhsa_system_sgpr_workgroup_id_y 1
		.amdhsa_system_sgpr_workgroup_id_z 1
		.amdhsa_system_sgpr_workgroup_info 0
		.amdhsa_system_vgpr_workitem_id 0
		.amdhsa_next_free_vgpr 63
		.amdhsa_next_free_sgpr 100
		.amdhsa_accum_offset 64
		.amdhsa_reserve_vcc 1
		.amdhsa_float_round_mode_32 0
		.amdhsa_float_round_mode_16_64 0
		.amdhsa_float_denorm_mode_32 3
		.amdhsa_float_denorm_mode_16_64 3
		.amdhsa_dx10_clamp 1
		.amdhsa_ieee_mode 1
		.amdhsa_fp16_overflow 0
		.amdhsa_tg_split 0
		.amdhsa_exception_fp_ieee_invalid_op 0
		.amdhsa_exception_fp_denorm_src 0
		.amdhsa_exception_fp_ieee_div_zero 0
		.amdhsa_exception_fp_ieee_overflow 0
		.amdhsa_exception_fp_ieee_underflow 0
		.amdhsa_exception_fp_ieee_inexact 0
		.amdhsa_exception_int_div_zero 0
	.end_amdhsa_kernel
	.section	.text._ZN2at6native12_GLOBAL__N_112gatherMedianIdjLi3EEEvNS_4cuda6detail10TensorInfoIT_T0_EENS5_IlS7_EENS5_IKS6_S7_EES7_S7_S7_b,"axG",@progbits,_ZN2at6native12_GLOBAL__N_112gatherMedianIdjLi3EEEvNS_4cuda6detail10TensorInfoIT_T0_EENS5_IlS7_EENS5_IKS6_S7_EES7_S7_S7_b,comdat
.Lfunc_end114:
	.size	_ZN2at6native12_GLOBAL__N_112gatherMedianIdjLi3EEEvNS_4cuda6detail10TensorInfoIT_T0_EENS5_IlS7_EENS5_IKS6_S7_EES7_S7_S7_b, .Lfunc_end114-_ZN2at6native12_GLOBAL__N_112gatherMedianIdjLi3EEEvNS_4cuda6detail10TensorInfoIT_T0_EENS5_IlS7_EENS5_IKS6_S7_EES7_S7_S7_b
                                        ; -- End function
	.set _ZN2at6native12_GLOBAL__N_112gatherMedianIdjLi3EEEvNS_4cuda6detail10TensorInfoIT_T0_EENS5_IlS7_EENS5_IKS6_S7_EES7_S7_S7_b.num_vgpr, 63
	.set _ZN2at6native12_GLOBAL__N_112gatherMedianIdjLi3EEEvNS_4cuda6detail10TensorInfoIT_T0_EENS5_IlS7_EENS5_IKS6_S7_EES7_S7_S7_b.num_agpr, 0
	.set _ZN2at6native12_GLOBAL__N_112gatherMedianIdjLi3EEEvNS_4cuda6detail10TensorInfoIT_T0_EENS5_IlS7_EENS5_IKS6_S7_EES7_S7_S7_b.numbered_sgpr, 100
	.set _ZN2at6native12_GLOBAL__N_112gatherMedianIdjLi3EEEvNS_4cuda6detail10TensorInfoIT_T0_EENS5_IlS7_EENS5_IKS6_S7_EES7_S7_S7_b.num_named_barrier, 0
	.set _ZN2at6native12_GLOBAL__N_112gatherMedianIdjLi3EEEvNS_4cuda6detail10TensorInfoIT_T0_EENS5_IlS7_EENS5_IKS6_S7_EES7_S7_S7_b.private_seg_size, 0
	.set _ZN2at6native12_GLOBAL__N_112gatherMedianIdjLi3EEEvNS_4cuda6detail10TensorInfoIT_T0_EENS5_IlS7_EENS5_IKS6_S7_EES7_S7_S7_b.uses_vcc, 1
	.set _ZN2at6native12_GLOBAL__N_112gatherMedianIdjLi3EEEvNS_4cuda6detail10TensorInfoIT_T0_EENS5_IlS7_EENS5_IKS6_S7_EES7_S7_S7_b.uses_flat_scratch, 0
	.set _ZN2at6native12_GLOBAL__N_112gatherMedianIdjLi3EEEvNS_4cuda6detail10TensorInfoIT_T0_EENS5_IlS7_EENS5_IKS6_S7_EES7_S7_S7_b.has_dyn_sized_stack, 0
	.set _ZN2at6native12_GLOBAL__N_112gatherMedianIdjLi3EEEvNS_4cuda6detail10TensorInfoIT_T0_EENS5_IlS7_EENS5_IKS6_S7_EES7_S7_S7_b.has_recursion, 0
	.set _ZN2at6native12_GLOBAL__N_112gatherMedianIdjLi3EEEvNS_4cuda6detail10TensorInfoIT_T0_EENS5_IlS7_EENS5_IKS6_S7_EES7_S7_S7_b.has_indirect_call, 0
	.section	.AMDGPU.csdata,"",@progbits
; Kernel info:
; codeLenInByte = 10624
; TotalNumSgprs: 106
; NumVgprs: 63
; NumAgprs: 0
; TotalNumVgprs: 63
; ScratchSize: 0
; MemoryBound: 0
; FloatMode: 240
; IeeeMode: 1
; LDSByteSize: 4120 bytes/workgroup (compile time only)
; SGPRBlocks: 13
; VGPRBlocks: 7
; NumSGPRsForWavesPerEU: 106
; NumVGPRsForWavesPerEU: 63
; AccumOffset: 64
; Occupancy: 7
; WaveLimiterHint : 1
; COMPUTE_PGM_RSRC2:SCRATCH_EN: 0
; COMPUTE_PGM_RSRC2:USER_SGPR: 2
; COMPUTE_PGM_RSRC2:TRAP_HANDLER: 0
; COMPUTE_PGM_RSRC2:TGID_X_EN: 1
; COMPUTE_PGM_RSRC2:TGID_Y_EN: 1
; COMPUTE_PGM_RSRC2:TGID_Z_EN: 1
; COMPUTE_PGM_RSRC2:TIDIG_COMP_CNT: 0
; COMPUTE_PGM_RSRC3_GFX90A:ACCUM_OFFSET: 15
; COMPUTE_PGM_RSRC3_GFX90A:TG_SPLIT: 0
	.section	.text._ZN2at6native12_GLOBAL__N_112gatherMedianIdjLin1EEEvNS_4cuda6detail10TensorInfoIT_T0_EENS5_IlS7_EENS5_IKS6_S7_EES7_S7_S7_b,"axG",@progbits,_ZN2at6native12_GLOBAL__N_112gatherMedianIdjLin1EEEvNS_4cuda6detail10TensorInfoIT_T0_EENS5_IlS7_EENS5_IKS6_S7_EES7_S7_S7_b,comdat
	.globl	_ZN2at6native12_GLOBAL__N_112gatherMedianIdjLin1EEEvNS_4cuda6detail10TensorInfoIT_T0_EENS5_IlS7_EENS5_IKS6_S7_EES7_S7_S7_b ; -- Begin function _ZN2at6native12_GLOBAL__N_112gatherMedianIdjLin1EEEvNS_4cuda6detail10TensorInfoIT_T0_EENS5_IlS7_EENS5_IKS6_S7_EES7_S7_S7_b
	.p2align	8
	.type	_ZN2at6native12_GLOBAL__N_112gatherMedianIdjLin1EEEvNS_4cuda6detail10TensorInfoIT_T0_EENS5_IlS7_EENS5_IKS6_S7_EES7_S7_S7_b,@function
_ZN2at6native12_GLOBAL__N_112gatherMedianIdjLin1EEEvNS_4cuda6detail10TensorInfoIT_T0_EENS5_IlS7_EENS5_IKS6_S7_EES7_S7_S7_b: ; @_ZN2at6native12_GLOBAL__N_112gatherMedianIdjLin1EEEvNS_4cuda6detail10TensorInfoIT_T0_EENS5_IlS7_EENS5_IKS6_S7_EES7_S7_S7_b
; %bb.0:
	s_load_dwordx2 s[10:11], s[0:1], 0x298
	s_load_dwordx4 s[56:59], s[0:1], 0x288
	s_add_u32 s8, s0, 0x298
	s_addc_u32 s9, s1, 0
	s_waitcnt lgkmcnt(0)
	s_mul_i32 s4, s11, s4
	s_add_i32 s3, s4, s3
	s_mul_i32 s3, s3, s10
	s_add_i32 s3, s3, s2
	s_cmp_ge_u32 s3, s57
	s_cbranch_scc1 .LBB115_265
; %bb.1:
	s_load_dword s4, s[0:1], 0xd0
	s_mov_b32 s61, 0
	s_mov_b32 s33, s3
	s_waitcnt lgkmcnt(0)
	s_cmp_lt_i32 s4, 2
	s_cbranch_scc1 .LBB115_4
; %bb.2:
	s_add_i32 s60, s4, -1
	s_add_i32 s6, s4, 1
	s_lshl_b64 s[4:5], s[60:61], 2
	s_add_u32 s4, s0, s4
	s_addc_u32 s5, s1, s5
	s_add_u32 s4, s4, 8
	s_addc_u32 s5, s5, 0
	s_mov_b32 s33, s3
.LBB115_3:                              ; =>This Inner Loop Header: Depth=1
	s_load_dword s7, s[4:5], 0x0
	s_load_dword s12, s[4:5], 0x64
	s_mov_b32 s11, s33
	s_waitcnt lgkmcnt(0)
	v_cvt_f32_u32_e32 v1, s7
	s_sub_i32 s13, 0, s7
	v_rcp_iflag_f32_e32 v1, v1
	s_nop 0
	v_mul_f32_e32 v1, 0x4f7ffffe, v1
	v_cvt_u32_f32_e32 v1, v1
	s_nop 0
	v_readfirstlane_b32 s14, v1
	s_mul_i32 s13, s13, s14
	s_mul_hi_u32 s13, s14, s13
	s_add_i32 s14, s14, s13
	s_mul_hi_u32 s13, s33, s14
	s_mul_i32 s14, s13, s7
	s_sub_i32 s14, s33, s14
	s_add_i32 s15, s13, 1
	s_sub_i32 s16, s14, s7
	s_cmp_ge_u32 s14, s7
	s_cselect_b32 s13, s15, s13
	s_cselect_b32 s14, s16, s14
	s_add_i32 s15, s13, 1
	s_cmp_ge_u32 s14, s7
	s_cselect_b32 s33, s15, s13
	s_mul_i32 s7, s33, s7
	s_sub_i32 s7, s11, s7
	s_mul_i32 s7, s12, s7
	s_add_i32 s6, s6, -1
	s_add_i32 s61, s7, s61
	s_add_u32 s4, s4, -4
	s_addc_u32 s5, s5, -1
	s_cmp_gt_u32 s6, 2
	s_cbranch_scc1 .LBB115_3
.LBB115_4:
	s_load_dword s6, s[0:1], 0x1a8
	s_add_u32 s4, s0, 0xd8
	s_addc_u32 s5, s1, 0
	s_mov_b32 s63, 0
	s_mov_b32 s57, s3
	s_waitcnt lgkmcnt(0)
	s_cmp_lt_i32 s6, 2
	s_cbranch_scc1 .LBB115_7
; %bb.5:
	s_add_i32 s62, s6, -1
	s_add_i32 s11, s6, 1
	s_lshl_b64 s[6:7], s[62:63], 2
	s_add_u32 s6, s4, s6
	s_addc_u32 s7, s5, s7
	s_add_u32 s6, s6, 8
	s_addc_u32 s7, s7, 0
	s_mov_b32 s57, s3
.LBB115_6:                              ; =>This Inner Loop Header: Depth=1
	s_load_dword s12, s[6:7], 0x0
	s_load_dword s14, s[6:7], 0x64
	s_mov_b32 s13, s57
	s_waitcnt lgkmcnt(0)
	v_cvt_f32_u32_e32 v1, s12
	s_sub_i32 s15, 0, s12
	v_rcp_iflag_f32_e32 v1, v1
	s_nop 0
	v_mul_f32_e32 v1, 0x4f7ffffe, v1
	v_cvt_u32_f32_e32 v1, v1
	s_nop 0
	v_readfirstlane_b32 s16, v1
	s_mul_i32 s15, s15, s16
	s_mul_hi_u32 s15, s16, s15
	s_add_i32 s16, s16, s15
	s_mul_hi_u32 s15, s57, s16
	s_mul_i32 s16, s15, s12
	s_sub_i32 s16, s57, s16
	s_add_i32 s17, s15, 1
	s_sub_i32 s18, s16, s12
	s_cmp_ge_u32 s16, s12
	s_cselect_b32 s15, s17, s15
	s_cselect_b32 s16, s18, s16
	s_add_i32 s17, s15, 1
	s_cmp_ge_u32 s16, s12
	s_cselect_b32 s57, s17, s15
	s_mul_i32 s12, s57, s12
	s_sub_i32 s12, s13, s12
	s_mul_i32 s12, s14, s12
	s_add_i32 s11, s11, -1
	s_add_i32 s63, s12, s63
	s_add_u32 s6, s6, -4
	s_addc_u32 s7, s7, -1
	s_cmp_gt_u32 s11, 2
	s_cbranch_scc1 .LBB115_6
.LBB115_7:
	s_load_dword s6, s[0:1], 0x6c
                                        ; implicit-def: $vgpr60 : SGPR spill to VGPR lane
	s_add_u32 s12, s0, 0x1b0
	s_addc_u32 s13, s1, 0
	s_mov_b32 s7, 0
	s_waitcnt lgkmcnt(0)
	v_writelane_b32 v60, s6, 0
	s_load_dword s6, s[0:1], 0x280
	s_waitcnt lgkmcnt(0)
	s_cmp_lt_i32 s6, 2
	s_cbranch_scc1 .LBB115_10
; %bb.8:
	s_add_i32 s11, s6, 1
	s_add_i32 s6, s6, -1
	s_lshl_b64 s[14:15], s[6:7], 2
	s_add_u32 s6, s12, s14
	s_addc_u32 s13, s13, s15
	s_add_u32 s12, s6, 8
	s_addc_u32 s13, s13, 0
.LBB115_9:                              ; =>This Inner Loop Header: Depth=1
	s_load_dword s6, s[12:13], 0x0
	s_load_dword s15, s[12:13], 0x64
	s_mov_b32 s14, s3
	s_waitcnt lgkmcnt(0)
	v_cvt_f32_u32_e32 v1, s6
	s_sub_i32 s3, 0, s6
	v_rcp_iflag_f32_e32 v1, v1
	s_nop 0
	v_mul_f32_e32 v1, 0x4f7ffffe, v1
	v_cvt_u32_f32_e32 v1, v1
	s_nop 0
	v_readfirstlane_b32 s16, v1
	s_mul_i32 s3, s3, s16
	s_mul_hi_u32 s3, s16, s3
	s_add_i32 s16, s16, s3
	s_mul_hi_u32 s3, s14, s16
	s_mul_i32 s16, s3, s6
	s_sub_i32 s16, s14, s16
	s_add_i32 s17, s3, 1
	s_sub_i32 s18, s16, s6
	s_cmp_ge_u32 s16, s6
	s_cselect_b32 s3, s17, s3
	s_cselect_b32 s16, s18, s16
	s_add_i32 s17, s3, 1
	s_cmp_ge_u32 s16, s6
	s_cselect_b32 s3, s17, s3
	s_mul_i32 s6, s3, s6
	s_sub_i32 s6, s14, s6
	s_mul_i32 s6, s15, s6
	s_add_i32 s11, s11, -1
	s_add_i32 s7, s6, s7
	s_add_u32 s12, s12, -4
	s_addc_u32 s13, s13, -1
	s_cmp_gt_u32 s11, 2
	s_cbranch_scc1 .LBB115_9
.LBB115_10:
	s_load_dword s4, s[4:5], 0x6c
                                        ; kill: killed $sgpr0 killed $sgpr1
	v_mov_b32_e32 v2, 0
	s_waitcnt lgkmcnt(0)
	v_writelane_b32 v60, s4, 1
	s_load_dword s6, s[0:1], 0x21c
	s_load_dwordx2 s[4:5], s[0:1], 0x0
	s_waitcnt lgkmcnt(0)
	v_writelane_b32 v60, s4, 2
	s_nop 1
	v_writelane_b32 v60, s5, 3
	s_load_dwordx2 s[4:5], s[0:1], 0xd8
	s_waitcnt lgkmcnt(0)
	v_writelane_b32 v60, s4, 4
	s_nop 1
	v_writelane_b32 v60, s5, 5
	s_load_dwordx2 s[4:5], s[0:1], 0x1b0
	s_mul_i32 s0, s6, s3
	s_mov_b32 s1, 0
	s_add_i32 s0, s0, s7
	s_lshl_b64 s[0:1], s[0:1], 3
	s_waitcnt lgkmcnt(0)
	s_add_u32 s66, s4, s0
	s_addc_u32 s67, s5, s1
	v_cmp_gt_u32_e64 s[0:1], s56, v0
	s_mov_b64 s[4:5], exec
	s_nop 0
	v_writelane_b32 v60, s0, 6
	s_nop 1
	v_writelane_b32 v60, s1, 7
	s_and_b64 s[0:1], s[4:5], s[0:1]
	s_mov_b64 exec, s[0:1]
	s_cbranch_execz .LBB115_14
; %bb.11:
	s_load_dword s0, s[8:9], 0xc
	v_mov_b32_e32 v5, 0
	v_mul_lo_u32 v4, v0, s58
	s_mov_b64 s[6:7], 0
	v_mov_b32_e32 v2, v5
	s_waitcnt lgkmcnt(0)
	s_and_b32 s0, s0, 0xffff
	s_mul_i32 s1, s58, s0
	v_mov_b32_e32 v1, v0
.LBB115_12:                             ; =>This Inner Loop Header: Depth=1
	v_lshl_add_u64 v[6:7], v[4:5], 3, s[66:67]
	global_load_dwordx2 v[6:7], v[6:7], off
	v_add_u32_e32 v1, s0, v1
	v_cmp_le_u32_e32 vcc, s56, v1
	s_or_b64 s[6:7], vcc, s[6:7]
	v_add_u32_e32 v4, s1, v4
	s_waitcnt vmcnt(0)
	v_cmp_u_f64_e32 vcc, v[6:7], v[6:7]
	s_nop 1
	v_addc_co_u32_e32 v2, vcc, 0, v2, vcc
	s_andn2_b64 exec, exec, s[6:7]
	s_cbranch_execnz .LBB115_12
; %bb.13:
	s_or_b64 exec, exec, s[6:7]
.LBB115_14:
	s_or_b64 exec, exec, s[4:5]
	v_cmp_eq_u32_e64 s[16:17], 0, v0
	s_and_saveexec_b64 s[4:5], s[16:17]
; %bb.15:
	v_mov_b32_e32 v4, 0
	v_mov_b32_e32 v5, v4
	ds_write_b64 v4, v[4:5] offset:4096
; %bb.16:
	s_or_b64 exec, exec, s[4:5]
	v_cmp_ne_u32_e32 vcc, 0, v2
	s_waitcnt lgkmcnt(0)
	s_barrier
	s_and_saveexec_b64 s[4:5], vcc
	s_cbranch_execz .LBB115_21
; %bb.17:
	s_mov_b64 s[12:13], exec
	v_mov_b32_e32 v1, 0
	s_mov_b64 s[6:7], 0
.LBB115_18:                             ; =>This Inner Loop Header: Depth=1
	s_ff1_i32_b64 s0, s[12:13]
	v_readlane_b32 s3, v2, s0
	v_readlane_b32 s1, v1, s0
	s_add_u32 s6, s6, s3
	s_addc_u32 s7, s7, s1
	s_lshl_b64 s[0:1], 1, s0
	s_andn2_b64 s[12:13], s[12:13], s[0:1]
	s_cmp_lg_u64 s[12:13], 0
	s_cbranch_scc1 .LBB115_18
; %bb.19:
	v_mbcnt_lo_u32_b32 v1, exec_lo, 0
	v_mbcnt_hi_u32_b32 v1, exec_hi, v1
	v_cmp_eq_u32_e32 vcc, 0, v1
	s_and_saveexec_b64 s[0:1], vcc
	s_xor_b64 s[0:1], exec, s[0:1]
; %bb.20:
	v_mov_b32_e32 v1, 0
	v_mov_b64_e32 v[2:3], s[6:7]
	ds_add_u64 v1, v[2:3] offset:4096
.LBB115_21:
	s_or_b64 exec, exec, s[4:5]
	v_mov_b32_e32 v1, 0
	s_waitcnt lgkmcnt(0)
	s_barrier
	ds_read_b64 v[2:3], v1 offset:4096
	s_bitcmp1_b32 s59, 0
	s_cselect_b64 s[0:1], -1, 0
	s_mov_b32 s3, s56
	s_waitcnt lgkmcnt(0)
	v_readfirstlane_b32 s4, v2
	v_readfirstlane_b32 s5, v3
	s_nop 1
	v_cmp_lt_i64_e64 s[6:7], s[4:5], 1
	s_or_b64 s[0:1], s[0:1], s[6:7]
	s_andn2_b64 vcc, exec, s[0:1]
	s_cbranch_vccnz .LBB115_23
; %bb.22:
	s_not_b64 s[0:1], s[4:5]
	s_add_u32 s0, s0, s56
	s_addc_u32 s1, s1, 0
	s_lshr_b32 s3, s1, 31
	s_add_u32 s0, s0, s3
	s_addc_u32 s1, s1, 0
	s_lshr_b64 s[0:1], s[0:1], 1
	s_add_i32 s3, s0, 1
.LBB115_23:
	s_and_saveexec_b64 s[4:5], s[16:17]
	s_cbranch_execz .LBB115_25
; %bb.24:
	v_mov_b32_e32 v2, 0
	v_mov_b32_e32 v3, s56
	ds_write_b32 v2, v2 offset:4112
	ds_write_b64 v2, v[2:3] offset:4104
.LBB115_25:
	s_or_b64 exec, exec, s[4:5]
	s_waitcnt lgkmcnt(0)
	s_barrier
	s_load_dword s0, s[8:9], 0xc
	v_mbcnt_lo_u32_b32 v1, -1, 0
	v_mbcnt_hi_u32_b32 v34, -1, v1
	v_cmp_gt_u32_e32 vcc, 64, v0
	v_cmp_gt_i32_e64 s[6:7], 4, v34
	s_waitcnt lgkmcnt(0)
	s_and_b32 s59, s0, 0xffff
	s_add_i32 s86, s59, -1
	s_lshl_b32 s60, s59, 2
	s_and_b64 s[72:73], vcc, s[6:7]
	s_add_i32 s1, s86, s56
	s_cmpk_gt_u32 s56, 0x180
	s_cselect_b64 s[12:13], -1, 0
	s_cmp_gt_u32 s59, 63
	s_cselect_b64 s[76:77], -1, 0
	s_cmp_lt_u32 s2, s10
	s_cselect_b32 s2, 12, 18
	v_writelane_b32 v60, s12, 8
	s_add_u32 s8, s8, s2
	s_addc_u32 s9, s9, 0
	v_writelane_b32 v60, s13, 9
	v_writelane_b32 v60, s8, 10
	v_lshlrev_b64 v[2:3], v34, -1
	v_not_b32_e32 v22, v2
	v_writelane_b32 v60, s9, 11
	s_bfe_u32 s8, s0, 0xa0006
	v_lshrrev_b32_e32 v2, 2, v0
	s_add_i32 s0, s8, -2
	v_and_b32_e32 v2, 0xf0, v2
	s_lshr_b32 s2, s0, 1
	v_or_b32_e32 v37, 0xc00, v2
	s_add_i32 s2, s2, 1
	v_cvt_f32_u32_e32 v2, s60
	s_cmpk_gt_u32 s59, 0x7f
	s_cselect_b64 s[10:11], -1, 0
	v_writelane_b32 v60, s10, 12
	s_and_b32 s9, s8, 0x3fe
	v_rcp_iflag_f32_e32 v2, v2
	v_writelane_b32 v60, s11, 13
	s_and_b32 s10, s2, 7
	s_cmp_gt_u32 s0, 13
	s_cselect_b64 s[12:13], -1, 0
	v_writelane_b32 v60, s12, 14
	s_and_b32 s0, s2, -8
	v_mul_f32_e32 v2, 0x4f7ffffe, v2
	v_writelane_b32 v60, s13, 15
	v_writelane_b32 v60, s0, 16
	s_cmp_lg_u32 s10, 0
	v_cvt_u32_f32_e32 v2, v2
	v_writelane_b32 v60, s10, 17
	s_cselect_b64 s[10:11], -1, 0
	v_writelane_b32 v60, s10, 18
	s_cmp_lg_u32 s9, s8
	v_readfirstlane_b32 s2, v2
	v_writelane_b32 v60, s11, 19
	v_writelane_b32 v60, s8, 20
	v_cvt_f32_u32_e32 v2, s59
	v_writelane_b32 v60, s9, 21
	s_cselect_b64 s[8:9], -1, 0
	s_sub_i32 s0, 0, s60
	s_mul_i32 s0, s0, s2
	s_mul_hi_u32 s0, s2, s0
	s_add_i32 s78, s2, s0
	v_rcp_iflag_f32_e32 v2, v2
	s_mul_hi_u32 s0, s56, s78
	s_mul_i32 s0, s0, s60
	s_sub_i32 s0, s56, s0
	s_sub_i32 s2, s0, s60
	v_mul_f32_e32 v2, 0x4f7ffffe, v2
	s_cmp_ge_u32 s0, s60
	v_cvt_u32_f32_e32 v2, v2
	s_cselect_b32 s0, s2, s0
	s_sub_i32 s2, s0, s60
	s_cmp_ge_u32 s0, s60
	s_cselect_b32 s0, s2, s0
	s_sub_i32 s2, 0, s59
	v_readfirstlane_b32 s12, v2
	s_mul_i32 s2, s2, s12
	s_mul_hi_u32 s2, s12, s2
	s_add_i32 s87, s12, s2
	s_mul_hi_u32 s2, s1, s87
	s_mul_i32 s2, s2, s59
	s_sub_i32 s2, s1, s2
	s_sub_i32 s79, s56, s0
	;; [unrolled: 1-line block ×3, first 2 shown]
	s_cmp_ge_u32 s2, s59
	s_cselect_b32 s2, s12, s2
	v_lshlrev_b32_e32 v23, 2, v0
	s_sub_i32 s12, s2, s59
	s_cmp_ge_u32 s2, s59
	v_mul_lo_u32 v2, s58, v23
	s_cselect_b32 s2, s12, s2
	v_add_u32_e32 v39, s58, v2
	v_or_b32_e32 v2, 2, v23
	v_writelane_b32 v60, s8, 22
	s_sub_i32 s80, s1, s2
	v_mul_lo_u32 v40, s58, v2
	v_or_b32_e32 v2, 3, v23
	s_add_i32 s1, s59, s56
	v_mov_b32_e32 v19, 0
	v_writelane_b32 v60, s9, 23
	v_add_u32_e32 v38, s79, v0
	v_cmp_gt_u32_e64 s[12:13], s80, v0
	v_mul_lo_u32 v41, s58, v2
	v_add_u32_e32 v2, s1, v0
	s_mov_b32 s14, 0
	v_lshlrev_b32_e32 v35, 3, v0
	v_mul_lo_u32 v16, s58, v0
	v_mov_b32_e32 v17, v19
	v_lshlrev_b32_e32 v4, 2, v34
	v_mul_lo_u32 v18, v38, s58
	v_writelane_b32 v60, s12, 24
	s_mul_i32 s62, s58, s59
	v_subrev_u32_e32 v2, s0, v2
	s_mov_b32 s15, 1
	v_cmp_eq_u32_e64 s[4:5], 0, v34
	v_cmp_gt_u32_e64 s[6:7], 2, v0
	v_add_u32_e32 v36, 0xc00, v35
	v_lshl_add_u64 v[20:21], v[16:17], 3, s[66:67]
	v_and_b32_e32 v17, 0x100, v4
	v_not_b32_e32 v1, v3
	v_cmp_gt_u32_e64 s[8:9], s79, v23
	v_cmp_gt_u32_e64 s[10:11], s56, v38
	v_lshl_add_u64 v[24:25], v[18:19], 3, s[66:67]
	v_writelane_b32 v60, s13, 25
	s_lshl_b32 s81, s62, 2
	v_lshlrev_b32_e32 v42, 2, v16
	v_mul_lo_u32 v43, s58, v2
	v_lshlrev_b32_e32 v44, 5, v0
	s_lshl_b32 s0, s59, 5
	s_lshl_b32 s1, s59, 3
	v_or_b32_e32 v45, 0xc00, v4
	s_mov_b32 s12, 62
	v_mov_b64_e32 v[6:7], 0
	s_mov_b64 s[88:89], 0
	v_mov_b32_e32 v47, s3
	v_mov_b64_e32 v[26:27], 0
	v_mov_b64_e32 v[28:29], 0
	v_mov_b32_e32 v49, s56
	v_mov_b32_e32 v3, 0x3ff00000
	;; [unrolled: 1-line block ×5, first 2 shown]
	s_mov_b32 s13, s14
                                        ; implicit-def: $sgpr90_sgpr91
                                        ; implicit-def: $sgpr94_sgpr95
                                        ; implicit-def: $sgpr92_sgpr93
                                        ; implicit-def: $sgpr98_sgpr99
                                        ; implicit-def: $sgpr64_sgpr65
                                        ; implicit-def: $sgpr96_sgpr97
	s_branch .LBB115_29
.LBB115_26:                             ;   in Loop: Header=BB115_29 Depth=1
	s_or_b64 exec, exec, s[26:27]
	s_and_b64 s[20:21], s[20:21], exec
	s_andn2_b64 s[24:25], s[24:25], exec
	s_andn2_b64 s[22:23], s[22:23], exec
	s_orn2_b64 s[18:19], s[18:19], exec
.LBB115_27:                             ;   in Loop: Header=BB115_29 Depth=1
	s_or_b64 exec, exec, s[2:3]
	s_andn2_b64 s[2:3], s[96:97], exec
	s_and_b64 s[12:13], s[20:21], exec
	s_or_b64 s[96:97], s[2:3], s[12:13]
	s_andn2_b64 s[2:3], s[64:65], exec
	s_and_b64 s[12:13], s[24:25], exec
	s_or_b64 s[64:65], s[2:3], s[12:13]
	;; [unrolled: 3-line block ×3, first 2 shown]
	s_orn2_b64 s[18:19], s[18:19], exec
.LBB115_28:                             ;   in Loop: Header=BB115_29 Depth=1
	s_or_b64 exec, exec, s[14:15]
	s_and_b64 s[2:3], exec, s[18:19]
	s_or_b64 s[88:89], s[2:3], s[88:89]
	s_andn2_b64 s[2:3], s[92:93], exec
	s_and_b64 s[12:13], s[96:97], exec
	s_or_b64 s[92:93], s[2:3], s[12:13]
	s_andn2_b64 s[2:3], s[94:95], exec
	s_and_b64 s[12:13], s[64:65], exec
	s_or_b64 s[94:95], s[2:3], s[12:13]
	s_andn2_b64 s[2:3], s[90:91], exec
	s_and_b64 s[12:13], s[98:99], exec
	s_or_b64 s[90:91], s[2:3], s[12:13]
	s_mov_b32 s13, s31
	s_mov_b32 s12, s30
	v_mov_b32_e32 v47, v9
	s_andn2_b64 exec, exec, s[88:89]
	s_cbranch_execz .LBB115_261
.LBB115_29:                             ; =>This Loop Header: Depth=1
                                        ;     Child Loop BB115_35 Depth 2
                                        ;     Child Loop BB115_48 Depth 2
	;; [unrolled: 1-line block ×17, first 2 shown]
	ds_read_b64 v[4:5], v19 offset:4104
	s_waitcnt lgkmcnt(0)
	v_readfirstlane_b32 s74, v4
	s_cmp_lg_u32 s74, 0
	s_cbranch_scc1 .LBB115_56
; %bb.30:                               ;   in Loop: Header=BB115_29 Depth=1
	v_readlane_b32 s2, v60, 8
	v_readlane_b32 s3, v60, 9
	s_and_b64 vcc, exec, s[2:3]
	s_cbranch_vccz .LBB115_43
; %bb.31:                               ;   in Loop: Header=BB115_29 Depth=1
	s_movk_i32 s2, 0x181
	v_cmp_gt_u32_e32 vcc, s2, v5
	s_mov_b64 s[18:19], 0
	s_mov_b64 s[2:3], 0
	s_cbranch_vccz .LBB115_44
; %bb.32:                               ;   in Loop: Header=BB115_29 Depth=1
	s_mov_b64 s[20:21], exec
	v_readlane_b32 s2, v60, 6
	v_readlane_b32 s3, v60, 7
	s_and_b64 s[2:3], s[20:21], s[2:3]
	s_mov_b64 exec, s[2:3]
	s_cbranch_execz .LBB115_87
; %bb.33:                               ;   in Loop: Header=BB115_29 Depth=1
	v_readlane_b32 s2, v60, 10
	v_readlane_b32 s3, v60, 11
	s_nop 4
	global_load_ushort v2, v19, s[2:3]
	global_load_dwordx2 v[4:5], v[20:21], off
	s_mov_b64 s[22:23], 0
	v_mov_b32_e32 v11, v0
	s_waitcnt vmcnt(1)
	v_add_u32_e32 v8, v0, v2
	v_mul_lo_u32 v10, s58, v2
	v_mul_lo_u32 v18, s58, v8
	s_branch .LBB115_35
.LBB115_34:                             ;   in Loop: Header=BB115_35 Depth=2
	s_or_b64 exec, exec, s[2:3]
	v_add_u32_e32 v18, v18, v10
	v_mov_b64_e32 v[4:5], v[8:9]
	s_andn2_b64 exec, exec, s[22:23]
	s_cbranch_execz .LBB115_87
.LBB115_35:                             ;   Parent Loop BB115_29 Depth=1
                                        ; =>  This Inner Loop Header: Depth=2
	v_add_u32_e32 v11, v11, v2
	v_cmp_gt_u32_e64 s[2:3], s56, v11
	v_cmp_le_u32_e32 vcc, s56, v11
	v_mov_b64_e32 v[8:9], 0
	s_and_saveexec_b64 s[14:15], s[2:3]
	s_cbranch_execz .LBB115_37
; %bb.36:                               ;   in Loop: Header=BB115_35 Depth=2
	v_lshl_add_u64 v[8:9], v[18:19], 3, s[66:67]
	global_load_dwordx2 v[8:9], v[8:9], off
.LBB115_37:                             ;   in Loop: Header=BB115_35 Depth=2
	s_or_b64 exec, exec, s[14:15]
	s_waitcnt vmcnt(0) lgkmcnt(0)
	v_ashrrev_i32_e32 v12, 31, v5
	v_or_b32_e32 v13, 0x80000000, v12
	v_xor_b32_e32 v13, v13, v5
	v_xor_b32_e32 v12, v12, v4
	v_cmp_o_f64_e64 s[2:3], v[4:5], v[4:5]
	s_nop 1
	v_cndmask_b32_e64 v13, -1, v13, s[2:3]
	v_cndmask_b32_e64 v12, -1, v12, s[2:3]
	v_and_b32_e32 v13, v13, v29
	v_and_b32_e32 v12, v12, v28
	v_cmp_eq_u64_e64 s[14:15], v[12:13], v[26:27]
	s_cmp_lg_u64 s[14:15], 0
	s_cselect_b64 s[2:3], -1, 0
	s_and_b64 s[2:3], s[4:5], s[2:3]
	v_mov_b32_e32 v12, 0
	s_and_saveexec_b64 s[24:25], s[2:3]
	s_cbranch_execz .LBB115_41
; %bb.38:                               ;   in Loop: Header=BB115_35 Depth=2
	s_mov_b64 s[28:29], exec
	v_mbcnt_lo_u32_b32 v12, s28, 0
	v_mbcnt_hi_u32_b32 v12, s29, v12
	s_bcnt1_i32_b64 s30, s[14:15]
	v_cmp_eq_u32_e64 s[2:3], 0, v12
                                        ; implicit-def: $vgpr13
	s_and_saveexec_b64 s[26:27], s[2:3]
; %bb.39:                               ;   in Loop: Header=BB115_35 Depth=2
	s_bcnt1_i32_b64 s2, s[28:29]
	s_mul_i32 s2, s30, s2
	v_mov_b32_e32 v13, s2
	ds_add_rtn_u32 v13, v19, v13 offset:4112
; %bb.40:                               ;   in Loop: Header=BB115_35 Depth=2
	s_or_b64 exec, exec, s[26:27]
	s_waitcnt lgkmcnt(0)
	v_readfirstlane_b32 s2, v13
	s_nop 1
	v_mov_b32_e32 v13, s2
	v_mad_u32_u24 v12, s30, v12, v13
.LBB115_41:                             ;   in Loop: Header=BB115_35 Depth=2
	s_or_b64 exec, exec, s[24:25]
	ds_bpermute_b32 v12, v17, v12
	s_and_b64 s[2:3], exec, vcc
	s_or_b64 s[22:23], s[2:3], s[22:23]
	s_and_saveexec_b64 s[2:3], s[14:15]
	s_cbranch_execz .LBB115_34
; %bb.42:                               ;   in Loop: Header=BB115_35 Depth=2
	v_and_b32_e32 v14, s14, v22
	v_and_b32_e32 v13, s15, v1
	v_bcnt_u32_b32 v14, v14, 0
	v_bcnt_u32_b32 v13, v13, v14
	v_lshlrev_b32_e32 v13, 3, v13
	s_waitcnt lgkmcnt(0)
	v_lshl_add_u32 v12, v12, 3, v13
	ds_write_b64 v12, v[4:5]
	s_branch .LBB115_34
.LBB115_43:                             ;   in Loop: Header=BB115_29 Depth=1
	s_mov_b64 s[18:19], -1
	s_mov_b64 s[2:3], 0
.LBB115_44:                             ;   in Loop: Header=BB115_29 Depth=1
	s_and_b64 vcc, exec, s[18:19]
	s_cbranch_vccz .LBB115_54
.LBB115_45:                             ;   in Loop: Header=BB115_29 Depth=1
	s_mov_b64 s[2:3], exec
	v_readlane_b32 s14, v60, 6
	v_readlane_b32 s15, v60, 7
	s_and_b64 s[14:15], s[2:3], s[14:15]
	s_mov_b64 exec, s[14:15]
	s_cbranch_execz .LBB115_51
; %bb.46:                               ;   in Loop: Header=BB115_29 Depth=1
	v_readlane_b32 s14, v60, 10
	v_readlane_b32 s15, v60, 11
	s_nop 4
	global_load_ushort v2, v19, s[14:15]
	global_load_dwordx2 v[4:5], v[20:21], off
	v_mov_b32_e32 v10, v0
	s_waitcnt vmcnt(1)
	v_add_u32_e32 v8, v0, v2
	v_cmp_gt_u32_e32 vcc, s56, v8
	s_and_saveexec_b64 s[14:15], vcc
	s_cbranch_execz .LBB115_50
; %bb.47:                               ;   in Loop: Header=BB115_29 Depth=1
	v_lshlrev_b32_e32 v11, 3, v2
	v_mul_lo_u32 v18, s58, v8
	v_mul_lo_u32 v12, s58, v2
	s_mov_b64 s[18:19], 0
	v_mov_b32_e32 v13, v35
	v_mov_b32_e32 v10, v0
.LBB115_48:                             ;   Parent Loop BB115_29 Depth=1
                                        ; =>  This Inner Loop Header: Depth=2
	v_lshl_add_u64 v[8:9], v[18:19], 3, s[66:67]
	global_load_dwordx2 v[8:9], v[8:9], off
	v_add_u32_e32 v10, v10, v2
	s_waitcnt vmcnt(1)
	ds_write_b64 v13, v[4:5]
	v_add_u32_e32 v4, v2, v10
	v_cmp_le_u32_e32 vcc, s56, v4
	v_add_u32_e32 v13, v13, v11
	v_add_u32_e32 v18, v18, v12
	s_or_b64 s[18:19], vcc, s[18:19]
	s_waitcnt vmcnt(0)
	v_mov_b64_e32 v[4:5], v[8:9]
	s_andn2_b64 exec, exec, s[18:19]
	s_cbranch_execnz .LBB115_48
; %bb.49:                               ;   in Loop: Header=BB115_29 Depth=1
	s_or_b64 exec, exec, s[18:19]
	v_mov_b64_e32 v[4:5], v[8:9]
.LBB115_50:                             ;   in Loop: Header=BB115_29 Depth=1
	s_or_b64 exec, exec, s[14:15]
	v_lshlrev_b32_e32 v2, 3, v10
	s_waitcnt vmcnt(0)
	ds_write_b64 v2, v[4:5]
.LBB115_51:                             ;   in Loop: Header=BB115_29 Depth=1
	s_or_b64 exec, exec, s[2:3]
	s_waitcnt lgkmcnt(0)
	s_barrier
	s_and_saveexec_b64 s[2:3], s[16:17]
; %bb.52:                               ;   in Loop: Header=BB115_29 Depth=1
	ds_write_b32 v19, v49 offset:4104
; %bb.53:                               ;   in Loop: Header=BB115_29 Depth=1
	s_or_b64 exec, exec, s[2:3]
	s_mov_b64 s[2:3], -1
	s_waitcnt lgkmcnt(0)
	s_barrier
.LBB115_54:                             ;   in Loop: Header=BB115_29 Depth=1
	s_mov_b32 s74, 0
	s_and_b64 vcc, exec, s[2:3]
	s_cbranch_vccz .LBB115_56
; %bb.55:                               ;   in Loop: Header=BB115_29 Depth=1
	ds_read_b32 v2, v19 offset:4104
	s_waitcnt lgkmcnt(0)
	v_readfirstlane_b32 s74, v2
.LBB115_56:                             ;   in Loop: Header=BB115_29 Depth=1
	s_cmp_lt_i32 s74, 1
	s_mov_b64 s[2:3], -1
                                        ; implicit-def: $vgpr10_vgpr11
	s_cbranch_scc1 .LBB115_66
; %bb.57:                               ;   in Loop: Header=BB115_29 Depth=1
	s_and_b64 vcc, exec, s[2:3]
	s_cbranch_vccnz .LBB115_77
.LBB115_58:                             ;   in Loop: Header=BB115_29 Depth=1
	s_lshl_b32 s18, s13, 6
	s_and_saveexec_b64 s[2:3], s[4:5]
.LBB115_59:                             ;   in Loop: Header=BB115_29 Depth=1
	v_lshl_add_u32 v2, s18, 2, v37
	ds_write_b128 v2, v[8:11]
.LBB115_60:                             ;   in Loop: Header=BB115_29 Depth=1
	s_or_b64 exec, exec, s[2:3]
	s_waitcnt lgkmcnt(0)
	s_barrier
	s_and_saveexec_b64 s[2:3], s[72:73]
	s_cbranch_execz .LBB115_97
; %bb.61:                               ;   in Loop: Header=BB115_29 Depth=1
	v_add_u32_e32 v2, s18, v34
	s_andn2_b64 vcc, exec, s[76:77]
	v_mov_b32_e32 v4, 0
	s_cbranch_vccnz .LBB115_96
; %bb.62:                               ;   in Loop: Header=BB115_29 Depth=1
	v_readlane_b32 s14, v60, 12
	v_readlane_b32 s15, v60, 13
	s_andn2_b64 vcc, exec, s[14:15]
	s_cbranch_vccnz .LBB115_86
; %bb.63:                               ;   in Loop: Header=BB115_29 Depth=1
	v_readlane_b32 s14, v60, 14
	v_readlane_b32 s15, v60, 15
	s_andn2_b64 vcc, exec, s[14:15]
	v_lshl_add_u32 v8, v2, 2, v46
	s_cbranch_vccnz .LBB115_90
; %bb.64:                               ;   in Loop: Header=BB115_29 Depth=1
	s_mov_b32 s15, 1
	s_mov_b32 s14, 0
	v_mov_b32_e32 v4, 0
	v_mov_b32_e32 v5, 0
	v_readlane_b32 s19, v60, 16
.LBB115_65:                             ;   Parent Loop BB115_29 Depth=1
                                        ; =>  This Inner Loop Header: Depth=2
	v_lshl_add_u32 v9, s14, 4, v8
	v_lshl_add_u32 v18, s15, 4, v8
	ds_read2_b32 v[10:11], v9 offset1:8
	ds_read2_b32 v[12:13], v18 offset1:8
	ds_read2_b32 v[14:15], v9 offset0:16 offset1:24
	ds_read2_b32 v[30:31], v18 offset0:16 offset1:24
	;; [unrolled: 1-line block ×6, first 2 shown]
	s_waitcnt lgkmcnt(7)
	v_add3_u32 v4, v10, v4, v11
	s_waitcnt lgkmcnt(6)
	v_add3_u32 v5, v12, v5, v13
	;; [unrolled: 2-line block ×3, first 2 shown]
	v_add3_u32 v4, v14, v4, v15
	s_add_i32 s15, s15, 16
	s_add_i32 s14, s14, 16
	s_add_i32 s19, s19, -8
	s_waitcnt lgkmcnt(3)
	v_add3_u32 v4, v32, v4, v33
	s_waitcnt lgkmcnt(2)
	v_add3_u32 v5, v52, v5, v53
	s_cmp_lg_u32 s19, 0
	s_waitcnt lgkmcnt(0)
	v_add3_u32 v5, v56, v5, v57
	v_add3_u32 v4, v54, v4, v55
	s_cbranch_scc1 .LBB115_65
	s_branch .LBB115_91
.LBB115_66:                             ;   in Loop: Header=BB115_29 Depth=1
	v_mov_b32_e32 v18, v19
	v_mov_b64_e32 v[10:11], v[18:19]
	v_mov_b64_e32 v[8:9], v[18:19]
	s_and_saveexec_b64 s[44:45], s[8:9]
	s_cbranch_execz .LBB115_70
; %bb.67:                               ;   in Loop: Header=BB115_29 Depth=1
	s_mov_b32 s52, 0
	s_mov_b64 s[46:47], 0
	v_mov_b32_e32 v2, v23
	s_mov_b32 s50, 0
	s_mov_b32 s51, s52
	;; [unrolled: 1-line block ×4, first 2 shown]
.LBB115_68:                             ;   Parent Loop BB115_29 Depth=1
                                        ; =>  This Inner Loop Header: Depth=2
	v_add_u32_e32 v18, s52, v42
	v_lshl_add_u64 v[12:13], v[18:19], 3, s[66:67]
	v_add_u32_e32 v18, s52, v39
	global_load_dwordx2 v[12:13], v[12:13], off
	v_lshl_add_u64 v[14:15], v[18:19], 3, s[66:67]
	v_add_u32_e32 v18, s52, v40
	global_load_dwordx2 v[14:15], v[14:15], off
	v_lshl_add_u64 v[30:31], v[18:19], 3, s[66:67]
	global_load_dwordx2 v[30:31], v[30:31], off
	v_add_u32_e32 v18, s52, v41
	v_lshl_add_u64 v[32:33], v[18:19], 3, s[66:67]
	global_load_dwordx2 v[32:33], v[32:33], off
	v_mov_b32_e32 v11, v19
	v_mov_b32_e32 v9, v19
	;; [unrolled: 1-line block ×3, first 2 shown]
	v_add_u32_e32 v2, s60, v2
	v_cmp_le_u32_e32 vcc, s79, v2
	s_add_i32 s52, s52, s81
	s_waitcnt vmcnt(3)
	v_ashrrev_i32_e32 v4, 31, v13
	v_xor_b32_e32 v8, v4, v12
	v_or_b32_e32 v4, 0x80000000, v4
	s_waitcnt vmcnt(2)
	v_ashrrev_i32_e32 v10, 31, v15
	v_cmp_o_f64_e64 s[2:3], v[12:13], v[12:13]
	v_xor_b32_e32 v18, v10, v14
	v_cmp_o_f64_e64 s[14:15], v[14:15], v[14:15]
	v_xor_b32_e32 v4, v4, v13
	v_or_b32_e32 v10, 0x80000000, v10
	s_waitcnt vmcnt(1)
	v_ashrrev_i32_e32 v14, 31, v31
	v_cndmask_b32_e64 v12, -1, v8, s[2:3]
	v_cndmask_b32_e64 v13, -1, v4, s[2:3]
	v_xor_b32_e32 v4, v10, v15
	v_or_b32_e32 v10, 0x80000000, v14
	v_xor_b32_e32 v8, v14, v30
	v_cmp_o_f64_e64 s[18:19], v[30:31], v[30:31]
	v_and_b32_e32 v30, v12, v28
	v_cndmask_b32_e64 v15, -1, v4, s[14:15]
	v_xor_b32_e32 v4, v10, v31
	v_and_b32_e32 v31, v13, v29
	v_lshrrev_b64 v[12:13], s12, v[12:13]
	s_waitcnt vmcnt(0)
	v_ashrrev_i32_e32 v48, 31, v33
	v_cndmask_b32_e64 v14, -1, v18, s[14:15]
	v_and_b32_e32 v18, 3, v12
	v_or_b32_e32 v10, 0x80000000, v48
	v_cndmask_b32_e64 v52, -1, v8, s[18:19]
	v_cndmask_b32_e64 v53, -1, v4, s[18:19]
	v_cmp_eq_u64_e64 s[14:15], v[30:31], v[26:27]
	v_lshrrev_b64 v[12:13], s12, v[14:15]
	v_cmp_eq_u64_e64 s[18:19], 0, v[18:19]
	v_xor_b32_e32 v54, v48, v32
	v_cmp_o_f64_e64 s[2:3], v[32:33], v[32:33]
	v_xor_b32_e32 v4, v10, v33
	v_and_b32_e32 v10, 3, v12
	v_cmp_eq_u64_e64 s[20:21], 1, v[18:19]
	s_and_b64 s[18:19], s[14:15], s[18:19]
	v_and_b32_e32 v32, v14, v28
	v_and_b32_e32 v33, v15, v29
	v_cndmask_b32_e64 v14, -1, v54, s[2:3]
	v_cndmask_b32_e64 v15, -1, v4, s[2:3]
	v_lshrrev_b64 v[12:13], s12, v[52:53]
	v_cmp_eq_u64_e64 s[22:23], 2, v[18:19]
	v_cmp_eq_u64_e64 s[28:29], 0, v[10:11]
	;; [unrolled: 1-line block ×5, first 2 shown]
	v_cndmask_b32_e64 v10, 0, 1, s[18:19]
	s_and_b64 s[18:19], s[14:15], s[20:21]
	v_and_b32_e32 v30, v52, v28
	v_cmp_eq_u64_e64 s[2:3], v[32:33], v[26:27]
	v_and_b32_e32 v31, v53, v29
	v_cmp_eq_u64_e64 s[24:25], 3, v[18:19]
	v_and_b32_e32 v8, 3, v12
	v_lshrrev_b64 v[12:13], s12, v[14:15]
	v_cndmask_b32_e64 v11, 0, 1, s[18:19]
	s_and_b64 s[18:19], s[14:15], s[22:23]
	v_cmp_eq_u64_e64 s[26:27], v[30:31], v[26:27]
	v_cndmask_b32_e64 v13, 0, 1, s[18:19]
	s_and_b64 s[14:15], s[14:15], s[24:25]
	v_cmp_eq_u64_e64 s[18:19], 0, v[8:9]
	v_cmp_eq_u64_e64 s[20:21], 1, v[8:9]
	s_and_b64 s[30:31], s[2:3], s[30:31]
	s_and_b64 s[34:35], s[2:3], s[34:35]
	v_and_b32_e32 v32, v14, v28
	v_and_b32_e32 v33, v15, v29
	v_cndmask_b32_e64 v14, 0, 1, s[14:15]
	v_and_b32_e32 v4, 3, v12
	v_cmp_eq_u64_e64 s[22:23], 2, v[8:9]
	v_cmp_eq_u64_e64 s[24:25], 3, v[8:9]
	v_cmp_ne_u32_e64 s[38:39], 0, v10
	s_and_b64 s[28:29], s[2:3], s[28:29]
	v_cndmask_b32_e64 v9, 0, 1, s[30:31]
	v_cndmask_b32_e64 v10, 0, 1, s[34:35]
	s_and_b64 s[2:3], s[2:3], s[36:37]
	s_and_b64 s[18:19], s[26:27], s[18:19]
	;; [unrolled: 1-line block ×3, first 2 shown]
	v_cmp_eq_u64_e64 s[14:15], v[32:33], v[26:27]
	v_cndmask_b32_e64 v8, 0, 1, s[28:29]
	v_cmp_ne_u32_e64 s[28:29], 0, v11
	v_cmp_ne_u32_e64 s[30:31], 0, v13
	;; [unrolled: 1-line block ×3, first 2 shown]
	v_cndmask_b32_e64 v11, 0, 1, s[2:3]
	v_cmp_eq_u64_e64 s[2:3], 0, v[4:5]
	v_cmp_eq_u64_e64 s[36:37], 1, v[4:5]
	;; [unrolled: 1-line block ×4, first 2 shown]
	v_cndmask_b32_e64 v4, 0, 1, s[18:19]
	v_cmp_ne_u32_e64 s[18:19], 0, v9
	v_cndmask_b32_e64 v5, 0, 1, s[20:21]
	v_cmp_ne_u32_e64 s[20:21], 0, v10
	s_and_b64 s[22:23], s[26:27], s[22:23]
	s_and_b64 s[24:25], s[26:27], s[24:25]
	s_bcnt1_i32_b64 s53, s[38:39]
	v_cmp_ne_u32_e64 s[38:39], 0, v8
	s_bcnt1_i32_b64 s28, s[28:29]
	s_bcnt1_i32_b64 s29, s[30:31]
	v_cndmask_b32_e64 v8, 0, 1, s[22:23]
	s_bcnt1_i32_b64 s30, s[34:35]
	v_cmp_ne_u32_e64 s[22:23], 0, v11
	v_cndmask_b32_e64 v9, 0, 1, s[24:25]
	s_and_b64 s[2:3], s[14:15], s[2:3]
	s_bcnt1_i32_b64 s27, s[18:19]
	s_and_b64 s[18:19], s[14:15], s[36:37]
	s_bcnt1_i32_b64 s34, s[20:21]
	s_and_b64 s[20:21], s[14:15], s[40:41]
	s_and_b64 s[14:15], s[14:15], s[42:43]
	s_bcnt1_i32_b64 s26, s[38:39]
	v_cmp_ne_u32_e64 s[24:25], 0, v4
	v_cndmask_b32_e64 v4, 0, 1, s[2:3]
	v_cmp_ne_u32_e64 s[2:3], 0, v5
	v_cndmask_b32_e64 v5, 0, 1, s[18:19]
	s_add_i32 s31, s50, s53
	s_add_i32 s28, s51, s28
	v_cmp_ne_u32_e64 s[18:19], 0, v8
	v_cndmask_b32_e64 v8, 0, 1, s[20:21]
	s_bcnt1_i32_b64 s22, s[22:23]
	v_cmp_ne_u32_e64 s[20:21], 0, v9
	v_cndmask_b32_e64 v9, 0, 1, s[14:15]
	s_add_i32 s23, s48, s29
	s_add_i32 s29, s49, s30
	s_bcnt1_i32_b64 s24, s[24:25]
	v_cmp_ne_u32_e64 s[14:15], 0, v4
	s_bcnt1_i32_b64 s25, s[2:3]
	v_cmp_ne_u32_e64 s[2:3], 0, v5
	s_add_i32 s27, s28, s27
	s_add_i32 s26, s31, s26
	s_bcnt1_i32_b64 s28, s[18:19]
	v_cmp_ne_u32_e64 s[18:19], 0, v8
	s_bcnt1_i32_b64 s30, s[20:21]
	v_cmp_ne_u32_e64 s[20:21], 0, v9
	s_add_i32 s22, s29, s22
	s_add_i32 s23, s23, s34
	s_bcnt1_i32_b64 s14, s[14:15]
	s_bcnt1_i32_b64 s2, s[2:3]
	s_add_i32 s3, s26, s24
	s_add_i32 s15, s27, s25
	s_bcnt1_i32_b64 s18, s[18:19]
	s_bcnt1_i32_b64 s19, s[20:21]
	s_add_i32 s20, s23, s28
	s_add_i32 s21, s22, s30
	;; [unrolled: 1-line block ×6, first 2 shown]
	s_or_b64 s[46:47], vcc, s[46:47]
	v_mov_b64_e32 v[8:9], s[50:51]
	v_mov_b64_e32 v[10:11], s[48:49]
	s_andn2_b64 exec, exec, s[46:47]
	s_cbranch_execnz .LBB115_68
; %bb.69:                               ;   in Loop: Header=BB115_29 Depth=1
	s_or_b64 exec, exec, s[46:47]
.LBB115_70:                             ;   in Loop: Header=BB115_29 Depth=1
	s_or_b64 exec, exec, s[44:45]
	s_and_saveexec_b64 s[14:15], s[10:11]
	s_cbranch_execz .LBB115_76
; %bb.71:                               ;   in Loop: Header=BB115_29 Depth=1
	global_load_dwordx2 v[14:15], v[24:25], off
	s_mov_b64 s[18:19], 0
	v_mov_b32_e32 v4, v43
	v_mov_b32_e32 v2, v38
	s_branch .LBB115_73
.LBB115_72:                             ;   in Loop: Header=BB115_73 Depth=2
	s_or_b64 exec, exec, s[20:21]
	s_waitcnt vmcnt(0)
	v_ashrrev_i32_e32 v5, 31, v15
	v_or_b32_e32 v18, 0x80000000, v5
	s_and_b64 s[2:3], exec, vcc
	v_xor_b32_e32 v18, v18, v15
	v_xor_b32_e32 v5, v5, v14
	v_cmp_o_f64_e32 vcc, v[14:15], v[14:15]
	s_or_b64 s[18:19], s[2:3], s[18:19]
	v_add_u32_e32 v4, s62, v4
	v_cndmask_b32_e32 v15, -1, v18, vcc
	v_cndmask_b32_e32 v14, -1, v5, vcc
	v_and_b32_e32 v31, v15, v29
	v_and_b32_e32 v30, v14, v28
	v_lshrrev_b64 v[14:15], s12, v[14:15]
	v_and_b32_e32 v18, 3, v14
	v_cmp_eq_u64_e32 vcc, v[30:31], v[26:27]
	v_cmp_eq_u64_e64 s[2:3], 0, v[18:19]
	s_and_b64 s[2:3], vcc, s[2:3]
	v_mov_b64_e32 v[14:15], v[12:13]
	v_cndmask_b32_e64 v5, 0, 1, s[2:3]
	v_cmp_ne_u32_e64 s[2:3], 0, v5
	s_bcnt1_i32_b64 s20, s[2:3]
	v_cmp_eq_u64_e64 s[2:3], 1, v[18:19]
	s_and_b64 s[2:3], vcc, s[2:3]
	v_add_u32_e32 v8, s20, v8
	v_cndmask_b32_e64 v5, 0, 1, s[2:3]
	v_cmp_ne_u32_e64 s[2:3], 0, v5
	s_bcnt1_i32_b64 s2, s[2:3]
	s_nop 0
	v_add_u32_e32 v9, s2, v9
	v_cmp_eq_u64_e64 s[2:3], 2, v[18:19]
	s_and_b64 s[2:3], vcc, s[2:3]
	s_nop 0
	v_cndmask_b32_e64 v5, 0, 1, s[2:3]
	v_cmp_ne_u32_e64 s[2:3], 0, v5
	s_bcnt1_i32_b64 s20, s[2:3]
	v_cmp_eq_u64_e64 s[2:3], 3, v[18:19]
	s_and_b64 s[2:3], vcc, s[2:3]
	v_add_u32_e32 v10, s20, v10
	v_cndmask_b32_e64 v5, 0, 1, s[2:3]
	v_cmp_ne_u32_e32 vcc, 0, v5
	s_bcnt1_i32_b64 s2, vcc
	v_add_u32_e32 v11, s2, v11
	s_andn2_b64 exec, exec, s[18:19]
	s_cbranch_execz .LBB115_75
.LBB115_73:                             ;   Parent Loop BB115_29 Depth=1
                                        ; =>  This Inner Loop Header: Depth=2
	v_add_u32_e32 v2, s59, v2
	v_cmp_gt_u32_e64 s[2:3], s56, v2
	v_cmp_le_u32_e32 vcc, s56, v2
	v_mov_b64_e32 v[12:13], 0
	s_and_saveexec_b64 s[20:21], s[2:3]
	s_cbranch_execz .LBB115_72
; %bb.74:                               ;   in Loop: Header=BB115_73 Depth=2
	v_mov_b32_e32 v5, v19
	v_lshl_add_u64 v[12:13], v[4:5], 3, s[66:67]
	global_load_dwordx2 v[12:13], v[12:13], off
	s_branch .LBB115_72
.LBB115_75:                             ;   in Loop: Header=BB115_29 Depth=1
	s_or_b64 exec, exec, s[18:19]
.LBB115_76:                             ;   in Loop: Header=BB115_29 Depth=1
	s_or_b64 exec, exec, s[14:15]
	s_branch .LBB115_58
.LBB115_77:                             ;   in Loop: Header=BB115_29 Depth=1
	s_mul_hi_u32 s2, s74, s78
	s_mul_i32 s2, s2, s60
	s_sub_i32 s2, s74, s2
	s_sub_i32 s3, s2, s60
	s_cmp_ge_u32 s2, s60
	s_cselect_b32 s2, s3, s2
	s_sub_i32 s3, s2, s60
	s_cmp_ge_u32 s2, s60
	s_cselect_b32 s2, s3, s2
	s_sub_i32 s75, s74, s2
	v_mov_b32_e32 v18, v19
	v_cmp_gt_u32_e32 vcc, s75, v23
	v_mov_b64_e32 v[10:11], v[18:19]
	v_mov_b64_e32 v[8:9], v[18:19]
	s_and_saveexec_b64 s[68:69], vcc
	s_cbranch_execz .LBB115_81
; %bb.78:                               ;   in Loop: Header=BB115_29 Depth=1
	s_mov_b32 s84, 0
	s_mov_b64 s[70:71], 0
	v_mov_b32_e32 v2, v44
	v_mov_b32_e32 v48, v23
	s_mov_b32 s85, s84
	s_mov_b32 s82, s84
	;; [unrolled: 1-line block ×3, first 2 shown]
.LBB115_79:                             ;   Parent Loop BB115_29 Depth=1
                                        ; =>  This Inner Loop Header: Depth=2
	ds_read_b128 v[12:15], v2
	ds_read_b128 v[8:11], v2 offset:16
	v_mov_b32_e32 v5, v19
	v_mov_b32_e32 v31, v19
	;; [unrolled: 1-line block ×3, first 2 shown]
	s_waitcnt lgkmcnt(1)
	v_ashrrev_i32_e32 v4, 31, v13
	v_ashrrev_i32_e32 v18, 31, v15
	s_waitcnt lgkmcnt(0)
	v_ashrrev_i32_e32 v30, 31, v9
	v_ashrrev_i32_e32 v32, 31, v11
	v_xor_b32_e32 v52, v18, v14
	v_cmp_o_f64_e64 s[2:3], v[14:15], v[14:15]
	v_xor_b32_e32 v14, v30, v8
	v_cmp_o_f64_e64 s[14:15], v[8:9], v[8:9]
	v_xor_b32_e32 v8, v4, v12
	v_or_b32_e32 v4, 0x80000000, v4
	v_xor_b32_e32 v53, v32, v10
	v_cmp_o_f64_e64 s[18:19], v[10:11], v[10:11]
	v_cmp_o_f64_e64 s[20:21], v[12:13], v[12:13]
	v_or_b32_e32 v10, 0x80000000, v18
	v_or_b32_e32 v12, 0x80000000, v30
	v_xor_b32_e32 v4, v4, v13
	v_or_b32_e32 v18, 0x80000000, v32
	v_xor_b32_e32 v13, v10, v15
	v_xor_b32_e32 v15, v12, v9
	v_cndmask_b32_e64 v8, -1, v8, s[20:21]
	v_cndmask_b32_e64 v9, -1, v4, s[20:21]
	v_xor_b32_e32 v18, v18, v11
	v_cndmask_b32_e64 v10, -1, v52, s[2:3]
	v_cndmask_b32_e64 v12, -1, v14, s[14:15]
	;; [unrolled: 1-line block ×4, first 2 shown]
	v_and_b32_e32 v52, v8, v28
	v_and_b32_e32 v53, v9, v29
	v_lshrrev_b64 v[8:9], s12, v[8:9]
	v_cndmask_b32_e64 v13, -1, v15, s[14:15]
	v_cndmask_b32_e64 v15, -1, v18, s[18:19]
	v_and_b32_e32 v54, v10, v28
	v_and_b32_e32 v55, v11, v29
	v_lshrrev_b64 v[10:11], s12, v[10:11]
	v_and_b32_e32 v18, 3, v8
	v_and_b32_e32 v56, v12, v28
	;; [unrolled: 1-line block ×3, first 2 shown]
	v_lshrrev_b64 v[12:13], s12, v[12:13]
	v_cmp_eq_u64_e64 s[2:3], v[52:53], v[26:27]
	v_and_b32_e32 v4, 3, v10
	v_cmp_eq_u64_e64 s[22:23], 0, v[18:19]
	v_and_b32_e32 v58, v14, v28
	v_and_b32_e32 v59, v15, v29
	v_lshrrev_b64 v[14:15], s12, v[14:15]
	v_cmp_eq_u64_e64 s[14:15], v[54:55], v[26:27]
	v_and_b32_e32 v30, 3, v12
	v_cmp_eq_u64_e64 s[24:25], 0, v[4:5]
	s_and_b64 s[22:23], s[2:3], s[22:23]
	v_cmp_eq_u64_e64 s[18:19], v[56:57], v[26:27]
	v_and_b32_e32 v32, 3, v14
	v_cmp_eq_u64_e64 s[26:27], 0, v[30:31]
	v_cmp_eq_u64_e64 s[34:35], 1, v[4:5]
	;; [unrolled: 1-line block ×4, first 2 shown]
	v_cndmask_b32_e64 v4, 0, 1, s[22:23]
	s_and_b64 s[22:23], s[14:15], s[24:25]
	v_cmp_eq_u64_e64 s[20:21], v[58:59], v[26:27]
	v_cmp_eq_u64_e64 s[28:29], 0, v[32:33]
	v_cndmask_b32_e64 v5, 0, 1, s[22:23]
	s_and_b64 s[22:23], s[18:19], s[26:27]
	v_cmp_eq_u64_e64 s[30:31], 1, v[18:19]
	v_cndmask_b32_e64 v8, 0, 1, s[22:23]
	s_and_b64 s[22:23], s[20:21], s[28:29]
	v_cndmask_b32_e64 v9, 0, 1, s[22:23]
	s_and_b64 s[22:23], s[2:3], s[30:31]
	v_cmp_eq_u64_e64 s[36:37], 1, v[30:31]
	v_cndmask_b32_e64 v10, 0, 1, s[22:23]
	s_and_b64 s[22:23], s[14:15], s[34:35]
	v_cmp_eq_u64_e64 s[38:39], 1, v[32:33]
	;; [unrolled: 3-line block ×3, first 2 shown]
	v_cmp_eq_u64_e64 s[48:49], 3, v[18:19]
	v_cndmask_b32_e64 v12, 0, 1, s[22:23]
	s_and_b64 s[22:23], s[20:21], s[38:39]
	v_cndmask_b32_e64 v13, 0, 1, s[22:23]
	s_and_b64 s[22:23], s[2:3], s[40:41]
	s_and_b64 s[2:3], s[2:3], s[48:49]
	v_cmp_eq_u64_e64 s[44:45], 2, v[30:31]
	v_cmp_eq_u64_e64 s[52:53], 3, v[30:31]
	v_cndmask_b32_e64 v14, 0, 1, s[22:23]
	s_and_b64 s[22:23], s[14:15], s[42:43]
	v_cndmask_b32_e64 v31, 0, 1, s[2:3]
	s_and_b64 s[2:3], s[14:15], s[50:51]
	v_cmp_eq_u64_e64 s[46:47], 2, v[32:33]
	v_cmp_eq_u64_e64 s[54:55], 3, v[32:33]
	v_cndmask_b32_e64 v15, 0, 1, s[22:23]
	s_and_b64 s[22:23], s[18:19], s[44:45]
	v_cndmask_b32_e64 v32, 0, 1, s[2:3]
	s_and_b64 s[2:3], s[18:19], s[52:53]
	;; [unrolled: 2-line block ×4, first 2 shown]
	v_cndmask_b32_e64 v30, 0, 1, s[22:23]
	v_cndmask_b32_e64 v52, 0, 1, s[2:3]
	v_cmp_ne_u32_e64 s[2:3], 0, v4
	v_cmp_ne_u32_e64 s[14:15], 0, v5
	;; [unrolled: 1-line block ×11, first 2 shown]
	s_bcnt1_i32_b64 s2, s[2:3]
	s_bcnt1_i32_b64 s3, s[14:15]
	;; [unrolled: 1-line block ×8, first 2 shown]
	v_cmp_ne_u32_e64 s[28:29], 0, v13
	v_cmp_ne_u32_e64 s[36:37], 0, v18
	;; [unrolled: 1-line block ×3, first 2 shown]
	s_bcnt1_i32_b64 s19, s[24:25]
	s_bcnt1_i32_b64 s23, s[34:35]
	;; [unrolled: 1-line block ×3, first 2 shown]
	s_add_i32 s2, s84, s2
	s_add_i32 s18, s85, s18
	;; [unrolled: 1-line block ×4, first 2 shown]
	v_cmp_ne_u32_e64 s[38:39], 0, v30
	v_cmp_ne_u32_e64 s[46:47], 0, v52
	s_bcnt1_i32_b64 s21, s[28:29]
	s_bcnt1_i32_b64 s24, s[36:37]
	;; [unrolled: 1-line block ×3, first 2 shown]
	s_add_i32 s18, s18, s19
	s_add_i32 s2, s2, s3
	;; [unrolled: 1-line block ×4, first 2 shown]
	v_add_u32_e32 v48, s60, v48
	s_bcnt1_i32_b64 s25, s[38:39]
	s_bcnt1_i32_b64 s29, s[46:47]
	s_add_i32 s2, s2, s14
	s_add_i32 s14, s18, s20
	s_add_i32 s18, s19, s24
	s_add_i32 s3, s3, s28
	v_cmp_le_u32_e32 vcc, s75, v48
	s_add_i32 s85, s14, s21
	s_add_i32 s84, s2, s15
	;; [unrolled: 1-line block ×4, first 2 shown]
	v_add_u32_e32 v2, s0, v2
	s_or_b64 s[70:71], vcc, s[70:71]
	v_mov_b64_e32 v[8:9], s[84:85]
	v_mov_b64_e32 v[10:11], s[82:83]
	s_andn2_b64 exec, exec, s[70:71]
	s_cbranch_execnz .LBB115_79
; %bb.80:                               ;   in Loop: Header=BB115_29 Depth=1
	s_or_b64 exec, exec, s[70:71]
.LBB115_81:                             ;   in Loop: Header=BB115_29 Depth=1
	s_or_b64 exec, exec, s[68:69]
	v_add_u32_e32 v2, s75, v0
	v_cmp_gt_u32_e32 vcc, s74, v2
	s_and_saveexec_b64 s[24:25], vcc
	s_cbranch_execz .LBB115_85
; %bb.82:                               ;   in Loop: Header=BB115_29 Depth=1
	v_lshlrev_b32_e32 v4, 3, v2
	s_mov_b64 s[26:27], 0
.LBB115_83:                             ;   Parent Loop BB115_29 Depth=1
                                        ; =>  This Inner Loop Header: Depth=2
	ds_read_b64 v[12:13], v4
	v_add_u32_e32 v2, s59, v2
	v_cmp_le_u32_e32 vcc, s74, v2
	v_add_u32_e32 v4, s1, v4
	s_waitcnt lgkmcnt(0)
	v_ashrrev_i32_e32 v5, 31, v13
	v_or_b32_e32 v14, 0x80000000, v5
	v_xor_b32_e32 v5, v5, v12
	v_xor_b32_e32 v14, v14, v13
	v_cmp_o_f64_e64 s[2:3], v[12:13], v[12:13]
	s_nop 1
	v_cndmask_b32_e64 v13, -1, v14, s[2:3]
	v_cndmask_b32_e64 v12, -1, v5, s[2:3]
	v_and_b32_e32 v15, v13, v29
	v_and_b32_e32 v14, v12, v28
	v_lshrrev_b64 v[12:13], s12, v[12:13]
	v_and_b32_e32 v18, 3, v12
	v_cmp_eq_u64_e64 s[2:3], v[14:15], v[26:27]
	v_cmp_eq_u64_e64 s[14:15], 0, v[18:19]
	;; [unrolled: 1-line block ×3, first 2 shown]
	s_and_b64 s[14:15], s[2:3], s[14:15]
	v_cmp_eq_u64_e64 s[20:21], 2, v[18:19]
	v_cmp_eq_u64_e64 s[22:23], 3, v[18:19]
	v_cndmask_b32_e64 v5, 0, 1, s[14:15]
	s_and_b64 s[14:15], s[2:3], s[18:19]
	v_cndmask_b32_e64 v12, 0, 1, s[14:15]
	s_and_b64 s[14:15], s[2:3], s[20:21]
	s_and_b64 s[2:3], s[2:3], s[22:23]
	v_cndmask_b32_e64 v13, 0, 1, s[14:15]
	v_cndmask_b32_e64 v14, 0, 1, s[2:3]
	v_cmp_ne_u32_e64 s[2:3], 0, v5
	v_cmp_ne_u32_e64 s[14:15], 0, v12
	;; [unrolled: 1-line block ×4, first 2 shown]
	s_bcnt1_i32_b64 s2, s[2:3]
	s_bcnt1_i32_b64 s3, s[14:15]
	;; [unrolled: 1-line block ×4, first 2 shown]
	v_add_u32_e32 v9, s3, v9
	v_add_u32_e32 v8, s2, v8
	v_add_u32_e32 v11, s15, v11
	s_or_b64 s[26:27], vcc, s[26:27]
	v_add_u32_e32 v10, s14, v10
	s_andn2_b64 exec, exec, s[26:27]
	s_cbranch_execnz .LBB115_83
; %bb.84:                               ;   in Loop: Header=BB115_29 Depth=1
	s_or_b64 exec, exec, s[26:27]
.LBB115_85:                             ;   in Loop: Header=BB115_29 Depth=1
	s_or_b64 exec, exec, s[24:25]
	s_lshl_b32 s18, s13, 6
	s_and_saveexec_b64 s[2:3], s[4:5]
	s_cbranch_execnz .LBB115_59
	s_branch .LBB115_60
.LBB115_86:                             ;   in Loop: Header=BB115_29 Depth=1
	v_mov_b32_e32 v4, 0
	s_mov_b32 s19, 0
	s_cbranch_execnz .LBB115_94
	s_branch .LBB115_96
.LBB115_87:                             ;   in Loop: Header=BB115_29 Depth=1
	s_or_b64 exec, exec, s[20:21]
	s_waitcnt lgkmcnt(0)
	s_barrier
	s_and_saveexec_b64 s[2:3], s[16:17]
	s_cbranch_execz .LBB115_89
; %bb.88:                               ;   in Loop: Header=BB115_29 Depth=1
	ds_read_b32 v2, v19 offset:4112
	s_waitcnt lgkmcnt(0)
	ds_write_b32 v19, v2 offset:4104
.LBB115_89:                             ;   in Loop: Header=BB115_29 Depth=1
	s_or_b64 exec, exec, s[2:3]
	s_waitcnt lgkmcnt(0)
	s_barrier
	s_mov_b64 s[2:3], -1
	s_and_b64 vcc, exec, s[18:19]
	s_cbranch_vccnz .LBB115_45
	s_branch .LBB115_54
.LBB115_90:                             ;   in Loop: Header=BB115_29 Depth=1
	v_mov_b32_e32 v18, v19
	s_mov_b32 s14, 0
	v_mov_b64_e32 v[4:5], v[18:19]
	s_mov_b32 s15, 1
.LBB115_91:                             ;   in Loop: Header=BB115_29 Depth=1
	v_readlane_b32 s20, v60, 18
	v_readlane_b32 s21, v60, 19
	s_andn2_b64 vcc, exec, s[20:21]
	v_readlane_b32 s19, v60, 17
	s_cbranch_vccnz .LBB115_93
.LBB115_92:                             ;   Parent Loop BB115_29 Depth=1
                                        ; =>  This Inner Loop Header: Depth=2
	v_lshl_add_u32 v9, s14, 4, v8
	v_lshl_add_u32 v10, s15, 4, v8
	ds_read_b32 v10, v10
	ds_read_b32 v9, v9
	s_add_i32 s15, s15, 2
	s_add_i32 s14, s14, 2
	s_add_i32 s19, s19, -1
	s_cmp_lg_u32 s19, 0
	s_waitcnt lgkmcnt(1)
	v_add_u32_e32 v5, v10, v5
	s_waitcnt lgkmcnt(0)
	v_add_u32_e32 v4, v9, v4
	s_cbranch_scc1 .LBB115_92
.LBB115_93:                             ;   in Loop: Header=BB115_29 Depth=1
	v_readlane_b32 s14, v60, 22
	v_add_u32_e32 v4, v4, v5
	v_readlane_b32 s19, v60, 21
	v_readlane_b32 s15, v60, 23
	s_and_b64 vcc, exec, s[14:15]
	s_cbranch_vccz .LBB115_96
.LBB115_94:                             ;   in Loop: Header=BB115_29 Depth=1
	s_lshl_b32 s14, s13, 8
	s_lshl_b32 s15, s19, 4
	s_add_i32 s14, s14, s15
	v_add_u32_e32 v5, s14, v45
	v_readlane_b32 s14, v60, 20
	s_sub_i32 s14, s14, s19
.LBB115_95:                             ;   Parent Loop BB115_29 Depth=1
                                        ; =>  This Inner Loop Header: Depth=2
	ds_read_b32 v8, v5
	s_add_i32 s14, s14, -1
	v_add_u32_e32 v5, 16, v5
	s_cmp_eq_u32 s14, 0
	s_waitcnt lgkmcnt(0)
	v_add_u32_e32 v4, v8, v4
	s_cbranch_scc0 .LBB115_95
.LBB115_96:                             ;   in Loop: Header=BB115_29 Depth=1
	v_lshlrev_b32_e32 v2, 2, v2
	ds_write_b32 v2, v4 offset:3072
.LBB115_97:                             ;   in Loop: Header=BB115_29 Depth=1
	s_or_b64 exec, exec, s[2:3]
	s_lshl_b32 s2, s18, 2
	v_mov_b32_e32 v2, s2
	s_waitcnt lgkmcnt(0)
	s_barrier
	ds_read_b128 v[8:11], v2 offset:3072
	s_lshl_b64 s[2:3], 3, s12
	s_not_b64 s[26:27], s[2:3]
	v_cmp_eq_u32_e32 vcc, 1, v47
	s_mov_b64 s[18:19], -1
	s_waitcnt lgkmcnt(0)
	v_readfirstlane_b32 s42, v8
	s_cmp_eq_u32 s42, 1
	s_cselect_b64 s[14:15], -1, 0
	v_readfirstlane_b32 s46, v9
	v_readfirstlane_b32 s54, v10
	;; [unrolled: 1-line block ×3, first 2 shown]
	s_and_b64 s[20:21], s[14:15], vcc
	s_mov_b64 s[28:29], -1
                                        ; implicit-def: $sgpr24_sgpr25
                                        ; implicit-def: $sgpr22_sgpr23
	s_and_saveexec_b64 s[14:15], s[20:21]
	s_cbranch_execz .LBB115_125
; %bb.98:                               ;   in Loop: Header=BB115_29 Depth=1
	ds_read_b32 v2, v19 offset:4104
	s_waitcnt lgkmcnt(0)
	s_barrier
	v_readfirstlane_b32 s43, v2
	s_and_saveexec_b64 s[22:23], s[6:7]
; %bb.99:                               ;   in Loop: Header=BB115_29 Depth=1
	ds_write_b64 v36, v[50:51]
; %bb.100:                              ;   in Loop: Header=BB115_29 Depth=1
	s_or_b64 exec, exec, s[22:23]
	v_and_b32_e32 v27, s27, v27
	v_and_b32_e32 v26, s26, v26
	v_or_b32_e32 v29, s3, v29
	v_or_b32_e32 v28, s2, v28
	s_mov_b64 s[22:23], -1
	s_mov_b64 s[24:25], 0
	s_cmp_eq_u32 s43, 0
	s_mov_b64 s[28:29], 0
	s_mov_b64 s[30:31], -1
	s_waitcnt lgkmcnt(0)
	s_barrier
                                        ; implicit-def: $vgpr6_vgpr7
	s_cbranch_scc1 .LBB115_112
; %bb.101:                              ;   in Loop: Header=BB115_29 Depth=1
	s_add_i32 s28, s43, s86
	s_mul_hi_u32 s29, s28, s87
	s_mul_i32 s29, s29, s59
	s_sub_i32 s29, s28, s29
	s_sub_i32 s30, s29, s59
	s_cmp_ge_u32 s29, s59
	s_cselect_b32 s29, s30, s29
	s_sub_i32 s30, s29, s59
	s_cmp_ge_u32 s29, s59
	s_cselect_b32 s29, s30, s29
	s_sub_i32 s44, s28, s29
	v_cmp_gt_u32_e32 vcc, s44, v0
	s_mov_b64 s[30:31], 0
	s_mov_b64 s[28:29], 0
                                        ; implicit-def: $vgpr6_vgpr7
	s_and_saveexec_b64 s[34:35], vcc
	s_cbranch_execz .LBB115_111
; %bb.102:                              ;   in Loop: Header=BB115_29 Depth=1
	v_mov_b32_e32 v8, v35
	v_mov_b32_e32 v9, v0
                                        ; implicit-def: $sgpr36_sgpr37
	s_branch .LBB115_106
.LBB115_103:                            ;   in Loop: Header=BB115_106 Depth=2
	s_or_b64 exec, exec, s[38:39]
	s_waitcnt lgkmcnt(0)
	s_barrier
	ds_read_b128 v[4:7], v19 offset:3072
	s_waitcnt lgkmcnt(0)
	s_barrier
	v_cmp_neq_f64_e32 vcc, 0, v[4:5]
	s_cbranch_vccnz .LBB115_109
; %bb.104:                              ;   in Loop: Header=BB115_106 Depth=2
	v_add_u32_e32 v9, s59, v9
	v_cmp_le_u32_e32 vcc, s44, v9
	v_add_u32_e32 v8, s1, v8
	s_mov_b64 s[38:39], 0
	s_orn2_b64 s[40:41], vcc, exec
.LBB115_105:                            ;   in Loop: Header=BB115_106 Depth=2
	s_and_b64 s[40:41], exec, s[40:41]
	s_or_b64 s[28:29], s[40:41], s[28:29]
	s_andn2_b64 s[36:37], s[36:37], exec
	s_and_b64 s[38:39], s[38:39], exec
	s_or_b64 s[36:37], s[36:37], s[38:39]
	s_andn2_b64 exec, exec, s[28:29]
	s_cbranch_execz .LBB115_110
.LBB115_106:                            ;   Parent Loop BB115_29 Depth=1
                                        ; =>  This Inner Loop Header: Depth=2
	v_cmp_gt_u32_e32 vcc, s43, v9
	s_and_saveexec_b64 s[38:39], vcc
	s_cbranch_execz .LBB115_103
; %bb.107:                              ;   in Loop: Header=BB115_106 Depth=2
	ds_read_b64 v[4:5], v8
	s_waitcnt lgkmcnt(0)
	v_ashrrev_i32_e32 v2, 31, v5
	v_or_b32_e32 v6, 0x80000000, v2
	v_xor_b32_e32 v2, v2, v4
	v_xor_b32_e32 v6, v6, v5
	v_cmp_o_f64_e32 vcc, v[4:5], v[4:5]
	s_nop 1
	v_cndmask_b32_e32 v2, -1, v2, vcc
	v_cndmask_b32_e32 v6, -1, v6, vcc
	v_and_b32_e32 v7, v6, v29
	v_and_b32_e32 v6, v2, v28
	v_cmp_eq_u64_e32 vcc, v[6:7], v[26:27]
	s_and_b64 exec, exec, vcc
	s_cbranch_execz .LBB115_103
; %bb.108:                              ;   in Loop: Header=BB115_106 Depth=2
	v_mov_b32_e32 v2, v19
	ds_write_b128 v19, v[2:5] offset:3072
	s_branch .LBB115_103
.LBB115_109:                            ;   in Loop: Header=BB115_106 Depth=2
	s_mov_b64 s[40:41], -1
                                        ; implicit-def: $vgpr9
                                        ; implicit-def: $vgpr8
	s_mov_b64 s[38:39], -1
	s_branch .LBB115_105
.LBB115_110:                            ;   in Loop: Header=BB115_29 Depth=1
	s_or_b64 exec, exec, s[28:29]
	s_and_b64 s[28:29], s[36:37], exec
.LBB115_111:                            ;   in Loop: Header=BB115_29 Depth=1
	s_or_b64 exec, exec, s[34:35]
.LBB115_112:                            ;   in Loop: Header=BB115_29 Depth=1
	s_and_b64 vcc, exec, s[30:31]
	s_cbranch_vccz .LBB115_124
; %bb.113:                              ;   in Loop: Header=BB115_29 Depth=1
                                        ; implicit-def: $vgpr6_vgpr7
	s_mov_b64 s[22:23], exec
	v_readlane_b32 s24, v60, 24
	v_readlane_b32 s25, v60, 25
	s_and_b64 s[24:25], s[22:23], s[24:25]
	s_mov_b64 exec, s[24:25]
	s_cbranch_execz .LBB115_123
; %bb.114:                              ;   in Loop: Header=BB115_29 Depth=1
	s_mov_b64 s[30:31], 0
	v_mov_b32_e32 v18, v16
	v_mov_b32_e32 v8, v0
                                        ; implicit-def: $sgpr24_sgpr25
	s_branch .LBB115_118
.LBB115_115:                            ;   in Loop: Header=BB115_118 Depth=2
	s_or_b64 exec, exec, s[34:35]
	s_waitcnt lgkmcnt(0)
	s_barrier
	ds_read_b128 v[4:7], v19 offset:3072
	s_waitcnt lgkmcnt(0)
	s_barrier
	v_cmp_neq_f64_e32 vcc, 0, v[4:5]
	s_cbranch_vccnz .LBB115_121
; %bb.116:                              ;   in Loop: Header=BB115_118 Depth=2
	v_add_u32_e32 v8, s59, v8
	v_cmp_le_u32_e32 vcc, s80, v8
	v_add_u32_e32 v18, s62, v18
	s_mov_b64 s[34:35], 0
	s_orn2_b64 s[36:37], vcc, exec
.LBB115_117:                            ;   in Loop: Header=BB115_118 Depth=2
	s_and_b64 s[36:37], exec, s[36:37]
	s_or_b64 s[30:31], s[36:37], s[30:31]
	s_andn2_b64 s[24:25], s[24:25], exec
	s_and_b64 s[34:35], s[34:35], exec
	s_or_b64 s[24:25], s[24:25], s[34:35]
	s_andn2_b64 exec, exec, s[30:31]
	s_cbranch_execz .LBB115_122
.LBB115_118:                            ;   Parent Loop BB115_29 Depth=1
                                        ; =>  This Inner Loop Header: Depth=2
	v_cmp_gt_u32_e32 vcc, s56, v8
	s_and_saveexec_b64 s[34:35], vcc
	s_cbranch_execz .LBB115_115
; %bb.119:                              ;   in Loop: Header=BB115_118 Depth=2
	v_lshl_add_u64 v[4:5], v[18:19], 3, s[66:67]
	global_load_dwordx2 v[4:5], v[4:5], off
	s_waitcnt vmcnt(0)
	v_ashrrev_i32_e32 v2, 31, v5
	v_or_b32_e32 v6, 0x80000000, v2
	v_xor_b32_e32 v2, v2, v4
	v_xor_b32_e32 v6, v6, v5
	v_cmp_o_f64_e32 vcc, v[4:5], v[4:5]
	s_nop 1
	v_cndmask_b32_e32 v2, -1, v2, vcc
	v_cndmask_b32_e32 v6, -1, v6, vcc
	v_and_b32_e32 v7, v6, v29
	v_and_b32_e32 v6, v2, v28
	v_cmp_eq_u64_e32 vcc, v[6:7], v[26:27]
	s_and_b64 exec, exec, vcc
	s_cbranch_execz .LBB115_115
; %bb.120:                              ;   in Loop: Header=BB115_118 Depth=2
	v_mov_b32_e32 v2, v19
	ds_write_b128 v19, v[2:5] offset:3072
	s_branch .LBB115_115
.LBB115_121:                            ;   in Loop: Header=BB115_118 Depth=2
	s_mov_b64 s[36:37], -1
                                        ; implicit-def: $vgpr8
	s_mov_b64 s[34:35], -1
	s_branch .LBB115_117
.LBB115_122:                            ;   in Loop: Header=BB115_29 Depth=1
	s_or_b64 exec, exec, s[30:31]
	s_andn2_b64 s[28:29], s[28:29], exec
	s_and_b64 s[24:25], s[24:25], exec
	s_or_b64 s[28:29], s[28:29], s[24:25]
.LBB115_123:                            ;   in Loop: Header=BB115_29 Depth=1
	s_or_b64 exec, exec, s[22:23]
	s_mov_b64 s[22:23], 0
	s_mov_b64 s[24:25], -1
.LBB115_124:                            ;   in Loop: Header=BB115_29 Depth=1
	s_orn2_b64 s[28:29], s[28:29], exec
.LBB115_125:                            ;   in Loop: Header=BB115_29 Depth=1
	s_or_b64 exec, exec, s[14:15]
	s_andn2_b64 s[14:15], s[64:65], exec
	s_and_b64 s[24:25], s[24:25], exec
	s_or_b64 s[64:65], s[14:15], s[24:25]
	s_andn2_b64 s[14:15], s[98:99], exec
	s_and_b64 s[22:23], s[22:23], exec
	v_readfirstlane_b32 s30, v0
	v_readfirstlane_b32 s31, v0
	s_andn2_b64 s[96:97], s[96:97], exec
	s_or_b64 s[98:99], s[14:15], s[22:23]
                                        ; implicit-def: $vgpr9
	s_and_saveexec_b64 s[14:15], s[28:29]
	s_cbranch_execz .LBB115_28
; %bb.126:                              ;   in Loop: Header=BB115_29 Depth=1
	s_xor_b64 s[22:23], s[20:21], -1
	s_mov_b64 s[20:21], 0
	v_mov_b32_e32 v9, 1
	v_mov_b32_e32 v8, 1
	s_and_saveexec_b64 s[18:19], s[22:23]
	s_cbranch_execz .LBB115_135
; %bb.127:                              ;   in Loop: Header=BB115_29 Depth=1
	v_cmp_ge_u32_e32 vcc, s42, v47
	s_and_saveexec_b64 s[20:21], vcc
	s_xor_b64 s[20:21], exec, s[20:21]
	s_cbranch_execz .LBB115_132
; %bb.128:                              ;   in Loop: Header=BB115_29 Depth=1
	ds_read_b32 v2, v19 offset:4104
	v_and_b32_e32 v27, s27, v27
	v_and_b32_e32 v26, s26, v26
	v_or_b32_e32 v29, s3, v29
	v_or_b32_e32 v28, s2, v28
	s_waitcnt lgkmcnt(0)
	v_cmp_ne_u32_e32 vcc, 0, v2
	s_cbranch_vccnz .LBB115_132
; %bb.129:                              ;   in Loop: Header=BB115_29 Depth=1
	s_and_saveexec_b64 s[22:23], s[16:17]
; %bb.130:                              ;   in Loop: Header=BB115_29 Depth=1
	v_mov_b32_e32 v2, s42
	ds_write_b32 v19, v2 offset:4108
; %bb.131:                              ;   in Loop: Header=BB115_29 Depth=1
	s_or_b64 exec, exec, s[22:23]
	s_waitcnt lgkmcnt(0)
	s_barrier
.LBB115_132:                            ;   in Loop: Header=BB115_29 Depth=1
	s_or_saveexec_b64 s[20:21], s[20:21]
	s_mov_b64 s[22:23], 0
	v_mov_b32_e32 v8, 8
	s_xor_b64 exec, exec, s[20:21]
; %bb.133:                              ;   in Loop: Header=BB115_29 Depth=1
	s_mov_b64 s[22:23], exec
	v_subrev_u32_e32 v47, s42, v47
	v_mov_b32_e32 v8, 0
; %bb.134:                              ;   in Loop: Header=BB115_29 Depth=1
	s_or_b64 exec, exec, s[20:21]
	s_and_b64 s[20:21], s[22:23], exec
	v_mov_b32_e32 v9, v47
.LBB115_135:                            ;   in Loop: Header=BB115_29 Depth=1
	s_or_b64 exec, exec, s[18:19]
	s_mov_b64 s[18:19], -1
	s_mov_b64 s[28:29], -1
                                        ; implicit-def: $sgpr22_sgpr23
                                        ; implicit-def: $sgpr24_sgpr25
	s_and_saveexec_b64 s[30:31], s[20:21]
	s_xor_b64 s[20:21], exec, s[30:31]
	s_cbranch_execz .LBB115_258
; %bb.136:                              ;   in Loop: Header=BB115_29 Depth=1
	s_cmp_eq_u32 s46, 1
	s_cselect_b64 s[22:23], -1, 0
	v_cmp_eq_u32_e32 vcc, 1, v9
	s_and_b64 s[30:31], s[22:23], vcc
	s_mov_b64 s[34:35], -1
                                        ; implicit-def: $sgpr24_sgpr25
                                        ; implicit-def: $sgpr22_sgpr23
	s_and_saveexec_b64 s[28:29], s[30:31]
	s_cbranch_execz .LBB115_164
; %bb.137:                              ;   in Loop: Header=BB115_29 Depth=1
	ds_read_b32 v2, v19 offset:4104
	s_waitcnt lgkmcnt(0)
	s_barrier
	v_readfirstlane_b32 s47, v2
	s_and_saveexec_b64 s[22:23], s[6:7]
; %bb.138:                              ;   in Loop: Header=BB115_29 Depth=1
	ds_write_b64 v36, v[50:51]
; %bb.139:                              ;   in Loop: Header=BB115_29 Depth=1
	s_or_b64 exec, exec, s[22:23]
	s_lshl_b64 s[22:23], 1, s12
	v_and_b32_e32 v2, s27, v27
	v_and_b32_e32 v4, s26, v26
	v_or_b32_e32 v27, s23, v2
	v_or_b32_e32 v26, s22, v4
	;; [unrolled: 1-line block ×4, first 2 shown]
	s_mov_b64 s[22:23], -1
	s_mov_b64 s[24:25], 0
	s_cmp_eq_u32 s47, 0
	s_mov_b64 s[34:35], 0
	s_mov_b64 s[36:37], -1
	s_waitcnt lgkmcnt(0)
	s_barrier
                                        ; implicit-def: $vgpr6_vgpr7
	s_cbranch_scc1 .LBB115_151
; %bb.140:                              ;   in Loop: Header=BB115_29 Depth=1
	s_add_i32 s34, s47, s86
	s_mul_hi_u32 s35, s34, s87
	s_mul_i32 s35, s35, s59
	s_sub_i32 s35, s34, s35
	s_sub_i32 s36, s35, s59
	s_cmp_ge_u32 s35, s59
	s_cselect_b32 s35, s36, s35
	s_sub_i32 s36, s35, s59
	s_cmp_ge_u32 s35, s59
	s_cselect_b32 s35, s36, s35
	s_sub_i32 s48, s34, s35
	v_cmp_gt_u32_e32 vcc, s48, v0
	s_mov_b64 s[36:37], 0
	s_mov_b64 s[34:35], 0
                                        ; implicit-def: $vgpr6_vgpr7
	s_and_saveexec_b64 s[38:39], vcc
	s_cbranch_execz .LBB115_150
; %bb.141:                              ;   in Loop: Header=BB115_29 Depth=1
	v_mov_b32_e32 v10, v35
	v_mov_b32_e32 v11, v0
                                        ; implicit-def: $sgpr40_sgpr41
	s_branch .LBB115_145
.LBB115_142:                            ;   in Loop: Header=BB115_145 Depth=2
	s_or_b64 exec, exec, s[42:43]
	s_waitcnt lgkmcnt(0)
	s_barrier
	ds_read_b128 v[4:7], v19 offset:3072
	s_waitcnt lgkmcnt(0)
	s_barrier
	v_cmp_neq_f64_e32 vcc, 0, v[4:5]
	s_cbranch_vccnz .LBB115_148
; %bb.143:                              ;   in Loop: Header=BB115_145 Depth=2
	v_add_u32_e32 v11, s59, v11
	v_cmp_le_u32_e32 vcc, s48, v11
	v_add_u32_e32 v10, s1, v10
	s_mov_b64 s[42:43], 0
	s_orn2_b64 s[44:45], vcc, exec
.LBB115_144:                            ;   in Loop: Header=BB115_145 Depth=2
	s_and_b64 s[44:45], exec, s[44:45]
	s_or_b64 s[34:35], s[44:45], s[34:35]
	s_andn2_b64 s[40:41], s[40:41], exec
	s_and_b64 s[42:43], s[42:43], exec
	s_or_b64 s[40:41], s[40:41], s[42:43]
	s_andn2_b64 exec, exec, s[34:35]
	s_cbranch_execz .LBB115_149
.LBB115_145:                            ;   Parent Loop BB115_29 Depth=1
                                        ; =>  This Inner Loop Header: Depth=2
	v_cmp_gt_u32_e32 vcc, s47, v11
	s_and_saveexec_b64 s[42:43], vcc
	s_cbranch_execz .LBB115_142
; %bb.146:                              ;   in Loop: Header=BB115_145 Depth=2
	ds_read_b64 v[4:5], v10
	s_waitcnt lgkmcnt(0)
	v_ashrrev_i32_e32 v2, 31, v5
	v_or_b32_e32 v6, 0x80000000, v2
	v_xor_b32_e32 v2, v2, v4
	v_xor_b32_e32 v6, v6, v5
	v_cmp_o_f64_e32 vcc, v[4:5], v[4:5]
	s_nop 1
	v_cndmask_b32_e32 v2, -1, v2, vcc
	v_cndmask_b32_e32 v6, -1, v6, vcc
	v_and_b32_e32 v7, v6, v29
	v_and_b32_e32 v6, v2, v28
	v_cmp_eq_u64_e32 vcc, v[6:7], v[26:27]
	s_and_b64 exec, exec, vcc
	s_cbranch_execz .LBB115_142
; %bb.147:                              ;   in Loop: Header=BB115_145 Depth=2
	v_mov_b32_e32 v2, v19
	ds_write_b128 v19, v[2:5] offset:3072
	s_branch .LBB115_142
.LBB115_148:                            ;   in Loop: Header=BB115_145 Depth=2
	s_mov_b64 s[44:45], -1
                                        ; implicit-def: $vgpr11
                                        ; implicit-def: $vgpr10
	s_mov_b64 s[42:43], -1
	s_branch .LBB115_144
.LBB115_149:                            ;   in Loop: Header=BB115_29 Depth=1
	s_or_b64 exec, exec, s[34:35]
	s_and_b64 s[34:35], s[40:41], exec
.LBB115_150:                            ;   in Loop: Header=BB115_29 Depth=1
	s_or_b64 exec, exec, s[38:39]
.LBB115_151:                            ;   in Loop: Header=BB115_29 Depth=1
	s_and_b64 vcc, exec, s[36:37]
	s_cbranch_vccz .LBB115_163
; %bb.152:                              ;   in Loop: Header=BB115_29 Depth=1
                                        ; implicit-def: $vgpr6_vgpr7
	s_mov_b64 s[22:23], exec
	v_readlane_b32 s24, v60, 24
	v_readlane_b32 s25, v60, 25
	s_and_b64 s[24:25], s[22:23], s[24:25]
	s_mov_b64 exec, s[24:25]
	s_cbranch_execz .LBB115_162
; %bb.153:                              ;   in Loop: Header=BB115_29 Depth=1
	s_mov_b64 s[24:25], 0
	v_mov_b32_e32 v18, v16
	v_mov_b32_e32 v10, v0
                                        ; implicit-def: $sgpr36_sgpr37
	s_branch .LBB115_157
.LBB115_154:                            ;   in Loop: Header=BB115_157 Depth=2
	s_or_b64 exec, exec, s[38:39]
	s_waitcnt lgkmcnt(0)
	s_barrier
	ds_read_b128 v[4:7], v19 offset:3072
	s_waitcnt lgkmcnt(0)
	s_barrier
	v_cmp_eq_f64_e32 vcc, 0, v[4:5]
	s_cbranch_vccz .LBB115_160
; %bb.155:                              ;   in Loop: Header=BB115_157 Depth=2
	v_add_u32_e32 v10, s59, v10
	v_cmp_le_u32_e32 vcc, s80, v10
	v_add_u32_e32 v18, s62, v18
	s_mov_b64 s[38:39], 0
	s_orn2_b64 s[40:41], vcc, exec
.LBB115_156:                            ;   in Loop: Header=BB115_157 Depth=2
	s_and_b64 s[40:41], exec, s[40:41]
	s_or_b64 s[24:25], s[40:41], s[24:25]
	s_andn2_b64 s[36:37], s[36:37], exec
	s_and_b64 s[38:39], s[38:39], exec
	s_or_b64 s[36:37], s[36:37], s[38:39]
	s_andn2_b64 exec, exec, s[24:25]
	s_cbranch_execz .LBB115_161
.LBB115_157:                            ;   Parent Loop BB115_29 Depth=1
                                        ; =>  This Inner Loop Header: Depth=2
	v_cmp_gt_u32_e32 vcc, s56, v10
	s_and_saveexec_b64 s[38:39], vcc
	s_cbranch_execz .LBB115_154
; %bb.158:                              ;   in Loop: Header=BB115_157 Depth=2
	v_lshl_add_u64 v[4:5], v[18:19], 3, s[66:67]
	global_load_dwordx2 v[4:5], v[4:5], off
	s_waitcnt vmcnt(0)
	v_ashrrev_i32_e32 v2, 31, v5
	v_or_b32_e32 v6, 0x80000000, v2
	v_xor_b32_e32 v2, v2, v4
	v_xor_b32_e32 v6, v6, v5
	v_cmp_o_f64_e32 vcc, v[4:5], v[4:5]
	s_nop 1
	v_cndmask_b32_e32 v2, -1, v2, vcc
	v_cndmask_b32_e32 v6, -1, v6, vcc
	v_and_b32_e32 v7, v6, v29
	v_and_b32_e32 v6, v2, v28
	v_cmp_eq_u64_e32 vcc, v[6:7], v[26:27]
	s_and_b64 exec, exec, vcc
	s_cbranch_execz .LBB115_154
; %bb.159:                              ;   in Loop: Header=BB115_157 Depth=2
	v_mov_b32_e32 v2, v19
	ds_write_b128 v19, v[2:5] offset:3072
	s_branch .LBB115_154
.LBB115_160:                            ;   in Loop: Header=BB115_157 Depth=2
	s_mov_b64 s[40:41], -1
                                        ; implicit-def: $vgpr10
	s_mov_b64 s[38:39], -1
	s_branch .LBB115_156
.LBB115_161:                            ;   in Loop: Header=BB115_29 Depth=1
	s_or_b64 exec, exec, s[24:25]
	s_andn2_b64 s[24:25], s[34:35], exec
	s_and_b64 s[34:35], s[36:37], exec
	s_or_b64 s[34:35], s[24:25], s[34:35]
.LBB115_162:                            ;   in Loop: Header=BB115_29 Depth=1
	s_or_b64 exec, exec, s[22:23]
	s_mov_b64 s[22:23], 0
	s_mov_b64 s[24:25], -1
.LBB115_163:                            ;   in Loop: Header=BB115_29 Depth=1
	s_orn2_b64 s[34:35], s[34:35], exec
.LBB115_164:                            ;   in Loop: Header=BB115_29 Depth=1
	s_or_b64 exec, exec, s[28:29]
	s_mov_b64 s[36:37], 0
	s_and_saveexec_b64 s[28:29], s[34:35]
	s_cbranch_execz .LBB115_257
; %bb.165:                              ;   in Loop: Header=BB115_29 Depth=1
	s_xor_b64 s[34:35], s[30:31], -1
	s_mov_b64 s[40:41], 0
	v_mov_b32_e32 v10, 1
	v_mov_b32_e32 v8, 1
	s_and_saveexec_b64 s[30:31], s[34:35]
	s_cbranch_execz .LBB115_174
; %bb.166:                              ;   in Loop: Header=BB115_29 Depth=1
	v_cmp_ge_u32_e32 vcc, s46, v9
	s_and_saveexec_b64 s[34:35], vcc
	s_xor_b64 s[34:35], exec, s[34:35]
	s_cbranch_execz .LBB115_171
; %bb.167:                              ;   in Loop: Header=BB115_29 Depth=1
	ds_read_b32 v4, v19 offset:4104
	s_lshl_b64 s[36:37], 1, s12
	v_and_b32_e32 v2, s27, v27
	v_and_b32_e32 v5, s26, v26
	v_or_b32_e32 v27, s37, v2
	s_waitcnt lgkmcnt(0)
	v_cmp_ne_u32_e32 vcc, 0, v4
	v_or_b32_e32 v26, s36, v5
	v_or_b32_e32 v29, s3, v29
	;; [unrolled: 1-line block ×3, first 2 shown]
	s_cbranch_vccnz .LBB115_171
; %bb.168:                              ;   in Loop: Header=BB115_29 Depth=1
	s_and_saveexec_b64 s[36:37], s[16:17]
; %bb.169:                              ;   in Loop: Header=BB115_29 Depth=1
	v_mov_b32_e32 v2, s46
	ds_write_b32 v19, v2 offset:4108
; %bb.170:                              ;   in Loop: Header=BB115_29 Depth=1
	s_or_b64 exec, exec, s[36:37]
	s_waitcnt lgkmcnt(0)
	s_barrier
.LBB115_171:                            ;   in Loop: Header=BB115_29 Depth=1
	s_or_saveexec_b64 s[34:35], s[34:35]
	s_mov_b64 s[36:37], 0
	v_mov_b32_e32 v8, 8
	s_xor_b64 exec, exec, s[34:35]
; %bb.172:                              ;   in Loop: Header=BB115_29 Depth=1
	s_mov_b64 s[36:37], exec
	v_subrev_u32_e32 v9, s46, v9
	v_mov_b32_e32 v8, 0
; %bb.173:                              ;   in Loop: Header=BB115_29 Depth=1
	s_or_b64 exec, exec, s[34:35]
	s_and_b64 s[40:41], s[36:37], exec
	v_mov_b32_e32 v10, v9
.LBB115_174:                            ;   in Loop: Header=BB115_29 Depth=1
	s_or_b64 exec, exec, s[30:31]
	s_mov_b64 s[38:39], -1
                                        ; implicit-def: $sgpr34_sgpr35
                                        ; implicit-def: $sgpr36_sgpr37
	s_and_saveexec_b64 s[30:31], s[40:41]
	s_cbranch_execz .LBB115_256
; %bb.175:                              ;   in Loop: Header=BB115_29 Depth=1
	s_cmp_eq_u32 s54, 1
	s_cselect_b64 s[34:35], -1, 0
	v_cmp_eq_u32_e32 vcc, 1, v10
	s_and_b64 s[40:41], s[34:35], vcc
	s_mov_b64 s[42:43], -1
                                        ; implicit-def: $sgpr36_sgpr37
                                        ; implicit-def: $sgpr34_sgpr35
	s_and_saveexec_b64 s[38:39], s[40:41]
	s_cbranch_execz .LBB115_203
; %bb.176:                              ;   in Loop: Header=BB115_29 Depth=1
	ds_read_b32 v2, v19 offset:4104
	s_waitcnt lgkmcnt(0)
	s_barrier
	v_readfirstlane_b32 s55, v2
	s_and_saveexec_b64 s[34:35], s[6:7]
; %bb.177:                              ;   in Loop: Header=BB115_29 Depth=1
	ds_write_b64 v36, v[50:51]
; %bb.178:                              ;   in Loop: Header=BB115_29 Depth=1
	s_or_b64 exec, exec, s[34:35]
	s_lshl_b64 s[34:35], 2, s12
	v_and_b32_e32 v2, s27, v27
	v_and_b32_e32 v4, s26, v26
	v_or_b32_e32 v27, s35, v2
	v_or_b32_e32 v26, s34, v4
	;; [unrolled: 1-line block ×4, first 2 shown]
	s_mov_b64 s[34:35], -1
	s_mov_b64 s[36:37], 0
	s_cmp_eq_u32 s55, 0
	s_mov_b64 s[42:43], 0
	s_mov_b64 s[44:45], -1
	s_waitcnt lgkmcnt(0)
	s_barrier
                                        ; implicit-def: $vgpr6_vgpr7
	s_cbranch_scc1 .LBB115_190
; %bb.179:                              ;   in Loop: Header=BB115_29 Depth=1
	s_add_i32 s42, s55, s86
	s_mul_hi_u32 s43, s42, s87
	s_mul_i32 s43, s43, s59
	s_sub_i32 s43, s42, s43
	s_sub_i32 s44, s43, s59
	s_cmp_ge_u32 s43, s59
	s_cselect_b32 s43, s44, s43
	s_sub_i32 s44, s43, s59
	s_cmp_ge_u32 s43, s59
	s_cselect_b32 s43, s44, s43
	s_sub_i32 s68, s42, s43
	v_cmp_gt_u32_e32 vcc, s68, v0
	s_mov_b64 s[44:45], 0
	s_mov_b64 s[42:43], 0
                                        ; implicit-def: $vgpr6_vgpr7
	s_and_saveexec_b64 s[46:47], vcc
	s_cbranch_execz .LBB115_189
; %bb.180:                              ;   in Loop: Header=BB115_29 Depth=1
	v_mov_b32_e32 v9, v35
	v_mov_b32_e32 v11, v0
                                        ; implicit-def: $sgpr48_sgpr49
	s_branch .LBB115_184
.LBB115_181:                            ;   in Loop: Header=BB115_184 Depth=2
	s_or_b64 exec, exec, s[50:51]
	s_waitcnt lgkmcnt(0)
	s_barrier
	ds_read_b128 v[4:7], v19 offset:3072
	s_waitcnt lgkmcnt(0)
	s_barrier
	v_cmp_neq_f64_e32 vcc, 0, v[4:5]
	s_cbranch_vccnz .LBB115_187
; %bb.182:                              ;   in Loop: Header=BB115_184 Depth=2
	v_add_u32_e32 v11, s59, v11
	v_cmp_le_u32_e32 vcc, s68, v11
	v_add_u32_e32 v9, s1, v9
	s_mov_b64 s[50:51], 0
	s_orn2_b64 s[52:53], vcc, exec
.LBB115_183:                            ;   in Loop: Header=BB115_184 Depth=2
	s_and_b64 s[52:53], exec, s[52:53]
	s_or_b64 s[42:43], s[52:53], s[42:43]
	s_andn2_b64 s[48:49], s[48:49], exec
	s_and_b64 s[50:51], s[50:51], exec
	s_or_b64 s[48:49], s[48:49], s[50:51]
	s_andn2_b64 exec, exec, s[42:43]
	s_cbranch_execz .LBB115_188
.LBB115_184:                            ;   Parent Loop BB115_29 Depth=1
                                        ; =>  This Inner Loop Header: Depth=2
	v_cmp_gt_u32_e32 vcc, s55, v11
	s_and_saveexec_b64 s[50:51], vcc
	s_cbranch_execz .LBB115_181
; %bb.185:                              ;   in Loop: Header=BB115_184 Depth=2
	ds_read_b64 v[4:5], v9
	s_waitcnt lgkmcnt(0)
	v_ashrrev_i32_e32 v2, 31, v5
	v_or_b32_e32 v6, 0x80000000, v2
	v_xor_b32_e32 v2, v2, v4
	v_xor_b32_e32 v6, v6, v5
	v_cmp_o_f64_e32 vcc, v[4:5], v[4:5]
	s_nop 1
	v_cndmask_b32_e32 v2, -1, v2, vcc
	v_cndmask_b32_e32 v6, -1, v6, vcc
	v_and_b32_e32 v7, v6, v29
	v_and_b32_e32 v6, v2, v28
	v_cmp_eq_u64_e32 vcc, v[6:7], v[26:27]
	s_and_b64 exec, exec, vcc
	s_cbranch_execz .LBB115_181
; %bb.186:                              ;   in Loop: Header=BB115_184 Depth=2
	v_mov_b32_e32 v2, v19
	ds_write_b128 v19, v[2:5] offset:3072
	s_branch .LBB115_181
.LBB115_187:                            ;   in Loop: Header=BB115_184 Depth=2
	s_mov_b64 s[52:53], -1
                                        ; implicit-def: $vgpr11
                                        ; implicit-def: $vgpr9
	s_mov_b64 s[50:51], -1
	s_branch .LBB115_183
.LBB115_188:                            ;   in Loop: Header=BB115_29 Depth=1
	s_or_b64 exec, exec, s[42:43]
	s_and_b64 s[42:43], s[48:49], exec
.LBB115_189:                            ;   in Loop: Header=BB115_29 Depth=1
	s_or_b64 exec, exec, s[46:47]
.LBB115_190:                            ;   in Loop: Header=BB115_29 Depth=1
	s_and_b64 vcc, exec, s[44:45]
	s_cbranch_vccz .LBB115_202
; %bb.191:                              ;   in Loop: Header=BB115_29 Depth=1
                                        ; implicit-def: $vgpr6_vgpr7
	s_mov_b64 s[34:35], exec
	v_readlane_b32 s36, v60, 24
	v_readlane_b32 s37, v60, 25
	s_and_b64 s[36:37], s[34:35], s[36:37]
	s_mov_b64 exec, s[36:37]
	s_cbranch_execz .LBB115_201
; %bb.192:                              ;   in Loop: Header=BB115_29 Depth=1
	s_mov_b64 s[36:37], 0
	v_mov_b32_e32 v18, v16
	v_mov_b32_e32 v9, v0
                                        ; implicit-def: $sgpr44_sgpr45
	s_branch .LBB115_196
.LBB115_193:                            ;   in Loop: Header=BB115_196 Depth=2
	s_or_b64 exec, exec, s[46:47]
	s_waitcnt lgkmcnt(0)
	s_barrier
	ds_read_b128 v[4:7], v19 offset:3072
	s_waitcnt lgkmcnt(0)
	s_barrier
	v_cmp_eq_f64_e32 vcc, 0, v[4:5]
	s_cbranch_vccz .LBB115_199
; %bb.194:                              ;   in Loop: Header=BB115_196 Depth=2
	v_add_u32_e32 v9, s59, v9
	v_cmp_le_u32_e32 vcc, s80, v9
	v_add_u32_e32 v18, s62, v18
	s_mov_b64 s[46:47], 0
	s_orn2_b64 s[48:49], vcc, exec
.LBB115_195:                            ;   in Loop: Header=BB115_196 Depth=2
	s_and_b64 s[48:49], exec, s[48:49]
	s_or_b64 s[36:37], s[48:49], s[36:37]
	s_andn2_b64 s[44:45], s[44:45], exec
	s_and_b64 s[46:47], s[46:47], exec
	s_or_b64 s[44:45], s[44:45], s[46:47]
	s_andn2_b64 exec, exec, s[36:37]
	s_cbranch_execz .LBB115_200
.LBB115_196:                            ;   Parent Loop BB115_29 Depth=1
                                        ; =>  This Inner Loop Header: Depth=2
	v_cmp_gt_u32_e32 vcc, s56, v9
	s_and_saveexec_b64 s[46:47], vcc
	s_cbranch_execz .LBB115_193
; %bb.197:                              ;   in Loop: Header=BB115_196 Depth=2
	v_lshl_add_u64 v[4:5], v[18:19], 3, s[66:67]
	global_load_dwordx2 v[4:5], v[4:5], off
	s_waitcnt vmcnt(0)
	v_ashrrev_i32_e32 v2, 31, v5
	v_or_b32_e32 v6, 0x80000000, v2
	v_xor_b32_e32 v2, v2, v4
	v_xor_b32_e32 v6, v6, v5
	v_cmp_o_f64_e32 vcc, v[4:5], v[4:5]
	s_nop 1
	v_cndmask_b32_e32 v2, -1, v2, vcc
	v_cndmask_b32_e32 v6, -1, v6, vcc
	v_and_b32_e32 v7, v6, v29
	v_and_b32_e32 v6, v2, v28
	v_cmp_eq_u64_e32 vcc, v[6:7], v[26:27]
	s_and_b64 exec, exec, vcc
	s_cbranch_execz .LBB115_193
; %bb.198:                              ;   in Loop: Header=BB115_196 Depth=2
	v_mov_b32_e32 v2, v19
	ds_write_b128 v19, v[2:5] offset:3072
	s_branch .LBB115_193
.LBB115_199:                            ;   in Loop: Header=BB115_196 Depth=2
	s_mov_b64 s[48:49], -1
                                        ; implicit-def: $vgpr9
	s_mov_b64 s[46:47], -1
	s_branch .LBB115_195
.LBB115_200:                            ;   in Loop: Header=BB115_29 Depth=1
	s_or_b64 exec, exec, s[36:37]
	s_andn2_b64 s[36:37], s[42:43], exec
	s_and_b64 s[42:43], s[44:45], exec
	s_or_b64 s[42:43], s[36:37], s[42:43]
.LBB115_201:                            ;   in Loop: Header=BB115_29 Depth=1
	s_or_b64 exec, exec, s[34:35]
	s_mov_b64 s[34:35], 0
	s_mov_b64 s[36:37], -1
.LBB115_202:                            ;   in Loop: Header=BB115_29 Depth=1
	s_orn2_b64 s[42:43], s[42:43], exec
.LBB115_203:                            ;   in Loop: Header=BB115_29 Depth=1
	s_or_b64 exec, exec, s[38:39]
	s_mov_b64 s[44:45], 0
	s_and_saveexec_b64 s[38:39], s[42:43]
	s_cbranch_execz .LBB115_255
; %bb.204:                              ;   in Loop: Header=BB115_29 Depth=1
	s_xor_b64 s[42:43], s[40:41], -1
	s_mov_b64 s[46:47], 0
	v_mov_b32_e32 v9, 1
	v_mov_b32_e32 v8, 1
	s_and_saveexec_b64 s[40:41], s[42:43]
	s_cbranch_execz .LBB115_213
; %bb.205:                              ;   in Loop: Header=BB115_29 Depth=1
	v_cmp_ge_u32_e32 vcc, s54, v10
	s_and_saveexec_b64 s[42:43], vcc
	s_xor_b64 s[42:43], exec, s[42:43]
	s_cbranch_execz .LBB115_210
; %bb.206:                              ;   in Loop: Header=BB115_29 Depth=1
	ds_read_b32 v4, v19 offset:4104
	s_lshl_b64 s[44:45], 2, s12
	v_and_b32_e32 v2, s27, v27
	v_and_b32_e32 v5, s26, v26
	v_or_b32_e32 v27, s45, v2
	s_waitcnt lgkmcnt(0)
	v_cmp_ne_u32_e32 vcc, 0, v4
	v_or_b32_e32 v26, s44, v5
	v_or_b32_e32 v29, s3, v29
	;; [unrolled: 1-line block ×3, first 2 shown]
	s_cbranch_vccnz .LBB115_210
; %bb.207:                              ;   in Loop: Header=BB115_29 Depth=1
	s_and_saveexec_b64 s[26:27], s[16:17]
; %bb.208:                              ;   in Loop: Header=BB115_29 Depth=1
	v_mov_b32_e32 v2, s54
	ds_write_b32 v19, v2 offset:4108
; %bb.209:                              ;   in Loop: Header=BB115_29 Depth=1
	s_or_b64 exec, exec, s[26:27]
	s_waitcnt lgkmcnt(0)
	s_barrier
.LBB115_210:                            ;   in Loop: Header=BB115_29 Depth=1
	s_or_saveexec_b64 s[26:27], s[42:43]
	s_mov_b64 s[42:43], 0
	v_mov_b32_e32 v8, 8
	s_xor_b64 exec, exec, s[26:27]
; %bb.211:                              ;   in Loop: Header=BB115_29 Depth=1
	s_mov_b64 s[42:43], exec
	v_subrev_u32_e32 v10, s54, v10
	v_mov_b32_e32 v8, 0
; %bb.212:                              ;   in Loop: Header=BB115_29 Depth=1
	s_or_b64 exec, exec, s[26:27]
	s_and_b64 s[46:47], s[42:43], exec
	v_mov_b32_e32 v9, v10
.LBB115_213:                            ;   in Loop: Header=BB115_29 Depth=1
	s_or_b64 exec, exec, s[40:41]
	s_mov_b64 s[40:41], -1
                                        ; implicit-def: $sgpr44_sgpr45
                                        ; implicit-def: $sgpr42_sgpr43
	s_and_saveexec_b64 s[26:27], s[46:47]
	s_cbranch_execz .LBB115_254
; %bb.214:                              ;   in Loop: Header=BB115_29 Depth=1
	s_cmp_eq_u32 s82, 1
	s_cselect_b64 s[40:41], -1, 0
	v_cmp_eq_u32_e32 vcc, 1, v9
	s_and_b64 s[40:41], s[40:41], vcc
	s_mov_b64 s[48:49], -1
                                        ; implicit-def: $sgpr44_sgpr45
                                        ; implicit-def: $sgpr42_sgpr43
	s_and_saveexec_b64 s[46:47], s[40:41]
	s_cbranch_execz .LBB115_242
; %bb.215:                              ;   in Loop: Header=BB115_29 Depth=1
	ds_read_b32 v2, v19 offset:4104
	s_waitcnt lgkmcnt(0)
	s_barrier
	v_readfirstlane_b32 s74, v2
	s_and_saveexec_b64 s[42:43], s[6:7]
; %bb.216:                              ;   in Loop: Header=BB115_29 Depth=1
	ds_write_b64 v36, v[50:51]
; %bb.217:                              ;   in Loop: Header=BB115_29 Depth=1
	s_or_b64 exec, exec, s[42:43]
	v_or_b32_e32 v27, s3, v27
	v_or_b32_e32 v26, s2, v26
	;; [unrolled: 1-line block ×4, first 2 shown]
	s_mov_b64 s[42:43], -1
	s_mov_b64 s[44:45], 0
	s_cmp_eq_u32 s74, 0
	s_mov_b64 s[48:49], 0
	s_mov_b64 s[50:51], -1
	s_waitcnt lgkmcnt(0)
	s_barrier
                                        ; implicit-def: $vgpr6_vgpr7
	s_cbranch_scc1 .LBB115_229
; %bb.218:                              ;   in Loop: Header=BB115_29 Depth=1
	s_add_i32 s48, s74, s86
	s_mul_hi_u32 s49, s48, s87
	s_mul_i32 s49, s49, s59
	s_sub_i32 s49, s48, s49
	s_sub_i32 s50, s49, s59
	s_cmp_ge_u32 s49, s59
	s_cselect_b32 s49, s50, s49
	s_sub_i32 s50, s49, s59
	s_cmp_ge_u32 s49, s59
	s_cselect_b32 s49, s50, s49
	s_sub_i32 s75, s48, s49
	v_cmp_gt_u32_e32 vcc, s75, v0
	s_mov_b64 s[50:51], 0
	s_mov_b64 s[48:49], 0
                                        ; implicit-def: $vgpr6_vgpr7
	s_and_saveexec_b64 s[52:53], vcc
	s_cbranch_execz .LBB115_228
; %bb.219:                              ;   in Loop: Header=BB115_29 Depth=1
	v_mov_b32_e32 v10, v35
	v_mov_b32_e32 v11, v0
                                        ; implicit-def: $sgpr54_sgpr55
	s_branch .LBB115_223
.LBB115_220:                            ;   in Loop: Header=BB115_223 Depth=2
	s_or_b64 exec, exec, s[68:69]
	s_waitcnt lgkmcnt(0)
	s_barrier
	ds_read_b128 v[4:7], v19 offset:3072
	s_waitcnt lgkmcnt(0)
	s_barrier
	v_cmp_neq_f64_e32 vcc, 0, v[4:5]
	s_cbranch_vccnz .LBB115_226
; %bb.221:                              ;   in Loop: Header=BB115_223 Depth=2
	v_add_u32_e32 v11, s59, v11
	v_cmp_le_u32_e32 vcc, s75, v11
	v_add_u32_e32 v10, s1, v10
	s_mov_b64 s[68:69], 0
	s_orn2_b64 s[70:71], vcc, exec
.LBB115_222:                            ;   in Loop: Header=BB115_223 Depth=2
	s_and_b64 s[70:71], exec, s[70:71]
	s_or_b64 s[48:49], s[70:71], s[48:49]
	s_andn2_b64 s[54:55], s[54:55], exec
	s_and_b64 s[68:69], s[68:69], exec
	s_or_b64 s[54:55], s[54:55], s[68:69]
	s_andn2_b64 exec, exec, s[48:49]
	s_cbranch_execz .LBB115_227
.LBB115_223:                            ;   Parent Loop BB115_29 Depth=1
                                        ; =>  This Inner Loop Header: Depth=2
	v_cmp_gt_u32_e32 vcc, s74, v11
	s_and_saveexec_b64 s[68:69], vcc
	s_cbranch_execz .LBB115_220
; %bb.224:                              ;   in Loop: Header=BB115_223 Depth=2
	ds_read_b64 v[4:5], v10
	s_waitcnt lgkmcnt(0)
	v_ashrrev_i32_e32 v2, 31, v5
	v_or_b32_e32 v6, 0x80000000, v2
	v_xor_b32_e32 v2, v2, v4
	v_xor_b32_e32 v6, v6, v5
	v_cmp_o_f64_e32 vcc, v[4:5], v[4:5]
	s_nop 1
	v_cndmask_b32_e32 v2, -1, v2, vcc
	v_cndmask_b32_e32 v6, -1, v6, vcc
	v_and_b32_e32 v7, v6, v29
	v_and_b32_e32 v6, v2, v28
	v_cmp_eq_u64_e32 vcc, v[6:7], v[26:27]
	s_and_b64 exec, exec, vcc
	s_cbranch_execz .LBB115_220
; %bb.225:                              ;   in Loop: Header=BB115_223 Depth=2
	v_mov_b32_e32 v2, v19
	ds_write_b128 v19, v[2:5] offset:3072
	s_branch .LBB115_220
.LBB115_226:                            ;   in Loop: Header=BB115_223 Depth=2
	s_mov_b64 s[70:71], -1
                                        ; implicit-def: $vgpr11
                                        ; implicit-def: $vgpr10
	s_mov_b64 s[68:69], -1
	s_branch .LBB115_222
.LBB115_227:                            ;   in Loop: Header=BB115_29 Depth=1
	s_or_b64 exec, exec, s[48:49]
	s_and_b64 s[48:49], s[54:55], exec
.LBB115_228:                            ;   in Loop: Header=BB115_29 Depth=1
	s_or_b64 exec, exec, s[52:53]
.LBB115_229:                            ;   in Loop: Header=BB115_29 Depth=1
	s_and_b64 vcc, exec, s[50:51]
	s_cbranch_vccz .LBB115_241
; %bb.230:                              ;   in Loop: Header=BB115_29 Depth=1
                                        ; implicit-def: $vgpr6_vgpr7
	s_mov_b64 s[42:43], exec
	v_readlane_b32 s44, v60, 24
	v_readlane_b32 s45, v60, 25
	s_and_b64 s[44:45], s[42:43], s[44:45]
	s_mov_b64 exec, s[44:45]
	s_cbranch_execz .LBB115_240
; %bb.231:                              ;   in Loop: Header=BB115_29 Depth=1
	s_mov_b64 s[44:45], 0
	v_mov_b32_e32 v18, v16
	v_mov_b32_e32 v10, v0
                                        ; implicit-def: $sgpr50_sgpr51
	s_branch .LBB115_235
.LBB115_232:                            ;   in Loop: Header=BB115_235 Depth=2
	s_or_b64 exec, exec, s[52:53]
	s_waitcnt lgkmcnt(0)
	s_barrier
	ds_read_b128 v[4:7], v19 offset:3072
	s_waitcnt lgkmcnt(0)
	s_barrier
	v_cmp_eq_f64_e32 vcc, 0, v[4:5]
	s_cbranch_vccz .LBB115_238
; %bb.233:                              ;   in Loop: Header=BB115_235 Depth=2
	v_add_u32_e32 v10, s59, v10
	v_cmp_le_u32_e32 vcc, s80, v10
	v_add_u32_e32 v18, s62, v18
	s_mov_b64 s[52:53], 0
	s_orn2_b64 s[54:55], vcc, exec
.LBB115_234:                            ;   in Loop: Header=BB115_235 Depth=2
	s_and_b64 s[54:55], exec, s[54:55]
	s_or_b64 s[44:45], s[54:55], s[44:45]
	s_andn2_b64 s[50:51], s[50:51], exec
	s_and_b64 s[52:53], s[52:53], exec
	s_or_b64 s[50:51], s[50:51], s[52:53]
	s_andn2_b64 exec, exec, s[44:45]
	s_cbranch_execz .LBB115_239
.LBB115_235:                            ;   Parent Loop BB115_29 Depth=1
                                        ; =>  This Inner Loop Header: Depth=2
	v_cmp_gt_u32_e32 vcc, s56, v10
	s_and_saveexec_b64 s[52:53], vcc
	s_cbranch_execz .LBB115_232
; %bb.236:                              ;   in Loop: Header=BB115_235 Depth=2
	v_lshl_add_u64 v[4:5], v[18:19], 3, s[66:67]
	global_load_dwordx2 v[4:5], v[4:5], off
	s_waitcnt vmcnt(0)
	v_ashrrev_i32_e32 v2, 31, v5
	v_or_b32_e32 v6, 0x80000000, v2
	v_xor_b32_e32 v2, v2, v4
	v_xor_b32_e32 v6, v6, v5
	v_cmp_o_f64_e32 vcc, v[4:5], v[4:5]
	s_nop 1
	v_cndmask_b32_e32 v2, -1, v2, vcc
	v_cndmask_b32_e32 v6, -1, v6, vcc
	v_and_b32_e32 v7, v6, v29
	v_and_b32_e32 v6, v2, v28
	v_cmp_eq_u64_e32 vcc, v[6:7], v[26:27]
	s_and_b64 exec, exec, vcc
	s_cbranch_execz .LBB115_232
; %bb.237:                              ;   in Loop: Header=BB115_235 Depth=2
	v_mov_b32_e32 v2, v19
	ds_write_b128 v19, v[2:5] offset:3072
	s_branch .LBB115_232
.LBB115_238:                            ;   in Loop: Header=BB115_235 Depth=2
	s_mov_b64 s[54:55], -1
                                        ; implicit-def: $vgpr10
	s_mov_b64 s[52:53], -1
	s_branch .LBB115_234
.LBB115_239:                            ;   in Loop: Header=BB115_29 Depth=1
	s_or_b64 exec, exec, s[44:45]
	s_andn2_b64 s[44:45], s[48:49], exec
	s_and_b64 s[48:49], s[50:51], exec
	s_or_b64 s[48:49], s[44:45], s[48:49]
.LBB115_240:                            ;   in Loop: Header=BB115_29 Depth=1
	s_or_b64 exec, exec, s[42:43]
	s_mov_b64 s[42:43], 0
	s_mov_b64 s[44:45], -1
.LBB115_241:                            ;   in Loop: Header=BB115_29 Depth=1
	s_orn2_b64 s[48:49], s[48:49], exec
.LBB115_242:                            ;   in Loop: Header=BB115_29 Depth=1
	s_or_b64 exec, exec, s[46:47]
	s_mov_b64 s[50:51], 0
	s_and_saveexec_b64 s[46:47], s[48:49]
	s_cbranch_execz .LBB115_253
; %bb.243:                              ;   in Loop: Header=BB115_29 Depth=1
	s_xor_b64 s[48:49], s[40:41], -1
	v_mov_b32_e32 v8, 1
	v_mov_b32_e32 v2, 1
	s_and_saveexec_b64 s[40:41], s[48:49]
	s_cbranch_execz .LBB115_252
; %bb.244:                              ;   in Loop: Header=BB115_29 Depth=1
	v_cmp_ge_u32_e32 vcc, s82, v9
	s_and_saveexec_b64 s[48:49], vcc
	s_xor_b64 s[48:49], exec, s[48:49]
	s_cbranch_execz .LBB115_249
; %bb.245:                              ;   in Loop: Header=BB115_29 Depth=1
	ds_read_b32 v2, v19 offset:4104
	v_or_b32_e32 v27, s3, v27
	v_or_b32_e32 v26, s2, v26
	;; [unrolled: 1-line block ×4, first 2 shown]
	s_waitcnt lgkmcnt(0)
	v_cmp_ne_u32_e32 vcc, 0, v2
	s_cbranch_vccnz .LBB115_249
; %bb.246:                              ;   in Loop: Header=BB115_29 Depth=1
	s_and_saveexec_b64 s[2:3], s[16:17]
; %bb.247:                              ;   in Loop: Header=BB115_29 Depth=1
	v_mov_b32_e32 v2, s82
	ds_write_b32 v19, v2 offset:4108
; %bb.248:                              ;   in Loop: Header=BB115_29 Depth=1
	s_or_b64 exec, exec, s[2:3]
	s_waitcnt lgkmcnt(0)
	s_barrier
.LBB115_249:                            ;   in Loop: Header=BB115_29 Depth=1
	s_andn2_saveexec_b64 s[2:3], s[48:49]
; %bb.250:                              ;   in Loop: Header=BB115_29 Depth=1
	v_subrev_u32_e32 v9, s82, v9
; %bb.251:                              ;   in Loop: Header=BB115_29 Depth=1
	s_or_b64 exec, exec, s[2:3]
	v_mov_b32_e32 v8, 8
	v_mov_b32_e32 v2, v9
.LBB115_252:                            ;   in Loop: Header=BB115_29 Depth=1
	s_or_b64 exec, exec, s[40:41]
	s_mov_b64 s[50:51], exec
	v_mov_b32_e32 v9, v2
.LBB115_253:                            ;   in Loop: Header=BB115_29 Depth=1
	s_or_b64 exec, exec, s[46:47]
	s_orn2_b64 s[40:41], s[50:51], exec
.LBB115_254:                            ;   in Loop: Header=BB115_29 Depth=1
	s_or_b64 exec, exec, s[26:27]
	s_andn2_b64 s[2:3], s[36:37], exec
	s_and_b64 s[26:27], s[44:45], exec
	s_or_b64 s[36:37], s[2:3], s[26:27]
	s_andn2_b64 s[2:3], s[34:35], exec
	s_and_b64 s[26:27], s[42:43], exec
	s_or_b64 s[34:35], s[2:3], s[26:27]
	s_and_b64 s[44:45], s[40:41], exec
	v_mov_b32_e32 v10, v9
.LBB115_255:                            ;   in Loop: Header=BB115_29 Depth=1
	s_or_b64 exec, exec, s[38:39]
	s_orn2_b64 s[38:39], s[44:45], exec
.LBB115_256:                            ;   in Loop: Header=BB115_29 Depth=1
	s_or_b64 exec, exec, s[30:31]
	s_andn2_b64 s[2:3], s[24:25], exec
	s_and_b64 s[24:25], s[36:37], exec
	s_or_b64 s[24:25], s[2:3], s[24:25]
	s_andn2_b64 s[2:3], s[22:23], exec
	s_and_b64 s[22:23], s[34:35], exec
	s_or_b64 s[22:23], s[2:3], s[22:23]
	s_and_b64 s[36:37], s[38:39], exec
	v_mov_b32_e32 v9, v10
.LBB115_257:                            ;   in Loop: Header=BB115_29 Depth=1
	s_or_b64 exec, exec, s[28:29]
	s_orn2_b64 s[28:29], s[36:37], exec
.LBB115_258:                            ;   in Loop: Header=BB115_29 Depth=1
	s_or_b64 exec, exec, s[20:21]
	s_mov_b64 s[20:21], 0
                                        ; implicit-def: $sgpr30
                                        ; implicit-def: $sgpr31
	s_and_saveexec_b64 s[2:3], s[28:29]
	s_xor_b64 s[2:3], exec, s[2:3]
	s_cbranch_execz .LBB115_27
; %bb.259:                              ;   in Loop: Header=BB115_29 Depth=1
	v_and_b32_e32 v2, 7, v8
	v_cmp_eq_u32_e32 vcc, 0, v2
	s_mov_b64 s[18:19], -1
	s_mov_b64 s[20:21], -1
                                        ; implicit-def: $sgpr30
                                        ; implicit-def: $sgpr31
	s_and_saveexec_b64 s[26:27], vcc
	s_cbranch_execz .LBB115_26
; %bb.260:                              ;   in Loop: Header=BB115_29 Depth=1
	s_xor_b32 s31, s13, 1
	s_add_i32 s30, s12, -2
	s_cmp_eq_u32 s12, 0
	s_cselect_b64 s[12:13], -1, 0
	s_xor_b64 s[20:21], exec, -1
	s_orn2_b64 s[18:19], s[12:13], exec
	s_branch .LBB115_26
.LBB115_261:
	s_or_b64 exec, exec, s[88:89]
	s_xor_b64 s[8:9], s[94:95], -1
	s_xor_b64 s[0:1], s[90:91], -1
	;; [unrolled: 1-line block ×3, first 2 shown]
	s_mov_b64 s[4:5], 0
	s_and_saveexec_b64 s[2:3], s[0:1]
	s_xor_b64 s[2:3], exec, s[2:3]
	s_cbranch_execnz .LBB115_266
; %bb.262:
	s_andn2_saveexec_b64 s[0:1], s[2:3]
	s_cbranch_execnz .LBB115_279
.LBB115_263:
	s_or_b64 exec, exec, s[0:1]
	s_and_saveexec_b64 s[0:1], s[4:5]
.LBB115_264:
	; divergent unreachable
.LBB115_265:
	s_endpgm
.LBB115_266:
	s_and_saveexec_b64 s[0:1], s[8:9]
	s_xor_b64 s[4:5], exec, s[0:1]
	s_cbranch_execz .LBB115_277
; %bb.267:
	s_and_saveexec_b64 s[0:1], s[6:7]
	s_xor_b64 s[6:7], exec, s[0:1]
; %bb.268:
	v_lshrrev_b32_e32 v2, 31, v27
	v_mov_b32_e32 v3, 0
	v_lshl_add_u64 v[2:3], v[2:3], 0, -1
	v_or_b32_e32 v1, 0x80000000, v3
	v_xor_b32_e32 v7, v1, v27
	v_xor_b32_e32 v6, v2, v26
; %bb.269:
	s_or_b64 exec, exec, s[6:7]
	v_readlane_b32 s0, v60, 0
	s_mul_i32 s0, s0, s33
	s_add_i32 s0, s0, s61
	s_mov_b32 s1, 0
	s_lshl_b64 s[0:1], s[0:1], 3
	v_readlane_b32 s6, v60, 2
	v_readlane_b32 s7, v60, 3
	s_add_u32 s0, s6, s0
	s_addc_u32 s1, s7, s1
	v_mov_b32_e32 v17, 0
	global_store_dwordx2 v17, v[6:7], s[0:1]
	s_mov_b64 s[6:7], exec
	v_readlane_b32 s0, v60, 6
	v_readlane_b32 s1, v60, 7
	s_and_b64 s[0:1], s[6:7], s[0:1]
	s_mov_b64 exec, s[0:1]
	s_cbranch_execz .LBB115_276
; %bb.270:
	v_cmp_u_f64_e32 vcc, v[6:7], v[6:7]
	s_mov_b64 s[8:9], 0
	s_xor_b64 s[12:13], vcc, -1
                                        ; implicit-def: $sgpr10_sgpr11
                                        ; implicit-def: $sgpr16_sgpr17
                                        ; implicit-def: $sgpr14_sgpr15
	s_branch .LBB115_272
.LBB115_271:                            ;   in Loop: Header=BB115_272 Depth=1
	s_or_b64 exec, exec, s[0:1]
	s_and_b64 s[0:1], exec, s[16:17]
	s_or_b64 s[8:9], s[0:1], s[8:9]
	s_andn2_b64 s[0:1], s[10:11], exec
	s_and_b64 s[10:11], s[14:15], exec
	s_or_b64 s[10:11], s[0:1], s[10:11]
	s_andn2_b64 exec, exec, s[8:9]
	s_cbranch_execz .LBB115_274
.LBB115_272:                            ; =>This Inner Loop Header: Depth=1
	v_lshl_add_u64 v[2:3], v[16:17], 3, s[66:67]
	global_load_dwordx2 v[4:5], v[2:3], off
	v_mov_b32_e32 v2, v0
	s_or_b64 s[14:15], s[14:15], exec
	s_or_b64 s[16:17], s[16:17], exec
                                        ; implicit-def: $vgpr0
	s_waitcnt vmcnt(0)
	v_cmp_o_f64_e64 s[0:1], v[4:5], v[4:5]
	v_cmp_neq_f64_e32 vcc, v[4:5], v[6:7]
	s_or_b64 s[0:1], s[0:1], s[12:13]
	s_and_b64 s[18:19], vcc, s[0:1]
	s_and_saveexec_b64 s[0:1], s[18:19]
	s_cbranch_execz .LBB115_271
; %bb.273:                              ;   in Loop: Header=BB115_272 Depth=1
	v_add_u32_e32 v0, s59, v2
	v_cmp_le_u32_e32 vcc, s56, v0
	s_andn2_b64 s[16:17], s[16:17], exec
	s_and_b64 s[18:19], vcc, exec
	v_add_u32_e32 v16, s62, v16
	s_andn2_b64 s[14:15], s[14:15], exec
	s_or_b64 s[16:17], s[16:17], s[18:19]
	s_branch .LBB115_271
.LBB115_274:
	s_or_b64 exec, exec, s[8:9]
	s_and_saveexec_b64 s[0:1], s[10:11]
	s_xor_b64 s[0:1], exec, s[0:1]
	s_cbranch_execz .LBB115_276
; %bb.275:
	v_readlane_b32 s0, v60, 1
	s_mul_i32 s0, s0, s57
	s_add_i32 s0, s0, s63
	s_mov_b32 s1, 0
	s_lshl_b64 s[0:1], s[0:1], 3
	v_readlane_b32 s8, v60, 4
	v_readlane_b32 s9, v60, 5
	s_add_u32 s0, s8, s0
	s_addc_u32 s1, s9, s1
	v_mov_b32_e32 v3, 0
	global_store_dwordx2 v3, v[2:3], s[0:1]
.LBB115_276:
	s_or_b64 exec, exec, s[6:7]
.LBB115_277:
	s_or_saveexec_b64 s[0:1], s[4:5]
	s_mov_b64 s[4:5], 0
	s_xor_b64 exec, exec, s[0:1]
	s_cbranch_execnz .LBB115_280
.LBB115_278:
	s_or_b64 exec, exec, s[0:1]
	s_and_b64 s[4:5], s[4:5], exec
	s_andn2_saveexec_b64 s[0:1], s[2:3]
	s_cbranch_execz .LBB115_263
.LBB115_279:
	s_or_b64 s[4:5], s[4:5], exec
	s_trap 2
	s_or_b64 exec, exec, s[0:1]
	s_and_saveexec_b64 s[0:1], s[4:5]
	s_cbranch_execnz .LBB115_264
	s_branch .LBB115_265
.LBB115_280:
	s_mov_b64 s[4:5], exec
	s_trap 2
	s_branch .LBB115_278
	.section	.rodata,"a",@progbits
	.p2align	6, 0x0
	.amdhsa_kernel _ZN2at6native12_GLOBAL__N_112gatherMedianIdjLin1EEEvNS_4cuda6detail10TensorInfoIT_T0_EENS5_IlS7_EENS5_IKS6_S7_EES7_S7_S7_b
		.amdhsa_group_segment_fixed_size 4120
		.amdhsa_private_segment_fixed_size 0
		.amdhsa_kernarg_size 920
		.amdhsa_user_sgpr_count 2
		.amdhsa_user_sgpr_dispatch_ptr 0
		.amdhsa_user_sgpr_queue_ptr 0
		.amdhsa_user_sgpr_kernarg_segment_ptr 1
		.amdhsa_user_sgpr_dispatch_id 0
		.amdhsa_user_sgpr_kernarg_preload_length 0
		.amdhsa_user_sgpr_kernarg_preload_offset 0
		.amdhsa_user_sgpr_private_segment_size 0
		.amdhsa_uses_dynamic_stack 0
		.amdhsa_enable_private_segment 0
		.amdhsa_system_sgpr_workgroup_id_x 1
		.amdhsa_system_sgpr_workgroup_id_y 1
		.amdhsa_system_sgpr_workgroup_id_z 1
		.amdhsa_system_sgpr_workgroup_info 0
		.amdhsa_system_vgpr_workitem_id 0
		.amdhsa_next_free_vgpr 61
		.amdhsa_next_free_sgpr 100
		.amdhsa_accum_offset 64
		.amdhsa_reserve_vcc 1
		.amdhsa_float_round_mode_32 0
		.amdhsa_float_round_mode_16_64 0
		.amdhsa_float_denorm_mode_32 3
		.amdhsa_float_denorm_mode_16_64 3
		.amdhsa_dx10_clamp 1
		.amdhsa_ieee_mode 1
		.amdhsa_fp16_overflow 0
		.amdhsa_tg_split 0
		.amdhsa_exception_fp_ieee_invalid_op 0
		.amdhsa_exception_fp_denorm_src 0
		.amdhsa_exception_fp_ieee_div_zero 0
		.amdhsa_exception_fp_ieee_overflow 0
		.amdhsa_exception_fp_ieee_underflow 0
		.amdhsa_exception_fp_ieee_inexact 0
		.amdhsa_exception_int_div_zero 0
	.end_amdhsa_kernel
	.section	.text._ZN2at6native12_GLOBAL__N_112gatherMedianIdjLin1EEEvNS_4cuda6detail10TensorInfoIT_T0_EENS5_IlS7_EENS5_IKS6_S7_EES7_S7_S7_b,"axG",@progbits,_ZN2at6native12_GLOBAL__N_112gatherMedianIdjLin1EEEvNS_4cuda6detail10TensorInfoIT_T0_EENS5_IlS7_EENS5_IKS6_S7_EES7_S7_S7_b,comdat
.Lfunc_end115:
	.size	_ZN2at6native12_GLOBAL__N_112gatherMedianIdjLin1EEEvNS_4cuda6detail10TensorInfoIT_T0_EENS5_IlS7_EENS5_IKS6_S7_EES7_S7_S7_b, .Lfunc_end115-_ZN2at6native12_GLOBAL__N_112gatherMedianIdjLin1EEEvNS_4cuda6detail10TensorInfoIT_T0_EENS5_IlS7_EENS5_IKS6_S7_EES7_S7_S7_b
                                        ; -- End function
	.set _ZN2at6native12_GLOBAL__N_112gatherMedianIdjLin1EEEvNS_4cuda6detail10TensorInfoIT_T0_EENS5_IlS7_EENS5_IKS6_S7_EES7_S7_S7_b.num_vgpr, 61
	.set _ZN2at6native12_GLOBAL__N_112gatherMedianIdjLin1EEEvNS_4cuda6detail10TensorInfoIT_T0_EENS5_IlS7_EENS5_IKS6_S7_EES7_S7_S7_b.num_agpr, 0
	.set _ZN2at6native12_GLOBAL__N_112gatherMedianIdjLin1EEEvNS_4cuda6detail10TensorInfoIT_T0_EENS5_IlS7_EENS5_IKS6_S7_EES7_S7_S7_b.numbered_sgpr, 100
	.set _ZN2at6native12_GLOBAL__N_112gatherMedianIdjLin1EEEvNS_4cuda6detail10TensorInfoIT_T0_EENS5_IlS7_EENS5_IKS6_S7_EES7_S7_S7_b.num_named_barrier, 0
	.set _ZN2at6native12_GLOBAL__N_112gatherMedianIdjLin1EEEvNS_4cuda6detail10TensorInfoIT_T0_EENS5_IlS7_EENS5_IKS6_S7_EES7_S7_S7_b.private_seg_size, 0
	.set _ZN2at6native12_GLOBAL__N_112gatherMedianIdjLin1EEEvNS_4cuda6detail10TensorInfoIT_T0_EENS5_IlS7_EENS5_IKS6_S7_EES7_S7_S7_b.uses_vcc, 1
	.set _ZN2at6native12_GLOBAL__N_112gatherMedianIdjLin1EEEvNS_4cuda6detail10TensorInfoIT_T0_EENS5_IlS7_EENS5_IKS6_S7_EES7_S7_S7_b.uses_flat_scratch, 0
	.set _ZN2at6native12_GLOBAL__N_112gatherMedianIdjLin1EEEvNS_4cuda6detail10TensorInfoIT_T0_EENS5_IlS7_EENS5_IKS6_S7_EES7_S7_S7_b.has_dyn_sized_stack, 0
	.set _ZN2at6native12_GLOBAL__N_112gatherMedianIdjLin1EEEvNS_4cuda6detail10TensorInfoIT_T0_EENS5_IlS7_EENS5_IKS6_S7_EES7_S7_S7_b.has_recursion, 0
	.set _ZN2at6native12_GLOBAL__N_112gatherMedianIdjLin1EEEvNS_4cuda6detail10TensorInfoIT_T0_EENS5_IlS7_EENS5_IKS6_S7_EES7_S7_S7_b.has_indirect_call, 0
	.section	.AMDGPU.csdata,"",@progbits
; Kernel info:
; codeLenInByte = 10612
; TotalNumSgprs: 106
; NumVgprs: 61
; NumAgprs: 0
; TotalNumVgprs: 61
; ScratchSize: 0
; MemoryBound: 0
; FloatMode: 240
; IeeeMode: 1
; LDSByteSize: 4120 bytes/workgroup (compile time only)
; SGPRBlocks: 13
; VGPRBlocks: 7
; NumSGPRsForWavesPerEU: 106
; NumVGPRsForWavesPerEU: 61
; AccumOffset: 64
; Occupancy: 7
; WaveLimiterHint : 1
; COMPUTE_PGM_RSRC2:SCRATCH_EN: 0
; COMPUTE_PGM_RSRC2:USER_SGPR: 2
; COMPUTE_PGM_RSRC2:TRAP_HANDLER: 0
; COMPUTE_PGM_RSRC2:TGID_X_EN: 1
; COMPUTE_PGM_RSRC2:TGID_Y_EN: 1
; COMPUTE_PGM_RSRC2:TGID_Z_EN: 1
; COMPUTE_PGM_RSRC2:TIDIG_COMP_CNT: 0
; COMPUTE_PGM_RSRC3_GFX90A:ACCUM_OFFSET: 15
; COMPUTE_PGM_RSRC3_GFX90A:TG_SPLIT: 0
	.section	.text._ZN2at6native12_GLOBAL__N_112gatherMedianIdmLi1EEEvNS_4cuda6detail10TensorInfoIT_T0_EENS5_IlS7_EENS5_IKS6_S7_EES7_S7_S7_b,"axG",@progbits,_ZN2at6native12_GLOBAL__N_112gatherMedianIdmLi1EEEvNS_4cuda6detail10TensorInfoIT_T0_EENS5_IlS7_EENS5_IKS6_S7_EES7_S7_S7_b,comdat
	.globl	_ZN2at6native12_GLOBAL__N_112gatherMedianIdmLi1EEEvNS_4cuda6detail10TensorInfoIT_T0_EENS5_IlS7_EENS5_IKS6_S7_EES7_S7_S7_b ; -- Begin function _ZN2at6native12_GLOBAL__N_112gatherMedianIdmLi1EEEvNS_4cuda6detail10TensorInfoIT_T0_EENS5_IlS7_EENS5_IKS6_S7_EES7_S7_S7_b
	.p2align	8
	.type	_ZN2at6native12_GLOBAL__N_112gatherMedianIdmLi1EEEvNS_4cuda6detail10TensorInfoIT_T0_EENS5_IlS7_EENS5_IKS6_S7_EES7_S7_S7_b,@function
_ZN2at6native12_GLOBAL__N_112gatherMedianIdmLi1EEEvNS_4cuda6detail10TensorInfoIT_T0_EENS5_IlS7_EENS5_IKS6_S7_EES7_S7_S7_b: ; @_ZN2at6native12_GLOBAL__N_112gatherMedianIdmLi1EEEvNS_4cuda6detail10TensorInfoIT_T0_EENS5_IlS7_EENS5_IKS6_S7_EES7_S7_S7_b
; %bb.0:
	s_load_dwordx2 s[8:9], s[0:1], 0x500
	s_load_dwordx4 s[52:55], s[0:1], 0x4e0
	s_add_u32 s10, s0, 0x500
	s_addc_u32 s11, s1, 0
	s_mov_b32 s5, 0
	s_waitcnt lgkmcnt(0)
	s_mul_i32 s4, s9, s4
	s_add_i32 s3, s4, s3
	s_mul_i32 s3, s3, s8
	s_add_i32 s4, s3, s2
	v_mov_b64_e32 v[2:3], s[4:5]
	v_cmp_le_u64_e32 vcc, s[54:55], v[2:3]
	s_cbranch_vccnz .LBB116_288
; %bb.1:
	s_load_dwordx2 s[64:65], s[0:1], 0x4f0
	s_load_dwordx2 s[6:7], s[0:1], 0x410
	s_mov_b32 s14, s4
	s_load_dwordx2 s[4:5], s[0:1], 0x340
	s_load_dwordx2 s[12:13], s[0:1], 0x270
                                        ; implicit-def: $vgpr66 : SGPR spill to VGPR lane
	v_mov_b32_e32 v1, 0
	v_mov_b64_e32 v[2:3], 0
	s_waitcnt lgkmcnt(0)
	s_mul_i32 s3, s7, s14
	s_mul_hi_u32 s7, s6, s14
	v_writelane_b32 v66, s12, 0
	s_add_i32 s7, s7, s3
	s_mul_i32 s6, s6, s14
	v_writelane_b32 v66, s13, 1
	s_load_dwordx2 s[12:13], s[0:1], 0x1a0
	s_waitcnt lgkmcnt(0)
	v_writelane_b32 v66, s12, 2
	s_nop 1
	v_writelane_b32 v66, s13, 3
	s_load_dwordx2 s[12:13], s[0:1], 0xd0
	s_waitcnt lgkmcnt(0)
	v_writelane_b32 v66, s12, 4
	s_nop 1
	;; [unrolled: 5-line block ×3, first 2 shown]
	v_writelane_b32 v66, s13, 7
	s_mov_b32 s12, s14
	v_writelane_b32 v66, s12, 8
	v_cmp_gt_u64_e64 s[14:15], s[52:53], v[0:1]
	s_nop 0
	v_writelane_b32 v66, s13, 9
	s_mov_b64 s[12:13], exec
	v_writelane_b32 v66, s14, 10
	s_nop 1
	v_writelane_b32 v66, s15, 11
	s_and_b64 s[14:15], s[12:13], s[14:15]
	s_mov_b64 exec, s[14:15]
	s_cbranch_execz .LBB116_5
; %bb.2:
	s_load_dword s3, s[10:11], 0xc
	v_mad_u64_u32 v[2:3], s[16:17], s64, v0, 0
	v_mov_b32_e32 v4, v3
	v_mad_u64_u32 v[4:5], s[16:17], s65, v0, v[4:5]
	s_waitcnt lgkmcnt(0)
	s_and_b32 s14, s3, 0xffff
	s_lshl_b64 s[16:17], s[6:7], 3
	s_add_u32 s16, s4, s16
	v_mov_b32_e32 v3, v4
	s_addc_u32 s17, s5, s17
	s_mul_i32 s3, s65, s14
	s_mul_hi_u32 s9, s64, s14
	v_lshl_add_u64 v[4:5], v[2:3], 3, s[16:17]
	s_add_i32 s17, s9, s3
	s_mul_i32 s16, s64, s14
	s_mov_b32 s15, 0
	s_lshl_b64 s[18:19], s[16:17], 3
	s_mov_b64 s[16:17], 0
	v_mov_b64_e32 v[2:3], 0
	v_mov_b64_e32 v[6:7], v[0:1]
.LBB116_3:                              ; =>This Inner Loop Header: Depth=1
	global_load_dwordx2 v[8:9], v[4:5], off
	v_lshl_add_u64 v[6:7], v[6:7], 0, s[14:15]
	v_cmp_le_u64_e32 vcc, s[52:53], v[6:7]
	s_or_b64 s[16:17], vcc, s[16:17]
	v_mov_b32_e32 v11, s15
	v_lshl_add_u64 v[4:5], v[4:5], 0, s[18:19]
	s_waitcnt vmcnt(0)
	v_cmp_u_f64_e32 vcc, v[8:9], v[8:9]
	s_nop 1
	v_cndmask_b32_e64 v10, 0, 1, vcc
	v_lshl_add_u64 v[2:3], v[2:3], 0, v[10:11]
	s_andn2_b64 exec, exec, s[16:17]
	s_cbranch_execnz .LBB116_3
; %bb.4:
	s_or_b64 exec, exec, s[16:17]
.LBB116_5:
	s_or_b64 exec, exec, s[12:13]
	v_cmp_eq_u32_e64 s[14:15], 0, v0
	s_mov_b64 s[12:13], exec
	s_nop 0
	v_writelane_b32 v66, s14, 12
	s_nop 1
	v_writelane_b32 v66, s15, 13
	s_and_b64 s[14:15], s[12:13], s[14:15]
	s_mov_b64 exec, s[14:15]
; %bb.6:
	v_mov_b32_e32 v4, 0
	v_mov_b32_e32 v5, v4
	ds_write_b64 v4, v[4:5] offset:5136
; %bb.7:
	s_or_b64 exec, exec, s[12:13]
	s_mov_b64 s[14:15], 0
	v_cmp_ne_u64_e32 vcc, 0, v[2:3]
	s_waitcnt lgkmcnt(0)
	s_barrier
	s_and_saveexec_b64 s[12:13], vcc
	s_cbranch_execz .LBB116_12
; %bb.8:
	s_mov_b64 s[16:17], exec
.LBB116_9:                              ; =>This Inner Loop Header: Depth=1
	s_ff1_i32_b64 s3, s[16:17]
	v_readlane_b32 s18, v2, s3
	v_readlane_b32 s9, v3, s3
	s_add_u32 s14, s14, s18
	s_addc_u32 s15, s15, s9
	s_lshl_b64 s[18:19], 1, s3
	s_andn2_b64 s[16:17], s[16:17], s[18:19]
	s_cmp_lg_u64 s[16:17], 0
	s_cbranch_scc1 .LBB116_9
; %bb.10:
	v_mbcnt_lo_u32_b32 v2, exec_lo, 0
	v_mbcnt_hi_u32_b32 v2, exec_hi, v2
	v_cmp_eq_u32_e32 vcc, 0, v2
	s_and_saveexec_b64 s[16:17], vcc
	s_xor_b64 s[16:17], exec, s[16:17]
; %bb.11:
	v_mov_b32_e32 v2, 0
	v_mov_b64_e32 v[4:5], s[14:15]
	ds_add_u64 v2, v[4:5] offset:5136
.LBB116_12:
	s_or_b64 exec, exec, s[12:13]
	v_mov_b32_e32 v3, 0
	s_waitcnt lgkmcnt(0)
	s_barrier
	ds_read_b64 v[4:5], v3 offset:5136
	s_waitcnt lgkmcnt(0)
	v_readfirstlane_b32 s12, v4
	v_readfirstlane_b32 s13, v5
	s_mov_b64 s[14:15], exec
	v_readlane_b32 s16, v66, 12
	v_readlane_b32 s17, v66, 13
	s_and_b64 s[16:17], s[14:15], s[16:17]
	s_mov_b64 exec, s[16:17]
	s_cbranch_execz .LBB116_14
; %bb.13:
	v_mov_b32_e32 v4, s52
	v_mov_b32_e32 v5, s53
	;; [unrolled: 1-line block ×3, first 2 shown]
	ds_write_b32 v3, v3 offset:5144
	ds_write_b128 v3, v[2:5] offset:5120
.LBB116_14:
	s_or_b64 exec, exec, s[14:15]
	s_load_dword s3, s[0:1], 0x4f8
	v_cmp_lt_i64_e64 s[0:1], s[12:13], 1
	v_mbcnt_lo_u32_b32 v2, -1, 0
	v_mbcnt_hi_u32_b32 v44, -1, v2
	v_cmp_gt_u32_e32 vcc, 64, v0
	s_waitcnt lgkmcnt(0)
	s_bitcmp1_b32 s3, 0
	s_cselect_b64 s[14:15], -1, 0
	s_not_b64 s[12:13], s[12:13]
	s_or_b64 s[0:1], s[14:15], s[0:1]
	s_add_u32 s12, s52, s12
	s_addc_u32 s13, s53, s13
	s_lshr_b64 s[12:13], s[12:13], 1
	s_add_u32 s3, s12, 1
	s_addc_u32 s9, s13, 0
	s_and_b64 s[0:1], s[0:1], exec
	s_cselect_b32 s13, s9, s53
	s_cselect_b32 s12, s3, s52
	s_lshl_b64 s[0:1], s[6:7], 3
	s_add_u32 s56, s4, s0
	s_addc_u32 s57, s5, s1
	v_cmp_gt_i32_e64 s[0:1], 4, v44
	s_and_b64 s[80:81], vcc, s[0:1]
	v_cmp_gt_u32_e64 s[0:1], 2, v0
	v_mov_b64_e32 v[4:5], 0x180
	s_nop 0
	v_writelane_b32 v66, s0, 14
	s_barrier
	s_nop 0
	v_writelane_b32 v66, s1, 15
	v_cmp_gt_u64_e64 s[0:1], s[52:53], v[4:5]
	v_lshlrev_b32_e32 v8, 5, v0
	s_mov_b32 s73, 0
	v_writelane_b32 v66, s0, 16
	v_lshlrev_b32_e32 v45, 3, v0
	v_cmp_eq_u32_e64 s[4:5], 0, v44
	v_writelane_b32 v66, s1, 17
	v_mad_u64_u32 v[4:5], s[0:1], s64, v0, 0
	v_mov_b32_e32 v2, v5
	v_mad_u64_u32 v[6:7], s[0:1], s65, v0, v[2:3]
	s_load_dword s0, s[10:11], 0xc
	v_mov_b32_e32 v5, v6
	v_lshlrev_b32_e32 v2, 2, v44
	v_lshlrev_b64 v[6:7], v44, -1
	v_and_b32_e32 v47, 0x100, v2
	s_waitcnt lgkmcnt(0)
	s_and_b32 s66, s0, 0xffff
	s_bfe_u32 s0, s0, 0xa0006
	s_cmp_gt_u32 s66, 63
	s_cselect_b64 s[6:7], -1, 0
	s_add_u32 s1, s66, -1
	s_addc_u32 s3, 0, -1
	s_add_u32 s33, s1, s52
	v_writelane_b32 v66, s6, 18
	s_addc_u32 s79, s3, s53
	s_cmp_lt_u32 s2, s8
	v_writelane_b32 v66, s7, 19
	v_writelane_b32 v66, s1, 20
	s_cselect_b32 s1, 12, 18
	s_add_u32 s70, s10, s1
	s_addc_u32 s71, s11, 0
	s_add_i32 s1, s0, -1
	s_bfe_u32 s2, s66, 0x30006
	s_and_b32 s1, s1, 0xffff
	s_cmp_gt_u32 s1, 6
	v_writelane_b32 v66, s3, 21
	s_cselect_b64 s[6:7], -1, 0
	v_writelane_b32 v66, s6, 22
	v_not_b32_e32 v22, v6
	v_lshrrev_b32_e32 v2, 1, v0
	v_writelane_b32 v66, s7, 23
	s_and_b32 s6, s0, 0x3f8
	s_cmp_lg_u32 s2, 0
	v_writelane_b32 v66, s2, 24
	s_cselect_b64 s[0:1], -1, 0
	v_writelane_b32 v66, s0, 25
	v_or_b32_e32 v6, 24, v8
	v_and_b32_e32 v2, 0x1e0, v2
	v_writelane_b32 v66, s1, 26
	s_lshl_b64 s[0:1], s[64:65], 3
	v_writelane_b32 v66, s0, 27
	v_or_b32_e32 v48, 0xc00, v2
	v_not_b32_e32 v23, v7
	v_writelane_b32 v66, s1, 28
	v_mad_u64_u32 v[24:25], s[0:1], s64, v6, 0
	v_mov_b32_e32 v2, v25
	v_mad_u64_u32 v[6:7], s[0:1], s65, v6, v[2:3]
	v_mov_b32_e32 v25, v6
	v_or_b32_e32 v6, 16, v8
	v_mad_u64_u32 v[28:29], s[0:1], s64, v6, 0
	v_mov_b32_e32 v2, v29
	v_mad_u64_u32 v[6:7], s[0:1], s65, v6, v[2:3]
	v_mov_b32_e32 v29, v6
	v_or_b32_e32 v6, 8, v8
	v_mad_u64_u32 v[30:31], s[0:1], s64, v6, 0
	v_mov_b32_e32 v2, v31
	v_mad_u64_u32 v[6:7], s[0:1], s65, v6, v[2:3]
	s_mul_i32 s0, s65, s66
	s_mul_hi_u32 s1, s64, s66
	v_mov_b32_e32 v2, 0xc00
	s_add_i32 s1, s1, s0
	s_mul_i32 s0, s64, s66
	v_add_u32_e32 v46, 0xc00, v45
	v_lshl_add_u64 v[18:19], v[4:5], 3, s[56:57]
	v_lshlrev_b32_e32 v20, 2, v0
	v_mov_b32_e32 v21, v3
	s_mov_b32 s67, s73
	s_lshl_b64 s[88:89], s[64:65], 5
	v_mov_b32_e32 v31, v6
	v_lshlrev_b64 v[32:33], 5, v[4:5]
	v_lshlrev_b32_e32 v49, 5, v0
	v_lshl_or_b32 v50, v44, 3, v2
	s_lshl_b32 s7, s66, 3
	s_lshl_b64 s[68:69], s[0:1], 3
	s_mov_b32 s74, 62
	v_mov_b64_e32 v[8:9], 0
	s_mov_b64 s[90:91], 0
	v_mov_b64_e32 v[36:37], s[12:13]
	v_mov_b64_e32 v[26:27], 0
	;; [unrolled: 1-line block ×4, first 2 shown]
	v_mov_b32_e32 v5, 0x3ff00000
	v_mov_b32_e32 v51, 0x4f800000
	;; [unrolled: 1-line block ×4, first 2 shown]
	s_mov_b32 s75, 0
	v_writelane_b32 v66, s70, 29
                                        ; implicit-def: $sgpr92_sgpr93
                                        ; implicit-def: $sgpr96_sgpr97
                                        ; implicit-def: $sgpr94_sgpr95
                                        ; implicit-def: $sgpr54_sgpr55
                                        ; implicit-def: $sgpr58_sgpr59
                                        ; implicit-def: $sgpr98_sgpr99
	s_nop 1
	v_writelane_b32 v66, s71, 30
	s_branch .LBB116_18
.LBB116_15:                             ;   in Loop: Header=BB116_18 Depth=1
	s_or_b64 exec, exec, s[12:13]
	s_and_b64 s[10:11], s[10:11], exec
	s_andn2_b64 s[24:25], s[24:25], exec
	s_andn2_b64 s[0:1], s[0:1], exec
	s_orn2_b64 s[16:17], s[8:9], exec
.LBB116_16:                             ;   in Loop: Header=BB116_18 Depth=1
	s_or_b64 exec, exec, s[2:3]
	s_andn2_b64 s[2:3], s[98:99], exec
	s_and_b64 s[8:9], s[10:11], exec
	s_or_b64 s[98:99], s[2:3], s[8:9]
	s_andn2_b64 s[2:3], s[58:59], exec
	s_and_b64 s[8:9], s[24:25], exec
	s_or_b64 s[58:59], s[2:3], s[8:9]
	;; [unrolled: 3-line block ×3, first 2 shown]
	s_orn2_b64 s[0:1], s[16:17], exec
.LBB116_17:                             ;   in Loop: Header=BB116_18 Depth=1
	s_or_b64 exec, exec, s[14:15]
	s_and_b64 s[0:1], exec, s[0:1]
	s_or_b64 s[90:91], s[0:1], s[90:91]
	s_andn2_b64 s[0:1], s[94:95], exec
	s_and_b64 s[2:3], s[98:99], exec
	s_or_b64 s[94:95], s[0:1], s[2:3]
	s_andn2_b64 s[0:1], s[96:97], exec
	s_and_b64 s[2:3], s[58:59], exec
	;; [unrolled: 3-line block ×3, first 2 shown]
	s_or_b64 s[92:93], s[0:1], s[2:3]
	v_mov_b64_e32 v[36:37], v[14:15]
	s_andn2_b64 exec, exec, s[90:91]
	s_cbranch_execz .LBB116_284
.LBB116_18:                             ; =>This Loop Header: Depth=1
                                        ;     Child Loop BB116_24 Depth 2
                                        ;     Child Loop BB116_37 Depth 2
	;; [unrolled: 1-line block ×16, first 2 shown]
	ds_read_b128 v[10:13], v3 offset:5120
	s_waitcnt lgkmcnt(0)
	v_readfirstlane_b32 s61, v11
	v_readfirstlane_b32 s60, v10
	s_cmp_lg_u64 s[60:61], 0
	s_cbranch_scc1 .LBB116_45
; %bb.19:                               ;   in Loop: Header=BB116_18 Depth=1
	v_readlane_b32 s0, v66, 16
	v_readlane_b32 s1, v66, 17
	s_and_b64 vcc, exec, s[0:1]
	s_cbranch_vccz .LBB116_32
; %bb.20:                               ;   in Loop: Header=BB116_18 Depth=1
	s_mov_b64 s[0:1], 0x181
	v_cmp_gt_u64_e32 vcc, s[0:1], v[12:13]
	s_mov_b64 s[8:9], 0
	s_mov_b64 s[0:1], 0
	s_cbranch_vccz .LBB116_33
; %bb.21:                               ;   in Loop: Header=BB116_18 Depth=1
	s_mov_b64 s[10:11], exec
	v_readlane_b32 s0, v66, 10
	v_readlane_b32 s1, v66, 11
	s_and_b64 s[0:1], s[10:11], s[0:1]
	s_mov_b64 exec, s[0:1]
	s_cbranch_execz .LBB116_146
; %bb.22:                               ;   in Loop: Header=BB116_18 Depth=1
	global_load_ushort v4, v3, s[70:71]
	global_load_dwordx2 v[6:7], v[18:19], off
	v_readlane_b32 s16, v66, 27
	v_mov_b64_e32 v[10:11], s[56:57]
	v_readlane_b32 s17, v66, 28
	s_mov_b64 s[12:13], 0
	s_waitcnt vmcnt(1)
	v_readfirstlane_b32 s0, v4
	s_and_b32 s0, 0xffff, s0
	s_nop 0
	v_add_u32_e32 v12, s0, v0
	s_mul_i32 s2, s17, s0
	s_mul_hi_u32 s3, s16, s0
	s_mul_i32 s14, s16, s0
	v_mad_u64_u32 v[10:11], s[0:1], s16, v12, v[10:11]
	v_and_b32_e32 v2, 0xffff, v4
	v_mov_b32_e32 v4, v11
	v_mad_u64_u32 v[12:13], s[0:1], s17, v12, v[4:5]
	s_add_i32 s15, s3, s2
	v_mov_b32_e32 v11, v12
	v_mov_b64_e32 v[12:13], v[0:1]
	s_branch .LBB116_24
.LBB116_23:                             ;   in Loop: Header=BB116_24 Depth=2
	s_or_b64 exec, exec, s[2:3]
	v_lshl_add_u64 v[10:11], v[10:11], 0, s[14:15]
	v_mov_b64_e32 v[6:7], v[14:15]
	s_andn2_b64 exec, exec, s[12:13]
	s_cbranch_execz .LBB116_146
.LBB116_24:                             ;   Parent Loop BB116_18 Depth=1
                                        ; =>  This Inner Loop Header: Depth=2
	v_lshl_add_u64 v[12:13], v[12:13], 0, v[2:3]
	v_cmp_gt_u64_e64 s[0:1], s[52:53], v[12:13]
	v_cmp_le_u64_e32 vcc, s[52:53], v[12:13]
	v_mov_b64_e32 v[14:15], 0
	s_and_saveexec_b64 s[2:3], s[0:1]
	s_cbranch_execz .LBB116_26
; %bb.25:                               ;   in Loop: Header=BB116_24 Depth=2
	global_load_dwordx2 v[14:15], v[10:11], off
.LBB116_26:                             ;   in Loop: Header=BB116_24 Depth=2
	s_or_b64 exec, exec, s[2:3]
	s_waitcnt vmcnt(0) lgkmcnt(0)
	v_ashrrev_i32_e32 v4, 31, v7
	v_or_b32_e32 v16, 0x80000000, v4
	v_xor_b32_e32 v16, v16, v7
	v_xor_b32_e32 v4, v4, v6
	v_cmp_o_f64_e64 s[0:1], v[6:7], v[6:7]
	s_nop 1
	v_cndmask_b32_e64 v16, -1, v16, s[0:1]
	v_cndmask_b32_e64 v4, -1, v4, s[0:1]
	v_and_b32_e32 v17, v16, v35
	v_and_b32_e32 v16, v4, v34
	v_cmp_eq_u64_e64 s[0:1], v[16:17], v[26:27]
	s_cmp_lg_u64 s[0:1], 0
	s_cselect_b64 s[2:3], -1, 0
	s_and_b64 s[2:3], s[4:5], s[2:3]
	v_mov_b32_e32 v4, 0
	s_and_saveexec_b64 s[16:17], s[2:3]
	s_cbranch_execz .LBB116_30
; %bb.27:                               ;   in Loop: Header=BB116_24 Depth=2
	s_mov_b64 s[20:21], exec
	v_mbcnt_lo_u32_b32 v4, s20, 0
	v_mbcnt_hi_u32_b32 v4, s21, v4
	s_bcnt1_i32_b64 s22, s[0:1]
	v_cmp_eq_u32_e64 s[2:3], 0, v4
                                        ; implicit-def: $vgpr16
	s_and_saveexec_b64 s[18:19], s[2:3]
; %bb.28:                               ;   in Loop: Header=BB116_24 Depth=2
	s_bcnt1_i32_b64 s2, s[20:21]
	s_mul_i32 s2, s22, s2
	v_mov_b32_e32 v16, s2
	ds_add_rtn_u32 v16, v3, v16 offset:5144
; %bb.29:                               ;   in Loop: Header=BB116_24 Depth=2
	s_or_b64 exec, exec, s[18:19]
	s_waitcnt lgkmcnt(0)
	v_readfirstlane_b32 s2, v16
	s_nop 1
	v_mov_b32_e32 v16, s2
	v_mad_u32_u24 v4, s22, v4, v16
.LBB116_30:                             ;   in Loop: Header=BB116_24 Depth=2
	s_or_b64 exec, exec, s[16:17]
	ds_bpermute_b32 v4, v47, v4
	s_and_b64 s[2:3], exec, vcc
	s_or_b64 s[12:13], s[2:3], s[12:13]
	s_and_saveexec_b64 s[2:3], s[0:1]
	s_cbranch_execz .LBB116_23
; %bb.31:                               ;   in Loop: Header=BB116_24 Depth=2
	v_and_b32_e32 v17, s0, v22
	v_and_b32_e32 v16, s1, v23
	v_bcnt_u32_b32 v17, v17, 0
	v_bcnt_u32_b32 v16, v16, v17
	v_lshlrev_b32_e32 v16, 3, v16
	s_waitcnt lgkmcnt(0)
	v_lshl_add_u32 v4, v4, 3, v16
	ds_write_b64 v4, v[6:7]
	s_branch .LBB116_23
.LBB116_32:                             ;   in Loop: Header=BB116_18 Depth=1
	s_mov_b64 s[8:9], -1
	s_mov_b64 s[0:1], 0
.LBB116_33:                             ;   in Loop: Header=BB116_18 Depth=1
	s_and_b64 vcc, exec, s[8:9]
	s_cbranch_vccz .LBB116_43
.LBB116_34:                             ;   in Loop: Header=BB116_18 Depth=1
	s_mov_b64 s[0:1], exec
	v_readlane_b32 s2, v66, 10
	v_readlane_b32 s3, v66, 11
	s_and_b64 s[2:3], s[0:1], s[2:3]
	s_mov_b64 exec, s[2:3]
	s_cbranch_execz .LBB116_40
; %bb.35:                               ;   in Loop: Header=BB116_18 Depth=1
	global_load_ushort v2, v3, s[70:71]
	global_load_dwordx2 v[6:7], v[18:19], off
	v_mov_b32_e32 v4, v0
	s_waitcnt vmcnt(1)
	v_readfirstlane_b32 s8, v2
	v_add_u32_sdwa v2, v2, v0 dst_sel:DWORD dst_unused:UNUSED_PAD src0_sel:WORD_0 src1_sel:DWORD
	v_cmp_gt_u64_e32 vcc, s[52:53], v[2:3]
	s_and_saveexec_b64 s[2:3], vcc
	s_cbranch_execz .LBB116_39
; %bb.36:                               ;   in Loop: Header=BB116_18 Depth=1
	v_mov_b64_e32 v[10:11], s[56:57]
	v_readlane_b32 s10, v66, 27
	s_and_b32 s72, s8, 0xffff
	v_readlane_b32 s11, v66, 28
	v_mad_u64_u32 v[10:11], s[8:9], s10, v2, v[10:11]
	v_mov_b32_e32 v4, v11
	v_mad_u64_u32 v[12:13], s[8:9], s11, v2, v[4:5]
	s_mul_i32 s8, s11, s72
	s_mul_hi_u32 s9, s10, s72
	v_mov_b32_e32 v11, v12
	s_add_i32 s9, s9, s8
	s_mul_i32 s8, s10, s72
	s_mov_b64 s[10:11], 0
	v_mov_b64_e32 v[14:15], v[2:3]
	v_mov_b64_e32 v[16:17], v[0:1]
.LBB116_37:                             ;   Parent Loop BB116_18 Depth=1
                                        ; =>  This Inner Loop Header: Depth=2
	global_load_dwordx2 v[12:13], v[10:11], off
	v_mov_b64_e32 v[38:39], v[14:15]
	v_lshl_add_u64 v[14:15], v[38:39], 0, s[72:73]
	v_lshlrev_b32_e32 v2, 3, v16
	v_cmp_le_u64_e32 vcc, s[52:53], v[14:15]
	v_lshl_add_u64 v[10:11], v[10:11], 0, s[8:9]
	s_waitcnt vmcnt(1)
	ds_write_b64 v2, v[6:7]
	v_mov_b64_e32 v[16:17], v[38:39]
	s_or_b64 s[10:11], vcc, s[10:11]
	s_waitcnt vmcnt(0)
	v_mov_b64_e32 v[6:7], v[12:13]
	s_andn2_b64 exec, exec, s[10:11]
	s_cbranch_execnz .LBB116_37
; %bb.38:                               ;   in Loop: Header=BB116_18 Depth=1
	s_or_b64 exec, exec, s[10:11]
	v_subrev_u32_e32 v4, s72, v14
	v_mov_b64_e32 v[6:7], v[12:13]
.LBB116_39:                             ;   in Loop: Header=BB116_18 Depth=1
	s_or_b64 exec, exec, s[2:3]
	v_lshlrev_b32_e32 v2, 3, v4
	s_waitcnt vmcnt(0)
	ds_write_b64 v2, v[6:7]
.LBB116_40:                             ;   in Loop: Header=BB116_18 Depth=1
	s_or_b64 exec, exec, s[0:1]
	s_waitcnt lgkmcnt(0)
	s_barrier
	s_mov_b64 s[0:1], exec
	v_readlane_b32 s2, v66, 12
	v_readlane_b32 s3, v66, 13
	s_and_b64 s[2:3], s[0:1], s[2:3]
	s_mov_b64 exec, s[2:3]
; %bb.41:                               ;   in Loop: Header=BB116_18 Depth=1
	ds_write_b64 v3, v[54:55] offset:5120
; %bb.42:                               ;   in Loop: Header=BB116_18 Depth=1
	s_or_b64 exec, exec, s[0:1]
	s_mov_b64 s[0:1], -1
	s_waitcnt lgkmcnt(0)
	s_barrier
.LBB116_43:                             ;   in Loop: Header=BB116_18 Depth=1
	s_mov_b64 s[60:61], 0
	s_and_b64 vcc, exec, s[0:1]
	s_cbranch_vccz .LBB116_45
; %bb.44:                               ;   in Loop: Header=BB116_18 Depth=1
	ds_read_b64 v[6:7], v3 offset:5120
	s_waitcnt lgkmcnt(0)
	v_readfirstlane_b32 s60, v6
.LBB116_45:                             ;   in Loop: Header=BB116_18 Depth=1
	s_cmp_lt_i32 s60, 1
	s_mov_b64 s[0:1], -1
                                        ; implicit-def: $vgpr10_vgpr11
                                        ; implicit-def: $vgpr14_vgpr15
	s_cbranch_scc1 .LBB116_55
; %bb.46:                               ;   in Loop: Header=BB116_18 Depth=1
	s_and_b64 vcc, exec, s[0:1]
	s_cbranch_vccnz .LBB116_69
.LBB116_47:                             ;   in Loop: Header=BB116_18 Depth=1
	s_lshl_b32 s2, s75, 6
	s_and_saveexec_b64 s[0:1], s[4:5]
	s_cbranch_execz .LBB116_49
.LBB116_48:                             ;   in Loop: Header=BB116_18 Depth=1
	v_lshl_add_u32 v2, s2, 3, v48
	ds_write_b128 v2, v[10:13]
	ds_write_b128 v2, v[14:17] offset:16
.LBB116_49:                             ;   in Loop: Header=BB116_18 Depth=1
	s_or_b64 exec, exec, s[0:1]
	s_waitcnt lgkmcnt(0)
	s_barrier
	s_and_saveexec_b64 s[0:1], s[80:81]
	s_cbranch_execz .LBB116_84
; %bb.50:                               ;   in Loop: Header=BB116_18 Depth=1
	v_readlane_b32 s8, v66, 18
	v_readlane_b32 s9, v66, 19
	s_andn2_b64 vcc, exec, s[8:9]
	v_mov_b64_e32 v[6:7], 0
	s_cbranch_vccnz .LBB116_83
; %bb.51:                               ;   in Loop: Header=BB116_18 Depth=1
	v_readlane_b32 s8, v66, 22
	v_readlane_b32 s9, v66, 23
	s_andn2_b64 vcc, exec, s[8:9]
	s_cbranch_vccnz .LBB116_79
; %bb.52:                               ;   in Loop: Header=BB116_18 Depth=1
	v_lshl_add_u32 v2, s75, 9, v50
	v_mov_b64_e32 v[6:7], 0
	s_mov_b32 s3, 0
.LBB116_53:                             ;   Parent Loop BB116_18 Depth=1
                                        ; =>  This Inner Loop Header: Depth=2
	ds_read2_b64 v[10:13], v2 offset1:4
	ds_read2_b64 v[14:17], v2 offset0:8 offset1:12
	ds_read2_b64 v[38:41], v2 offset0:16 offset1:20
	;; [unrolled: 1-line block ×3, first 2 shown]
	s_add_i32 s3, s3, 8
	s_waitcnt lgkmcnt(3)
	v_lshl_add_u64 v[6:7], v[10:11], 0, v[6:7]
	v_lshl_add_u64 v[6:7], v[12:13], 0, v[6:7]
	s_waitcnt lgkmcnt(2)
	v_lshl_add_u64 v[6:7], v[14:15], 0, v[6:7]
	v_lshl_add_u64 v[6:7], v[16:17], 0, v[6:7]
	;; [unrolled: 3-line block ×3, first 2 shown]
	s_waitcnt lgkmcnt(0)
	v_lshl_add_u64 v[6:7], v[58:59], 0, v[6:7]
	v_add_u32_e32 v2, 0x100, v2
	s_cmp_eq_u32 s6, s3
	v_lshl_add_u64 v[6:7], v[60:61], 0, v[6:7]
	s_cbranch_scc0 .LBB116_53
; %bb.54:                               ;   in Loop: Header=BB116_18 Depth=1
	s_mov_b32 s3, s6
	s_branch .LBB116_80
.LBB116_55:                             ;   in Loop: Header=BB116_18 Depth=1
	global_load_ushort v2, v3, s[70:71]
	s_mov_b32 s0, s73
	s_waitcnt vmcnt(0)
	v_readfirstlane_b32 s1, v2
	s_and_b32 s62, s1, 0xffff
	s_lshl_b32 s72, s62, 2
	s_mov_b32 s1, s53
	s_cmp_lg_u64 s[0:1], 0
	s_cbranch_scc0 .LBB116_78
; %bb.56:                               ;   in Loop: Header=BB116_18 Depth=1
	v_cvt_f32_u32_e32 v2, s72
	s_sub_u32 s2, 0, s72
	s_subb_u32 s3, 0, 0
	v_fmac_f32_e32 v2, 0, v51
	v_rcp_f32_e32 v2, v2
	s_nop 0
	v_mul_f32_e32 v2, 0x5f7ffffc, v2
	v_mul_f32_e32 v4, 0x2f800000, v2
	v_trunc_f32_e32 v4, v4
	v_fmac_f32_e32 v2, 0xcf800000, v4
	v_cvt_u32_f32_e32 v4, v4
	v_cvt_u32_f32_e32 v2, v2
	v_readfirstlane_b32 s8, v4
	v_readfirstlane_b32 s0, v2
	s_mul_i32 s1, s2, s8
	s_mul_hi_u32 s10, s2, s0
	s_mul_i32 s9, s3, s0
	s_add_i32 s1, s10, s1
	s_mul_i32 s11, s2, s0
	s_add_i32 s1, s1, s9
	s_mul_hi_u32 s10, s0, s11
	s_mul_i32 s12, s0, s1
	s_mul_hi_u32 s9, s0, s1
	s_add_u32 s10, s10, s12
	s_addc_u32 s9, 0, s9
	s_mul_hi_u32 s13, s8, s11
	s_mul_i32 s11, s8, s11
	s_add_u32 s10, s10, s11
	s_mul_hi_u32 s12, s8, s1
	s_addc_u32 s9, s9, s13
	s_addc_u32 s10, s12, 0
	s_mul_i32 s1, s8, s1
	s_add_u32 s1, s9, s1
	s_addc_u32 s9, 0, s10
	s_add_u32 s10, s0, s1
	s_cselect_b64 s[0:1], -1, 0
	s_cmp_lg_u64 s[0:1], 0
	s_addc_u32 s8, s8, s9
	s_mul_i32 s0, s2, s8
	s_mul_hi_u32 s1, s2, s10
	s_add_i32 s0, s1, s0
	s_mul_i32 s3, s3, s10
	s_add_i32 s0, s0, s3
	s_mul_i32 s2, s2, s10
	s_mul_hi_u32 s3, s8, s2
	s_mul_i32 s9, s8, s2
	s_mul_i32 s12, s10, s0
	s_mul_hi_u32 s2, s10, s2
	s_mul_hi_u32 s11, s10, s0
	s_add_u32 s2, s2, s12
	s_addc_u32 s11, 0, s11
	s_add_u32 s2, s2, s9
	s_mul_hi_u32 s1, s8, s0
	s_addc_u32 s2, s11, s3
	s_addc_u32 s1, s1, 0
	s_mul_i32 s0, s8, s0
	s_add_u32 s0, s2, s0
	s_addc_u32 s2, 0, s1
	s_add_u32 s3, s10, s0
	s_cselect_b64 s[0:1], -1, 0
	s_cmp_lg_u64 s[0:1], 0
	s_addc_u32 s0, s8, s2
	s_mul_i32 s2, s52, s0
	s_mul_hi_u32 s8, s52, s3
	s_mul_hi_u32 s1, s52, s0
	s_add_u32 s2, s8, s2
	s_addc_u32 s1, 0, s1
	s_mul_hi_u32 s9, s53, s3
	s_mul_i32 s3, s53, s3
	s_add_u32 s2, s2, s3
	s_mul_hi_u32 s8, s53, s0
	s_addc_u32 s1, s1, s9
	s_addc_u32 s2, s8, 0
	s_mul_i32 s0, s53, s0
	s_add_u32 s0, s1, s0
	s_addc_u32 s1, 0, s2
	s_mul_i32 s1, s72, s1
	s_mul_hi_u32 s2, s72, s0
	s_add_i32 s2, s2, s1
	s_mul_i32 s0, s72, s0
	s_sub_u32 s3, s52, s0
	s_cselect_b64 s[0:1], -1, 0
	s_cmp_lg_u64 s[0:1], 0
	s_subb_u32 s2, s53, s2
	s_sub_u32 s8, s3, s72
	s_cselect_b64 s[0:1], -1, 0
	s_cmp_lg_u64 s[0:1], 0
	s_subb_u32 s9, s2, 0
	;; [unrolled: 4-line block ×3, first 2 shown]
	s_cmp_ge_u32 s8, s72
	s_cselect_b32 s1, -1, 0
	s_cmp_eq_u32 s9, 0
	s_cselect_b32 s1, s1, -1
	s_cmp_lg_u32 s1, 0
	s_cselect_b32 s0, s0, s9
	s_cselect_b32 s8, s10, s8
	s_cmp_ge_u32 s3, s72
	s_cselect_b32 s1, -1, 0
	s_cmp_eq_u32 s2, 0
	s_cselect_b32 s1, s1, -1
	s_cmp_lg_u32 s1, 0
	s_cselect_b32 s1, s0, s2
	s_cselect_b32 s0, s8, s3
	s_cbranch_execnz .LBB116_58
.LBB116_57:                             ;   in Loop: Header=BB116_18 Depth=1
	v_cvt_f32_u32_e32 v2, s72
	s_sub_i32 s0, 0, s72
	v_rcp_iflag_f32_e32 v2, v2
	s_nop 0
	v_mul_f32_e32 v2, 0x4f7ffffe, v2
	v_cvt_u32_f32_e32 v2, v2
	s_nop 0
	v_readfirstlane_b32 s1, v2
	s_mul_i32 s0, s0, s1
	s_mul_hi_u32 s0, s1, s0
	s_add_i32 s1, s1, s0
	s_mul_hi_u32 s0, s52, s1
	s_mul_i32 s0, s0, s72
	s_sub_i32 s0, s52, s0
	s_sub_i32 s1, s0, s72
	s_cmp_ge_u32 s0, s72
	s_cselect_b32 s0, s1, s0
	s_sub_i32 s1, s0, s72
	s_cmp_ge_u32 s0, s72
	s_cselect_b32 s0, s1, s0
	s_mov_b32 s1, s73
.LBB116_58:                             ;   in Loop: Header=BB116_18 Depth=1
	s_sub_u32 s82, s52, s0
	s_subb_u32 s83, s53, s1
	s_mov_b32 s63, s73
	v_cmp_gt_u64_e32 vcc, s[82:83], v[20:21]
	v_mov_b64_e32 v[10:11], 0
	v_mov_b64_e32 v[12:13], 0
	;; [unrolled: 1-line block ×4, first 2 shown]
	s_and_saveexec_b64 s[84:85], vcc
	s_cbranch_execz .LBB116_62
; %bb.59:                               ;   in Loop: Header=BB116_18 Depth=1
	s_mul_i32 s0, s89, s62
	s_mul_hi_u32 s1, s88, s62
	s_add_i32 s61, s1, s0
	s_mov_b64 s[10:11], 0
	s_mov_b64 s[70:71], s[56:57]
	;; [unrolled: 1-line block ×6, first 2 shown]
	v_mov_b64_e32 v[6:7], v[20:21]
.LBB116_60:                             ;   Parent Loop BB116_18 Depth=1
                                        ; =>  This Inner Loop Header: Depth=2
	v_lshl_add_u64 v[10:11], s[70:71], 0, v[32:33]
	v_lshl_add_u64 v[12:13], s[70:71], 0, v[30:31]
	;; [unrolled: 1-line block ×4, first 2 shown]
	global_load_dwordx2 v[10:11], v[10:11], off
	s_nop 0
	global_load_dwordx2 v[12:13], v[12:13], off
	s_nop 0
	;; [unrolled: 2-line block ×3, first 2 shown]
	global_load_dwordx2 v[16:17], v[16:17], off
	v_mov_b32_e32 v39, v3
	v_mov_b32_e32 v41, v3
	;; [unrolled: 1-line block ×3, first 2 shown]
	s_mul_i32 s78, s88, s62
	v_lshl_add_u64 v[6:7], v[6:7], 0, s[72:73]
	v_cmp_le_u64_e32 vcc, s[82:83], v[6:7]
	s_waitcnt vmcnt(3)
	v_ashrrev_i32_e32 v2, 31, v11
	s_waitcnt vmcnt(2)
	v_ashrrev_i32_e32 v4, 31, v13
	;; [unrolled: 2-line block ×3, first 2 shown]
	v_xor_b32_e32 v42, v4, v12
	v_cmp_o_f64_e64 s[0:1], v[12:13], v[12:13]
	v_xor_b32_e32 v12, v2, v10
	v_or_b32_e32 v2, 0x80000000, v2
	s_waitcnt vmcnt(0)
	v_ashrrev_i32_e32 v40, 31, v17
	v_cmp_o_f64_e64 s[14:15], v[10:11], v[10:11]
	v_or_b32_e32 v4, 0x80000000, v4
	v_or_b32_e32 v10, 0x80000000, v38
	v_xor_b32_e32 v2, v2, v11
	v_xor_b32_e32 v52, v38, v14
	v_cmp_o_f64_e64 s[2:3], v[14:15], v[14:15]
	v_xor_b32_e32 v53, v40, v16
	v_cmp_o_f64_e64 s[12:13], v[16:17], v[16:17]
	v_or_b32_e32 v14, 0x80000000, v40
	v_xor_b32_e32 v4, v4, v13
	v_xor_b32_e32 v15, v10, v15
	v_cndmask_b32_e64 v10, -1, v12, s[14:15]
	v_cndmask_b32_e64 v11, -1, v2, s[14:15]
	v_xor_b32_e32 v17, v14, v17
	v_cndmask_b32_e64 v12, -1, v42, s[0:1]
	v_cndmask_b32_e64 v14, -1, v52, s[2:3]
	v_cndmask_b32_e64 v16, -1, v53, s[12:13]
	v_cndmask_b32_e64 v13, -1, v4, s[0:1]
	v_and_b32_e32 v52, v10, v34
	v_and_b32_e32 v53, v11, v35
	v_lshrrev_b64 v[10:11], s74, v[10:11]
	v_cndmask_b32_e64 v15, -1, v15, s[2:3]
	v_and_b32_e32 v58, v12, v34
	v_and_b32_e32 v59, v13, v35
	v_lshrrev_b64 v[12:13], s74, v[12:13]
	v_and_b32_e32 v2, 3, v10
	v_cndmask_b32_e64 v17, -1, v17, s[12:13]
	v_and_b32_e32 v60, v14, v34
	v_and_b32_e32 v61, v15, v35
	v_lshrrev_b64 v[14:15], s74, v[14:15]
	v_cmp_eq_u64_e64 s[2:3], v[52:53], v[26:27]
	v_and_b32_e32 v38, 3, v12
	v_cmp_eq_u64_e64 s[16:17], 0, v[2:3]
	v_and_b32_e32 v62, v16, v34
	v_and_b32_e32 v63, v17, v35
	v_lshrrev_b64 v[16:17], s74, v[16:17]
	v_cmp_eq_u64_e64 s[12:13], v[58:59], v[26:27]
	v_and_b32_e32 v40, 3, v14
	v_cmp_eq_u64_e64 s[18:19], 0, v[38:39]
	s_and_b64 s[16:17], s[2:3], s[16:17]
	v_cmp_eq_u64_e64 s[14:15], v[60:61], v[26:27]
	v_and_b32_e32 v42, 3, v16
	v_cmp_eq_u64_e64 s[20:21], 0, v[40:41]
	v_cmp_eq_u64_e64 s[24:25], 1, v[2:3]
	;; [unrolled: 1-line block ×4, first 2 shown]
	v_cndmask_b32_e64 v2, 0, 1, s[16:17]
	s_and_b64 s[16:17], s[12:13], s[18:19]
	v_cmp_eq_u64_e64 s[0:1], v[62:63], v[26:27]
	v_cmp_eq_u64_e64 s[22:23], 0, v[42:43]
	v_cndmask_b32_e64 v4, 0, 1, s[16:17]
	s_and_b64 s[16:17], s[14:15], s[20:21]
	v_cndmask_b32_e64 v10, 0, 1, s[16:17]
	s_and_b64 s[16:17], s[0:1], s[22:23]
	v_cndmask_b32_e64 v11, 0, 1, s[16:17]
	v_cmp_ne_u32_e64 s[16:17], 0, v2
	v_cmp_ne_u32_e64 s[18:19], 0, v4
	;; [unrolled: 1-line block ×4, first 2 shown]
	s_bcnt1_i32_b64 s16, s[16:17]
	s_bcnt1_i32_b64 s17, s[18:19]
	;; [unrolled: 1-line block ×4, first 2 shown]
	s_add_u32 s16, s16, s76
	s_addc_u32 s20, 0, s77
	s_add_u32 s16, s16, s17
	s_addc_u32 s17, s20, 0
	;; [unrolled: 2-line block ×3, first 2 shown]
	s_add_u32 s76, s16, s19
	v_cmp_eq_u64_e64 s[28:29], 1, v[38:39]
	s_addc_u32 s77, s17, 0
	s_and_b64 s[16:17], s[2:3], s[24:25]
	v_cmp_eq_u64_e64 s[30:31], 1, v[40:41]
	v_cndmask_b32_e64 v2, 0, 1, s[16:17]
	s_and_b64 s[16:17], s[12:13], s[28:29]
	v_cmp_eq_u64_e64 s[34:35], 1, v[42:43]
	v_cndmask_b32_e64 v4, 0, 1, s[16:17]
	s_and_b64 s[16:17], s[14:15], s[30:31]
	v_cndmask_b32_e64 v12, 0, 1, s[16:17]
	s_and_b64 s[16:17], s[0:1], s[34:35]
	v_cndmask_b32_e64 v13, 0, 1, s[16:17]
	v_cmp_ne_u32_e64 s[16:17], 0, v2
	v_cmp_ne_u32_e64 s[18:19], 0, v4
	;; [unrolled: 1-line block ×4, first 2 shown]
	s_bcnt1_i32_b64 s16, s[16:17]
	s_bcnt1_i32_b64 s17, s[18:19]
	;; [unrolled: 1-line block ×4, first 2 shown]
	s_add_u32 s16, s16, s86
	s_addc_u32 s20, 0, s87
	s_add_u32 s16, s16, s17
	s_addc_u32 s17, s20, 0
	;; [unrolled: 2-line block ×3, first 2 shown]
	s_add_u32 s86, s16, s19
	v_cmp_eq_u64_e64 s[38:39], 2, v[38:39]
	s_addc_u32 s87, s17, 0
	s_and_b64 s[16:17], s[2:3], s[36:37]
	v_cmp_eq_u64_e64 s[40:41], 2, v[40:41]
	v_cndmask_b32_e64 v2, 0, 1, s[16:17]
	s_and_b64 s[16:17], s[12:13], s[38:39]
	v_cmp_eq_u64_e64 s[42:43], 2, v[42:43]
	v_cndmask_b32_e64 v4, 0, 1, s[16:17]
	s_and_b64 s[16:17], s[14:15], s[40:41]
	v_cndmask_b32_e64 v14, 0, 1, s[16:17]
	s_and_b64 s[16:17], s[0:1], s[42:43]
	v_cndmask_b32_e64 v15, 0, 1, s[16:17]
	v_cmp_ne_u32_e64 s[16:17], 0, v2
	v_cmp_ne_u32_e64 s[18:19], 0, v4
	v_cmp_ne_u32_e64 s[20:21], 0, v14
	v_cmp_ne_u32_e64 s[22:23], 0, v15
	s_bcnt1_i32_b64 s16, s[16:17]
	s_bcnt1_i32_b64 s17, s[18:19]
	;; [unrolled: 1-line block ×4, first 2 shown]
	s_add_u32 s16, s16, s26
	s_addc_u32 s20, 0, s27
	s_add_u32 s16, s16, s17
	s_addc_u32 s17, s20, 0
	;; [unrolled: 2-line block ×3, first 2 shown]
	s_add_u32 s26, s16, s19
	v_cmp_eq_u64_e64 s[46:47], 3, v[38:39]
	s_addc_u32 s27, s17, 0
	s_and_b64 s[2:3], s[2:3], s[44:45]
	v_cmp_eq_u64_e64 s[48:49], 3, v[40:41]
	v_cmp_eq_u64_e64 s[50:51], 3, v[42:43]
	v_cndmask_b32_e64 v2, 0, 1, s[2:3]
	s_and_b64 s[2:3], s[12:13], s[46:47]
	v_cndmask_b32_e64 v4, 0, 1, s[2:3]
	s_and_b64 s[2:3], s[14:15], s[48:49]
	s_and_b64 s[0:1], s[0:1], s[50:51]
	v_cndmask_b32_e64 v16, 0, 1, s[2:3]
	v_cndmask_b32_e64 v17, 0, 1, s[0:1]
	v_cmp_ne_u32_e64 s[0:1], 0, v2
	v_cmp_ne_u32_e64 s[2:3], 0, v4
	;; [unrolled: 1-line block ×4, first 2 shown]
	s_bcnt1_i32_b64 s0, s[0:1]
	s_bcnt1_i32_b64 s1, s[2:3]
	;; [unrolled: 1-line block ×4, first 2 shown]
	s_add_u32 s0, s0, s8
	s_addc_u32 s8, 0, s9
	s_add_u32 s0, s0, s1
	s_addc_u32 s1, s8, 0
	;; [unrolled: 2-line block ×5, first 2 shown]
	v_mov_b64_e32 v[10:11], s[76:77]
	v_mov_b64_e32 v[12:13], s[86:87]
	;; [unrolled: 1-line block ×3, first 2 shown]
	s_or_b64 s[10:11], vcc, s[10:11]
	v_mov_b64_e32 v[16:17], s[8:9]
	s_andn2_b64 exec, exec, s[10:11]
	s_cbranch_execnz .LBB116_60
; %bb.61:                               ;   in Loop: Header=BB116_18 Depth=1
	s_or_b64 exec, exec, s[10:11]
	v_readlane_b32 s70, v66, 29
	v_readlane_b32 s71, v66, 30
.LBB116_62:                             ;   in Loop: Header=BB116_18 Depth=1
	s_or_b64 exec, exec, s[84:85]
	v_lshl_add_u64 v[6:7], s[82:83], 0, v[0:1]
	v_cmp_gt_u64_e32 vcc, s[52:53], v[6:7]
	s_and_saveexec_b64 s[2:3], vcc
	s_cbranch_execz .LBB116_68
; %bb.63:                               ;   in Loop: Header=BB116_18 Depth=1
	v_mul_lo_u32 v2, v7, s64
	v_mul_lo_u32 v4, v6, s65
	v_mad_u64_u32 v[38:39], s[0:1], v6, s64, 0
	v_add3_u32 v39, v39, v4, v2
	v_lshl_add_u64 v[38:39], v[38:39], 3, s[56:57]
	global_load_dwordx2 v[40:41], v[38:39], off
	s_mov_b64 s[8:9], 0
	s_branch .LBB116_65
.LBB116_64:                             ;   in Loop: Header=BB116_65 Depth=2
	s_or_b64 exec, exec, s[10:11]
	s_waitcnt vmcnt(0)
	v_ashrrev_i32_e32 v2, 31, v41
	v_or_b32_e32 v4, 0x80000000, v2
	s_and_b64 s[0:1], exec, vcc
	v_xor_b32_e32 v4, v4, v41
	v_xor_b32_e32 v2, v2, v40
	v_cmp_o_f64_e32 vcc, v[40:41], v[40:41]
	s_or_b64 s[8:9], s[0:1], s[8:9]
	s_nop 0
	v_cndmask_b32_e32 v41, -1, v4, vcc
	v_cndmask_b32_e32 v40, -1, v2, vcc
	v_and_b32_e32 v43, v41, v35
	v_and_b32_e32 v42, v40, v34
	v_lshrrev_b64 v[40:41], s74, v[40:41]
	v_and_b32_e32 v2, 3, v40
	v_cmp_eq_u64_e32 vcc, v[42:43], v[26:27]
	v_cmp_eq_u64_e64 s[0:1], 0, v[2:3]
	s_and_b64 s[0:1], vcc, s[0:1]
	v_mov_b64_e32 v[40:41], v[38:39]
	v_cndmask_b32_e64 v4, 0, 1, s[0:1]
	v_cmp_ne_u32_e64 s[0:1], 0, v4
	s_bcnt1_i32_b64 s72, s[0:1]
	v_cmp_eq_u64_e64 s[0:1], 1, v[2:3]
	s_and_b64 s[0:1], vcc, s[0:1]
	v_lshl_add_u64 v[10:11], s[72:73], 0, v[10:11]
	v_cndmask_b32_e64 v4, 0, 1, s[0:1]
	v_cmp_ne_u32_e64 s[0:1], 0, v4
	s_bcnt1_i32_b64 s72, s[0:1]
	v_cmp_eq_u64_e64 s[0:1], 2, v[2:3]
	s_and_b64 s[0:1], vcc, s[0:1]
	v_lshl_add_u64 v[12:13], s[72:73], 0, v[12:13]
	;; [unrolled: 6-line block ×3, first 2 shown]
	v_cndmask_b32_e64 v2, 0, 1, s[0:1]
	v_cmp_ne_u32_e32 vcc, 0, v2
	s_bcnt1_i32_b64 s72, vcc
	v_lshl_add_u64 v[16:17], s[72:73], 0, v[16:17]
	s_andn2_b64 exec, exec, s[8:9]
	s_cbranch_execz .LBB116_67
.LBB116_65:                             ;   Parent Loop BB116_18 Depth=1
                                        ; =>  This Inner Loop Header: Depth=2
	v_lshl_add_u64 v[6:7], v[6:7], 0, s[62:63]
	v_cmp_gt_u64_e64 s[0:1], s[52:53], v[6:7]
	v_cmp_le_u64_e32 vcc, s[52:53], v[6:7]
	v_mov_b64_e32 v[38:39], 0
	s_and_saveexec_b64 s[10:11], s[0:1]
	s_cbranch_execz .LBB116_64
; %bb.66:                               ;   in Loop: Header=BB116_65 Depth=2
	v_mul_lo_u32 v2, v7, s64
	v_mul_lo_u32 v4, v6, s65
	v_mad_u64_u32 v[38:39], s[0:1], v6, s64, 0
	v_add3_u32 v39, v39, v4, v2
	v_lshl_add_u64 v[38:39], v[38:39], 3, s[56:57]
	global_load_dwordx2 v[38:39], v[38:39], off
	s_branch .LBB116_64
.LBB116_67:                             ;   in Loop: Header=BB116_18 Depth=1
	s_or_b64 exec, exec, s[8:9]
.LBB116_68:                             ;   in Loop: Header=BB116_18 Depth=1
	s_or_b64 exec, exec, s[2:3]
	s_branch .LBB116_47
.LBB116_69:                             ;   in Loop: Header=BB116_18 Depth=1
	global_load_ushort v4, v3, s[70:71]
	v_mov_b64_e32 v[10:11], 0
	v_mov_b64_e32 v[12:13], 0
	;; [unrolled: 1-line block ×4, first 2 shown]
	s_waitcnt vmcnt(0)
	v_readfirstlane_b32 s0, v4
	s_and_b32 s61, 0xffff, s0
	s_lshl_b32 s72, s61, 2
	v_cvt_f32_u32_e32 v2, s72
	s_sub_i32 s0, 0, s72
	v_rcp_iflag_f32_e32 v2, v2
	s_nop 0
	v_mul_f32_e32 v2, 0x4f7ffffe, v2
	v_cvt_u32_f32_e32 v2, v2
	s_nop 0
	v_readfirstlane_b32 s1, v2
	s_mul_i32 s0, s0, s1
	s_mul_hi_u32 s0, s1, s0
	s_add_i32 s1, s1, s0
	s_mul_hi_u32 s0, s60, s1
	s_mul_i32 s1, s0, s72
	s_sub_i32 s1, s60, s1
	s_add_i32 s2, s0, 1
	s_sub_i32 s3, s1, s72
	s_cmp_ge_u32 s1, s72
	s_cselect_b32 s0, s2, s0
	s_cselect_b32 s1, s3, s1
	s_add_i32 s2, s0, 1
	s_cmp_ge_u32 s1, s72
	s_cselect_b32 s0, s2, s0
	s_mul_hi_u32 s9, s61, s0
	s_mul_i32 s8, s61, s0
	s_lshl_b64 s[10:11], s[8:9], 2
	v_cmp_gt_u64_e32 vcc, s[10:11], v[20:21]
	s_and_saveexec_b64 s[26:27], vcc
	s_cbranch_execz .LBB116_73
; %bb.70:                               ;   in Loop: Header=BB116_18 Depth=1
	s_lshl_b32 s9, s61, 5
	s_mov_b64 s[62:63], 0
	v_mov_b32_e32 v52, v49
	s_mov_b64 s[70:71], 0
	s_mov_b64 s[76:77], 0
	;; [unrolled: 1-line block ×4, first 2 shown]
	v_mov_b64_e32 v[6:7], v[20:21]
.LBB116_71:                             ;   Parent Loop BB116_18 Depth=1
                                        ; =>  This Inner Loop Header: Depth=2
	ds_read_b128 v[14:17], v52
	ds_read_b128 v[10:13], v52 offset:16
	v_mov_b32_e32 v39, v3
	v_mov_b32_e32 v41, v3
	;; [unrolled: 1-line block ×3, first 2 shown]
	s_waitcnt lgkmcnt(1)
	v_ashrrev_i32_e32 v2, 31, v15
	v_ashrrev_i32_e32 v38, 31, v17
	s_waitcnt lgkmcnt(0)
	v_ashrrev_i32_e32 v40, 31, v11
	v_ashrrev_i32_e32 v42, 31, v13
	v_xor_b32_e32 v53, v38, v16
	v_cmp_o_f64_e64 s[0:1], v[16:17], v[16:17]
	v_xor_b32_e32 v16, v40, v10
	v_cmp_o_f64_e64 s[2:3], v[10:11], v[10:11]
	v_xor_b32_e32 v10, v2, v14
	v_or_b32_e32 v2, 0x80000000, v2
	v_xor_b32_e32 v58, v42, v12
	v_cmp_o_f64_e64 s[12:13], v[12:13], v[12:13]
	v_cmp_o_f64_e64 s[14:15], v[14:15], v[14:15]
	v_or_b32_e32 v12, 0x80000000, v38
	v_or_b32_e32 v14, 0x80000000, v40
	v_xor_b32_e32 v2, v2, v15
	v_or_b32_e32 v38, 0x80000000, v42
	v_xor_b32_e32 v15, v12, v17
	v_xor_b32_e32 v17, v14, v11
	v_cndmask_b32_e64 v10, -1, v10, s[14:15]
	v_cndmask_b32_e64 v11, -1, v2, s[14:15]
	v_xor_b32_e32 v38, v38, v13
	v_cndmask_b32_e64 v12, -1, v53, s[0:1]
	v_cndmask_b32_e64 v14, -1, v16, s[2:3]
	;; [unrolled: 1-line block ×4, first 2 shown]
	v_and_b32_e32 v58, v10, v34
	v_and_b32_e32 v59, v11, v35
	v_lshrrev_b64 v[10:11], s74, v[10:11]
	v_cndmask_b32_e64 v15, -1, v17, s[2:3]
	v_and_b32_e32 v60, v12, v34
	v_and_b32_e32 v61, v13, v35
	v_lshrrev_b64 v[12:13], s74, v[12:13]
	v_and_b32_e32 v2, 3, v10
	v_cndmask_b32_e64 v17, -1, v38, s[12:13]
	v_and_b32_e32 v62, v14, v34
	v_and_b32_e32 v63, v15, v35
	v_lshrrev_b64 v[14:15], s74, v[14:15]
	v_cmp_eq_u64_e64 s[16:17], v[58:59], v[26:27]
	v_and_b32_e32 v38, 3, v12
	v_cmp_eq_u64_e64 s[2:3], 0, v[2:3]
	v_and_b32_e32 v64, v16, v34
	v_and_b32_e32 v65, v17, v35
	v_lshrrev_b64 v[16:17], s74, v[16:17]
	v_cmp_eq_u64_e64 s[14:15], v[60:61], v[26:27]
	v_and_b32_e32 v40, 3, v14
	v_cmp_eq_u64_e64 s[28:29], 0, v[38:39]
	s_and_b64 s[2:3], s[16:17], s[2:3]
	v_cmp_eq_u64_e64 s[12:13], v[62:63], v[26:27]
	v_and_b32_e32 v42, 3, v16
	v_cmp_eq_u64_e64 s[30:31], 0, v[40:41]
	v_cmp_eq_u64_e64 s[36:37], 1, v[2:3]
	;; [unrolled: 1-line block ×4, first 2 shown]
	v_cndmask_b32_e64 v2, 0, 1, s[2:3]
	s_and_b64 s[2:3], s[14:15], s[28:29]
	v_cmp_eq_u64_e64 s[0:1], v[64:65], v[26:27]
	v_cmp_eq_u64_e64 s[34:35], 0, v[42:43]
	v_cndmask_b32_e64 v10, 0, 1, s[2:3]
	s_and_b64 s[2:3], s[12:13], s[30:31]
	v_cndmask_b32_e64 v11, 0, 1, s[2:3]
	s_and_b64 s[2:3], s[0:1], s[34:35]
	v_cndmask_b32_e64 v12, 0, 1, s[2:3]
	v_cmp_ne_u32_e64 s[2:3], 0, v2
	v_cmp_ne_u32_e64 s[28:29], 0, v10
	v_cmp_ne_u32_e64 s[30:31], 0, v11
	v_cmp_ne_u32_e64 s[34:35], 0, v12
	s_bcnt1_i32_b64 s2, s[2:3]
	s_bcnt1_i32_b64 s3, s[28:29]
	;; [unrolled: 1-line block ×4, first 2 shown]
	s_add_u32 s2, s2, s84
	s_addc_u32 s30, 0, s85
	s_add_u32 s2, s2, s3
	s_addc_u32 s3, s30, 0
	s_add_u32 s2, s2, s28
	s_addc_u32 s3, s3, 0
	s_add_u32 s84, s2, s29
	v_cmp_eq_u64_e64 s[38:39], 1, v[38:39]
	s_addc_u32 s85, s3, 0
	s_and_b64 s[2:3], s[16:17], s[36:37]
	v_cmp_eq_u64_e64 s[40:41], 1, v[40:41]
	v_cndmask_b32_e64 v2, 0, 1, s[2:3]
	s_and_b64 s[2:3], s[14:15], s[38:39]
	v_cmp_eq_u64_e64 s[42:43], 1, v[42:43]
	v_cndmask_b32_e64 v12, 0, 1, s[2:3]
	s_and_b64 s[2:3], s[12:13], s[40:41]
	v_cndmask_b32_e64 v13, 0, 1, s[2:3]
	s_and_b64 s[2:3], s[0:1], s[42:43]
	v_cndmask_b32_e64 v14, 0, 1, s[2:3]
	v_cmp_ne_u32_e64 s[2:3], 0, v2
	v_cmp_ne_u32_e64 s[28:29], 0, v12
	;; [unrolled: 1-line block ×4, first 2 shown]
	s_bcnt1_i32_b64 s2, s[2:3]
	s_bcnt1_i32_b64 s3, s[28:29]
	;; [unrolled: 1-line block ×4, first 2 shown]
	s_add_u32 s2, s2, s82
	s_addc_u32 s30, 0, s83
	s_add_u32 s2, s2, s3
	s_addc_u32 s3, s30, 0
	;; [unrolled: 2-line block ×3, first 2 shown]
	s_add_u32 s82, s2, s29
	v_cmp_eq_u64_e64 s[46:47], 2, v[38:39]
	s_addc_u32 s83, s3, 0
	s_and_b64 s[2:3], s[16:17], s[44:45]
	v_cmp_eq_u64_e64 s[48:49], 2, v[40:41]
	v_cndmask_b32_e64 v2, 0, 1, s[2:3]
	s_and_b64 s[2:3], s[14:15], s[46:47]
	v_cmp_eq_u64_e64 s[50:51], 2, v[42:43]
	v_cndmask_b32_e64 v14, 0, 1, s[2:3]
	s_and_b64 s[2:3], s[12:13], s[48:49]
	v_cndmask_b32_e64 v15, 0, 1, s[2:3]
	s_and_b64 s[2:3], s[0:1], s[50:51]
	v_cndmask_b32_e64 v16, 0, 1, s[2:3]
	v_cmp_ne_u32_e64 s[2:3], 0, v2
	v_cmp_ne_u32_e64 s[28:29], 0, v14
	;; [unrolled: 1-line block ×4, first 2 shown]
	s_bcnt1_i32_b64 s2, s[2:3]
	s_bcnt1_i32_b64 s3, s[28:29]
	;; [unrolled: 1-line block ×4, first 2 shown]
	s_add_u32 s2, s2, s76
	s_addc_u32 s30, 0, s77
	s_add_u32 s2, s2, s3
	s_addc_u32 s3, s30, 0
	;; [unrolled: 2-line block ×3, first 2 shown]
	s_add_u32 s76, s2, s29
	v_cmp_eq_u64_e64 s[22:23], 3, v[38:39]
	s_addc_u32 s77, s3, 0
	s_and_b64 s[2:3], s[16:17], s[24:25]
	v_cmp_eq_u64_e64 s[20:21], 3, v[40:41]
	v_cmp_eq_u64_e64 s[18:19], 3, v[42:43]
	v_cndmask_b32_e64 v2, 0, 1, s[2:3]
	s_and_b64 s[2:3], s[14:15], s[22:23]
	v_cndmask_b32_e64 v16, 0, 1, s[2:3]
	s_and_b64 s[2:3], s[12:13], s[20:21]
	s_and_b64 s[0:1], s[0:1], s[18:19]
	v_cndmask_b32_e64 v17, 0, 1, s[2:3]
	v_cndmask_b32_e64 v38, 0, 1, s[0:1]
	v_cmp_ne_u32_e64 s[0:1], 0, v2
	v_cmp_ne_u32_e64 s[2:3], 0, v16
	;; [unrolled: 1-line block ×4, first 2 shown]
	s_bcnt1_i32_b64 s0, s[0:1]
	s_bcnt1_i32_b64 s1, s[2:3]
	;; [unrolled: 1-line block ×4, first 2 shown]
	s_add_u32 s0, s0, s70
	s_addc_u32 s12, 0, s71
	s_add_u32 s0, s0, s1
	s_addc_u32 s1, s12, 0
	;; [unrolled: 2-line block ×3, first 2 shown]
	v_lshl_add_u64 v[6:7], v[6:7], 0, s[72:73]
	s_add_u32 s70, s0, s3
	v_cmp_le_u64_e32 vcc, s[10:11], v[6:7]
	s_addc_u32 s71, s1, 0
	v_add_u32_e32 v52, s9, v52
	v_mov_b64_e32 v[10:11], s[84:85]
	v_mov_b64_e32 v[12:13], s[82:83]
	v_mov_b64_e32 v[14:15], s[76:77]
	s_or_b64 s[62:63], vcc, s[62:63]
	v_mov_b64_e32 v[16:17], s[70:71]
	s_andn2_b64 exec, exec, s[62:63]
	s_cbranch_execnz .LBB116_71
; %bb.72:                               ;   in Loop: Header=BB116_18 Depth=1
	s_or_b64 exec, exec, s[62:63]
	v_readlane_b32 s70, v66, 29
	v_readlane_b32 s71, v66, 30
.LBB116_73:                             ;   in Loop: Header=BB116_18 Depth=1
	s_or_b64 exec, exec, s[26:27]
	s_and_b32 s18, s60, 0x7fffffff
	s_mov_b32 s19, s73
	v_lshl_add_u64 v[38:39], s[10:11], 0, v[0:1]
	v_and_b32_e32 v6, 0xffff, v4
	v_mov_b32_e32 v7, v3
	v_cmp_gt_u64_e32 vcc, s[18:19], v[38:39]
	s_and_saveexec_b64 s[10:11], vcc
	s_cbranch_execz .LBB116_77
; %bb.74:                               ;   in Loop: Header=BB116_18 Depth=1
	v_lshl_add_u32 v4, s8, 5, v45
	s_lshl_b32 s20, s61, 3
	s_mov_b64 s[8:9], 0
.LBB116_75:                             ;   Parent Loop BB116_18 Depth=1
                                        ; =>  This Inner Loop Header: Depth=2
	ds_read_b64 v[40:41], v4
	v_lshl_add_u64 v[38:39], v[38:39], 0, v[6:7]
	v_cmp_le_u64_e32 vcc, s[18:19], v[38:39]
	v_add_u32_e32 v4, s20, v4
	s_waitcnt lgkmcnt(0)
	v_ashrrev_i32_e32 v2, 31, v41
	v_or_b32_e32 v42, 0x80000000, v2
	v_xor_b32_e32 v2, v2, v40
	v_xor_b32_e32 v42, v42, v41
	v_cmp_o_f64_e64 s[0:1], v[40:41], v[40:41]
	s_nop 1
	v_cndmask_b32_e64 v41, -1, v42, s[0:1]
	v_cndmask_b32_e64 v40, -1, v2, s[0:1]
	v_and_b32_e32 v43, v41, v35
	v_and_b32_e32 v42, v40, v34
	v_lshrrev_b64 v[40:41], s74, v[40:41]
	v_and_b32_e32 v2, 3, v40
	v_cmp_eq_u64_e64 s[0:1], v[42:43], v[26:27]
	v_cmp_eq_u64_e64 s[2:3], 0, v[2:3]
	;; [unrolled: 1-line block ×3, first 2 shown]
	s_and_b64 s[2:3], s[0:1], s[2:3]
	v_cmp_eq_u64_e64 s[14:15], 2, v[2:3]
	v_cmp_eq_u64_e64 s[16:17], 3, v[2:3]
	v_cndmask_b32_e64 v2, 0, 1, s[2:3]
	s_and_b64 s[2:3], s[0:1], s[12:13]
	v_cndmask_b32_e64 v40, 0, 1, s[2:3]
	s_and_b64 s[2:3], s[0:1], s[14:15]
	s_and_b64 s[0:1], s[0:1], s[16:17]
	v_cndmask_b32_e64 v42, 0, 1, s[0:1]
	v_cmp_ne_u32_e64 s[0:1], 0, v2
	v_cndmask_b32_e64 v41, 0, 1, s[2:3]
	v_cmp_ne_u32_e64 s[2:3], 0, v40
	s_bcnt1_i32_b64 s72, s[0:1]
	v_cmp_ne_u32_e64 s[12:13], 0, v41
	v_lshl_add_u64 v[10:11], s[72:73], 0, v[10:11]
	s_bcnt1_i32_b64 s72, s[2:3]
	v_cmp_ne_u32_e64 s[14:15], 0, v42
	v_lshl_add_u64 v[12:13], s[72:73], 0, v[12:13]
	s_bcnt1_i32_b64 s72, s[12:13]
	v_lshl_add_u64 v[14:15], s[72:73], 0, v[14:15]
	s_bcnt1_i32_b64 s72, s[14:15]
	s_or_b64 s[8:9], vcc, s[8:9]
	v_lshl_add_u64 v[16:17], s[72:73], 0, v[16:17]
	s_andn2_b64 exec, exec, s[8:9]
	s_cbranch_execnz .LBB116_75
; %bb.76:                               ;   in Loop: Header=BB116_18 Depth=1
	s_or_b64 exec, exec, s[8:9]
.LBB116_77:                             ;   in Loop: Header=BB116_18 Depth=1
	s_or_b64 exec, exec, s[10:11]
	s_lshl_b32 s2, s75, 6
	s_and_saveexec_b64 s[0:1], s[4:5]
	s_cbranch_execnz .LBB116_48
	s_branch .LBB116_49
.LBB116_78:                             ;   in Loop: Header=BB116_18 Depth=1
                                        ; implicit-def: $sgpr0_sgpr1
	s_branch .LBB116_57
.LBB116_79:                             ;   in Loop: Header=BB116_18 Depth=1
	s_mov_b32 s3, 0
	v_mov_b64_e32 v[6:7], 0
.LBB116_80:                             ;   in Loop: Header=BB116_18 Depth=1
	v_readlane_b32 s8, v66, 25
	v_readlane_b32 s9, v66, 26
	s_andn2_b64 vcc, exec, s[8:9]
	s_cbranch_vccnz .LBB116_83
; %bb.81:                               ;   in Loop: Header=BB116_18 Depth=1
	s_lshl_b32 s8, s75, 9
	s_lshl_b32 s3, s3, 5
	s_add_i32 s8, s8, s3
	v_add_u32_e32 v2, s8, v50
	v_readlane_b32 s3, v66, 24
.LBB116_82:                             ;   Parent Loop BB116_18 Depth=1
                                        ; =>  This Inner Loop Header: Depth=2
	ds_read_b64 v[10:11], v2
	s_add_i32 s3, s3, -1
	v_add_u32_e32 v2, 32, v2
	s_cmp_lg_u32 s3, 0
	s_waitcnt lgkmcnt(0)
	v_lshl_add_u64 v[6:7], v[10:11], 0, v[6:7]
	s_cbranch_scc1 .LBB116_82
.LBB116_83:                             ;   in Loop: Header=BB116_18 Depth=1
	v_add_lshl_u32 v2, s2, v44, 3
	ds_write_b64 v2, v[6:7] offset:3072
.LBB116_84:                             ;   in Loop: Header=BB116_18 Depth=1
	s_or_b64 exec, exec, s[0:1]
	s_lshl_b32 s0, s2, 3
	v_mov_b32_e32 v2, s0
	s_waitcnt lgkmcnt(0)
	s_barrier
	ds_read_b128 v[14:17], v2 offset:3088
	ds_read_b128 v[10:13], v2 offset:3072
	s_lshl_b64 s[12:13], 3, s74
	v_cmp_eq_u64_e64 s[0:1], 1, v[36:37]
	s_not_b64 s[22:23], s[12:13]
	s_waitcnt lgkmcnt(1)
	v_readfirstlane_b32 s20, v14
	s_waitcnt lgkmcnt(0)
	v_cmp_eq_u64_e32 vcc, 1, v[10:11]
	v_readfirstlane_b32 s21, v15
	v_readfirstlane_b32 s2, v16
	;; [unrolled: 1-line block ×3, first 2 shown]
	s_and_b64 s[16:17], vcc, s[0:1]
	s_mov_b64 s[0:1], -1
	s_mov_b64 s[18:19], -1
                                        ; implicit-def: $sgpr10_sgpr11
                                        ; implicit-def: $sgpr8_sgpr9
	s_and_saveexec_b64 s[14:15], s[16:17]
	s_cbranch_execz .LBB116_118
; %bb.85:                               ;   in Loop: Header=BB116_18 Depth=1
	ds_read_b64 v[6:7], v3 offset:5120
	s_waitcnt lgkmcnt(0)
	s_barrier
	v_readfirstlane_b32 s24, v6
	v_readfirstlane_b32 s25, v7
	s_mov_b64 s[8:9], exec
	v_readlane_b32 s10, v66, 14
	v_readlane_b32 s11, v66, 15
	s_and_b64 s[10:11], s[8:9], s[10:11]
	s_mov_b64 exec, s[10:11]
; %bb.86:                               ;   in Loop: Header=BB116_18 Depth=1
	ds_write_b64 v46, v[56:57]
; %bb.87:                               ;   in Loop: Header=BB116_18 Depth=1
	s_or_b64 exec, exec, s[8:9]
	v_and_b32_e32 v27, s23, v27
	v_and_b32_e32 v26, s22, v26
	v_or_b32_e32 v35, s13, v35
	v_or_b32_e32 v34, s12, v34
	s_mov_b64 s[8:9], -1
	s_mov_b64 s[10:11], 0
	s_cmp_eq_u64 s[24:25], 0
	s_mov_b64 s[18:19], 0
	s_mov_b64 s[26:27], -1
	s_waitcnt lgkmcnt(0)
	s_barrier
                                        ; implicit-def: $vgpr8_vgpr9
	s_cbranch_scc1 .LBB116_102
; %bb.88:                               ;   in Loop: Header=BB116_18 Depth=1
	v_readlane_b32 s18, v66, 20
	s_add_u32 s30, s24, s18
	v_readlane_b32 s18, v66, 21
	s_addc_u32 s19, s25, s18
	s_mov_b32 s18, s73
	s_cmp_lg_u64 s[18:19], 0
	s_cbranch_scc0 .LBB116_145
; %bb.89:                               ;   in Loop: Header=BB116_18 Depth=1
	v_cvt_f32_u32_e32 v2, s66
	s_sub_u32 s18, 0, s66
	s_subb_u32 s28, 0, 0
	v_fmac_f32_e32 v2, 0, v51
	v_rcp_f32_e32 v2, v2
	s_nop 0
	v_mul_f32_e32 v2, 0x5f7ffffc, v2
	v_mul_f32_e32 v4, 0x2f800000, v2
	v_trunc_f32_e32 v4, v4
	v_fmac_f32_e32 v2, 0xcf800000, v4
	v_cvt_u32_f32_e32 v4, v4
	v_cvt_u32_f32_e32 v2, v2
	v_readfirstlane_b32 s29, v4
	v_readfirstlane_b32 s26, v2
	s_mul_i32 s27, s18, s29
	s_mul_hi_u32 s34, s18, s26
	s_mul_i32 s31, s28, s26
	s_add_i32 s27, s34, s27
	s_mul_i32 s35, s18, s26
	s_add_i32 s27, s27, s31
	s_mul_hi_u32 s34, s26, s35
	s_mul_i32 s36, s26, s27
	s_mul_hi_u32 s31, s26, s27
	s_add_u32 s34, s34, s36
	s_addc_u32 s31, 0, s31
	s_mul_hi_u32 s37, s29, s35
	s_mul_i32 s35, s29, s35
	s_add_u32 s34, s34, s35
	s_mul_hi_u32 s36, s29, s27
	s_addc_u32 s31, s31, s37
	s_addc_u32 s34, s36, 0
	s_mul_i32 s27, s29, s27
	s_add_u32 s27, s31, s27
	s_addc_u32 s31, 0, s34
	s_add_u32 s34, s26, s27
	s_cselect_b64 s[26:27], -1, 0
	s_cmp_lg_u64 s[26:27], 0
	s_addc_u32 s29, s29, s31
	s_mul_i32 s26, s18, s29
	s_mul_hi_u32 s27, s18, s34
	s_add_i32 s26, s27, s26
	s_mul_i32 s28, s28, s34
	s_add_i32 s26, s26, s28
	s_mul_i32 s18, s18, s34
	s_mul_hi_u32 s28, s29, s18
	s_mul_i32 s31, s29, s18
	s_mul_i32 s36, s34, s26
	s_mul_hi_u32 s18, s34, s18
	s_mul_hi_u32 s35, s34, s26
	s_add_u32 s18, s18, s36
	s_addc_u32 s35, 0, s35
	s_add_u32 s18, s18, s31
	s_mul_hi_u32 s27, s29, s26
	s_addc_u32 s18, s35, s28
	s_addc_u32 s27, s27, 0
	s_mul_i32 s26, s29, s26
	s_add_u32 s18, s18, s26
	s_addc_u32 s28, 0, s27
	s_add_u32 s18, s34, s18
	s_cselect_b64 s[26:27], -1, 0
	s_cmp_lg_u64 s[26:27], 0
	s_addc_u32 s26, s29, s28
	s_mul_i32 s28, s30, s26
	s_mul_hi_u32 s29, s30, s18
	s_mul_hi_u32 s27, s30, s26
	s_add_u32 s28, s29, s28
	s_addc_u32 s27, 0, s27
	s_mul_hi_u32 s31, s19, s18
	s_mul_i32 s18, s19, s18
	s_add_u32 s18, s28, s18
	s_mul_hi_u32 s29, s19, s26
	s_addc_u32 s18, s27, s31
	s_addc_u32 s27, s29, 0
	s_mul_i32 s26, s19, s26
	s_add_u32 s18, s18, s26
	s_addc_u32 s26, 0, s27
	s_mul_i32 s26, s66, s26
	s_mul_hi_u32 s27, s66, s18
	s_add_i32 s28, s27, s26
	s_mul_i32 s18, s66, s18
	s_sub_u32 s18, s30, s18
	s_cselect_b64 s[26:27], -1, 0
	s_cmp_lg_u64 s[26:27], 0
	s_subb_u32 s28, s19, s28
	s_sub_u32 s29, s18, s66
	s_cselect_b64 s[26:27], -1, 0
	s_cmp_lg_u64 s[26:27], 0
	s_subb_u32 s31, s28, 0
	;; [unrolled: 4-line block ×3, first 2 shown]
	s_cmp_ge_u32 s29, s66
	s_cselect_b32 s27, -1, 0
	s_cmp_eq_u32 s31, 0
	s_cselect_b32 s27, s27, -1
	s_cmp_lg_u32 s27, 0
	s_cselect_b32 s26, s26, s31
	s_cselect_b32 s29, s34, s29
	s_cmp_ge_u32 s18, s66
	s_cselect_b32 s27, -1, 0
	s_cmp_eq_u32 s28, 0
	s_cselect_b32 s27, s27, -1
	s_cmp_lg_u32 s27, 0
	s_cselect_b32 s27, s26, s28
	s_cselect_b32 s26, s29, s18
	s_cbranch_execnz .LBB116_91
.LBB116_90:                             ;   in Loop: Header=BB116_18 Depth=1
	v_cvt_f32_u32_e32 v2, s66
	s_sub_i32 s18, 0, s66
	v_rcp_iflag_f32_e32 v2, v2
	s_nop 0
	v_mul_f32_e32 v2, 0x4f7ffffe, v2
	v_cvt_u32_f32_e32 v2, v2
	s_nop 0
	v_readfirstlane_b32 s26, v2
	s_mul_i32 s18, s18, s26
	s_mul_hi_u32 s18, s26, s18
	s_add_i32 s26, s26, s18
	s_mul_hi_u32 s18, s30, s26
	s_mul_i32 s18, s18, s66
	s_sub_i32 s18, s30, s18
	s_sub_i32 s26, s18, s66
	s_cmp_ge_u32 s18, s66
	s_cselect_b32 s18, s26, s18
	s_sub_i32 s26, s18, s66
	s_cmp_ge_u32 s18, s66
	s_cselect_b32 s72, s26, s18
	s_mov_b64 s[26:27], s[72:73]
.LBB116_91:                             ;   in Loop: Header=BB116_18 Depth=1
	s_sub_u32 s30, s30, s26
	s_subb_u32 s31, s19, s27
	v_cmp_gt_u64_e32 vcc, s[30:31], v[0:1]
	s_mov_b64 s[26:27], 0
	s_mov_b64 s[18:19], 0
                                        ; implicit-def: $vgpr8_vgpr9
	s_and_saveexec_b64 s[28:29], vcc
	s_cbranch_execz .LBB116_101
; %bb.92:                               ;   in Loop: Header=BB116_18 Depth=1
	v_mov_b32_e32 v2, v45
	v_mov_b64_e32 v[14:15], v[0:1]
                                        ; implicit-def: $sgpr34_sgpr35
	s_branch .LBB116_96
.LBB116_93:                             ;   in Loop: Header=BB116_96 Depth=2
	s_or_b64 exec, exec, s[36:37]
	s_waitcnt lgkmcnt(0)
	s_barrier
	ds_read_b128 v[6:9], v3 offset:3072
	s_waitcnt lgkmcnt(0)
	s_barrier
	v_cmp_neq_f64_e32 vcc, 0, v[6:7]
	s_cbranch_vccnz .LBB116_99
; %bb.94:                               ;   in Loop: Header=BB116_96 Depth=2
	v_lshl_add_u64 v[14:15], v[14:15], 0, s[66:67]
	v_cmp_le_u64_e32 vcc, s[30:31], v[14:15]
	v_add_u32_e32 v2, s7, v2
	s_mov_b64 s[36:37], 0
	s_orn2_b64 s[38:39], vcc, exec
.LBB116_95:                             ;   in Loop: Header=BB116_96 Depth=2
	s_and_b64 s[38:39], exec, s[38:39]
	s_or_b64 s[18:19], s[38:39], s[18:19]
	s_andn2_b64 s[34:35], s[34:35], exec
	s_and_b64 s[36:37], s[36:37], exec
	s_or_b64 s[34:35], s[34:35], s[36:37]
	s_andn2_b64 exec, exec, s[18:19]
	s_cbranch_execz .LBB116_100
.LBB116_96:                             ;   Parent Loop BB116_18 Depth=1
                                        ; =>  This Inner Loop Header: Depth=2
	v_cmp_gt_u64_e32 vcc, s[24:25], v[14:15]
	s_and_saveexec_b64 s[36:37], vcc
	s_cbranch_execz .LBB116_93
; %bb.97:                               ;   in Loop: Header=BB116_96 Depth=2
	ds_read_b64 v[6:7], v2
	s_waitcnt lgkmcnt(0)
	v_ashrrev_i32_e32 v4, 31, v7
	v_or_b32_e32 v8, 0x80000000, v4
	v_xor_b32_e32 v4, v4, v6
	v_xor_b32_e32 v8, v8, v7
	v_cmp_o_f64_e32 vcc, v[6:7], v[6:7]
	s_nop 1
	v_cndmask_b32_e32 v4, -1, v4, vcc
	v_cndmask_b32_e32 v8, -1, v8, vcc
	v_and_b32_e32 v9, v8, v35
	v_and_b32_e32 v8, v4, v34
	v_cmp_eq_u64_e32 vcc, v[8:9], v[26:27]
	s_and_b64 exec, exec, vcc
	s_cbranch_execz .LBB116_93
; %bb.98:                               ;   in Loop: Header=BB116_96 Depth=2
	v_mov_b32_e32 v4, v3
	ds_write_b128 v3, v[4:7] offset:3072
	s_branch .LBB116_93
.LBB116_99:                             ;   in Loop: Header=BB116_96 Depth=2
	s_mov_b64 s[38:39], -1
                                        ; implicit-def: $vgpr14_vgpr15
                                        ; implicit-def: $vgpr2
	s_mov_b64 s[36:37], -1
	s_branch .LBB116_95
.LBB116_100:                            ;   in Loop: Header=BB116_18 Depth=1
	s_or_b64 exec, exec, s[18:19]
	s_and_b64 s[18:19], s[34:35], exec
.LBB116_101:                            ;   in Loop: Header=BB116_18 Depth=1
	s_or_b64 exec, exec, s[28:29]
.LBB116_102:                            ;   in Loop: Header=BB116_18 Depth=1
	s_and_b64 vcc, exec, s[26:27]
	s_cbranch_vccz .LBB116_117
; %bb.103:                              ;   in Loop: Header=BB116_18 Depth=1
	s_mov_b32 s78, s73
	s_cmp_lg_u64 s[78:79], 0
	s_cbranch_scc0 .LBB116_149
; %bb.104:                              ;   in Loop: Header=BB116_18 Depth=1
	v_cvt_f32_u32_e32 v2, s66
	s_sub_u32 s10, 0, s66
	s_subb_u32 s11, 0, 0
	v_fmac_f32_e32 v2, 0, v51
	v_rcp_f32_e32 v2, v2
	s_nop 0
	v_mul_f32_e32 v2, 0x5f7ffffc, v2
	v_mul_f32_e32 v4, 0x2f800000, v2
	v_trunc_f32_e32 v4, v4
	v_fmac_f32_e32 v2, 0xcf800000, v4
	v_cvt_u32_f32_e32 v4, v4
	v_cvt_u32_f32_e32 v2, v2
	v_readfirstlane_b32 s24, v4
	v_readfirstlane_b32 s8, v2
	s_mul_i32 s9, s10, s24
	s_mul_hi_u32 s26, s10, s8
	s_mul_i32 s25, s11, s8
	s_add_i32 s9, s26, s9
	s_mul_i32 s27, s10, s8
	s_add_i32 s9, s9, s25
	s_mul_hi_u32 s26, s8, s27
	s_mul_i32 s28, s8, s9
	s_mul_hi_u32 s25, s8, s9
	s_add_u32 s26, s26, s28
	s_addc_u32 s25, 0, s25
	s_mul_hi_u32 s29, s24, s27
	s_mul_i32 s27, s24, s27
	s_add_u32 s26, s26, s27
	s_mul_hi_u32 s28, s24, s9
	s_addc_u32 s25, s25, s29
	s_addc_u32 s26, s28, 0
	s_mul_i32 s9, s24, s9
	s_add_u32 s9, s25, s9
	s_addc_u32 s25, 0, s26
	s_add_u32 s26, s8, s9
	s_cselect_b64 s[8:9], -1, 0
	s_cmp_lg_u64 s[8:9], 0
	s_addc_u32 s24, s24, s25
	s_mul_i32 s8, s10, s24
	s_mul_hi_u32 s9, s10, s26
	s_add_i32 s8, s9, s8
	s_mul_i32 s11, s11, s26
	s_add_i32 s8, s8, s11
	s_mul_i32 s10, s10, s26
	s_mul_hi_u32 s11, s24, s10
	s_mul_i32 s25, s24, s10
	s_mul_i32 s28, s26, s8
	s_mul_hi_u32 s10, s26, s10
	s_mul_hi_u32 s27, s26, s8
	s_add_u32 s10, s10, s28
	s_addc_u32 s27, 0, s27
	s_add_u32 s10, s10, s25
	s_mul_hi_u32 s9, s24, s8
	s_addc_u32 s10, s27, s11
	s_addc_u32 s9, s9, 0
	s_mul_i32 s8, s24, s8
	s_add_u32 s8, s10, s8
	s_addc_u32 s10, 0, s9
	s_add_u32 s11, s26, s8
	s_cselect_b64 s[8:9], -1, 0
	s_cmp_lg_u64 s[8:9], 0
	s_addc_u32 s8, s24, s10
	s_mul_i32 s10, s33, s8
	s_mul_hi_u32 s24, s33, s11
	s_mul_hi_u32 s9, s33, s8
	s_add_u32 s10, s24, s10
	s_addc_u32 s9, 0, s9
	s_mul_hi_u32 s25, s79, s11
	s_mul_i32 s11, s79, s11
	s_add_u32 s10, s10, s11
	s_mul_hi_u32 s24, s79, s8
	s_addc_u32 s9, s9, s25
	s_addc_u32 s10, s24, 0
	s_mul_i32 s8, s79, s8
	s_add_u32 s8, s9, s8
	s_addc_u32 s9, 0, s10
	s_mul_i32 s9, s66, s9
	s_mul_hi_u32 s10, s66, s8
	s_add_i32 s10, s10, s9
	s_mul_i32 s8, s66, s8
	s_sub_u32 s11, s33, s8
	s_cselect_b64 s[8:9], -1, 0
	s_cmp_lg_u64 s[8:9], 0
	s_subb_u32 s10, s79, s10
	s_sub_u32 s24, s11, s66
	s_cselect_b64 s[8:9], -1, 0
	s_cmp_lg_u64 s[8:9], 0
	s_subb_u32 s25, s10, 0
	;; [unrolled: 4-line block ×3, first 2 shown]
	s_cmp_ge_u32 s24, s66
	s_cselect_b32 s9, -1, 0
	s_cmp_eq_u32 s25, 0
	s_cselect_b32 s9, s9, -1
	s_cmp_lg_u32 s9, 0
	s_cselect_b32 s8, s8, s25
	s_cselect_b32 s24, s26, s24
	s_cmp_ge_u32 s11, s66
	s_cselect_b32 s9, -1, 0
	s_cmp_eq_u32 s10, 0
	s_cselect_b32 s9, s9, -1
	s_cmp_lg_u32 s9, 0
	s_cselect_b32 s9, s8, s10
	s_cselect_b32 s8, s24, s11
	s_cbranch_execnz .LBB116_106
.LBB116_105:                            ;   in Loop: Header=BB116_18 Depth=1
	v_cvt_f32_u32_e32 v2, s66
	s_sub_i32 s8, 0, s66
	v_rcp_iflag_f32_e32 v2, v2
	s_nop 0
	v_mul_f32_e32 v2, 0x4f7ffffe, v2
	v_cvt_u32_f32_e32 v2, v2
	s_nop 0
	v_readfirstlane_b32 s9, v2
	s_mul_i32 s8, s8, s9
	s_mul_hi_u32 s8, s9, s8
	s_add_i32 s9, s9, s8
	s_mul_hi_u32 s8, s33, s9
	s_mul_i32 s8, s8, s66
	s_sub_i32 s8, s33, s8
	s_sub_i32 s9, s8, s66
	s_cmp_ge_u32 s8, s66
	s_cselect_b32 s8, s9, s8
	s_sub_i32 s9, s8, s66
	s_cmp_ge_u32 s8, s66
	s_cselect_b32 s72, s9, s8
	s_mov_b64 s[8:9], s[72:73]
.LBB116_106:                            ;   in Loop: Header=BB116_18 Depth=1
	s_sub_u32 s10, s33, s8
	s_subb_u32 s11, s79, s9
	v_cmp_gt_u64_e32 vcc, s[10:11], v[0:1]
                                        ; implicit-def: $vgpr8_vgpr9
	s_and_saveexec_b64 s[8:9], vcc
	s_cbranch_execz .LBB116_116
; %bb.107:                              ;   in Loop: Header=BB116_18 Depth=1
	s_mov_b64 s[26:27], 0
	v_mov_b64_e32 v[14:15], v[18:19]
	v_mov_b64_e32 v[16:17], v[0:1]
                                        ; implicit-def: $sgpr24_sgpr25
	s_branch .LBB116_111
.LBB116_108:                            ;   in Loop: Header=BB116_111 Depth=2
	s_or_b64 exec, exec, s[28:29]
	s_waitcnt lgkmcnt(0)
	s_barrier
	ds_read_b128 v[6:9], v3 offset:3072
	s_waitcnt lgkmcnt(0)
	s_barrier
	v_cmp_neq_f64_e32 vcc, 0, v[6:7]
	s_cbranch_vccnz .LBB116_114
; %bb.109:                              ;   in Loop: Header=BB116_111 Depth=2
	v_lshl_add_u64 v[16:17], v[16:17], 0, s[66:67]
	v_cmp_le_u64_e32 vcc, s[10:11], v[16:17]
	v_lshl_add_u64 v[14:15], v[14:15], 0, s[68:69]
	s_mov_b64 s[28:29], 0
	s_orn2_b64 s[30:31], vcc, exec
.LBB116_110:                            ;   in Loop: Header=BB116_111 Depth=2
	s_and_b64 s[30:31], exec, s[30:31]
	s_or_b64 s[26:27], s[30:31], s[26:27]
	s_andn2_b64 s[24:25], s[24:25], exec
	s_and_b64 s[28:29], s[28:29], exec
	s_or_b64 s[24:25], s[24:25], s[28:29]
	s_andn2_b64 exec, exec, s[26:27]
	s_cbranch_execz .LBB116_115
.LBB116_111:                            ;   Parent Loop BB116_18 Depth=1
                                        ; =>  This Inner Loop Header: Depth=2
	v_cmp_gt_u64_e32 vcc, s[52:53], v[16:17]
	s_and_saveexec_b64 s[28:29], vcc
	s_cbranch_execz .LBB116_108
; %bb.112:                              ;   in Loop: Header=BB116_111 Depth=2
	global_load_dwordx2 v[6:7], v[14:15], off
	s_waitcnt vmcnt(0)
	v_ashrrev_i32_e32 v2, 31, v7
	v_or_b32_e32 v4, 0x80000000, v2
	v_xor_b32_e32 v2, v2, v6
	v_xor_b32_e32 v4, v4, v7
	v_cmp_o_f64_e32 vcc, v[6:7], v[6:7]
	s_nop 1
	v_cndmask_b32_e32 v4, -1, v4, vcc
	v_cndmask_b32_e32 v2, -1, v2, vcc
	v_and_b32_e32 v9, v4, v35
	v_and_b32_e32 v8, v2, v34
	v_cmp_eq_u64_e32 vcc, v[8:9], v[26:27]
	s_and_b64 exec, exec, vcc
	s_cbranch_execz .LBB116_108
; %bb.113:                              ;   in Loop: Header=BB116_111 Depth=2
	v_mov_b32_e32 v4, v3
	ds_write_b128 v3, v[4:7] offset:3072
	s_branch .LBB116_108
.LBB116_114:                            ;   in Loop: Header=BB116_111 Depth=2
	s_mov_b64 s[30:31], -1
                                        ; implicit-def: $vgpr16_vgpr17
                                        ; implicit-def: $vgpr14_vgpr15
	s_mov_b64 s[28:29], -1
	s_branch .LBB116_110
.LBB116_115:                            ;   in Loop: Header=BB116_18 Depth=1
	s_or_b64 exec, exec, s[26:27]
	s_andn2_b64 s[10:11], s[18:19], exec
	s_and_b64 s[18:19], s[24:25], exec
	s_or_b64 s[18:19], s[10:11], s[18:19]
.LBB116_116:                            ;   in Loop: Header=BB116_18 Depth=1
	s_or_b64 exec, exec, s[8:9]
	s_mov_b64 s[8:9], 0
	s_mov_b64 s[10:11], -1
.LBB116_117:                            ;   in Loop: Header=BB116_18 Depth=1
	s_orn2_b64 s[18:19], s[18:19], exec
.LBB116_118:                            ;   in Loop: Header=BB116_18 Depth=1
	s_or_b64 exec, exec, s[14:15]
	s_andn2_b64 s[14:15], s[58:59], exec
	s_and_b64 s[10:11], s[10:11], exec
	s_or_b64 s[58:59], s[14:15], s[10:11]
	s_andn2_b64 s[10:11], s[54:55], exec
	s_and_b64 s[8:9], s[8:9], exec
	s_andn2_b64 s[98:99], s[98:99], exec
	s_or_b64 s[54:55], s[10:11], s[8:9]
                                        ; implicit-def: $vgpr14_vgpr15
	s_and_saveexec_b64 s[14:15], s[18:19]
	s_cbranch_execz .LBB116_17
; %bb.119:                              ;   in Loop: Header=BB116_18 Depth=1
	s_xor_b64 s[8:9], s[16:17], -1
	v_mov_b32_e32 v2, 1
	s_mov_b64 s[10:11], 0
	v_mov_b64_e32 v[14:15], 1
	s_and_saveexec_b64 s[0:1], s[8:9]
	s_cbranch_execz .LBB116_128
; %bb.120:                              ;   in Loop: Header=BB116_18 Depth=1
	v_cmp_le_u64_e32 vcc, v[36:37], v[10:11]
	s_and_saveexec_b64 s[8:9], vcc
	s_xor_b64 s[8:9], exec, s[8:9]
	s_cbranch_execz .LBB116_125
; %bb.121:                              ;   in Loop: Header=BB116_18 Depth=1
	ds_read_b64 v[6:7], v3 offset:5120
	v_and_b32_e32 v27, s23, v27
	v_and_b32_e32 v26, s22, v26
	v_or_b32_e32 v35, s13, v35
	v_or_b32_e32 v34, s12, v34
	s_waitcnt lgkmcnt(0)
	v_cmp_ne_u64_e32 vcc, 0, v[6:7]
	s_cbranch_vccnz .LBB116_125
; %bb.122:                              ;   in Loop: Header=BB116_18 Depth=1
	s_mov_b64 s[10:11], exec
	v_readlane_b32 s16, v66, 12
	v_readlane_b32 s17, v66, 13
	s_and_b64 s[16:17], s[10:11], s[16:17]
	s_mov_b64 exec, s[16:17]
; %bb.123:                              ;   in Loop: Header=BB116_18 Depth=1
	ds_write_b64 v3, v[10:11] offset:5128
; %bb.124:                              ;   in Loop: Header=BB116_18 Depth=1
	s_or_b64 exec, exec, s[10:11]
	s_waitcnt lgkmcnt(0)
	s_barrier
.LBB116_125:                            ;   in Loop: Header=BB116_18 Depth=1
	s_or_saveexec_b64 s[8:9], s[8:9]
	s_mov_b64 s[10:11], 0
	v_mov_b32_e32 v2, 8
	s_xor_b64 exec, exec, s[8:9]
; %bb.126:                              ;   in Loop: Header=BB116_18 Depth=1
	v_sub_co_u32_e32 v36, vcc, v36, v10
	s_mov_b64 s[10:11], exec
	s_nop 0
	v_subb_co_u32_e32 v37, vcc, v37, v11, vcc
	v_mov_b32_e32 v2, 0
; %bb.127:                              ;   in Loop: Header=BB116_18 Depth=1
	s_or_b64 exec, exec, s[8:9]
	s_and_b64 s[10:11], s[10:11], exec
	v_mov_b64_e32 v[14:15], v[36:37]
.LBB116_128:                            ;   in Loop: Header=BB116_18 Depth=1
	s_or_b64 exec, exec, s[0:1]
	s_mov_b64 s[16:17], -1
	s_mov_b64 s[8:9], -1
                                        ; implicit-def: $sgpr0_sgpr1
                                        ; implicit-def: $sgpr24_sgpr25
	s_and_saveexec_b64 s[18:19], s[10:11]
	s_xor_b64 s[18:19], exec, s[18:19]
	s_cbranch_execz .LBB116_279
; %bb.129:                              ;   in Loop: Header=BB116_18 Depth=1
	v_cmp_eq_u64_e32 vcc, 1, v[12:13]
	v_cmp_eq_u64_e64 s[0:1], 1, v[14:15]
	s_and_b64 s[30:31], vcc, s[0:1]
                                        ; implicit-def: $sgpr24_sgpr25
                                        ; implicit-def: $sgpr0_sgpr1
	s_and_saveexec_b64 s[28:29], s[30:31]
	s_cbranch_execz .LBB116_168
; %bb.130:                              ;   in Loop: Header=BB116_18 Depth=1
	ds_read_b64 v[6:7], v3 offset:5120
	s_waitcnt lgkmcnt(0)
	s_barrier
	v_readfirstlane_b32 s10, v6
	v_readfirstlane_b32 s11, v7
	s_mov_b64 s[0:1], exec
	v_readlane_b32 s8, v66, 14
	v_readlane_b32 s9, v66, 15
	s_and_b64 s[8:9], s[0:1], s[8:9]
	s_mov_b64 exec, s[8:9]
; %bb.131:                              ;   in Loop: Header=BB116_18 Depth=1
	ds_write_b64 v46, v[56:57]
; %bb.132:                              ;   in Loop: Header=BB116_18 Depth=1
	s_or_b64 exec, exec, s[0:1]
	s_lshl_b64 s[0:1], 1, s74
	v_and_b32_e32 v4, s23, v27
	v_and_b32_e32 v6, s22, v26
	v_or_b32_e32 v27, s1, v4
	v_or_b32_e32 v26, s0, v6
	v_or_b32_e32 v35, s13, v35
	v_or_b32_e32 v34, s12, v34
	s_mov_b64 s[0:1], -1
	s_mov_b64 s[24:25], 0
	s_cmp_eq_u64 s[10:11], 0
	s_mov_b64 s[8:9], 0
	s_mov_b64 s[26:27], -1
	s_waitcnt lgkmcnt(0)
	s_barrier
                                        ; implicit-def: $vgpr8_vgpr9
	s_cbranch_scc1 .LBB116_152
; %bb.133:                              ;   in Loop: Header=BB116_18 Depth=1
	v_readlane_b32 s8, v66, 20
	s_add_u32 s36, s10, s8
	v_readlane_b32 s8, v66, 21
	s_addc_u32 s9, s11, s8
	s_mov_b32 s8, s73
	s_cmp_lg_u64 s[8:9], 0
	s_cbranch_scc0 .LBB116_196
; %bb.134:                              ;   in Loop: Header=BB116_18 Depth=1
	v_cvt_f32_u32_e32 v4, s66
	s_sub_u32 s8, 0, s66
	s_subb_u32 s34, 0, 0
	v_fmac_f32_e32 v4, 0, v51
	v_rcp_f32_e32 v4, v4
	s_nop 0
	v_mul_f32_e32 v4, 0x5f7ffffc, v4
	v_mul_f32_e32 v6, 0x2f800000, v4
	v_trunc_f32_e32 v6, v6
	v_fmac_f32_e32 v4, 0xcf800000, v6
	v_cvt_u32_f32_e32 v6, v6
	v_cvt_u32_f32_e32 v4, v4
	v_readfirstlane_b32 s35, v6
	v_readfirstlane_b32 s26, v4
	s_mul_i32 s27, s8, s35
	s_mul_hi_u32 s38, s8, s26
	s_mul_i32 s37, s34, s26
	s_add_i32 s27, s38, s27
	s_mul_i32 s39, s8, s26
	s_add_i32 s27, s27, s37
	s_mul_hi_u32 s38, s26, s39
	s_mul_i32 s40, s26, s27
	s_mul_hi_u32 s37, s26, s27
	s_add_u32 s38, s38, s40
	s_addc_u32 s37, 0, s37
	s_mul_hi_u32 s41, s35, s39
	s_mul_i32 s39, s35, s39
	s_add_u32 s38, s38, s39
	s_mul_hi_u32 s40, s35, s27
	s_addc_u32 s37, s37, s41
	s_addc_u32 s38, s40, 0
	s_mul_i32 s27, s35, s27
	s_add_u32 s27, s37, s27
	s_addc_u32 s37, 0, s38
	s_add_u32 s38, s26, s27
	s_cselect_b64 s[26:27], -1, 0
	s_cmp_lg_u64 s[26:27], 0
	s_addc_u32 s35, s35, s37
	s_mul_i32 s26, s8, s35
	s_mul_hi_u32 s27, s8, s38
	s_add_i32 s26, s27, s26
	s_mul_i32 s34, s34, s38
	s_add_i32 s26, s26, s34
	s_mul_i32 s8, s8, s38
	s_mul_hi_u32 s34, s35, s8
	s_mul_i32 s37, s35, s8
	s_mul_i32 s40, s38, s26
	s_mul_hi_u32 s8, s38, s8
	s_mul_hi_u32 s39, s38, s26
	s_add_u32 s8, s8, s40
	s_addc_u32 s39, 0, s39
	s_add_u32 s8, s8, s37
	s_mul_hi_u32 s27, s35, s26
	s_addc_u32 s8, s39, s34
	s_addc_u32 s27, s27, 0
	s_mul_i32 s26, s35, s26
	s_add_u32 s8, s8, s26
	s_addc_u32 s34, 0, s27
	s_add_u32 s8, s38, s8
	s_cselect_b64 s[26:27], -1, 0
	s_cmp_lg_u64 s[26:27], 0
	s_addc_u32 s26, s35, s34
	s_mul_i32 s34, s36, s26
	s_mul_hi_u32 s35, s36, s8
	s_mul_hi_u32 s27, s36, s26
	s_add_u32 s34, s35, s34
	s_addc_u32 s27, 0, s27
	s_mul_hi_u32 s37, s9, s8
	s_mul_i32 s8, s9, s8
	s_add_u32 s8, s34, s8
	s_mul_hi_u32 s35, s9, s26
	s_addc_u32 s8, s27, s37
	s_addc_u32 s27, s35, 0
	s_mul_i32 s26, s9, s26
	s_add_u32 s8, s8, s26
	s_addc_u32 s26, 0, s27
	s_mul_i32 s26, s66, s26
	s_mul_hi_u32 s27, s66, s8
	s_add_i32 s34, s27, s26
	s_mul_i32 s8, s66, s8
	s_sub_u32 s8, s36, s8
	s_cselect_b64 s[26:27], -1, 0
	s_cmp_lg_u64 s[26:27], 0
	s_subb_u32 s34, s9, s34
	s_sub_u32 s35, s8, s66
	s_cselect_b64 s[26:27], -1, 0
	s_cmp_lg_u64 s[26:27], 0
	s_subb_u32 s37, s34, 0
	;; [unrolled: 4-line block ×3, first 2 shown]
	s_cmp_ge_u32 s35, s66
	s_cselect_b32 s27, -1, 0
	s_cmp_eq_u32 s37, 0
	s_cselect_b32 s27, s27, -1
	s_cmp_lg_u32 s27, 0
	s_cselect_b32 s26, s26, s37
	s_cselect_b32 s35, s38, s35
	s_cmp_ge_u32 s8, s66
	s_cselect_b32 s27, -1, 0
	s_cmp_eq_u32 s34, 0
	s_cselect_b32 s27, s27, -1
	s_cmp_lg_u32 s27, 0
	s_cselect_b32 s27, s26, s34
	s_cselect_b32 s26, s35, s8
	s_cbranch_execnz .LBB116_136
.LBB116_135:                            ;   in Loop: Header=BB116_18 Depth=1
	v_cvt_f32_u32_e32 v4, s66
	s_sub_i32 s8, 0, s66
	v_rcp_iflag_f32_e32 v4, v4
	s_nop 0
	v_mul_f32_e32 v4, 0x4f7ffffe, v4
	v_cvt_u32_f32_e32 v4, v4
	s_nop 0
	v_readfirstlane_b32 s26, v4
	s_mul_i32 s8, s8, s26
	s_mul_hi_u32 s8, s26, s8
	s_add_i32 s26, s26, s8
	s_mul_hi_u32 s8, s36, s26
	s_mul_i32 s8, s8, s66
	s_sub_i32 s8, s36, s8
	s_sub_i32 s26, s8, s66
	s_cmp_ge_u32 s8, s66
	s_cselect_b32 s8, s26, s8
	s_sub_i32 s26, s8, s66
	s_cmp_ge_u32 s8, s66
	s_cselect_b32 s72, s26, s8
	s_mov_b64 s[26:27], s[72:73]
.LBB116_136:                            ;   in Loop: Header=BB116_18 Depth=1
	s_sub_u32 s36, s36, s26
	s_subb_u32 s37, s9, s27
	v_cmp_gt_u64_e32 vcc, s[36:37], v[0:1]
	s_mov_b64 s[26:27], 0
	s_mov_b64 s[8:9], 0
                                        ; implicit-def: $vgpr8_vgpr9
	s_and_saveexec_b64 s[34:35], vcc
	s_cbranch_execz .LBB116_151
; %bb.137:                              ;   in Loop: Header=BB116_18 Depth=1
	v_mov_b32_e32 v16, v45
	v_mov_b64_e32 v[10:11], v[0:1]
                                        ; implicit-def: $sgpr38_sgpr39
	s_branch .LBB116_141
.LBB116_138:                            ;   in Loop: Header=BB116_141 Depth=2
	s_or_b64 exec, exec, s[40:41]
	s_waitcnt lgkmcnt(0)
	s_barrier
	ds_read_b128 v[6:9], v3 offset:3072
	s_waitcnt lgkmcnt(0)
	s_barrier
	v_cmp_neq_f64_e32 vcc, 0, v[6:7]
	s_cbranch_vccnz .LBB116_144
; %bb.139:                              ;   in Loop: Header=BB116_141 Depth=2
	v_lshl_add_u64 v[10:11], v[10:11], 0, s[66:67]
	v_cmp_le_u64_e32 vcc, s[36:37], v[10:11]
	v_add_u32_e32 v16, s7, v16
	s_mov_b64 s[40:41], 0
	s_orn2_b64 s[42:43], vcc, exec
.LBB116_140:                            ;   in Loop: Header=BB116_141 Depth=2
	s_and_b64 s[42:43], exec, s[42:43]
	s_or_b64 s[8:9], s[42:43], s[8:9]
	s_andn2_b64 s[38:39], s[38:39], exec
	s_and_b64 s[40:41], s[40:41], exec
	s_or_b64 s[38:39], s[38:39], s[40:41]
	s_andn2_b64 exec, exec, s[8:9]
	s_cbranch_execz .LBB116_150
.LBB116_141:                            ;   Parent Loop BB116_18 Depth=1
                                        ; =>  This Inner Loop Header: Depth=2
	v_cmp_gt_u64_e32 vcc, s[10:11], v[10:11]
	s_and_saveexec_b64 s[40:41], vcc
	s_cbranch_execz .LBB116_138
; %bb.142:                              ;   in Loop: Header=BB116_141 Depth=2
	ds_read_b64 v[6:7], v16
	s_waitcnt lgkmcnt(0)
	v_ashrrev_i32_e32 v4, 31, v7
	v_or_b32_e32 v8, 0x80000000, v4
	v_xor_b32_e32 v4, v4, v6
	v_xor_b32_e32 v8, v8, v7
	v_cmp_o_f64_e32 vcc, v[6:7], v[6:7]
	s_nop 1
	v_cndmask_b32_e32 v4, -1, v4, vcc
	v_cndmask_b32_e32 v8, -1, v8, vcc
	v_and_b32_e32 v9, v8, v35
	v_and_b32_e32 v8, v4, v34
	v_cmp_eq_u64_e32 vcc, v[8:9], v[26:27]
	s_and_b64 exec, exec, vcc
	s_cbranch_execz .LBB116_138
; %bb.143:                              ;   in Loop: Header=BB116_141 Depth=2
	v_mov_b32_e32 v4, v3
	ds_write_b128 v3, v[4:7] offset:3072
	s_branch .LBB116_138
.LBB116_144:                            ;   in Loop: Header=BB116_141 Depth=2
	s_mov_b64 s[42:43], -1
                                        ; implicit-def: $vgpr10_vgpr11
                                        ; implicit-def: $vgpr16
	s_mov_b64 s[40:41], -1
	s_branch .LBB116_140
.LBB116_145:                            ;   in Loop: Header=BB116_18 Depth=1
                                        ; implicit-def: $sgpr26_sgpr27
	s_branch .LBB116_90
.LBB116_146:                            ;   in Loop: Header=BB116_18 Depth=1
	s_or_b64 exec, exec, s[10:11]
	s_waitcnt lgkmcnt(0)
	s_barrier
	s_mov_b64 s[0:1], exec
	v_readlane_b32 s2, v66, 12
	v_readlane_b32 s3, v66, 13
	s_and_b64 s[2:3], s[0:1], s[2:3]
	s_mov_b64 exec, s[2:3]
	s_cbranch_execz .LBB116_148
; %bb.147:                              ;   in Loop: Header=BB116_18 Depth=1
	ds_read_b32 v6, v3 offset:5144
	s_waitcnt lgkmcnt(0)
	v_ashrrev_i32_e32 v7, 31, v6
	ds_write_b64 v3, v[6:7] offset:5120
.LBB116_148:                            ;   in Loop: Header=BB116_18 Depth=1
	s_or_b64 exec, exec, s[0:1]
	s_waitcnt lgkmcnt(0)
	s_barrier
	s_mov_b64 s[0:1], -1
	s_and_b64 vcc, exec, s[8:9]
	s_cbranch_vccnz .LBB116_34
	s_branch .LBB116_43
.LBB116_149:                            ;   in Loop: Header=BB116_18 Depth=1
                                        ; implicit-def: $sgpr8_sgpr9
	s_branch .LBB116_105
.LBB116_150:                            ;   in Loop: Header=BB116_18 Depth=1
	s_or_b64 exec, exec, s[8:9]
	s_and_b64 s[8:9], s[38:39], exec
.LBB116_151:                            ;   in Loop: Header=BB116_18 Depth=1
	s_or_b64 exec, exec, s[34:35]
.LBB116_152:                            ;   in Loop: Header=BB116_18 Depth=1
	s_and_b64 vcc, exec, s[26:27]
	s_cbranch_vccz .LBB116_167
; %bb.153:                              ;   in Loop: Header=BB116_18 Depth=1
	s_mov_b32 s78, s73
	s_cmp_lg_u64 s[78:79], 0
	s_cbranch_scc0 .LBB116_197
; %bb.154:                              ;   in Loop: Header=BB116_18 Depth=1
	v_cvt_f32_u32_e32 v4, s66
	s_sub_u32 s10, 0, s66
	s_subb_u32 s11, 0, 0
	v_fmac_f32_e32 v4, 0, v51
	v_rcp_f32_e32 v4, v4
	s_nop 0
	v_mul_f32_e32 v4, 0x5f7ffffc, v4
	v_mul_f32_e32 v6, 0x2f800000, v4
	v_trunc_f32_e32 v6, v6
	v_fmac_f32_e32 v4, 0xcf800000, v6
	v_cvt_u32_f32_e32 v6, v6
	v_cvt_u32_f32_e32 v4, v4
	v_readfirstlane_b32 s24, v6
	v_readfirstlane_b32 s0, v4
	s_mul_i32 s1, s10, s24
	s_mul_hi_u32 s26, s10, s0
	s_mul_i32 s25, s11, s0
	s_add_i32 s1, s26, s1
	s_mul_i32 s27, s10, s0
	s_add_i32 s1, s1, s25
	s_mul_hi_u32 s26, s0, s27
	s_mul_i32 s34, s0, s1
	s_mul_hi_u32 s25, s0, s1
	s_add_u32 s26, s26, s34
	s_addc_u32 s25, 0, s25
	s_mul_hi_u32 s35, s24, s27
	s_mul_i32 s27, s24, s27
	s_add_u32 s26, s26, s27
	s_mul_hi_u32 s34, s24, s1
	s_addc_u32 s25, s25, s35
	s_addc_u32 s26, s34, 0
	s_mul_i32 s1, s24, s1
	s_add_u32 s1, s25, s1
	s_addc_u32 s25, 0, s26
	s_add_u32 s26, s0, s1
	s_cselect_b64 s[0:1], -1, 0
	s_cmp_lg_u64 s[0:1], 0
	s_addc_u32 s24, s24, s25
	s_mul_i32 s0, s10, s24
	s_mul_hi_u32 s1, s10, s26
	s_add_i32 s0, s1, s0
	s_mul_i32 s11, s11, s26
	s_add_i32 s0, s0, s11
	s_mul_i32 s10, s10, s26
	s_mul_hi_u32 s11, s24, s10
	s_mul_i32 s25, s24, s10
	s_mul_i32 s34, s26, s0
	s_mul_hi_u32 s10, s26, s10
	s_mul_hi_u32 s27, s26, s0
	s_add_u32 s10, s10, s34
	s_addc_u32 s27, 0, s27
	s_add_u32 s10, s10, s25
	s_mul_hi_u32 s1, s24, s0
	s_addc_u32 s10, s27, s11
	s_addc_u32 s1, s1, 0
	s_mul_i32 s0, s24, s0
	s_add_u32 s0, s10, s0
	s_addc_u32 s10, 0, s1
	s_add_u32 s11, s26, s0
	s_cselect_b64 s[0:1], -1, 0
	s_cmp_lg_u64 s[0:1], 0
	s_addc_u32 s0, s24, s10
	s_mul_i32 s10, s33, s0
	s_mul_hi_u32 s24, s33, s11
	s_mul_hi_u32 s1, s33, s0
	s_add_u32 s10, s24, s10
	s_addc_u32 s1, 0, s1
	s_mul_hi_u32 s25, s79, s11
	s_mul_i32 s11, s79, s11
	s_add_u32 s10, s10, s11
	s_mul_hi_u32 s24, s79, s0
	s_addc_u32 s1, s1, s25
	s_addc_u32 s10, s24, 0
	s_mul_i32 s0, s79, s0
	s_add_u32 s0, s1, s0
	s_addc_u32 s1, 0, s10
	s_mul_i32 s1, s66, s1
	s_mul_hi_u32 s10, s66, s0
	s_add_i32 s10, s10, s1
	s_mul_i32 s0, s66, s0
	s_sub_u32 s11, s33, s0
	s_cselect_b64 s[0:1], -1, 0
	s_cmp_lg_u64 s[0:1], 0
	s_subb_u32 s10, s79, s10
	s_sub_u32 s24, s11, s66
	s_cselect_b64 s[0:1], -1, 0
	s_cmp_lg_u64 s[0:1], 0
	s_subb_u32 s25, s10, 0
	s_sub_u32 s26, s24, s66
	s_cselect_b64 s[0:1], -1, 0
	s_cmp_lg_u64 s[0:1], 0
	s_subb_u32 s0, s25, 0
	s_cmp_ge_u32 s24, s66
	s_cselect_b32 s1, -1, 0
	s_cmp_eq_u32 s25, 0
	s_cselect_b32 s1, s1, -1
	s_cmp_lg_u32 s1, 0
	s_cselect_b32 s0, s0, s25
	s_cselect_b32 s24, s26, s24
	s_cmp_ge_u32 s11, s66
	s_cselect_b32 s1, -1, 0
	s_cmp_eq_u32 s10, 0
	s_cselect_b32 s1, s1, -1
	s_cmp_lg_u32 s1, 0
	s_cselect_b32 s1, s0, s10
	s_cselect_b32 s0, s24, s11
	s_cbranch_execnz .LBB116_156
.LBB116_155:                            ;   in Loop: Header=BB116_18 Depth=1
	v_cvt_f32_u32_e32 v4, s66
	s_sub_i32 s0, 0, s66
	v_rcp_iflag_f32_e32 v4, v4
	s_nop 0
	v_mul_f32_e32 v4, 0x4f7ffffe, v4
	v_cvt_u32_f32_e32 v4, v4
	s_nop 0
	v_readfirstlane_b32 s1, v4
	s_mul_i32 s0, s0, s1
	s_mul_hi_u32 s0, s1, s0
	s_add_i32 s1, s1, s0
	s_mul_hi_u32 s0, s33, s1
	s_mul_i32 s0, s0, s66
	s_sub_i32 s0, s33, s0
	s_sub_i32 s1, s0, s66
	s_cmp_ge_u32 s0, s66
	s_cselect_b32 s0, s1, s0
	s_sub_i32 s1, s0, s66
	s_cmp_ge_u32 s0, s66
	s_cselect_b32 s72, s1, s0
	s_mov_b64 s[0:1], s[72:73]
.LBB116_156:                            ;   in Loop: Header=BB116_18 Depth=1
	s_sub_u32 s10, s33, s0
	s_subb_u32 s11, s79, s1
	v_cmp_gt_u64_e32 vcc, s[10:11], v[0:1]
                                        ; implicit-def: $vgpr8_vgpr9
	s_and_saveexec_b64 s[0:1], vcc
	s_cbranch_execz .LBB116_166
; %bb.157:                              ;   in Loop: Header=BB116_18 Depth=1
	s_mov_b64 s[24:25], 0
	v_mov_b64_e32 v[10:11], v[18:19]
	v_mov_b64_e32 v[16:17], v[0:1]
                                        ; implicit-def: $sgpr26_sgpr27
	s_branch .LBB116_161
.LBB116_158:                            ;   in Loop: Header=BB116_161 Depth=2
	s_or_b64 exec, exec, s[34:35]
	s_waitcnt lgkmcnt(0)
	s_barrier
	ds_read_b128 v[6:9], v3 offset:3072
	s_waitcnt lgkmcnt(0)
	s_barrier
	v_cmp_eq_f64_e32 vcc, 0, v[6:7]
	s_cbranch_vccz .LBB116_164
; %bb.159:                              ;   in Loop: Header=BB116_161 Depth=2
	v_lshl_add_u64 v[16:17], v[16:17], 0, s[66:67]
	v_cmp_le_u64_e32 vcc, s[10:11], v[16:17]
	v_lshl_add_u64 v[10:11], v[10:11], 0, s[68:69]
	s_mov_b64 s[34:35], 0
	s_orn2_b64 s[36:37], vcc, exec
.LBB116_160:                            ;   in Loop: Header=BB116_161 Depth=2
	s_and_b64 s[36:37], exec, s[36:37]
	s_or_b64 s[24:25], s[36:37], s[24:25]
	s_andn2_b64 s[26:27], s[26:27], exec
	s_and_b64 s[34:35], s[34:35], exec
	s_or_b64 s[26:27], s[26:27], s[34:35]
	s_andn2_b64 exec, exec, s[24:25]
	s_cbranch_execz .LBB116_165
.LBB116_161:                            ;   Parent Loop BB116_18 Depth=1
                                        ; =>  This Inner Loop Header: Depth=2
	v_cmp_gt_u64_e32 vcc, s[52:53], v[16:17]
	s_and_saveexec_b64 s[34:35], vcc
	s_cbranch_execz .LBB116_158
; %bb.162:                              ;   in Loop: Header=BB116_161 Depth=2
	global_load_dwordx2 v[6:7], v[10:11], off
	s_waitcnt vmcnt(0)
	v_ashrrev_i32_e32 v4, 31, v7
	v_or_b32_e32 v8, 0x80000000, v4
	v_xor_b32_e32 v4, v4, v6
	v_xor_b32_e32 v8, v8, v7
	v_cmp_o_f64_e32 vcc, v[6:7], v[6:7]
	s_nop 1
	v_cndmask_b32_e32 v8, -1, v8, vcc
	v_cndmask_b32_e32 v4, -1, v4, vcc
	v_and_b32_e32 v9, v8, v35
	v_and_b32_e32 v8, v4, v34
	v_cmp_eq_u64_e32 vcc, v[8:9], v[26:27]
	s_and_b64 exec, exec, vcc
	s_cbranch_execz .LBB116_158
; %bb.163:                              ;   in Loop: Header=BB116_161 Depth=2
	v_mov_b32_e32 v4, v3
	ds_write_b128 v3, v[4:7] offset:3072
	s_branch .LBB116_158
.LBB116_164:                            ;   in Loop: Header=BB116_161 Depth=2
	s_mov_b64 s[36:37], -1
                                        ; implicit-def: $vgpr16_vgpr17
                                        ; implicit-def: $vgpr10_vgpr11
	s_mov_b64 s[34:35], -1
	s_branch .LBB116_160
.LBB116_165:                            ;   in Loop: Header=BB116_18 Depth=1
	s_or_b64 exec, exec, s[24:25]
	s_andn2_b64 s[8:9], s[8:9], exec
	s_and_b64 s[10:11], s[26:27], exec
	s_or_b64 s[8:9], s[8:9], s[10:11]
.LBB116_166:                            ;   in Loop: Header=BB116_18 Depth=1
	s_or_b64 exec, exec, s[0:1]
	s_mov_b64 s[0:1], 0
	s_mov_b64 s[24:25], -1
.LBB116_167:                            ;   in Loop: Header=BB116_18 Depth=1
	s_orn2_b64 s[8:9], s[8:9], exec
.LBB116_168:                            ;   in Loop: Header=BB116_18 Depth=1
	s_or_b64 exec, exec, s[28:29]
	s_mov_b64 s[10:11], 0
	s_and_saveexec_b64 s[28:29], s[8:9]
	s_cbranch_execz .LBB116_278
; %bb.169:                              ;   in Loop: Header=BB116_18 Depth=1
	s_xor_b64 s[26:27], s[30:31], -1
	v_mov_b32_e32 v2, 1
	v_mov_b64_e32 v[10:11], 1
	s_and_saveexec_b64 s[8:9], s[26:27]
	s_cbranch_execz .LBB116_179
; %bb.170:                              ;   in Loop: Header=BB116_18 Depth=1
	v_cmp_le_u64_e32 vcc, v[14:15], v[12:13]
	s_and_saveexec_b64 s[10:11], vcc
	s_xor_b64 s[10:11], exec, s[10:11]
	s_cbranch_execz .LBB116_176
; %bb.171:                              ;   in Loop: Header=BB116_18 Depth=1
	ds_read_b64 v[6:7], v3 offset:5120
	s_lshl_b64 s[26:27], 1, s74
	v_and_b32_e32 v2, s23, v27
	v_and_b32_e32 v4, s22, v26
	v_or_b32_e32 v27, s27, v2
	s_waitcnt lgkmcnt(0)
	v_cmp_ne_u64_e32 vcc, 0, v[6:7]
	v_or_b32_e32 v26, s26, v4
	v_or_b32_e32 v35, s13, v35
	;; [unrolled: 1-line block ×3, first 2 shown]
	s_cbranch_vccnz .LBB116_175
; %bb.172:                              ;   in Loop: Header=BB116_18 Depth=1
	s_mov_b64 s[26:27], exec
	v_readlane_b32 s30, v66, 12
	v_readlane_b32 s31, v66, 13
	s_and_b64 s[30:31], s[26:27], s[30:31]
	s_mov_b64 exec, s[30:31]
; %bb.173:                              ;   in Loop: Header=BB116_18 Depth=1
	ds_write_b64 v3, v[12:13] offset:5128
; %bb.174:                              ;   in Loop: Header=BB116_18 Depth=1
	s_or_b64 exec, exec, s[26:27]
	s_waitcnt lgkmcnt(0)
	s_barrier
.LBB116_175:                            ;   in Loop: Header=BB116_18 Depth=1
                                        ; implicit-def: $vgpr10_vgpr11_vgpr12_vgpr13
.LBB116_176:                            ;   in Loop: Header=BB116_18 Depth=1
	s_or_saveexec_b64 s[10:11], s[10:11]
	s_mov_b64 s[26:27], 0
	v_mov_b32_e32 v2, 8
	s_xor_b64 exec, exec, s[10:11]
; %bb.177:                              ;   in Loop: Header=BB116_18 Depth=1
	v_sub_co_u32_e32 v14, vcc, v14, v12
	s_mov_b64 s[26:27], exec
	s_nop 0
	v_subb_co_u32_e32 v15, vcc, v15, v13, vcc
	v_mov_b32_e32 v2, 0
; %bb.178:                              ;   in Loop: Header=BB116_18 Depth=1
	s_or_b64 exec, exec, s[10:11]
	s_and_b64 s[10:11], s[26:27], exec
	v_mov_b64_e32 v[10:11], v[14:15]
.LBB116_179:                            ;   in Loop: Header=BB116_18 Depth=1
	s_or_b64 exec, exec, s[8:9]
	s_mov_b64 s[8:9], -1
                                        ; implicit-def: $sgpr34_sgpr35
                                        ; implicit-def: $sgpr36_sgpr37
	s_and_saveexec_b64 s[30:31], s[10:11]
	s_cbranch_execz .LBB116_277
; %bb.180:                              ;   in Loop: Header=BB116_18 Depth=1
	s_cmp_eq_u64 s[20:21], 1
	s_cselect_b64 s[8:9], -1, 0
	v_cmp_eq_u64_e32 vcc, 1, v[10:11]
	s_and_b64 s[40:41], s[8:9], vcc
	s_mov_b64 s[8:9], -1
                                        ; implicit-def: $sgpr36_sgpr37
                                        ; implicit-def: $sgpr34_sgpr35
	s_and_saveexec_b64 s[38:39], s[40:41]
	s_cbranch_execz .LBB116_216
; %bb.181:                              ;   in Loop: Header=BB116_18 Depth=1
	ds_read_b64 v[6:7], v3 offset:5120
	s_waitcnt lgkmcnt(0)
	s_barrier
	v_readfirstlane_b32 s10, v6
	v_readfirstlane_b32 s11, v7
	s_mov_b64 s[8:9], exec
	v_readlane_b32 s26, v66, 14
	v_readlane_b32 s27, v66, 15
	s_and_b64 s[26:27], s[8:9], s[26:27]
	s_mov_b64 exec, s[26:27]
; %bb.182:                              ;   in Loop: Header=BB116_18 Depth=1
	ds_write_b64 v46, v[56:57]
; %bb.183:                              ;   in Loop: Header=BB116_18 Depth=1
	s_or_b64 exec, exec, s[8:9]
	s_lshl_b64 s[8:9], 2, s74
	v_and_b32_e32 v4, s23, v27
	v_and_b32_e32 v6, s22, v26
	v_or_b32_e32 v27, s9, v4
	v_or_b32_e32 v26, s8, v6
	;; [unrolled: 1-line block ×4, first 2 shown]
	s_mov_b64 s[34:35], -1
	s_mov_b64 s[36:37], 0
	s_cmp_eq_u64 s[10:11], 0
	s_mov_b64 s[8:9], 0
	s_mov_b64 s[26:27], -1
	s_waitcnt lgkmcnt(0)
	s_barrier
                                        ; implicit-def: $vgpr8_vgpr9
	s_cbranch_scc1 .LBB116_200
; %bb.184:                              ;   in Loop: Header=BB116_18 Depth=1
	v_readlane_b32 s8, v66, 20
	s_add_u32 s44, s10, s8
	v_readlane_b32 s8, v66, 21
	s_addc_u32 s9, s11, s8
	s_mov_b32 s8, s73
	s_cmp_lg_u64 s[8:9], 0
	s_cbranch_scc0 .LBB116_243
; %bb.185:                              ;   in Loop: Header=BB116_18 Depth=1
	v_cvt_f32_u32_e32 v4, s66
	s_sub_u32 s8, 0, s66
	s_subb_u32 s42, 0, 0
	v_fmac_f32_e32 v4, 0, v51
	v_rcp_f32_e32 v4, v4
	s_nop 0
	v_mul_f32_e32 v4, 0x5f7ffffc, v4
	v_mul_f32_e32 v6, 0x2f800000, v4
	v_trunc_f32_e32 v6, v6
	v_fmac_f32_e32 v4, 0xcf800000, v6
	v_cvt_u32_f32_e32 v6, v6
	v_cvt_u32_f32_e32 v4, v4
	v_readfirstlane_b32 s43, v6
	v_readfirstlane_b32 s26, v4
	s_mul_i32 s27, s8, s43
	s_mul_hi_u32 s46, s8, s26
	s_mul_i32 s45, s42, s26
	s_add_i32 s27, s46, s27
	s_mul_i32 s47, s8, s26
	s_add_i32 s27, s27, s45
	s_mul_hi_u32 s46, s26, s47
	s_mul_i32 s48, s26, s27
	s_mul_hi_u32 s45, s26, s27
	s_add_u32 s46, s46, s48
	s_addc_u32 s45, 0, s45
	s_mul_hi_u32 s49, s43, s47
	s_mul_i32 s47, s43, s47
	s_add_u32 s46, s46, s47
	s_mul_hi_u32 s48, s43, s27
	s_addc_u32 s45, s45, s49
	s_addc_u32 s46, s48, 0
	s_mul_i32 s27, s43, s27
	s_add_u32 s27, s45, s27
	s_addc_u32 s45, 0, s46
	s_add_u32 s46, s26, s27
	s_cselect_b64 s[26:27], -1, 0
	s_cmp_lg_u64 s[26:27], 0
	s_addc_u32 s43, s43, s45
	s_mul_i32 s26, s8, s43
	s_mul_hi_u32 s27, s8, s46
	s_add_i32 s26, s27, s26
	s_mul_i32 s42, s42, s46
	s_add_i32 s26, s26, s42
	s_mul_i32 s8, s8, s46
	s_mul_hi_u32 s42, s43, s8
	s_mul_i32 s45, s43, s8
	s_mul_i32 s48, s46, s26
	s_mul_hi_u32 s8, s46, s8
	s_mul_hi_u32 s47, s46, s26
	s_add_u32 s8, s8, s48
	s_addc_u32 s47, 0, s47
	s_add_u32 s8, s8, s45
	s_mul_hi_u32 s27, s43, s26
	s_addc_u32 s8, s47, s42
	s_addc_u32 s27, s27, 0
	s_mul_i32 s26, s43, s26
	s_add_u32 s8, s8, s26
	s_addc_u32 s42, 0, s27
	s_add_u32 s8, s46, s8
	s_cselect_b64 s[26:27], -1, 0
	s_cmp_lg_u64 s[26:27], 0
	s_addc_u32 s26, s43, s42
	s_mul_i32 s42, s44, s26
	s_mul_hi_u32 s43, s44, s8
	s_mul_hi_u32 s27, s44, s26
	s_add_u32 s42, s43, s42
	s_addc_u32 s27, 0, s27
	s_mul_hi_u32 s45, s9, s8
	s_mul_i32 s8, s9, s8
	s_add_u32 s8, s42, s8
	s_mul_hi_u32 s43, s9, s26
	s_addc_u32 s8, s27, s45
	s_addc_u32 s27, s43, 0
	s_mul_i32 s26, s9, s26
	s_add_u32 s8, s8, s26
	s_addc_u32 s26, 0, s27
	s_mul_i32 s26, s66, s26
	s_mul_hi_u32 s27, s66, s8
	s_add_i32 s42, s27, s26
	s_mul_i32 s8, s66, s8
	s_sub_u32 s8, s44, s8
	s_cselect_b64 s[26:27], -1, 0
	s_cmp_lg_u64 s[26:27], 0
	s_subb_u32 s42, s9, s42
	s_sub_u32 s43, s8, s66
	s_cselect_b64 s[26:27], -1, 0
	s_cmp_lg_u64 s[26:27], 0
	s_subb_u32 s45, s42, 0
	;; [unrolled: 4-line block ×3, first 2 shown]
	s_cmp_ge_u32 s43, s66
	s_cselect_b32 s27, -1, 0
	s_cmp_eq_u32 s45, 0
	s_cselect_b32 s27, s27, -1
	s_cmp_lg_u32 s27, 0
	s_cselect_b32 s26, s26, s45
	s_cselect_b32 s43, s46, s43
	s_cmp_ge_u32 s8, s66
	s_cselect_b32 s27, -1, 0
	s_cmp_eq_u32 s42, 0
	s_cselect_b32 s27, s27, -1
	s_cmp_lg_u32 s27, 0
	s_cselect_b32 s27, s26, s42
	s_cselect_b32 s26, s43, s8
	s_cbranch_execnz .LBB116_187
.LBB116_186:                            ;   in Loop: Header=BB116_18 Depth=1
	v_cvt_f32_u32_e32 v4, s66
	s_sub_i32 s8, 0, s66
	v_rcp_iflag_f32_e32 v4, v4
	s_nop 0
	v_mul_f32_e32 v4, 0x4f7ffffe, v4
	v_cvt_u32_f32_e32 v4, v4
	s_nop 0
	v_readfirstlane_b32 s26, v4
	s_mul_i32 s8, s8, s26
	s_mul_hi_u32 s8, s26, s8
	s_add_i32 s26, s26, s8
	s_mul_hi_u32 s8, s44, s26
	s_mul_i32 s8, s8, s66
	s_sub_i32 s8, s44, s8
	s_sub_i32 s26, s8, s66
	s_cmp_ge_u32 s8, s66
	s_cselect_b32 s8, s26, s8
	s_sub_i32 s26, s8, s66
	s_cmp_ge_u32 s8, s66
	s_cselect_b32 s72, s26, s8
	s_mov_b64 s[26:27], s[72:73]
.LBB116_187:                            ;   in Loop: Header=BB116_18 Depth=1
	s_sub_u32 s44, s44, s26
	s_subb_u32 s45, s9, s27
	v_cmp_gt_u64_e32 vcc, s[44:45], v[0:1]
	s_mov_b64 s[26:27], 0
	s_mov_b64 s[8:9], 0
                                        ; implicit-def: $vgpr8_vgpr9
	s_and_saveexec_b64 s[42:43], vcc
	s_cbranch_execz .LBB116_199
; %bb.188:                              ;   in Loop: Header=BB116_18 Depth=1
	v_mov_b32_e32 v14, v45
	v_mov_b64_e32 v[12:13], v[0:1]
                                        ; implicit-def: $sgpr46_sgpr47
	s_branch .LBB116_192
.LBB116_189:                            ;   in Loop: Header=BB116_192 Depth=2
	s_or_b64 exec, exec, s[48:49]
	s_waitcnt lgkmcnt(0)
	s_barrier
	ds_read_b128 v[6:9], v3 offset:3072
	s_waitcnt lgkmcnt(0)
	s_barrier
	v_cmp_neq_f64_e32 vcc, 0, v[6:7]
	s_cbranch_vccnz .LBB116_195
; %bb.190:                              ;   in Loop: Header=BB116_192 Depth=2
	v_lshl_add_u64 v[12:13], v[12:13], 0, s[66:67]
	v_cmp_le_u64_e32 vcc, s[44:45], v[12:13]
	v_add_u32_e32 v14, s7, v14
	s_mov_b64 s[48:49], 0
	s_orn2_b64 s[50:51], vcc, exec
.LBB116_191:                            ;   in Loop: Header=BB116_192 Depth=2
	s_and_b64 s[50:51], exec, s[50:51]
	s_or_b64 s[8:9], s[50:51], s[8:9]
	s_andn2_b64 s[46:47], s[46:47], exec
	s_and_b64 s[48:49], s[48:49], exec
	s_or_b64 s[46:47], s[46:47], s[48:49]
	s_andn2_b64 exec, exec, s[8:9]
	s_cbranch_execz .LBB116_198
.LBB116_192:                            ;   Parent Loop BB116_18 Depth=1
                                        ; =>  This Inner Loop Header: Depth=2
	v_cmp_gt_u64_e32 vcc, s[10:11], v[12:13]
	s_and_saveexec_b64 s[48:49], vcc
	s_cbranch_execz .LBB116_189
; %bb.193:                              ;   in Loop: Header=BB116_192 Depth=2
	ds_read_b64 v[6:7], v14
	s_waitcnt lgkmcnt(0)
	v_ashrrev_i32_e32 v4, 31, v7
	v_or_b32_e32 v8, 0x80000000, v4
	v_xor_b32_e32 v4, v4, v6
	v_xor_b32_e32 v8, v8, v7
	v_cmp_o_f64_e32 vcc, v[6:7], v[6:7]
	s_nop 1
	v_cndmask_b32_e32 v4, -1, v4, vcc
	v_cndmask_b32_e32 v8, -1, v8, vcc
	v_and_b32_e32 v9, v8, v35
	v_and_b32_e32 v8, v4, v34
	v_cmp_eq_u64_e32 vcc, v[8:9], v[26:27]
	s_and_b64 exec, exec, vcc
	s_cbranch_execz .LBB116_189
; %bb.194:                              ;   in Loop: Header=BB116_192 Depth=2
	v_mov_b32_e32 v4, v3
	ds_write_b128 v3, v[4:7] offset:3072
	s_branch .LBB116_189
.LBB116_195:                            ;   in Loop: Header=BB116_192 Depth=2
	s_mov_b64 s[50:51], -1
                                        ; implicit-def: $vgpr12_vgpr13
                                        ; implicit-def: $vgpr14
	s_mov_b64 s[48:49], -1
	s_branch .LBB116_191
.LBB116_196:                            ;   in Loop: Header=BB116_18 Depth=1
                                        ; implicit-def: $sgpr26_sgpr27
	s_branch .LBB116_135
.LBB116_197:                            ;   in Loop: Header=BB116_18 Depth=1
                                        ; implicit-def: $sgpr0_sgpr1
	s_branch .LBB116_155
.LBB116_198:                            ;   in Loop: Header=BB116_18 Depth=1
	s_or_b64 exec, exec, s[8:9]
	s_and_b64 s[8:9], s[46:47], exec
.LBB116_199:                            ;   in Loop: Header=BB116_18 Depth=1
	s_or_b64 exec, exec, s[42:43]
.LBB116_200:                            ;   in Loop: Header=BB116_18 Depth=1
	s_and_b64 vcc, exec, s[26:27]
	s_cbranch_vccz .LBB116_215
; %bb.201:                              ;   in Loop: Header=BB116_18 Depth=1
	s_mov_b32 s78, s73
	s_cmp_lg_u64 s[78:79], 0
	s_cbranch_scc0 .LBB116_244
; %bb.202:                              ;   in Loop: Header=BB116_18 Depth=1
	v_cvt_f32_u32_e32 v4, s66
	s_sub_u32 s26, 0, s66
	s_subb_u32 s27, 0, 0
	v_fmac_f32_e32 v4, 0, v51
	v_rcp_f32_e32 v4, v4
	s_nop 0
	v_mul_f32_e32 v4, 0x5f7ffffc, v4
	v_mul_f32_e32 v6, 0x2f800000, v4
	v_trunc_f32_e32 v6, v6
	v_fmac_f32_e32 v4, 0xcf800000, v6
	v_cvt_u32_f32_e32 v6, v6
	v_cvt_u32_f32_e32 v4, v4
	v_readfirstlane_b32 s34, v6
	v_readfirstlane_b32 s10, v4
	s_mul_i32 s11, s26, s34
	s_mul_hi_u32 s36, s26, s10
	s_mul_i32 s35, s27, s10
	s_add_i32 s11, s36, s11
	s_mul_i32 s37, s26, s10
	s_add_i32 s11, s11, s35
	s_mul_hi_u32 s36, s10, s37
	s_mul_i32 s42, s10, s11
	s_mul_hi_u32 s35, s10, s11
	s_add_u32 s36, s36, s42
	s_addc_u32 s35, 0, s35
	s_mul_hi_u32 s43, s34, s37
	s_mul_i32 s37, s34, s37
	s_add_u32 s36, s36, s37
	s_mul_hi_u32 s42, s34, s11
	s_addc_u32 s35, s35, s43
	s_addc_u32 s36, s42, 0
	s_mul_i32 s11, s34, s11
	s_add_u32 s11, s35, s11
	s_addc_u32 s35, 0, s36
	s_add_u32 s36, s10, s11
	s_cselect_b64 s[10:11], -1, 0
	s_cmp_lg_u64 s[10:11], 0
	s_addc_u32 s34, s34, s35
	s_mul_i32 s10, s26, s34
	s_mul_hi_u32 s11, s26, s36
	s_add_i32 s10, s11, s10
	s_mul_i32 s27, s27, s36
	s_add_i32 s10, s10, s27
	s_mul_i32 s26, s26, s36
	s_mul_hi_u32 s27, s34, s26
	s_mul_i32 s35, s34, s26
	s_mul_i32 s42, s36, s10
	s_mul_hi_u32 s26, s36, s26
	s_mul_hi_u32 s37, s36, s10
	s_add_u32 s26, s26, s42
	s_addc_u32 s37, 0, s37
	s_add_u32 s26, s26, s35
	s_mul_hi_u32 s11, s34, s10
	s_addc_u32 s26, s37, s27
	s_addc_u32 s11, s11, 0
	s_mul_i32 s10, s34, s10
	s_add_u32 s10, s26, s10
	s_addc_u32 s26, 0, s11
	s_add_u32 s27, s36, s10
	s_cselect_b64 s[10:11], -1, 0
	s_cmp_lg_u64 s[10:11], 0
	s_addc_u32 s10, s34, s26
	s_mul_i32 s26, s33, s10
	s_mul_hi_u32 s34, s33, s27
	s_mul_hi_u32 s11, s33, s10
	s_add_u32 s26, s34, s26
	s_addc_u32 s11, 0, s11
	s_mul_hi_u32 s35, s79, s27
	s_mul_i32 s27, s79, s27
	s_add_u32 s26, s26, s27
	s_mul_hi_u32 s34, s79, s10
	s_addc_u32 s11, s11, s35
	s_addc_u32 s26, s34, 0
	s_mul_i32 s10, s79, s10
	s_add_u32 s10, s11, s10
	s_addc_u32 s11, 0, s26
	s_mul_i32 s11, s66, s11
	s_mul_hi_u32 s26, s66, s10
	s_add_i32 s26, s26, s11
	s_mul_i32 s10, s66, s10
	s_sub_u32 s27, s33, s10
	s_cselect_b64 s[10:11], -1, 0
	s_cmp_lg_u64 s[10:11], 0
	s_subb_u32 s26, s79, s26
	s_sub_u32 s34, s27, s66
	s_cselect_b64 s[10:11], -1, 0
	s_cmp_lg_u64 s[10:11], 0
	s_subb_u32 s35, s26, 0
	;; [unrolled: 4-line block ×3, first 2 shown]
	s_cmp_ge_u32 s34, s66
	s_cselect_b32 s11, -1, 0
	s_cmp_eq_u32 s35, 0
	s_cselect_b32 s11, s11, -1
	s_cmp_lg_u32 s11, 0
	s_cselect_b32 s10, s10, s35
	s_cselect_b32 s34, s36, s34
	s_cmp_ge_u32 s27, s66
	s_cselect_b32 s11, -1, 0
	s_cmp_eq_u32 s26, 0
	s_cselect_b32 s11, s11, -1
	s_cmp_lg_u32 s11, 0
	s_cselect_b32 s11, s10, s26
	s_cselect_b32 s10, s34, s27
	s_cbranch_execnz .LBB116_204
.LBB116_203:                            ;   in Loop: Header=BB116_18 Depth=1
	v_cvt_f32_u32_e32 v4, s66
	s_sub_i32 s10, 0, s66
	v_rcp_iflag_f32_e32 v4, v4
	s_nop 0
	v_mul_f32_e32 v4, 0x4f7ffffe, v4
	v_cvt_u32_f32_e32 v4, v4
	s_nop 0
	v_readfirstlane_b32 s11, v4
	s_mul_i32 s10, s10, s11
	s_mul_hi_u32 s10, s11, s10
	s_add_i32 s11, s11, s10
	s_mul_hi_u32 s10, s33, s11
	s_mul_i32 s10, s10, s66
	s_sub_i32 s10, s33, s10
	s_sub_i32 s11, s10, s66
	s_cmp_ge_u32 s10, s66
	s_cselect_b32 s10, s11, s10
	s_sub_i32 s11, s10, s66
	s_cmp_ge_u32 s10, s66
	s_cselect_b32 s72, s11, s10
	s_mov_b64 s[10:11], s[72:73]
.LBB116_204:                            ;   in Loop: Header=BB116_18 Depth=1
	s_sub_u32 s26, s33, s10
	s_subb_u32 s27, s79, s11
	v_cmp_gt_u64_e32 vcc, s[26:27], v[0:1]
                                        ; implicit-def: $vgpr8_vgpr9
	s_and_saveexec_b64 s[10:11], vcc
	s_cbranch_execz .LBB116_214
; %bb.205:                              ;   in Loop: Header=BB116_18 Depth=1
	s_mov_b64 s[34:35], 0
	v_mov_b64_e32 v[12:13], v[18:19]
	v_mov_b64_e32 v[14:15], v[0:1]
                                        ; implicit-def: $sgpr36_sgpr37
	s_branch .LBB116_209
.LBB116_206:                            ;   in Loop: Header=BB116_209 Depth=2
	s_or_b64 exec, exec, s[42:43]
	s_waitcnt lgkmcnt(0)
	s_barrier
	ds_read_b128 v[6:9], v3 offset:3072
	s_waitcnt lgkmcnt(0)
	s_barrier
	v_cmp_eq_f64_e32 vcc, 0, v[6:7]
	s_cbranch_vccz .LBB116_212
; %bb.207:                              ;   in Loop: Header=BB116_209 Depth=2
	v_lshl_add_u64 v[14:15], v[14:15], 0, s[66:67]
	v_cmp_le_u64_e32 vcc, s[26:27], v[14:15]
	v_lshl_add_u64 v[12:13], v[12:13], 0, s[68:69]
	s_mov_b64 s[42:43], 0
	s_orn2_b64 s[44:45], vcc, exec
.LBB116_208:                            ;   in Loop: Header=BB116_209 Depth=2
	s_and_b64 s[44:45], exec, s[44:45]
	s_or_b64 s[34:35], s[44:45], s[34:35]
	s_andn2_b64 s[36:37], s[36:37], exec
	s_and_b64 s[42:43], s[42:43], exec
	s_or_b64 s[36:37], s[36:37], s[42:43]
	s_andn2_b64 exec, exec, s[34:35]
	s_cbranch_execz .LBB116_213
.LBB116_209:                            ;   Parent Loop BB116_18 Depth=1
                                        ; =>  This Inner Loop Header: Depth=2
	v_cmp_gt_u64_e32 vcc, s[52:53], v[14:15]
	s_and_saveexec_b64 s[42:43], vcc
	s_cbranch_execz .LBB116_206
; %bb.210:                              ;   in Loop: Header=BB116_209 Depth=2
	global_load_dwordx2 v[6:7], v[12:13], off
	s_waitcnt vmcnt(0)
	v_ashrrev_i32_e32 v4, 31, v7
	v_or_b32_e32 v8, 0x80000000, v4
	v_xor_b32_e32 v4, v4, v6
	v_xor_b32_e32 v8, v8, v7
	v_cmp_o_f64_e32 vcc, v[6:7], v[6:7]
	s_nop 1
	v_cndmask_b32_e32 v4, -1, v4, vcc
	v_cndmask_b32_e32 v8, -1, v8, vcc
	v_and_b32_e32 v9, v8, v35
	v_and_b32_e32 v8, v4, v34
	v_cmp_eq_u64_e32 vcc, v[8:9], v[26:27]
	s_and_b64 exec, exec, vcc
	s_cbranch_execz .LBB116_206
; %bb.211:                              ;   in Loop: Header=BB116_209 Depth=2
	v_mov_b32_e32 v4, v3
	ds_write_b128 v3, v[4:7] offset:3072
	s_branch .LBB116_206
.LBB116_212:                            ;   in Loop: Header=BB116_209 Depth=2
	s_mov_b64 s[44:45], -1
                                        ; implicit-def: $vgpr14_vgpr15
                                        ; implicit-def: $vgpr12_vgpr13
	s_mov_b64 s[42:43], -1
	s_branch .LBB116_208
.LBB116_213:                            ;   in Loop: Header=BB116_18 Depth=1
	s_or_b64 exec, exec, s[34:35]
	s_andn2_b64 s[8:9], s[8:9], exec
	s_and_b64 s[26:27], s[36:37], exec
	s_or_b64 s[8:9], s[8:9], s[26:27]
.LBB116_214:                            ;   in Loop: Header=BB116_18 Depth=1
	s_or_b64 exec, exec, s[10:11]
	s_mov_b64 s[34:35], 0
	s_mov_b64 s[36:37], -1
.LBB116_215:                            ;   in Loop: Header=BB116_18 Depth=1
	s_orn2_b64 s[8:9], s[8:9], exec
.LBB116_216:                            ;   in Loop: Header=BB116_18 Depth=1
	s_or_b64 exec, exec, s[38:39]
	s_mov_b64 s[10:11], 0
	s_and_saveexec_b64 s[38:39], s[8:9]
	s_cbranch_execz .LBB116_276
; %bb.217:                              ;   in Loop: Header=BB116_18 Depth=1
	s_xor_b64 s[10:11], s[40:41], -1
	v_mov_b32_e32 v2, 1
	s_mov_b64 s[26:27], 0
	v_mov_b64_e32 v[12:13], 1
	s_and_saveexec_b64 s[8:9], s[10:11]
	s_cbranch_execz .LBB116_226
; %bb.218:                              ;   in Loop: Header=BB116_18 Depth=1
	v_cmp_ge_u64_e32 vcc, s[20:21], v[10:11]
	s_and_saveexec_b64 s[10:11], vcc
	s_xor_b64 s[10:11], exec, s[10:11]
	s_cbranch_execz .LBB116_223
; %bb.219:                              ;   in Loop: Header=BB116_18 Depth=1
	ds_read_b64 v[6:7], v3 offset:5120
	s_lshl_b64 s[26:27], 2, s74
	v_and_b32_e32 v2, s23, v27
	v_and_b32_e32 v4, s22, v26
	v_or_b32_e32 v27, s27, v2
	s_waitcnt lgkmcnt(0)
	v_cmp_ne_u64_e32 vcc, 0, v[6:7]
	v_or_b32_e32 v26, s26, v4
	v_or_b32_e32 v35, s13, v35
	;; [unrolled: 1-line block ×3, first 2 shown]
	s_cbranch_vccnz .LBB116_223
; %bb.220:                              ;   in Loop: Header=BB116_18 Depth=1
	s_mov_b64 s[22:23], exec
	v_readlane_b32 s26, v66, 12
	v_readlane_b32 s27, v66, 13
	s_and_b64 s[26:27], s[22:23], s[26:27]
	s_mov_b64 exec, s[26:27]
; %bb.221:                              ;   in Loop: Header=BB116_18 Depth=1
	v_mov_b64_e32 v[6:7], s[20:21]
	ds_write_b64 v3, v[6:7] offset:5128
; %bb.222:                              ;   in Loop: Header=BB116_18 Depth=1
	s_or_b64 exec, exec, s[22:23]
	s_waitcnt lgkmcnt(0)
	s_barrier
.LBB116_223:                            ;   in Loop: Header=BB116_18 Depth=1
	s_or_saveexec_b64 s[10:11], s[10:11]
	s_mov_b64 s[22:23], 0
	v_mov_b32_e32 v2, 8
	s_xor_b64 exec, exec, s[10:11]
; %bb.224:                              ;   in Loop: Header=BB116_18 Depth=1
	v_mov_b32_e32 v2, s21
	v_subrev_co_u32_e32 v10, vcc, s20, v10
	s_mov_b64 s[22:23], exec
	s_nop 0
	v_subb_co_u32_e32 v11, vcc, v11, v2, vcc
	v_mov_b32_e32 v2, 0
; %bb.225:                              ;   in Loop: Header=BB116_18 Depth=1
	s_or_b64 exec, exec, s[10:11]
	s_and_b64 s[26:27], s[22:23], exec
	v_mov_b64_e32 v[12:13], v[10:11]
.LBB116_226:                            ;   in Loop: Header=BB116_18 Depth=1
	s_or_b64 exec, exec, s[8:9]
	s_mov_b64 s[22:23], -1
                                        ; implicit-def: $sgpr10_sgpr11
                                        ; implicit-def: $sgpr8_sgpr9
	s_and_saveexec_b64 s[20:21], s[26:27]
	s_cbranch_execz .LBB116_275
; %bb.227:                              ;   in Loop: Header=BB116_18 Depth=1
	s_cmp_eq_u64 s[2:3], 1
	s_cselect_b64 s[8:9], -1, 0
	v_cmp_eq_u64_e32 vcc, 1, v[12:13]
	s_and_b64 s[22:23], s[8:9], vcc
	s_mov_b64 s[42:43], -1
                                        ; implicit-def: $sgpr10_sgpr11
                                        ; implicit-def: $sgpr8_sgpr9
	s_and_saveexec_b64 s[40:41], s[22:23]
	s_cbranch_execz .LBB116_263
; %bb.228:                              ;   in Loop: Header=BB116_18 Depth=1
	ds_read_b64 v[6:7], v3 offset:5120
	s_waitcnt lgkmcnt(0)
	s_barrier
	v_readfirstlane_b32 s42, v6
	v_readfirstlane_b32 s43, v7
	s_mov_b64 s[8:9], exec
	v_readlane_b32 s10, v66, 14
	v_readlane_b32 s11, v66, 15
	s_and_b64 s[10:11], s[8:9], s[10:11]
	s_mov_b64 exec, s[10:11]
; %bb.229:                              ;   in Loop: Header=BB116_18 Depth=1
	ds_write_b64 v46, v[56:57]
; %bb.230:                              ;   in Loop: Header=BB116_18 Depth=1
	s_or_b64 exec, exec, s[8:9]
	v_or_b32_e32 v27, s13, v27
	v_or_b32_e32 v26, s12, v26
	;; [unrolled: 1-line block ×4, first 2 shown]
	s_mov_b64 s[8:9], -1
	s_mov_b64 s[10:11], 0
	s_cmp_eq_u64 s[42:43], 0
	s_mov_b64 s[26:27], 0
	s_mov_b64 s[44:45], -1
	s_waitcnt lgkmcnt(0)
	s_barrier
                                        ; implicit-def: $vgpr8_vgpr9
	s_cbranch_scc1 .LBB116_247
; %bb.231:                              ;   in Loop: Header=BB116_18 Depth=1
	v_readlane_b32 s26, v66, 20
	s_add_u32 s48, s42, s26
	v_readlane_b32 s26, v66, 21
	s_addc_u32 s27, s43, s26
	s_mov_b32 s26, s73
	s_cmp_lg_u64 s[26:27], 0
	s_cbranch_scc0 .LBB116_282
; %bb.232:                              ;   in Loop: Header=BB116_18 Depth=1
	v_cvt_f32_u32_e32 v4, s66
	s_sub_u32 s26, 0, s66
	s_subb_u32 s46, 0, 0
	v_fmac_f32_e32 v4, 0, v51
	v_rcp_f32_e32 v4, v4
	s_nop 0
	v_mul_f32_e32 v4, 0x5f7ffffc, v4
	v_mul_f32_e32 v6, 0x2f800000, v4
	v_trunc_f32_e32 v6, v6
	v_fmac_f32_e32 v4, 0xcf800000, v6
	v_cvt_u32_f32_e32 v6, v6
	v_cvt_u32_f32_e32 v4, v4
	v_readfirstlane_b32 s47, v6
	v_readfirstlane_b32 s44, v4
	s_mul_i32 s45, s26, s47
	s_mul_hi_u32 s50, s26, s44
	s_mul_i32 s49, s46, s44
	s_add_i32 s45, s50, s45
	s_mul_i32 s51, s26, s44
	s_add_i32 s45, s45, s49
	s_mul_hi_u32 s50, s44, s51
	s_mul_i32 s60, s44, s45
	s_mul_hi_u32 s49, s44, s45
	s_add_u32 s50, s50, s60
	s_addc_u32 s49, 0, s49
	s_mul_hi_u32 s61, s47, s51
	s_mul_i32 s51, s47, s51
	s_add_u32 s50, s50, s51
	s_mul_hi_u32 s60, s47, s45
	s_addc_u32 s49, s49, s61
	s_addc_u32 s50, s60, 0
	s_mul_i32 s45, s47, s45
	s_add_u32 s45, s49, s45
	s_addc_u32 s49, 0, s50
	s_add_u32 s50, s44, s45
	s_cselect_b64 s[44:45], -1, 0
	s_cmp_lg_u64 s[44:45], 0
	s_addc_u32 s47, s47, s49
	s_mul_i32 s44, s26, s47
	s_mul_hi_u32 s45, s26, s50
	s_add_i32 s44, s45, s44
	s_mul_i32 s46, s46, s50
	s_add_i32 s44, s44, s46
	s_mul_i32 s26, s26, s50
	s_mul_hi_u32 s46, s47, s26
	s_mul_i32 s49, s47, s26
	s_mul_i32 s60, s50, s44
	s_mul_hi_u32 s26, s50, s26
	s_mul_hi_u32 s51, s50, s44
	s_add_u32 s26, s26, s60
	s_addc_u32 s51, 0, s51
	s_add_u32 s26, s26, s49
	s_mul_hi_u32 s45, s47, s44
	s_addc_u32 s26, s51, s46
	s_addc_u32 s45, s45, 0
	s_mul_i32 s44, s47, s44
	s_add_u32 s26, s26, s44
	s_addc_u32 s46, 0, s45
	s_add_u32 s26, s50, s26
	s_cselect_b64 s[44:45], -1, 0
	s_cmp_lg_u64 s[44:45], 0
	s_addc_u32 s44, s47, s46
	s_mul_i32 s46, s48, s44
	s_mul_hi_u32 s47, s48, s26
	s_mul_hi_u32 s45, s48, s44
	s_add_u32 s46, s47, s46
	s_addc_u32 s45, 0, s45
	s_mul_hi_u32 s49, s27, s26
	s_mul_i32 s26, s27, s26
	s_add_u32 s26, s46, s26
	s_mul_hi_u32 s47, s27, s44
	s_addc_u32 s26, s45, s49
	s_addc_u32 s45, s47, 0
	s_mul_i32 s44, s27, s44
	s_add_u32 s26, s26, s44
	s_addc_u32 s44, 0, s45
	s_mul_i32 s44, s66, s44
	s_mul_hi_u32 s45, s66, s26
	s_add_i32 s46, s45, s44
	s_mul_i32 s26, s66, s26
	s_sub_u32 s26, s48, s26
	s_cselect_b64 s[44:45], -1, 0
	s_cmp_lg_u64 s[44:45], 0
	s_subb_u32 s46, s27, s46
	s_sub_u32 s47, s26, s66
	s_cselect_b64 s[44:45], -1, 0
	s_cmp_lg_u64 s[44:45], 0
	s_subb_u32 s49, s46, 0
	;; [unrolled: 4-line block ×3, first 2 shown]
	s_cmp_ge_u32 s47, s66
	s_cselect_b32 s45, -1, 0
	s_cmp_eq_u32 s49, 0
	s_cselect_b32 s45, s45, -1
	s_cmp_lg_u32 s45, 0
	s_cselect_b32 s44, s44, s49
	s_cselect_b32 s47, s50, s47
	s_cmp_ge_u32 s26, s66
	s_cselect_b32 s45, -1, 0
	s_cmp_eq_u32 s46, 0
	s_cselect_b32 s45, s45, -1
	s_cmp_lg_u32 s45, 0
	s_cselect_b32 s45, s44, s46
	s_cselect_b32 s44, s47, s26
	s_cbranch_execnz .LBB116_234
.LBB116_233:                            ;   in Loop: Header=BB116_18 Depth=1
	v_cvt_f32_u32_e32 v4, s66
	s_sub_i32 s26, 0, s66
	v_rcp_iflag_f32_e32 v4, v4
	s_nop 0
	v_mul_f32_e32 v4, 0x4f7ffffe, v4
	v_cvt_u32_f32_e32 v4, v4
	s_nop 0
	v_readfirstlane_b32 s44, v4
	s_mul_i32 s26, s26, s44
	s_mul_hi_u32 s26, s44, s26
	s_add_i32 s44, s44, s26
	s_mul_hi_u32 s26, s48, s44
	s_mul_i32 s26, s26, s66
	s_sub_i32 s26, s48, s26
	s_sub_i32 s44, s26, s66
	s_cmp_ge_u32 s26, s66
	s_cselect_b32 s26, s44, s26
	s_sub_i32 s44, s26, s66
	s_cmp_ge_u32 s26, s66
	s_cselect_b32 s72, s44, s26
	s_mov_b64 s[44:45], s[72:73]
.LBB116_234:                            ;   in Loop: Header=BB116_18 Depth=1
	s_sub_u32 s48, s48, s44
	s_subb_u32 s49, s27, s45
	v_cmp_gt_u64_e32 vcc, s[48:49], v[0:1]
	s_mov_b64 s[44:45], 0
	s_mov_b64 s[26:27], 0
                                        ; implicit-def: $vgpr8_vgpr9
	s_and_saveexec_b64 s[46:47], vcc
	s_cbranch_execz .LBB116_246
; %bb.235:                              ;   in Loop: Header=BB116_18 Depth=1
	v_mov_b32_e32 v14, v45
	v_mov_b64_e32 v[10:11], v[0:1]
                                        ; implicit-def: $sgpr50_sgpr51
	s_branch .LBB116_239
.LBB116_236:                            ;   in Loop: Header=BB116_239 Depth=2
	s_or_b64 exec, exec, s[60:61]
	s_waitcnt lgkmcnt(0)
	s_barrier
	ds_read_b128 v[6:9], v3 offset:3072
	s_waitcnt lgkmcnt(0)
	s_barrier
	v_cmp_neq_f64_e32 vcc, 0, v[6:7]
	s_cbranch_vccnz .LBB116_242
; %bb.237:                              ;   in Loop: Header=BB116_239 Depth=2
	v_lshl_add_u64 v[10:11], v[10:11], 0, s[66:67]
	v_cmp_le_u64_e32 vcc, s[48:49], v[10:11]
	v_add_u32_e32 v14, s7, v14
	s_mov_b64 s[60:61], 0
	s_orn2_b64 s[62:63], vcc, exec
.LBB116_238:                            ;   in Loop: Header=BB116_239 Depth=2
	s_and_b64 s[62:63], exec, s[62:63]
	s_or_b64 s[26:27], s[62:63], s[26:27]
	s_andn2_b64 s[50:51], s[50:51], exec
	s_and_b64 s[60:61], s[60:61], exec
	s_or_b64 s[50:51], s[50:51], s[60:61]
	s_andn2_b64 exec, exec, s[26:27]
	s_cbranch_execz .LBB116_245
.LBB116_239:                            ;   Parent Loop BB116_18 Depth=1
                                        ; =>  This Inner Loop Header: Depth=2
	v_cmp_gt_u64_e32 vcc, s[42:43], v[10:11]
	s_and_saveexec_b64 s[60:61], vcc
	s_cbranch_execz .LBB116_236
; %bb.240:                              ;   in Loop: Header=BB116_239 Depth=2
	ds_read_b64 v[6:7], v14
	s_waitcnt lgkmcnt(0)
	v_ashrrev_i32_e32 v4, 31, v7
	v_or_b32_e32 v8, 0x80000000, v4
	v_xor_b32_e32 v4, v4, v6
	v_xor_b32_e32 v8, v8, v7
	v_cmp_o_f64_e32 vcc, v[6:7], v[6:7]
	s_nop 1
	v_cndmask_b32_e32 v4, -1, v4, vcc
	v_cndmask_b32_e32 v8, -1, v8, vcc
	v_and_b32_e32 v9, v8, v35
	v_and_b32_e32 v8, v4, v34
	v_cmp_eq_u64_e32 vcc, v[8:9], v[26:27]
	s_and_b64 exec, exec, vcc
	s_cbranch_execz .LBB116_236
; %bb.241:                              ;   in Loop: Header=BB116_239 Depth=2
	v_mov_b32_e32 v4, v3
	ds_write_b128 v3, v[4:7] offset:3072
	s_branch .LBB116_236
.LBB116_242:                            ;   in Loop: Header=BB116_239 Depth=2
	s_mov_b64 s[62:63], -1
                                        ; implicit-def: $vgpr10_vgpr11
                                        ; implicit-def: $vgpr14
	s_mov_b64 s[60:61], -1
	s_branch .LBB116_238
.LBB116_243:                            ;   in Loop: Header=BB116_18 Depth=1
                                        ; implicit-def: $sgpr26_sgpr27
	s_branch .LBB116_186
.LBB116_244:                            ;   in Loop: Header=BB116_18 Depth=1
                                        ; implicit-def: $sgpr10_sgpr11
	s_branch .LBB116_203
.LBB116_245:                            ;   in Loop: Header=BB116_18 Depth=1
	s_or_b64 exec, exec, s[26:27]
	s_and_b64 s[26:27], s[50:51], exec
.LBB116_246:                            ;   in Loop: Header=BB116_18 Depth=1
	s_or_b64 exec, exec, s[46:47]
.LBB116_247:                            ;   in Loop: Header=BB116_18 Depth=1
	s_and_b64 vcc, exec, s[44:45]
	s_cbranch_vccz .LBB116_262
; %bb.248:                              ;   in Loop: Header=BB116_18 Depth=1
	s_mov_b32 s78, s73
	s_cmp_lg_u64 s[78:79], 0
	s_cbranch_scc0 .LBB116_283
; %bb.249:                              ;   in Loop: Header=BB116_18 Depth=1
	v_cvt_f32_u32_e32 v4, s66
	s_sub_u32 s10, 0, s66
	s_subb_u32 s11, 0, 0
	v_fmac_f32_e32 v4, 0, v51
	v_rcp_f32_e32 v4, v4
	s_nop 0
	v_mul_f32_e32 v4, 0x5f7ffffc, v4
	v_mul_f32_e32 v6, 0x2f800000, v4
	v_trunc_f32_e32 v6, v6
	v_fmac_f32_e32 v4, 0xcf800000, v6
	v_cvt_u32_f32_e32 v6, v6
	v_cvt_u32_f32_e32 v4, v4
	v_readfirstlane_b32 s42, v6
	v_readfirstlane_b32 s8, v4
	s_mul_i32 s9, s10, s42
	s_mul_hi_u32 s44, s10, s8
	s_mul_i32 s43, s11, s8
	s_add_i32 s9, s44, s9
	s_mul_i32 s45, s10, s8
	s_add_i32 s9, s9, s43
	s_mul_hi_u32 s44, s8, s45
	s_mul_i32 s46, s8, s9
	s_mul_hi_u32 s43, s8, s9
	s_add_u32 s44, s44, s46
	s_addc_u32 s43, 0, s43
	s_mul_hi_u32 s47, s42, s45
	s_mul_i32 s45, s42, s45
	s_add_u32 s44, s44, s45
	s_mul_hi_u32 s46, s42, s9
	s_addc_u32 s43, s43, s47
	s_addc_u32 s44, s46, 0
	s_mul_i32 s9, s42, s9
	s_add_u32 s9, s43, s9
	s_addc_u32 s43, 0, s44
	s_add_u32 s44, s8, s9
	s_cselect_b64 s[8:9], -1, 0
	s_cmp_lg_u64 s[8:9], 0
	s_addc_u32 s42, s42, s43
	s_mul_i32 s8, s10, s42
	s_mul_hi_u32 s9, s10, s44
	s_add_i32 s8, s9, s8
	s_mul_i32 s11, s11, s44
	s_add_i32 s8, s8, s11
	s_mul_i32 s10, s10, s44
	s_mul_hi_u32 s11, s42, s10
	s_mul_i32 s43, s42, s10
	s_mul_i32 s46, s44, s8
	s_mul_hi_u32 s10, s44, s10
	s_mul_hi_u32 s45, s44, s8
	s_add_u32 s10, s10, s46
	s_addc_u32 s45, 0, s45
	s_add_u32 s10, s10, s43
	s_mul_hi_u32 s9, s42, s8
	s_addc_u32 s10, s45, s11
	s_addc_u32 s9, s9, 0
	s_mul_i32 s8, s42, s8
	s_add_u32 s8, s10, s8
	s_addc_u32 s10, 0, s9
	s_add_u32 s11, s44, s8
	s_cselect_b64 s[8:9], -1, 0
	s_cmp_lg_u64 s[8:9], 0
	s_addc_u32 s8, s42, s10
	s_mul_i32 s10, s33, s8
	s_mul_hi_u32 s42, s33, s11
	s_mul_hi_u32 s9, s33, s8
	s_add_u32 s10, s42, s10
	s_addc_u32 s9, 0, s9
	s_mul_hi_u32 s43, s79, s11
	s_mul_i32 s11, s79, s11
	s_add_u32 s10, s10, s11
	s_mul_hi_u32 s42, s79, s8
	s_addc_u32 s9, s9, s43
	s_addc_u32 s10, s42, 0
	s_mul_i32 s8, s79, s8
	s_add_u32 s8, s9, s8
	s_addc_u32 s9, 0, s10
	s_mul_i32 s9, s66, s9
	s_mul_hi_u32 s10, s66, s8
	s_add_i32 s10, s10, s9
	s_mul_i32 s8, s66, s8
	s_sub_u32 s11, s33, s8
	s_cselect_b64 s[8:9], -1, 0
	s_cmp_lg_u64 s[8:9], 0
	s_subb_u32 s10, s79, s10
	s_sub_u32 s42, s11, s66
	s_cselect_b64 s[8:9], -1, 0
	s_cmp_lg_u64 s[8:9], 0
	s_subb_u32 s43, s10, 0
	;; [unrolled: 4-line block ×3, first 2 shown]
	s_cmp_ge_u32 s42, s66
	s_cselect_b32 s9, -1, 0
	s_cmp_eq_u32 s43, 0
	s_cselect_b32 s9, s9, -1
	s_cmp_lg_u32 s9, 0
	s_cselect_b32 s8, s8, s43
	s_cselect_b32 s42, s44, s42
	s_cmp_ge_u32 s11, s66
	s_cselect_b32 s9, -1, 0
	s_cmp_eq_u32 s10, 0
	s_cselect_b32 s9, s9, -1
	s_cmp_lg_u32 s9, 0
	s_cselect_b32 s9, s8, s10
	s_cselect_b32 s8, s42, s11
	s_cbranch_execnz .LBB116_251
.LBB116_250:                            ;   in Loop: Header=BB116_18 Depth=1
	v_cvt_f32_u32_e32 v4, s66
	s_sub_i32 s8, 0, s66
	v_rcp_iflag_f32_e32 v4, v4
	s_nop 0
	v_mul_f32_e32 v4, 0x4f7ffffe, v4
	v_cvt_u32_f32_e32 v4, v4
	s_nop 0
	v_readfirstlane_b32 s9, v4
	s_mul_i32 s8, s8, s9
	s_mul_hi_u32 s8, s9, s8
	s_add_i32 s9, s9, s8
	s_mul_hi_u32 s8, s33, s9
	s_mul_i32 s8, s8, s66
	s_sub_i32 s8, s33, s8
	s_sub_i32 s9, s8, s66
	s_cmp_ge_u32 s8, s66
	s_cselect_b32 s8, s9, s8
	s_sub_i32 s9, s8, s66
	s_cmp_ge_u32 s8, s66
	s_cselect_b32 s72, s9, s8
	s_mov_b64 s[8:9], s[72:73]
.LBB116_251:                            ;   in Loop: Header=BB116_18 Depth=1
	s_sub_u32 s10, s33, s8
	s_subb_u32 s11, s79, s9
	v_cmp_gt_u64_e32 vcc, s[10:11], v[0:1]
                                        ; implicit-def: $vgpr8_vgpr9
	s_and_saveexec_b64 s[8:9], vcc
	s_cbranch_execz .LBB116_261
; %bb.252:                              ;   in Loop: Header=BB116_18 Depth=1
	s_mov_b64 s[42:43], 0
	v_mov_b64_e32 v[10:11], v[18:19]
	v_mov_b64_e32 v[14:15], v[0:1]
                                        ; implicit-def: $sgpr44_sgpr45
	s_branch .LBB116_256
.LBB116_253:                            ;   in Loop: Header=BB116_256 Depth=2
	s_or_b64 exec, exec, s[46:47]
	s_waitcnt lgkmcnt(0)
	s_barrier
	ds_read_b128 v[6:9], v3 offset:3072
	s_waitcnt lgkmcnt(0)
	s_barrier
	v_cmp_eq_f64_e32 vcc, 0, v[6:7]
	s_cbranch_vccz .LBB116_259
; %bb.254:                              ;   in Loop: Header=BB116_256 Depth=2
	v_lshl_add_u64 v[14:15], v[14:15], 0, s[66:67]
	v_cmp_le_u64_e32 vcc, s[10:11], v[14:15]
	v_lshl_add_u64 v[10:11], v[10:11], 0, s[68:69]
	s_mov_b64 s[46:47], 0
	s_orn2_b64 s[48:49], vcc, exec
.LBB116_255:                            ;   in Loop: Header=BB116_256 Depth=2
	s_and_b64 s[48:49], exec, s[48:49]
	s_or_b64 s[42:43], s[48:49], s[42:43]
	s_andn2_b64 s[44:45], s[44:45], exec
	s_and_b64 s[46:47], s[46:47], exec
	s_or_b64 s[44:45], s[44:45], s[46:47]
	s_andn2_b64 exec, exec, s[42:43]
	s_cbranch_execz .LBB116_260
.LBB116_256:                            ;   Parent Loop BB116_18 Depth=1
                                        ; =>  This Inner Loop Header: Depth=2
	v_cmp_gt_u64_e32 vcc, s[52:53], v[14:15]
	s_and_saveexec_b64 s[46:47], vcc
	s_cbranch_execz .LBB116_253
; %bb.257:                              ;   in Loop: Header=BB116_256 Depth=2
	global_load_dwordx2 v[6:7], v[10:11], off
	s_waitcnt vmcnt(0)
	v_ashrrev_i32_e32 v4, 31, v7
	v_or_b32_e32 v8, 0x80000000, v4
	v_xor_b32_e32 v4, v4, v6
	v_xor_b32_e32 v8, v8, v7
	v_cmp_o_f64_e32 vcc, v[6:7], v[6:7]
	s_nop 1
	v_cndmask_b32_e32 v4, -1, v4, vcc
	v_cndmask_b32_e32 v8, -1, v8, vcc
	v_and_b32_e32 v9, v8, v35
	v_and_b32_e32 v8, v4, v34
	v_cmp_eq_u64_e32 vcc, v[8:9], v[26:27]
	s_and_b64 exec, exec, vcc
	s_cbranch_execz .LBB116_253
; %bb.258:                              ;   in Loop: Header=BB116_256 Depth=2
	v_mov_b32_e32 v4, v3
	ds_write_b128 v3, v[4:7] offset:3072
	s_branch .LBB116_253
.LBB116_259:                            ;   in Loop: Header=BB116_256 Depth=2
	s_mov_b64 s[48:49], -1
                                        ; implicit-def: $vgpr14_vgpr15
                                        ; implicit-def: $vgpr10_vgpr11
	s_mov_b64 s[46:47], -1
	s_branch .LBB116_255
.LBB116_260:                            ;   in Loop: Header=BB116_18 Depth=1
	s_or_b64 exec, exec, s[42:43]
	s_andn2_b64 s[10:11], s[26:27], exec
	s_and_b64 s[26:27], s[44:45], exec
	s_or_b64 s[26:27], s[10:11], s[26:27]
.LBB116_261:                            ;   in Loop: Header=BB116_18 Depth=1
	s_or_b64 exec, exec, s[8:9]
	s_mov_b64 s[8:9], 0
	s_mov_b64 s[10:11], -1
.LBB116_262:                            ;   in Loop: Header=BB116_18 Depth=1
	s_orn2_b64 s[42:43], s[26:27], exec
.LBB116_263:                            ;   in Loop: Header=BB116_18 Depth=1
	s_or_b64 exec, exec, s[40:41]
	s_mov_b64 s[40:41], 0
	s_and_saveexec_b64 s[26:27], s[42:43]
	s_cbranch_execz .LBB116_274
; %bb.264:                              ;   in Loop: Header=BB116_18 Depth=1
	s_xor_b64 s[40:41], s[22:23], -1
	v_mov_b64_e32 v[6:7], 1
	v_mov_b32_e32 v2, 1
	s_and_saveexec_b64 s[22:23], s[40:41]
	s_cbranch_execz .LBB116_273
; %bb.265:                              ;   in Loop: Header=BB116_18 Depth=1
	v_cmp_ge_u64_e32 vcc, s[2:3], v[12:13]
	s_and_saveexec_b64 s[40:41], vcc
	s_xor_b64 s[40:41], exec, s[40:41]
	s_cbranch_execz .LBB116_270
; %bb.266:                              ;   in Loop: Header=BB116_18 Depth=1
	ds_read_b64 v[6:7], v3 offset:5120
	v_or_b32_e32 v27, s13, v27
	v_or_b32_e32 v26, s12, v26
	;; [unrolled: 1-line block ×4, first 2 shown]
	s_waitcnt lgkmcnt(0)
	v_cmp_ne_u64_e32 vcc, 0, v[6:7]
	s_cbranch_vccnz .LBB116_270
; %bb.267:                              ;   in Loop: Header=BB116_18 Depth=1
	s_mov_b64 s[12:13], exec
	v_readlane_b32 s42, v66, 12
	v_readlane_b32 s43, v66, 13
	s_and_b64 s[42:43], s[12:13], s[42:43]
	s_mov_b64 exec, s[42:43]
; %bb.268:                              ;   in Loop: Header=BB116_18 Depth=1
	v_mov_b64_e32 v[6:7], s[2:3]
	ds_write_b64 v3, v[6:7] offset:5128
; %bb.269:                              ;   in Loop: Header=BB116_18 Depth=1
	s_or_b64 exec, exec, s[12:13]
	s_waitcnt lgkmcnt(0)
	s_barrier
.LBB116_270:                            ;   in Loop: Header=BB116_18 Depth=1
	s_andn2_saveexec_b64 s[12:13], s[40:41]
; %bb.271:                              ;   in Loop: Header=BB116_18 Depth=1
	v_mov_b32_e32 v2, s3
	v_subrev_co_u32_e32 v12, vcc, s2, v12
	s_nop 1
	v_subb_co_u32_e32 v13, vcc, v13, v2, vcc
; %bb.272:                              ;   in Loop: Header=BB116_18 Depth=1
	s_or_b64 exec, exec, s[12:13]
	v_mov_b32_e32 v2, 8
	v_mov_b64_e32 v[6:7], v[12:13]
.LBB116_273:                            ;   in Loop: Header=BB116_18 Depth=1
	s_or_b64 exec, exec, s[22:23]
	s_mov_b64 s[40:41], exec
	v_mov_b64_e32 v[12:13], v[6:7]
.LBB116_274:                            ;   in Loop: Header=BB116_18 Depth=1
	s_or_b64 exec, exec, s[26:27]
	s_orn2_b64 s[22:23], s[40:41], exec
.LBB116_275:                            ;   in Loop: Header=BB116_18 Depth=1
	s_or_b64 exec, exec, s[20:21]
	s_andn2_b64 s[2:3], s[36:37], exec
	s_and_b64 s[10:11], s[10:11], exec
	s_or_b64 s[36:37], s[2:3], s[10:11]
	s_andn2_b64 s[2:3], s[34:35], exec
	s_and_b64 s[8:9], s[8:9], exec
	s_or_b64 s[34:35], s[2:3], s[8:9]
	s_and_b64 s[10:11], s[22:23], exec
	v_mov_b64_e32 v[10:11], v[12:13]
.LBB116_276:                            ;   in Loop: Header=BB116_18 Depth=1
	s_or_b64 exec, exec, s[38:39]
	s_orn2_b64 s[8:9], s[10:11], exec
.LBB116_277:                            ;   in Loop: Header=BB116_18 Depth=1
	s_or_b64 exec, exec, s[30:31]
	s_andn2_b64 s[2:3], s[24:25], exec
	s_and_b64 s[10:11], s[36:37], exec
	s_or_b64 s[24:25], s[2:3], s[10:11]
	s_andn2_b64 s[0:1], s[0:1], exec
	s_and_b64 s[2:3], s[34:35], exec
	s_or_b64 s[0:1], s[0:1], s[2:3]
	s_and_b64 s[10:11], s[8:9], exec
	v_mov_b64_e32 v[14:15], v[10:11]
.LBB116_278:                            ;   in Loop: Header=BB116_18 Depth=1
	s_or_b64 exec, exec, s[28:29]
	s_orn2_b64 s[8:9], s[10:11], exec
.LBB116_279:                            ;   in Loop: Header=BB116_18 Depth=1
	s_or_b64 exec, exec, s[18:19]
	s_mov_b64 s[10:11], 0
	s_and_saveexec_b64 s[2:3], s[8:9]
	s_xor_b64 s[2:3], exec, s[2:3]
	s_cbranch_execz .LBB116_16
; %bb.280:                              ;   in Loop: Header=BB116_18 Depth=1
	v_and_b32_e32 v2, 7, v2
	v_cmp_eq_u32_e32 vcc, 0, v2
	s_mov_b64 s[8:9], -1
	s_mov_b64 s[10:11], -1
	s_and_saveexec_b64 s[12:13], vcc
	s_cbranch_execz .LBB116_15
; %bb.281:                              ;   in Loop: Header=BB116_18 Depth=1
	s_xor_b32 s75, s75, 1
	s_add_i32 s16, s74, -2
	s_cmp_eq_u32 s74, 0
	s_cselect_b64 s[8:9], -1, 0
	s_xor_b64 s[10:11], exec, -1
	s_orn2_b64 s[8:9], s[8:9], exec
	s_mov_b32 s74, s16
	s_branch .LBB116_15
.LBB116_282:                            ;   in Loop: Header=BB116_18 Depth=1
                                        ; implicit-def: $sgpr44_sgpr45
	s_branch .LBB116_233
.LBB116_283:                            ;   in Loop: Header=BB116_18 Depth=1
                                        ; implicit-def: $sgpr8_sgpr9
	s_branch .LBB116_250
.LBB116_284:
	s_or_b64 exec, exec, s[90:91]
	s_xor_b64 s[4:5], s[96:97], -1
	s_xor_b64 s[2:3], s[92:93], -1
	;; [unrolled: 1-line block ×3, first 2 shown]
	s_mov_b64 s[0:1], 0
	s_and_saveexec_b64 s[8:9], s[2:3]
	s_xor_b64 s[2:3], exec, s[8:9]
	s_cbranch_execnz .LBB116_289
; %bb.285:
	s_andn2_saveexec_b64 s[2:3], s[2:3]
	s_cbranch_execnz .LBB116_302
.LBB116_286:
	s_or_b64 exec, exec, s[2:3]
	s_and_saveexec_b64 s[2:3], s[0:1]
.LBB116_287:
	; divergent unreachable
.LBB116_288:
	s_endpgm
.LBB116_289:
	s_and_saveexec_b64 s[0:1], s[4:5]
	s_xor_b64 s[4:5], exec, s[0:1]
	s_cbranch_execz .LBB116_300
; %bb.290:
	s_and_saveexec_b64 s[0:1], s[6:7]
	s_xor_b64 s[0:1], exec, s[0:1]
; %bb.291:
	v_lshrrev_b32_e32 v2, 31, v27
	v_mov_b32_e32 v3, 0
	v_lshl_add_u64 v[2:3], v[2:3], 0, -1
	v_or_b32_e32 v3, 0x80000000, v3
	v_xor_b32_e32 v9, v3, v27
	v_xor_b32_e32 v8, v2, v26
; %bb.292:
	s_or_b64 exec, exec, s[0:1]
	v_readlane_b32 s0, v66, 8
	v_readlane_b32 s8, v66, 4
	;; [unrolled: 1-line block ×3, first 2 shown]
	s_mov_b32 s6, s0
	v_readlane_b32 s9, v66, 5
	s_mul_i32 s0, s9, s0
	s_mul_hi_u32 s1, s8, s6
	s_add_i32 s1, s1, s0
	s_mul_i32 s0, s8, s6
	s_lshl_b64 s[0:1], s[0:1], 3
	v_readlane_b32 s6, v66, 6
	v_readlane_b32 s7, v66, 7
	s_add_u32 s0, s6, s0
	s_addc_u32 s1, s7, s1
	v_mov_b32_e32 v2, 0
	global_store_dwordx2 v2, v[8:9], s[0:1]
	s_mov_b64 s[6:7], exec
	v_readlane_b32 s0, v66, 10
	v_readlane_b32 s1, v66, 11
	s_and_b64 s[0:1], s[6:7], s[0:1]
	s_mov_b64 exec, s[0:1]
	s_cbranch_execz .LBB116_299
; %bb.293:
	v_cmp_u_f64_e32 vcc, v[8:9], v[8:9]
	s_mov_b64 s[8:9], 0
	s_xor_b64 s[12:13], vcc, -1
                                        ; implicit-def: $sgpr10_sgpr11
                                        ; implicit-def: $sgpr16_sgpr17
                                        ; implicit-def: $sgpr14_sgpr15
	s_branch .LBB116_295
.LBB116_294:                            ;   in Loop: Header=BB116_295 Depth=1
	s_or_b64 exec, exec, s[0:1]
	s_and_b64 s[0:1], exec, s[16:17]
	s_or_b64 s[8:9], s[0:1], s[8:9]
	s_andn2_b64 s[0:1], s[10:11], exec
	s_and_b64 s[10:11], s[14:15], exec
	s_or_b64 s[10:11], s[0:1], s[10:11]
	s_andn2_b64 exec, exec, s[8:9]
	s_cbranch_execz .LBB116_297
.LBB116_295:                            ; =>This Inner Loop Header: Depth=1
	global_load_dwordx2 v[4:5], v[18:19], off
	v_mov_b64_e32 v[2:3], v[0:1]
	s_or_b64 s[14:15], s[14:15], exec
	s_or_b64 s[16:17], s[16:17], exec
                                        ; implicit-def: $vgpr0_vgpr1
	s_waitcnt vmcnt(0)
	v_cmp_o_f64_e64 s[0:1], v[4:5], v[4:5]
	v_cmp_neq_f64_e32 vcc, v[4:5], v[8:9]
	s_or_b64 s[0:1], s[0:1], s[12:13]
	s_and_b64 s[18:19], vcc, s[0:1]
	s_and_saveexec_b64 s[0:1], s[18:19]
	s_cbranch_execz .LBB116_294
; %bb.296:                              ;   in Loop: Header=BB116_295 Depth=1
	v_lshl_add_u64 v[0:1], v[2:3], 0, s[66:67]
	v_cmp_le_u64_e32 vcc, s[52:53], v[0:1]
	s_andn2_b64 s[16:17], s[16:17], exec
	s_and_b64 s[18:19], vcc, exec
	v_lshl_add_u64 v[18:19], v[18:19], 0, s[68:69]
	s_andn2_b64 s[14:15], s[14:15], exec
	s_or_b64 s[16:17], s[16:17], s[18:19]
	s_branch .LBB116_294
.LBB116_297:
	s_or_b64 exec, exec, s[8:9]
	s_and_saveexec_b64 s[0:1], s[10:11]
	s_xor_b64 s[0:1], exec, s[0:1]
	s_cbranch_execz .LBB116_299
; %bb.298:
	v_readlane_b32 s0, v66, 8
	v_readlane_b32 s10, v66, 0
	;; [unrolled: 1-line block ×3, first 2 shown]
	s_mov_b32 s8, s0
	v_readlane_b32 s11, v66, 1
	s_mul_i32 s0, s11, s0
	s_mul_hi_u32 s1, s10, s8
	s_add_i32 s1, s1, s0
	s_mul_i32 s0, s10, s8
	s_lshl_b64 s[0:1], s[0:1], 3
	v_readlane_b32 s8, v66, 2
	v_readlane_b32 s9, v66, 3
	s_add_u32 s0, s8, s0
	s_addc_u32 s1, s9, s1
	v_mov_b32_e32 v0, 0
	global_store_dwordx2 v0, v[2:3], s[0:1]
.LBB116_299:
	s_or_b64 exec, exec, s[6:7]
.LBB116_300:
	s_or_saveexec_b64 s[0:1], s[4:5]
	s_mov_b64 s[4:5], 0
	s_xor_b64 exec, exec, s[0:1]
	s_cbranch_execnz .LBB116_303
.LBB116_301:
	s_or_b64 exec, exec, s[0:1]
	s_and_b64 s[0:1], s[4:5], exec
	s_andn2_saveexec_b64 s[2:3], s[2:3]
	s_cbranch_execz .LBB116_286
.LBB116_302:
	s_or_b64 s[0:1], s[0:1], exec
	s_trap 2
	s_or_b64 exec, exec, s[2:3]
	s_and_saveexec_b64 s[2:3], s[0:1]
	s_cbranch_execnz .LBB116_287
	s_branch .LBB116_288
.LBB116_303:
	s_mov_b64 s[4:5], exec
	s_trap 2
	s_branch .LBB116_301
	.section	.rodata,"a",@progbits
	.p2align	6, 0x0
	.amdhsa_kernel _ZN2at6native12_GLOBAL__N_112gatherMedianIdmLi1EEEvNS_4cuda6detail10TensorInfoIT_T0_EENS5_IlS7_EENS5_IKS6_S7_EES7_S7_S7_b
		.amdhsa_group_segment_fixed_size 5152
		.amdhsa_private_segment_fixed_size 0
		.amdhsa_kernarg_size 1536
		.amdhsa_user_sgpr_count 2
		.amdhsa_user_sgpr_dispatch_ptr 0
		.amdhsa_user_sgpr_queue_ptr 0
		.amdhsa_user_sgpr_kernarg_segment_ptr 1
		.amdhsa_user_sgpr_dispatch_id 0
		.amdhsa_user_sgpr_kernarg_preload_length 0
		.amdhsa_user_sgpr_kernarg_preload_offset 0
		.amdhsa_user_sgpr_private_segment_size 0
		.amdhsa_uses_dynamic_stack 0
		.amdhsa_enable_private_segment 0
		.amdhsa_system_sgpr_workgroup_id_x 1
		.amdhsa_system_sgpr_workgroup_id_y 1
		.amdhsa_system_sgpr_workgroup_id_z 1
		.amdhsa_system_sgpr_workgroup_info 0
		.amdhsa_system_vgpr_workitem_id 0
		.amdhsa_next_free_vgpr 67
		.amdhsa_next_free_sgpr 100
		.amdhsa_accum_offset 68
		.amdhsa_reserve_vcc 1
		.amdhsa_float_round_mode_32 0
		.amdhsa_float_round_mode_16_64 0
		.amdhsa_float_denorm_mode_32 3
		.amdhsa_float_denorm_mode_16_64 3
		.amdhsa_dx10_clamp 1
		.amdhsa_ieee_mode 1
		.amdhsa_fp16_overflow 0
		.amdhsa_tg_split 0
		.amdhsa_exception_fp_ieee_invalid_op 0
		.amdhsa_exception_fp_denorm_src 0
		.amdhsa_exception_fp_ieee_div_zero 0
		.amdhsa_exception_fp_ieee_overflow 0
		.amdhsa_exception_fp_ieee_underflow 0
		.amdhsa_exception_fp_ieee_inexact 0
		.amdhsa_exception_int_div_zero 0
	.end_amdhsa_kernel
	.section	.text._ZN2at6native12_GLOBAL__N_112gatherMedianIdmLi1EEEvNS_4cuda6detail10TensorInfoIT_T0_EENS5_IlS7_EENS5_IKS6_S7_EES7_S7_S7_b,"axG",@progbits,_ZN2at6native12_GLOBAL__N_112gatherMedianIdmLi1EEEvNS_4cuda6detail10TensorInfoIT_T0_EENS5_IlS7_EENS5_IKS6_S7_EES7_S7_S7_b,comdat
.Lfunc_end116:
	.size	_ZN2at6native12_GLOBAL__N_112gatherMedianIdmLi1EEEvNS_4cuda6detail10TensorInfoIT_T0_EENS5_IlS7_EENS5_IKS6_S7_EES7_S7_S7_b, .Lfunc_end116-_ZN2at6native12_GLOBAL__N_112gatherMedianIdmLi1EEEvNS_4cuda6detail10TensorInfoIT_T0_EENS5_IlS7_EENS5_IKS6_S7_EES7_S7_S7_b
                                        ; -- End function
	.set _ZN2at6native12_GLOBAL__N_112gatherMedianIdmLi1EEEvNS_4cuda6detail10TensorInfoIT_T0_EENS5_IlS7_EENS5_IKS6_S7_EES7_S7_S7_b.num_vgpr, 67
	.set _ZN2at6native12_GLOBAL__N_112gatherMedianIdmLi1EEEvNS_4cuda6detail10TensorInfoIT_T0_EENS5_IlS7_EENS5_IKS6_S7_EES7_S7_S7_b.num_agpr, 0
	.set _ZN2at6native12_GLOBAL__N_112gatherMedianIdmLi1EEEvNS_4cuda6detail10TensorInfoIT_T0_EENS5_IlS7_EENS5_IKS6_S7_EES7_S7_S7_b.numbered_sgpr, 100
	.set _ZN2at6native12_GLOBAL__N_112gatherMedianIdmLi1EEEvNS_4cuda6detail10TensorInfoIT_T0_EENS5_IlS7_EENS5_IKS6_S7_EES7_S7_S7_b.num_named_barrier, 0
	.set _ZN2at6native12_GLOBAL__N_112gatherMedianIdmLi1EEEvNS_4cuda6detail10TensorInfoIT_T0_EENS5_IlS7_EENS5_IKS6_S7_EES7_S7_S7_b.private_seg_size, 0
	.set _ZN2at6native12_GLOBAL__N_112gatherMedianIdmLi1EEEvNS_4cuda6detail10TensorInfoIT_T0_EENS5_IlS7_EENS5_IKS6_S7_EES7_S7_S7_b.uses_vcc, 1
	.set _ZN2at6native12_GLOBAL__N_112gatherMedianIdmLi1EEEvNS_4cuda6detail10TensorInfoIT_T0_EENS5_IlS7_EENS5_IKS6_S7_EES7_S7_S7_b.uses_flat_scratch, 0
	.set _ZN2at6native12_GLOBAL__N_112gatherMedianIdmLi1EEEvNS_4cuda6detail10TensorInfoIT_T0_EENS5_IlS7_EENS5_IKS6_S7_EES7_S7_S7_b.has_dyn_sized_stack, 0
	.set _ZN2at6native12_GLOBAL__N_112gatherMedianIdmLi1EEEvNS_4cuda6detail10TensorInfoIT_T0_EENS5_IlS7_EENS5_IKS6_S7_EES7_S7_S7_b.has_recursion, 0
	.set _ZN2at6native12_GLOBAL__N_112gatherMedianIdmLi1EEEvNS_4cuda6detail10TensorInfoIT_T0_EENS5_IlS7_EENS5_IKS6_S7_EES7_S7_S7_b.has_indirect_call, 0
	.section	.AMDGPU.csdata,"",@progbits
; Kernel info:
; codeLenInByte = 15568
; TotalNumSgprs: 106
; NumVgprs: 67
; NumAgprs: 0
; TotalNumVgprs: 67
; ScratchSize: 0
; MemoryBound: 0
; FloatMode: 240
; IeeeMode: 1
; LDSByteSize: 5152 bytes/workgroup (compile time only)
; SGPRBlocks: 13
; VGPRBlocks: 8
; NumSGPRsForWavesPerEU: 106
; NumVGPRsForWavesPerEU: 67
; AccumOffset: 68
; Occupancy: 7
; WaveLimiterHint : 1
; COMPUTE_PGM_RSRC2:SCRATCH_EN: 0
; COMPUTE_PGM_RSRC2:USER_SGPR: 2
; COMPUTE_PGM_RSRC2:TRAP_HANDLER: 0
; COMPUTE_PGM_RSRC2:TGID_X_EN: 1
; COMPUTE_PGM_RSRC2:TGID_Y_EN: 1
; COMPUTE_PGM_RSRC2:TGID_Z_EN: 1
; COMPUTE_PGM_RSRC2:TIDIG_COMP_CNT: 0
; COMPUTE_PGM_RSRC3_GFX90A:ACCUM_OFFSET: 16
; COMPUTE_PGM_RSRC3_GFX90A:TG_SPLIT: 0
	.section	.text._ZN2at6native12_GLOBAL__N_112gatherMedianIdmLi2EEEvNS_4cuda6detail10TensorInfoIT_T0_EENS5_IlS7_EENS5_IKS6_S7_EES7_S7_S7_b,"axG",@progbits,_ZN2at6native12_GLOBAL__N_112gatherMedianIdmLi2EEEvNS_4cuda6detail10TensorInfoIT_T0_EENS5_IlS7_EENS5_IKS6_S7_EES7_S7_S7_b,comdat
	.globl	_ZN2at6native12_GLOBAL__N_112gatherMedianIdmLi2EEEvNS_4cuda6detail10TensorInfoIT_T0_EENS5_IlS7_EENS5_IKS6_S7_EES7_S7_S7_b ; -- Begin function _ZN2at6native12_GLOBAL__N_112gatherMedianIdmLi2EEEvNS_4cuda6detail10TensorInfoIT_T0_EENS5_IlS7_EENS5_IKS6_S7_EES7_S7_S7_b
	.p2align	8
	.type	_ZN2at6native12_GLOBAL__N_112gatherMedianIdmLi2EEEvNS_4cuda6detail10TensorInfoIT_T0_EENS5_IlS7_EENS5_IKS6_S7_EES7_S7_S7_b,@function
_ZN2at6native12_GLOBAL__N_112gatherMedianIdmLi2EEEvNS_4cuda6detail10TensorInfoIT_T0_EENS5_IlS7_EENS5_IKS6_S7_EES7_S7_S7_b: ; @_ZN2at6native12_GLOBAL__N_112gatherMedianIdmLi2EEEvNS_4cuda6detail10TensorInfoIT_T0_EENS5_IlS7_EENS5_IKS6_S7_EES7_S7_S7_b
; %bb.0:
	s_load_dwordx2 s[8:9], s[0:1], 0x500
	s_load_dwordx4 s[52:55], s[0:1], 0x4e0
	s_add_u32 s10, s0, 0x500
	s_addc_u32 s11, s1, 0
	s_mov_b32 s19, 0
	s_waitcnt lgkmcnt(0)
	s_mul_i32 s4, s9, s4
	s_add_i32 s3, s4, s3
	s_mul_i32 s3, s3, s8
	s_add_i32 s18, s3, s2
	v_mov_b64_e32 v[2:3], s[18:19]
	v_cmp_le_u64_e32 vcc, s[54:55], v[2:3]
	s_cbranch_vccnz .LBB117_294
; %bb.1:
	s_load_dwordx2 s[20:21], s[0:1], 0x10
	s_load_dwordx2 s[68:69], s[0:1], 0x4f0
	;; [unrolled: 1-line block ×4, first 2 shown]
                                        ; implicit-def: $vgpr58 : SGPR spill to VGPR lane
	s_waitcnt lgkmcnt(0)
	v_mov_b64_e32 v[2:3], s[20:21]
	v_cmp_lt_u64_e32 vcc, s[18:19], v[2:3]
	s_and_b64 vcc, exec, vcc
	v_writelane_b32 v58, s4, 0
	s_nop 1
	v_writelane_b32 v58, s5, 1
	s_mov_b64 s[4:5], 0
	v_writelane_b32 v58, s4, 2
	s_nop 1
	v_writelane_b32 v58, s5, 3
	s_mov_b64 s[4:5], 0
	s_cbranch_vccnz .LBB117_3
; %bb.2:
	v_cvt_f32_u32_e32 v1, s20
	s_sub_i32 s3, 0, s20
	v_rcp_iflag_f32_e32 v1, v1
	s_nop 0
	v_mul_f32_e32 v1, 0x4f7ffffe, v1
	v_cvt_u32_f32_e32 v1, v1
	s_nop 0
	v_readfirstlane_b32 s4, v1
	s_mul_i32 s3, s3, s4
	s_mul_hi_u32 s3, s4, s3
	s_add_i32 s4, s4, s3
	s_mul_hi_u32 s3, s18, s4
	s_mul_i32 s5, s3, s20
	s_sub_i32 s5, s18, s5
	s_add_i32 s4, s3, 1
	s_sub_i32 s6, s5, s20
	s_cmp_ge_u32 s5, s20
	s_cselect_b32 s3, s4, s3
	s_cselect_b32 s5, s6, s5
	s_add_i32 s4, s3, 1
	s_cmp_ge_u32 s5, s20
	s_cselect_b32 s4, s4, s3
.LBB117_3:
	v_writelane_b32 v58, s4, 4
	s_nop 1
	v_writelane_b32 v58, s5, 5
	s_load_dwordx2 s[14:15], s[0:1], 0x340
	s_load_dwordx2 s[4:5], s[0:1], 0x1b0
	s_waitcnt lgkmcnt(0)
	v_mov_b64_e32 v[2:3], s[4:5]
	v_cmp_lt_u64_e32 vcc, s[18:19], v[2:3]
	s_cbranch_vccnz .LBB117_5
; %bb.4:
	s_load_dwordx2 s[16:17], s[0:1], 0x1b0
	s_waitcnt lgkmcnt(0)
	v_cvt_f32_u32_e32 v1, s16
	s_sub_i32 s3, 0, s16
	v_rcp_iflag_f32_e32 v1, v1
	s_nop 0
	v_mul_f32_e32 v1, 0x4f7ffffe, v1
	v_cvt_u32_f32_e32 v1, v1
	s_nop 0
	v_readfirstlane_b32 s4, v1
	s_mul_i32 s3, s3, s4
	s_mul_hi_u32 s3, s4, s3
	s_add_i32 s4, s4, s3
	s_mul_hi_u32 s3, s18, s4
	s_mul_i32 s5, s3, s16
	s_sub_i32 s5, s18, s5
	s_add_i32 s4, s3, 1
	s_sub_i32 s6, s5, s16
	s_cmp_ge_u32 s5, s16
	s_cselect_b32 s3, s4, s3
	s_cselect_b32 s5, s6, s5
	s_add_i32 s4, s3, 1
	s_cmp_ge_u32 s5, s16
	s_cselect_b32 s4, s4, s3
	v_writelane_b32 v58, s4, 2
	s_nop 1
	v_writelane_b32 v58, s5, 3
.LBB117_5:
	s_load_dwordx4 s[4:7], s[0:1], 0x410
	v_mov_b64_e32 v[2:3], s[12:13]
	v_cmp_lt_u64_e32 vcc, s[18:19], v[2:3]
	v_writelane_b32 v58, s20, 6
	s_mov_b64 s[16:17], 0
	s_nop 0
	v_writelane_b32 v58, s21, 7
	s_cbranch_vccnz .LBB117_7
; %bb.6:
	v_cvt_f32_u32_e32 v1, s12
	s_sub_i32 s3, 0, s12
	v_rcp_iflag_f32_e32 v1, v1
	s_nop 0
	v_mul_f32_e32 v1, 0x4f7ffffe, v1
	v_cvt_u32_f32_e32 v1, v1
	s_nop 0
	v_readfirstlane_b32 s9, v1
	s_mul_i32 s3, s3, s9
	s_mul_hi_u32 s3, s9, s3
	s_add_i32 s9, s9, s3
	s_mul_hi_u32 s3, s18, s9
	s_mul_i32 s16, s3, s12
	s_sub_i32 s16, s18, s16
	s_add_i32 s9, s3, 1
	s_sub_i32 s17, s16, s12
	s_cmp_ge_u32 s16, s12
	s_cselect_b32 s3, s9, s3
	s_cselect_b32 s16, s17, s16
	s_add_i32 s9, s3, 1
	s_cmp_ge_u32 s16, s12
	s_cselect_b32 s16, s9, s3
.LBB117_7:
	s_load_dwordx2 s[20:21], s[0:1], 0x1a0
	s_mul_i32 s3, s16, s13
	s_mul_hi_u32 s9, s16, s12
	s_add_i32 s9, s9, s3
	s_mul_i32 s3, s16, s12
	s_waitcnt lgkmcnt(0)
	v_writelane_b32 v58, s20, 8
	s_mov_b32 s12, s18
	s_sub_u32 s3, s18, s3
	v_writelane_b32 v58, s21, 9
	s_load_dwordx2 s[20:21], s[0:1], 0x0
	s_subb_u32 s9, 0, s9
	s_mul_i32 s7, s3, s7
	s_mul_i32 s9, s9, s6
	v_mov_b32_e32 v1, 0
	s_waitcnt lgkmcnt(0)
	v_writelane_b32 v58, s20, 10
	v_mov_b64_e32 v[2:3], 0
	s_nop 0
	v_writelane_b32 v58, s21, 11
	v_writelane_b32 v58, s12, 12
	s_nop 1
	v_writelane_b32 v58, s13, 13
	s_mul_hi_u32 s12, s3, s6
	s_mul_i32 s6, s3, s6
	s_mul_i32 s3, s16, s5
	s_mul_hi_u32 s5, s16, s4
	s_add_i32 s7, s12, s7
	s_add_i32 s5, s5, s3
	s_mul_i32 s4, s16, s4
	s_add_i32 s7, s7, s9
	s_lshl_b64 s[4:5], s[4:5], 3
	s_add_u32 s3, s14, s4
	s_addc_u32 s9, s15, s5
	s_lshl_b64 s[4:5], s[6:7], 3
	s_add_u32 s76, s3, s4
	s_addc_u32 s77, s9, s5
	v_cmp_gt_u64_e64 s[6:7], s[52:53], v[0:1]
	s_mov_b64 s[4:5], exec
	s_nop 0
	v_writelane_b32 v58, s6, 14
	s_nop 1
	v_writelane_b32 v58, s7, 15
	s_and_b64 s[6:7], s[4:5], s[6:7]
	s_mov_b64 exec, s[6:7]
	s_cbranch_execz .LBB117_11
; %bb.8:
	s_load_dword s3, s[10:11], 0xc
	s_mov_b32 s7, 0
	s_mov_b64 s[12:13], 0
	v_mov_b64_e32 v[2:3], 0
	v_mov_b64_e32 v[4:5], v[0:1]
	s_waitcnt lgkmcnt(0)
	s_and_b32 s6, s3, 0xffff
.LBB117_9:                              ; =>This Inner Loop Header: Depth=1
	v_mul_lo_u32 v8, v5, s68
	v_mul_lo_u32 v9, v4, s69
	v_mad_u64_u32 v[6:7], s[14:15], v4, s68, 0
	v_add3_u32 v7, v7, v9, v8
	v_lshl_add_u64 v[6:7], v[6:7], 3, s[76:77]
	global_load_dwordx2 v[6:7], v[6:7], off
	v_lshl_add_u64 v[4:5], v[4:5], 0, s[6:7]
	v_cmp_le_u64_e32 vcc, s[52:53], v[4:5]
	s_or_b64 s[12:13], vcc, s[12:13]
	v_mov_b32_e32 v9, s7
	s_waitcnt vmcnt(0)
	v_cmp_u_f64_e32 vcc, v[6:7], v[6:7]
	s_nop 1
	v_cndmask_b32_e64 v8, 0, 1, vcc
	v_lshl_add_u64 v[2:3], v[2:3], 0, v[8:9]
	s_andn2_b64 exec, exec, s[12:13]
	s_cbranch_execnz .LBB117_9
; %bb.10:
	s_or_b64 exec, exec, s[12:13]
.LBB117_11:
	s_or_b64 exec, exec, s[4:5]
	s_load_dwordx4 s[4:7], s[0:1], 0x270
	s_waitcnt lgkmcnt(0)
	v_writelane_b32 v58, s4, 18
	s_nop 1
	v_writelane_b32 v58, s5, 19
	v_writelane_b32 v58, s6, 20
	;; [unrolled: 1-line block ×3, first 2 shown]
	s_load_dwordx4 s[4:7], s[0:1], 0xd0
	s_waitcnt lgkmcnt(0)
	v_writelane_b32 v58, s4, 22
	s_nop 1
	v_writelane_b32 v58, s5, 23
	v_writelane_b32 v58, s6, 24
	;; [unrolled: 1-line block ×3, first 2 shown]
	v_cmp_eq_u32_e64 s[6:7], 0, v0
	s_mov_b64 s[4:5], exec
	s_nop 0
	v_writelane_b32 v58, s6, 16
	s_nop 1
	v_writelane_b32 v58, s7, 17
	s_and_b64 s[6:7], s[4:5], s[6:7]
	s_mov_b64 exec, s[6:7]
; %bb.12:
	v_mov_b32_e32 v4, 0
	v_mov_b32_e32 v5, v4
	ds_write_b64 v4, v[4:5] offset:5136
; %bb.13:
	s_or_b64 exec, exec, s[4:5]
	s_mov_b64 s[6:7], 0
	v_cmp_ne_u64_e32 vcc, 0, v[2:3]
	s_waitcnt lgkmcnt(0)
	s_barrier
	s_and_saveexec_b64 s[4:5], vcc
	s_cbranch_execz .LBB117_18
; %bb.14:
	s_mov_b64 s[12:13], exec
.LBB117_15:                             ; =>This Inner Loop Header: Depth=1
	s_ff1_i32_b64 s3, s[12:13]
	v_readlane_b32 s14, v2, s3
	v_readlane_b32 s9, v3, s3
	s_add_u32 s6, s6, s14
	s_addc_u32 s7, s7, s9
	s_lshl_b64 s[14:15], 1, s3
	s_andn2_b64 s[12:13], s[12:13], s[14:15]
	s_cmp_lg_u64 s[12:13], 0
	s_cbranch_scc1 .LBB117_15
; %bb.16:
	v_mbcnt_lo_u32_b32 v2, exec_lo, 0
	v_mbcnt_hi_u32_b32 v2, exec_hi, v2
	v_cmp_eq_u32_e32 vcc, 0, v2
	s_and_saveexec_b64 s[12:13], vcc
	s_xor_b64 s[12:13], exec, s[12:13]
; %bb.17:
	v_mov_b32_e32 v2, 0
	v_mov_b64_e32 v[4:5], s[6:7]
	ds_add_u64 v2, v[4:5] offset:5136
.LBB117_18:
	s_or_b64 exec, exec, s[4:5]
	v_mov_b32_e32 v3, 0
	s_waitcnt lgkmcnt(0)
	s_barrier
	ds_read_b64 v[4:5], v3 offset:5136
	s_waitcnt lgkmcnt(0)
	v_readfirstlane_b32 s4, v4
	v_readfirstlane_b32 s5, v5
	s_mov_b64 s[6:7], exec
	v_readlane_b32 s12, v58, 16
	v_readlane_b32 s13, v58, 17
	s_and_b64 s[12:13], s[6:7], s[12:13]
	s_mov_b64 exec, s[12:13]
	s_cbranch_execz .LBB117_20
; %bb.19:
	v_mov_b32_e32 v4, s52
	v_mov_b32_e32 v5, s53
	v_mov_b32_e32 v2, v3
	ds_write_b32 v3, v3 offset:5144
	ds_write_b128 v3, v[2:5] offset:5120
.LBB117_20:
	s_or_b64 exec, exec, s[6:7]
	s_load_dword s3, s[0:1], 0x4f8
	v_cmp_lt_i64_e64 s[0:1], s[4:5], 1
	v_mbcnt_lo_u32_b32 v2, -1, 0
	v_mbcnt_hi_u32_b32 v36, -1, v2
	v_cmp_gt_u32_e32 vcc, 64, v0
	s_waitcnt lgkmcnt(0)
	s_bitcmp1_b32 s3, 0
	s_cselect_b64 s[6:7], -1, 0
	s_not_b64 s[4:5], s[4:5]
	s_or_b64 s[0:1], s[6:7], s[0:1]
	s_add_u32 s4, s52, s4
	s_addc_u32 s5, s53, s5
	s_lshr_b64 s[4:5], s[4:5], 1
	s_add_u32 s3, s4, 1
	s_addc_u32 s4, s5, 0
	s_and_b64 s[0:1], s[0:1], exec
	v_cmp_gt_i32_e64 s[0:1], 4, v36
	v_mov_b64_e32 v[4:5], 0x180
	s_cselect_b32 s13, s4, s53
	s_cselect_b32 s12, s3, s52
	s_and_b64 s[84:85], vcc, s[0:1]
	v_cmp_gt_u64_e64 s[0:1], s[52:53], v[4:5]
	s_barrier
	s_nop 0
	v_writelane_b32 v58, s0, 26
	s_mov_b32 s83, 0
	s_nop 0
	v_writelane_b32 v58, s1, 27
	v_mad_u64_u32 v[4:5], s[0:1], s68, v0, 0
	v_mov_b32_e32 v2, v5
	v_mad_u64_u32 v[6:7], s[0:1], s69, v0, v[2:3]
	s_load_dword s0, s[10:11], 0xc
	v_lshlrev_b32_e32 v2, 2, v36
	v_and_b32_e32 v39, 0x100, v2
	v_lshrrev_b32_e32 v2, 1, v0
	v_mov_b32_e32 v5, v6
	s_waitcnt lgkmcnt(0)
	s_and_b32 s80, s0, 0xffff
	s_bfe_u32 s0, s0, 0xa0006
	s_cmp_gt_u32 s80, 63
	s_cselect_b64 s[86:87], -1, 0
	s_add_u32 s1, s80, -1
	s_addc_u32 s3, 0, -1
	s_add_u32 s26, s1, s52
	s_addc_u32 s89, s3, s53
	s_cmp_lt_u32 s2, s8
	v_writelane_b32 v58, s1, 28
	s_cselect_b32 s1, 12, 18
	s_add_u32 s90, s10, s1
	s_addc_u32 s91, s11, 0
	s_add_i32 s1, s0, -1
	s_bfe_u32 s2, s80, 0x30006
	s_and_b32 s1, s1, 0xffff
	s_cmp_gt_u32 s1, 6
	v_writelane_b32 v58, s3, 29
	s_cselect_b64 s[8:9], -1, 0
	v_writelane_b32 v58, s8, 30
	s_and_b32 s27, s0, 0x3f8
	v_and_b32_e32 v2, 0x1e0, v2
	v_writelane_b32 v58, s9, 31
	s_cmp_lg_u32 s2, 0
	v_lshlrev_b32_e32 v37, 3, v0
	v_lshl_add_u64 v[18:19], v[4:5], 3, s[76:77]
	v_lshlrev_b64 v[4:5], v36, -1
	v_or_b32_e32 v40, 0xc00, v2
	v_writelane_b32 v58, s2, 32
	s_cselect_b64 s[0:1], -1, 0
	v_mov_b32_e32 v2, 0xc00
	v_cmp_eq_u32_e64 s[4:5], 0, v36
	v_cmp_gt_u32_e64 s[6:7], 2, v0
	v_add_u32_e32 v38, 0xc00, v37
	v_lshlrev_b32_e32 v20, 2, v0
	v_mov_b32_e32 v21, v3
	v_not_b32_e32 v23, v5
	v_not_b32_e32 v22, v4
	s_mov_b32 s81, s83
	v_writelane_b32 v58, s0, 33
	v_lshlrev_b32_e32 v41, 5, v0
	v_lshl_or_b32 v42, v36, 3, v2
	s_lshl_b32 s64, s80, 3
	s_mov_b32 s33, 62
	v_mov_b64_e32 v[8:9], 0
	s_mov_b64 s[96:97], 0
	v_mov_b64_e32 v[28:29], s[12:13]
	v_mov_b64_e32 v[24:25], 0
	;; [unrolled: 1-line block ×4, first 2 shown]
	v_mov_b32_e32 v5, 0x3ff00000
	v_mov_b32_e32 v43, 0x4f800000
	;; [unrolled: 1-line block ×4, first 2 shown]
	s_mov_b32 s65, 0
	v_writelane_b32 v58, s1, 34
                                        ; implicit-def: $sgpr98_sgpr99
                                        ; implicit-def: $sgpr56_sgpr57
                                        ; implicit-def: $sgpr70_sgpr71
                                        ; implicit-def: $sgpr78_sgpr79
                                        ; implicit-def: $sgpr66_sgpr67
                                        ; implicit-def: $sgpr58_sgpr59
	s_branch .LBB117_24
.LBB117_21:                             ;   in Loop: Header=BB117_24 Depth=1
	s_or_b64 exec, exec, s[12:13]
	s_and_b64 s[10:11], s[10:11], exec
	s_andn2_b64 s[24:25], s[24:25], exec
	s_andn2_b64 s[0:1], s[0:1], exec
	s_orn2_b64 s[16:17], s[8:9], exec
.LBB117_22:                             ;   in Loop: Header=BB117_24 Depth=1
	s_or_b64 exec, exec, s[2:3]
	s_andn2_b64 s[2:3], s[58:59], exec
	s_and_b64 s[8:9], s[10:11], exec
	s_or_b64 s[58:59], s[2:3], s[8:9]
	s_andn2_b64 s[2:3], s[66:67], exec
	s_and_b64 s[8:9], s[24:25], exec
	s_or_b64 s[66:67], s[2:3], s[8:9]
	;; [unrolled: 3-line block ×3, first 2 shown]
	s_orn2_b64 s[0:1], s[16:17], exec
.LBB117_23:                             ;   in Loop: Header=BB117_24 Depth=1
	s_or_b64 exec, exec, s[14:15]
	s_and_b64 s[0:1], exec, s[0:1]
	s_or_b64 s[96:97], s[0:1], s[96:97]
	s_andn2_b64 s[0:1], s[70:71], exec
	s_and_b64 s[2:3], s[58:59], exec
	s_or_b64 s[70:71], s[0:1], s[2:3]
	s_andn2_b64 s[0:1], s[56:57], exec
	s_and_b64 s[2:3], s[66:67], exec
	;; [unrolled: 3-line block ×3, first 2 shown]
	s_or_b64 s[98:99], s[0:1], s[2:3]
	v_mov_b64_e32 v[28:29], v[14:15]
	s_andn2_b64 exec, exec, s[96:97]
	s_cbranch_execz .LBB117_290
.LBB117_24:                             ; =>This Loop Header: Depth=1
                                        ;     Child Loop BB117_30 Depth 2
                                        ;     Child Loop BB117_43 Depth 2
	;; [unrolled: 1-line block ×16, first 2 shown]
	ds_read_b128 v[10:13], v3 offset:5120
	s_waitcnt lgkmcnt(0)
	v_readfirstlane_b32 s61, v11
	v_readfirstlane_b32 s60, v10
	s_cmp_lg_u64 s[60:61], 0
	s_cbranch_scc1 .LBB117_51
; %bb.25:                               ;   in Loop: Header=BB117_24 Depth=1
	v_readlane_b32 s0, v58, 26
	v_readlane_b32 s1, v58, 27
	s_and_b64 vcc, exec, s[0:1]
	s_cbranch_vccz .LBB117_38
; %bb.26:                               ;   in Loop: Header=BB117_24 Depth=1
	s_mov_b64 s[0:1], 0x181
	v_cmp_gt_u64_e32 vcc, s[0:1], v[12:13]
	s_mov_b64 s[8:9], 0
	s_mov_b64 s[0:1], 0
	s_cbranch_vccz .LBB117_39
; %bb.27:                               ;   in Loop: Header=BB117_24 Depth=1
	s_mov_b64 s[10:11], exec
	v_readlane_b32 s0, v58, 14
	v_readlane_b32 s1, v58, 15
	s_and_b64 s[0:1], s[10:11], s[0:1]
	s_mov_b64 exec, s[0:1]
	s_cbranch_execz .LBB117_152
; %bb.28:                               ;   in Loop: Header=BB117_24 Depth=1
	global_load_ushort v2, v3, s[90:91]
	global_load_dwordx2 v[6:7], v[18:19], off
	s_mov_b64 s[12:13], 0
	v_mov_b64_e32 v[10:11], v[0:1]
	s_waitcnt vmcnt(1)
	v_and_b32_e32 v2, 0xffff, v2
	s_branch .LBB117_30
.LBB117_29:                             ;   in Loop: Header=BB117_30 Depth=2
	s_or_b64 exec, exec, s[2:3]
	v_mov_b64_e32 v[6:7], v[12:13]
	s_andn2_b64 exec, exec, s[12:13]
	s_cbranch_execz .LBB117_152
.LBB117_30:                             ;   Parent Loop BB117_24 Depth=1
                                        ; =>  This Inner Loop Header: Depth=2
	v_lshl_add_u64 v[10:11], v[10:11], 0, v[2:3]
	v_cmp_gt_u64_e64 s[0:1], s[52:53], v[10:11]
	v_cmp_le_u64_e32 vcc, s[52:53], v[10:11]
	v_mov_b64_e32 v[12:13], 0
	s_and_saveexec_b64 s[2:3], s[0:1]
	s_cbranch_execz .LBB117_32
; %bb.31:                               ;   in Loop: Header=BB117_30 Depth=2
	s_waitcnt lgkmcnt(0)
	v_mul_lo_u32 v4, v11, s68
	v_mul_lo_u32 v14, v10, s69
	v_mad_u64_u32 v[12:13], s[0:1], v10, s68, 0
	v_add3_u32 v13, v13, v14, v4
	v_lshl_add_u64 v[12:13], v[12:13], 3, s[76:77]
	global_load_dwordx2 v[12:13], v[12:13], off
.LBB117_32:                             ;   in Loop: Header=BB117_30 Depth=2
	s_or_b64 exec, exec, s[2:3]
	s_waitcnt vmcnt(0) lgkmcnt(0)
	v_ashrrev_i32_e32 v4, 31, v7
	v_or_b32_e32 v14, 0x80000000, v4
	v_xor_b32_e32 v14, v14, v7
	v_xor_b32_e32 v4, v4, v6
	v_cmp_o_f64_e64 s[0:1], v[6:7], v[6:7]
	s_nop 1
	v_cndmask_b32_e64 v14, -1, v14, s[0:1]
	v_cndmask_b32_e64 v4, -1, v4, s[0:1]
	v_and_b32_e32 v15, v14, v27
	v_and_b32_e32 v14, v4, v26
	v_cmp_eq_u64_e64 s[0:1], v[14:15], v[24:25]
	s_cmp_lg_u64 s[0:1], 0
	s_cselect_b64 s[2:3], -1, 0
	s_and_b64 s[2:3], s[4:5], s[2:3]
	v_mov_b32_e32 v4, 0
	s_and_saveexec_b64 s[14:15], s[2:3]
	s_cbranch_execz .LBB117_36
; %bb.33:                               ;   in Loop: Header=BB117_30 Depth=2
	s_mov_b64 s[18:19], exec
	v_mbcnt_lo_u32_b32 v4, s18, 0
	v_mbcnt_hi_u32_b32 v4, s19, v4
	s_bcnt1_i32_b64 s20, s[0:1]
	v_cmp_eq_u32_e64 s[2:3], 0, v4
                                        ; implicit-def: $vgpr14
	s_and_saveexec_b64 s[16:17], s[2:3]
; %bb.34:                               ;   in Loop: Header=BB117_30 Depth=2
	s_bcnt1_i32_b64 s2, s[18:19]
	s_mul_i32 s2, s20, s2
	v_mov_b32_e32 v14, s2
	ds_add_rtn_u32 v14, v3, v14 offset:5144
; %bb.35:                               ;   in Loop: Header=BB117_30 Depth=2
	s_or_b64 exec, exec, s[16:17]
	s_waitcnt lgkmcnt(0)
	v_readfirstlane_b32 s2, v14
	s_nop 1
	v_mov_b32_e32 v14, s2
	v_mad_u32_u24 v4, s20, v4, v14
.LBB117_36:                             ;   in Loop: Header=BB117_30 Depth=2
	s_or_b64 exec, exec, s[14:15]
	ds_bpermute_b32 v4, v39, v4
	s_and_b64 s[2:3], exec, vcc
	s_or_b64 s[12:13], s[2:3], s[12:13]
	s_and_saveexec_b64 s[2:3], s[0:1]
	s_cbranch_execz .LBB117_29
; %bb.37:                               ;   in Loop: Header=BB117_30 Depth=2
	v_and_b32_e32 v15, s0, v22
	v_and_b32_e32 v14, s1, v23
	v_bcnt_u32_b32 v15, v15, 0
	v_bcnt_u32_b32 v14, v14, v15
	v_lshlrev_b32_e32 v14, 3, v14
	s_waitcnt lgkmcnt(0)
	v_lshl_add_u32 v4, v4, 3, v14
	ds_write_b64 v4, v[6:7]
	s_branch .LBB117_29
.LBB117_38:                             ;   in Loop: Header=BB117_24 Depth=1
	s_mov_b64 s[8:9], -1
	s_mov_b64 s[0:1], 0
.LBB117_39:                             ;   in Loop: Header=BB117_24 Depth=1
	s_and_b64 vcc, exec, s[8:9]
	s_cbranch_vccz .LBB117_49
.LBB117_40:                             ;   in Loop: Header=BB117_24 Depth=1
	s_mov_b64 s[0:1], exec
	v_readlane_b32 s2, v58, 14
	v_readlane_b32 s3, v58, 15
	s_and_b64 s[2:3], s[0:1], s[2:3]
	s_mov_b64 exec, s[2:3]
	s_cbranch_execz .LBB117_46
; %bb.41:                               ;   in Loop: Header=BB117_24 Depth=1
	global_load_ushort v2, v3, s[90:91]
	global_load_dwordx2 v[10:11], v[18:19], off
	v_mov_b32_e32 v4, v0
	s_waitcnt vmcnt(1)
	v_and_b32_e32 v6, 0xffff, v2
	v_add_u32_e32 v2, v6, v0
	v_cmp_gt_u64_e32 vcc, s[52:53], v[2:3]
	s_and_saveexec_b64 s[2:3], vcc
	s_cbranch_execz .LBB117_45
; %bb.42:                               ;   in Loop: Header=BB117_24 Depth=1
	v_mov_b32_e32 v7, v3
	s_mov_b64 s[8:9], 0
	v_mov_b64_e32 v[16:17], v[2:3]
	v_mov_b64_e32 v[12:13], v[0:1]
.LBB117_43:                             ;   Parent Loop BB117_24 Depth=1
                                        ; =>  This Inner Loop Header: Depth=2
	v_mov_b64_e32 v[30:31], v[16:17]
	v_mul_lo_u32 v2, v31, s68
	v_mul_lo_u32 v4, v30, s69
	v_mad_u64_u32 v[14:15], s[10:11], v30, s68, 0
	v_add3_u32 v15, v15, v4, v2
	v_lshl_add_u64 v[14:15], v[14:15], 3, s[76:77]
	global_load_dwordx2 v[14:15], v[14:15], off
	v_lshl_add_u64 v[16:17], v[30:31], 0, v[6:7]
	v_lshlrev_b32_e32 v2, 3, v12
	v_cmp_le_u64_e32 vcc, s[52:53], v[16:17]
	s_waitcnt vmcnt(1)
	ds_write_b64 v2, v[10:11]
	v_mov_b64_e32 v[12:13], v[30:31]
	s_or_b64 s[8:9], vcc, s[8:9]
	s_waitcnt vmcnt(0)
	v_mov_b64_e32 v[10:11], v[14:15]
	s_andn2_b64 exec, exec, s[8:9]
	s_cbranch_execnz .LBB117_43
; %bb.44:                               ;   in Loop: Header=BB117_24 Depth=1
	s_or_b64 exec, exec, s[8:9]
	v_sub_u32_e32 v4, v16, v6
	v_mov_b64_e32 v[10:11], v[14:15]
.LBB117_45:                             ;   in Loop: Header=BB117_24 Depth=1
	s_or_b64 exec, exec, s[2:3]
	v_lshlrev_b32_e32 v2, 3, v4
	s_waitcnt vmcnt(0)
	ds_write_b64 v2, v[10:11]
.LBB117_46:                             ;   in Loop: Header=BB117_24 Depth=1
	s_or_b64 exec, exec, s[0:1]
	s_waitcnt lgkmcnt(0)
	s_barrier
	s_mov_b64 s[0:1], exec
	v_readlane_b32 s2, v58, 16
	v_readlane_b32 s3, v58, 17
	s_and_b64 s[2:3], s[0:1], s[2:3]
	s_mov_b64 exec, s[2:3]
; %bb.47:                               ;   in Loop: Header=BB117_24 Depth=1
	ds_write_b64 v3, v[46:47] offset:5120
; %bb.48:                               ;   in Loop: Header=BB117_24 Depth=1
	s_or_b64 exec, exec, s[0:1]
	s_mov_b64 s[0:1], -1
	s_waitcnt lgkmcnt(0)
	s_barrier
.LBB117_49:                             ;   in Loop: Header=BB117_24 Depth=1
	s_mov_b64 s[60:61], 0
	s_and_b64 vcc, exec, s[0:1]
	s_cbranch_vccz .LBB117_51
; %bb.50:                               ;   in Loop: Header=BB117_24 Depth=1
	ds_read_b64 v[6:7], v3 offset:5120
	s_waitcnt lgkmcnt(0)
	v_readfirstlane_b32 s60, v6
.LBB117_51:                             ;   in Loop: Header=BB117_24 Depth=1
	s_cmp_lt_i32 s60, 1
	s_mov_b64 s[0:1], -1
                                        ; implicit-def: $vgpr10_vgpr11
                                        ; implicit-def: $vgpr14_vgpr15
	s_cbranch_scc1 .LBB117_61
; %bb.52:                               ;   in Loop: Header=BB117_24 Depth=1
	s_and_b64 vcc, exec, s[0:1]
	s_cbranch_vccnz .LBB117_75
.LBB117_53:                             ;   in Loop: Header=BB117_24 Depth=1
	s_lshl_b32 s2, s65, 6
	s_and_saveexec_b64 s[0:1], s[4:5]
	s_cbranch_execz .LBB117_55
.LBB117_54:                             ;   in Loop: Header=BB117_24 Depth=1
	v_lshl_add_u32 v2, s2, 3, v40
	ds_write_b128 v2, v[10:13]
	ds_write_b128 v2, v[14:17] offset:16
.LBB117_55:                             ;   in Loop: Header=BB117_24 Depth=1
	s_or_b64 exec, exec, s[0:1]
	s_waitcnt lgkmcnt(0)
	s_barrier
	s_and_saveexec_b64 s[0:1], s[84:85]
	s_cbranch_execz .LBB117_90
; %bb.56:                               ;   in Loop: Header=BB117_24 Depth=1
	s_andn2_b64 vcc, exec, s[86:87]
	v_mov_b64_e32 v[6:7], 0
	s_cbranch_vccnz .LBB117_89
; %bb.57:                               ;   in Loop: Header=BB117_24 Depth=1
	v_readlane_b32 s8, v58, 30
	v_readlane_b32 s9, v58, 31
	s_andn2_b64 vcc, exec, s[8:9]
	s_cbranch_vccnz .LBB117_85
; %bb.58:                               ;   in Loop: Header=BB117_24 Depth=1
	v_lshl_add_u32 v2, s65, 9, v42
	v_mov_b64_e32 v[6:7], 0
	s_mov_b32 s3, 0
.LBB117_59:                             ;   Parent Loop BB117_24 Depth=1
                                        ; =>  This Inner Loop Header: Depth=2
	ds_read2_b64 v[10:13], v2 offset1:4
	ds_read2_b64 v[14:17], v2 offset0:8 offset1:12
	ds_read2_b64 v[30:33], v2 offset0:16 offset1:20
	;; [unrolled: 1-line block ×3, first 2 shown]
	s_add_i32 s3, s3, 8
	s_waitcnt lgkmcnt(3)
	v_lshl_add_u64 v[6:7], v[10:11], 0, v[6:7]
	v_lshl_add_u64 v[6:7], v[12:13], 0, v[6:7]
	s_waitcnt lgkmcnt(2)
	v_lshl_add_u64 v[6:7], v[14:15], 0, v[6:7]
	v_lshl_add_u64 v[6:7], v[16:17], 0, v[6:7]
	;; [unrolled: 3-line block ×3, first 2 shown]
	s_waitcnt lgkmcnt(0)
	v_lshl_add_u64 v[6:7], v[50:51], 0, v[6:7]
	v_add_u32_e32 v2, 0x100, v2
	s_cmp_eq_u32 s27, s3
	v_lshl_add_u64 v[6:7], v[52:53], 0, v[6:7]
	s_cbranch_scc0 .LBB117_59
; %bb.60:                               ;   in Loop: Header=BB117_24 Depth=1
	s_mov_b32 s3, s27
	s_branch .LBB117_86
.LBB117_61:                             ;   in Loop: Header=BB117_24 Depth=1
	global_load_ushort v4, v3, s[90:91]
	s_mov_b32 s0, s83
	s_waitcnt vmcnt(0)
	v_readfirstlane_b32 s1, v4
	s_and_b32 s1, 0xffff, s1
	s_lshl_b32 s82, s1, 2
	s_mov_b32 s1, s53
	s_cmp_lg_u64 s[0:1], 0
	s_cbranch_scc0 .LBB117_84
; %bb.62:                               ;   in Loop: Header=BB117_24 Depth=1
	v_cvt_f32_u32_e32 v2, s82
	s_sub_u32 s2, 0, s82
	s_subb_u32 s3, 0, 0
	v_fmac_f32_e32 v2, 0, v43
	v_rcp_f32_e32 v2, v2
	s_nop 0
	v_mul_f32_e32 v2, 0x5f7ffffc, v2
	v_mul_f32_e32 v6, 0x2f800000, v2
	v_trunc_f32_e32 v6, v6
	v_fmac_f32_e32 v2, 0xcf800000, v6
	v_cvt_u32_f32_e32 v6, v6
	v_cvt_u32_f32_e32 v2, v2
	v_readfirstlane_b32 s8, v6
	v_readfirstlane_b32 s0, v2
	s_mul_i32 s1, s2, s8
	s_mul_hi_u32 s10, s2, s0
	s_mul_i32 s9, s3, s0
	s_add_i32 s1, s10, s1
	s_mul_i32 s11, s2, s0
	s_add_i32 s1, s1, s9
	s_mul_hi_u32 s10, s0, s11
	s_mul_i32 s12, s0, s1
	s_mul_hi_u32 s9, s0, s1
	s_add_u32 s10, s10, s12
	s_addc_u32 s9, 0, s9
	s_mul_hi_u32 s13, s8, s11
	s_mul_i32 s11, s8, s11
	s_add_u32 s10, s10, s11
	s_mul_hi_u32 s12, s8, s1
	s_addc_u32 s9, s9, s13
	s_addc_u32 s10, s12, 0
	s_mul_i32 s1, s8, s1
	s_add_u32 s1, s9, s1
	s_addc_u32 s9, 0, s10
	s_add_u32 s10, s0, s1
	s_cselect_b64 s[0:1], -1, 0
	s_cmp_lg_u64 s[0:1], 0
	s_addc_u32 s8, s8, s9
	s_mul_i32 s0, s2, s8
	s_mul_hi_u32 s1, s2, s10
	s_add_i32 s0, s1, s0
	s_mul_i32 s3, s3, s10
	s_add_i32 s0, s0, s3
	s_mul_i32 s2, s2, s10
	s_mul_hi_u32 s3, s8, s2
	s_mul_i32 s9, s8, s2
	s_mul_i32 s12, s10, s0
	s_mul_hi_u32 s2, s10, s2
	s_mul_hi_u32 s11, s10, s0
	s_add_u32 s2, s2, s12
	s_addc_u32 s11, 0, s11
	s_add_u32 s2, s2, s9
	s_mul_hi_u32 s1, s8, s0
	s_addc_u32 s2, s11, s3
	s_addc_u32 s1, s1, 0
	s_mul_i32 s0, s8, s0
	s_add_u32 s0, s2, s0
	s_addc_u32 s2, 0, s1
	s_add_u32 s3, s10, s0
	s_cselect_b64 s[0:1], -1, 0
	s_cmp_lg_u64 s[0:1], 0
	s_addc_u32 s0, s8, s2
	s_mul_i32 s2, s52, s0
	s_mul_hi_u32 s8, s52, s3
	s_mul_hi_u32 s1, s52, s0
	s_add_u32 s2, s8, s2
	s_addc_u32 s1, 0, s1
	s_mul_hi_u32 s9, s53, s3
	s_mul_i32 s3, s53, s3
	s_add_u32 s2, s2, s3
	s_mul_hi_u32 s8, s53, s0
	s_addc_u32 s1, s1, s9
	s_addc_u32 s2, s8, 0
	s_mul_i32 s0, s53, s0
	s_add_u32 s0, s1, s0
	s_addc_u32 s1, 0, s2
	s_mul_i32 s1, s82, s1
	s_mul_hi_u32 s2, s82, s0
	s_add_i32 s2, s2, s1
	s_mul_i32 s0, s82, s0
	s_sub_u32 s3, s52, s0
	s_cselect_b64 s[0:1], -1, 0
	s_cmp_lg_u64 s[0:1], 0
	s_subb_u32 s2, s53, s2
	s_sub_u32 s8, s3, s82
	s_cselect_b64 s[0:1], -1, 0
	s_cmp_lg_u64 s[0:1], 0
	s_subb_u32 s9, s2, 0
	;; [unrolled: 4-line block ×3, first 2 shown]
	s_cmp_ge_u32 s8, s82
	s_cselect_b32 s1, -1, 0
	s_cmp_eq_u32 s9, 0
	s_cselect_b32 s1, s1, -1
	s_cmp_lg_u32 s1, 0
	s_cselect_b32 s0, s0, s9
	s_cselect_b32 s8, s10, s8
	s_cmp_ge_u32 s3, s82
	s_cselect_b32 s1, -1, 0
	s_cmp_eq_u32 s2, 0
	s_cselect_b32 s1, s1, -1
	s_cmp_lg_u32 s1, 0
	s_cselect_b32 s1, s0, s2
	s_cselect_b32 s0, s8, s3
	s_cbranch_execnz .LBB117_64
.LBB117_63:                             ;   in Loop: Header=BB117_24 Depth=1
	v_cvt_f32_u32_e32 v2, s82
	s_sub_i32 s0, 0, s82
	v_rcp_iflag_f32_e32 v2, v2
	s_nop 0
	v_mul_f32_e32 v2, 0x4f7ffffe, v2
	v_cvt_u32_f32_e32 v2, v2
	s_nop 0
	v_readfirstlane_b32 s1, v2
	s_mul_i32 s0, s0, s1
	s_mul_hi_u32 s0, s1, s0
	s_add_i32 s1, s1, s0
	s_mul_hi_u32 s0, s52, s1
	s_mul_i32 s0, s0, s82
	s_sub_i32 s0, s52, s0
	s_sub_i32 s1, s0, s82
	s_cmp_ge_u32 s0, s82
	s_cselect_b32 s0, s1, s0
	s_sub_i32 s1, s0, s82
	s_cmp_ge_u32 s0, s82
	s_cselect_b32 s0, s1, s0
	s_mov_b32 s1, s83
.LBB117_64:                             ;   in Loop: Header=BB117_24 Depth=1
	s_sub_u32 s50, s52, s0
	s_subb_u32 s51, s53, s1
	v_cmp_gt_u64_e32 vcc, s[50:51], v[20:21]
	v_mov_b64_e32 v[10:11], 0
	v_mov_b64_e32 v[12:13], 0
	;; [unrolled: 1-line block ×4, first 2 shown]
	s_and_saveexec_b64 s[62:63], vcc
	s_cbranch_execz .LBB117_68
; %bb.65:                               ;   in Loop: Header=BB117_24 Depth=1
	s_mov_b64 s[74:75], 0
	s_mov_b64 s[54:55], 0
	;; [unrolled: 1-line block ×5, first 2 shown]
	v_mov_b64_e32 v[6:7], v[20:21]
.LBB117_66:                             ;   Parent Loop BB117_24 Depth=1
                                        ; =>  This Inner Loop Header: Depth=2
	v_mul_lo_u32 v2, v7, s68
	v_mul_lo_u32 v10, v6, s69
	v_mad_u64_u32 v[16:17], s[0:1], v6, s68, 0
	v_add3_u32 v17, v17, v10, v2
	s_lshl_b64 s[0:1], s[68:69], 3
	v_lshl_add_u64 v[16:17], v[16:17], 3, s[76:77]
	global_load_dwordx2 v[30:31], v[16:17], off
	v_lshl_add_u64 v[16:17], v[16:17], 0, s[0:1]
	global_load_dwordx2 v[32:33], v[16:17], off
	;; [unrolled: 2-line block ×4, first 2 shown]
	v_mov_b32_e32 v15, v3
	v_mov_b32_e32 v13, v3
	;; [unrolled: 1-line block ×3, first 2 shown]
	v_lshl_add_u64 v[6:7], v[6:7], 0, s[82:83]
	v_cmp_le_u64_e32 vcc, s[50:51], v[6:7]
	s_waitcnt vmcnt(3)
	v_ashrrev_i32_e32 v2, 31, v31
	v_xor_b32_e32 v10, v2, v30
	v_or_b32_e32 v2, 0x80000000, v2
	s_waitcnt vmcnt(2)
	v_ashrrev_i32_e32 v12, 31, v33
	v_cmp_o_f64_e64 s[0:1], v[30:31], v[30:31]
	v_xor_b32_e32 v14, v12, v32
	v_cmp_o_f64_e64 s[2:3], v[32:33], v[32:33]
	v_xor_b32_e32 v2, v2, v31
	v_or_b32_e32 v12, 0x80000000, v12
	s_waitcnt vmcnt(1)
	v_ashrrev_i32_e32 v32, 31, v35
	v_cndmask_b32_e64 v30, -1, v10, s[0:1]
	v_cndmask_b32_e64 v31, -1, v2, s[0:1]
	v_xor_b32_e32 v2, v12, v33
	v_or_b32_e32 v12, 0x80000000, v32
	s_waitcnt vmcnt(0)
	v_ashrrev_i32_e32 v44, 31, v17
	v_xor_b32_e32 v10, v32, v34
	v_cmp_o_f64_e64 s[12:13], v[34:35], v[34:35]
	v_cndmask_b32_e64 v32, -1, v14, s[2:3]
	v_and_b32_e32 v34, v30, v26
	v_cndmask_b32_e64 v33, -1, v2, s[2:3]
	v_xor_b32_e32 v2, v12, v35
	v_or_b32_e32 v12, 0x80000000, v44
	v_and_b32_e32 v35, v31, v27
	v_lshrrev_b64 v[30:31], s33, v[30:31]
	v_xor_b32_e32 v14, v44, v16
	v_cmp_o_f64_e64 s[14:15], v[16:17], v[16:17]
	v_cndmask_b32_e64 v44, -1, v10, s[12:13]
	v_and_b32_e32 v16, v32, v26
	v_cndmask_b32_e64 v45, -1, v2, s[12:13]
	v_xor_b32_e32 v10, v12, v17
	v_and_b32_e32 v17, v33, v27
	v_and_b32_e32 v2, 3, v30
	v_lshrrev_b64 v[30:31], s33, v[32:33]
	v_cmp_eq_u64_e64 s[0:1], v[34:35], v[24:25]
	v_cndmask_b32_e64 v32, -1, v14, s[14:15]
	v_cndmask_b32_e64 v33, -1, v10, s[14:15]
	v_cmp_eq_u64_e64 s[12:13], v[16:17], v[24:25]
	v_and_b32_e32 v14, 3, v30
	v_lshrrev_b64 v[16:17], s33, v[44:45]
	v_cmp_eq_u64_e64 s[2:3], 0, v[2:3]
	v_and_b32_e32 v34, v44, v26
	v_and_b32_e32 v35, v45, v27
	;; [unrolled: 1-line block ×3, first 2 shown]
	v_lshrrev_b64 v[16:17], s33, v[32:33]
	v_cmp_eq_u64_e64 s[24:25], 0, v[14:15]
	s_and_b64 s[2:3], s[0:1], s[2:3]
	v_cmp_eq_u64_e64 s[28:29], 1, v[2:3]
	v_cmp_eq_u64_e64 s[30:31], 2, v[2:3]
	;; [unrolled: 1-line block ×3, first 2 shown]
	v_and_b32_e32 v30, v32, v26
	v_cmp_eq_u64_e64 s[14:15], v[34:35], v[24:25]
	v_and_b32_e32 v31, v33, v27
	v_cndmask_b32_e64 v2, 0, 1, s[2:3]
	v_and_b32_e32 v10, 3, v16
	v_cmp_eq_u64_e64 s[2:3], 0, v[12:13]
	s_and_b64 s[8:9], s[12:13], s[24:25]
	v_cmp_eq_u64_e64 s[18:19], v[30:31], v[24:25]
	v_cmp_ne_u32_e64 s[42:43], 0, v2
	v_cndmask_b32_e64 v2, 0, 1, s[8:9]
	v_cmp_eq_u64_e64 s[44:45], 0, v[10:11]
	s_and_b64 s[2:3], s[14:15], s[2:3]
	s_bcnt1_i32_b64 s10, s[42:43]
	v_cmp_ne_u32_e64 s[42:43], 0, v2
	v_cndmask_b32_e64 v2, 0, 1, s[2:3]
	s_and_b64 s[8:9], s[18:19], s[44:45]
	v_cmp_ne_u32_e64 s[2:3], 0, v2
	v_cndmask_b32_e64 v2, 0, 1, s[8:9]
	s_bcnt1_i32_b64 s8, s[2:3]
	v_cmp_ne_u32_e64 s[2:3], 0, v2
	s_bcnt1_i32_b64 s11, s[42:43]
	s_bcnt1_i32_b64 s2, s[2:3]
	s_add_u32 s3, s10, s94
	s_addc_u32 s9, 0, s95
	s_add_u32 s3, s3, s11
	s_addc_u32 s9, s9, 0
	;; [unrolled: 2-line block ×3, first 2 shown]
	s_add_u32 s94, s3, s2
	v_cmp_eq_u64_e64 s[34:35], 1, v[14:15]
	s_addc_u32 s95, s8, 0
	s_and_b64 s[2:3], s[0:1], s[28:29]
	v_cmp_eq_u64_e64 s[38:39], 1, v[12:13]
	v_cndmask_b32_e64 v2, 0, 1, s[2:3]
	s_and_b64 s[2:3], s[12:13], s[34:35]
	v_cmp_eq_u64_e64 s[40:41], 2, v[12:13]
	v_cmp_eq_u64_e64 s[22:23], 3, v[12:13]
	;; [unrolled: 1-line block ×3, first 2 shown]
	v_cndmask_b32_e64 v12, 0, 1, s[2:3]
	s_and_b64 s[2:3], s[14:15], s[38:39]
	v_cndmask_b32_e64 v13, 0, 1, s[2:3]
	s_and_b64 s[2:3], s[18:19], s[46:47]
	v_cmp_eq_u64_e64 s[36:37], 2, v[14:15]
	v_cmp_eq_u64_e64 s[20:21], 3, v[14:15]
	v_cndmask_b32_e64 v14, 0, 1, s[2:3]
	v_cmp_ne_u32_e64 s[2:3], 0, v2
	v_cmp_ne_u32_e64 s[28:29], 0, v12
	;; [unrolled: 1-line block ×4, first 2 shown]
	s_bcnt1_i32_b64 s2, s[2:3]
	s_bcnt1_i32_b64 s3, s[28:29]
	;; [unrolled: 1-line block ×4, first 2 shown]
	s_add_u32 s2, s2, s92
	s_addc_u32 s10, 0, s93
	s_add_u32 s2, s2, s3
	s_addc_u32 s3, s10, 0
	;; [unrolled: 2-line block ×4, first 2 shown]
	s_and_b64 s[2:3], s[0:1], s[30:31]
	v_cndmask_b32_e64 v2, 0, 1, s[2:3]
	s_and_b64 s[2:3], s[12:13], s[36:37]
	v_cmp_eq_u64_e64 s[48:49], 2, v[10:11]
	v_cndmask_b32_e64 v14, 0, 1, s[2:3]
	s_and_b64 s[2:3], s[14:15], s[40:41]
	v_cndmask_b32_e64 v15, 0, 1, s[2:3]
	s_and_b64 s[2:3], s[18:19], s[48:49]
	v_cndmask_b32_e64 v16, 0, 1, s[2:3]
	v_cmp_ne_u32_e64 s[2:3], 0, v2
	v_cmp_ne_u32_e64 s[28:29], 0, v14
	;; [unrolled: 1-line block ×4, first 2 shown]
	s_bcnt1_i32_b64 s2, s[2:3]
	s_bcnt1_i32_b64 s3, s[28:29]
	;; [unrolled: 1-line block ×4, first 2 shown]
	s_add_u32 s2, s2, s72
	s_addc_u32 s10, 0, s73
	s_add_u32 s2, s2, s3
	s_addc_u32 s3, s10, 0
	;; [unrolled: 2-line block ×4, first 2 shown]
	s_and_b64 s[0:1], s[0:1], s[16:17]
	v_cndmask_b32_e64 v2, 0, 1, s[0:1]
	s_and_b64 s[0:1], s[12:13], s[20:21]
	v_cmp_eq_u64_e64 s[24:25], 3, v[10:11]
	v_cndmask_b32_e64 v16, 0, 1, s[0:1]
	s_and_b64 s[0:1], s[14:15], s[22:23]
	v_cndmask_b32_e64 v17, 0, 1, s[0:1]
	s_and_b64 s[0:1], s[18:19], s[24:25]
	v_cndmask_b32_e64 v30, 0, 1, s[0:1]
	v_cmp_ne_u32_e64 s[0:1], 0, v2
	v_cmp_ne_u32_e64 s[2:3], 0, v16
	;; [unrolled: 1-line block ×4, first 2 shown]
	s_bcnt1_i32_b64 s0, s[0:1]
	s_bcnt1_i32_b64 s1, s[2:3]
	;; [unrolled: 1-line block ×4, first 2 shown]
	s_add_u32 s0, s0, s54
	s_addc_u32 s8, 0, s55
	s_add_u32 s0, s0, s1
	s_addc_u32 s1, s8, 0
	;; [unrolled: 2-line block ×4, first 2 shown]
	v_mov_b64_e32 v[10:11], s[94:95]
	v_mov_b64_e32 v[12:13], s[92:93]
	v_mov_b64_e32 v[14:15], s[72:73]
	s_or_b64 s[74:75], vcc, s[74:75]
	v_mov_b64_e32 v[16:17], s[54:55]
	s_andn2_b64 exec, exec, s[74:75]
	s_cbranch_execnz .LBB117_66
; %bb.67:                               ;   in Loop: Header=BB117_24 Depth=1
	s_or_b64 exec, exec, s[74:75]
.LBB117_68:                             ;   in Loop: Header=BB117_24 Depth=1
	s_or_b64 exec, exec, s[62:63]
	v_lshl_add_u64 v[30:31], s[50:51], 0, v[0:1]
	v_and_b32_e32 v6, 0xffff, v4
	v_mov_b32_e32 v7, v3
	v_cmp_gt_u64_e32 vcc, s[52:53], v[30:31]
	s_and_saveexec_b64 s[2:3], vcc
	s_cbranch_execz .LBB117_74
; %bb.69:                               ;   in Loop: Header=BB117_24 Depth=1
	v_mul_lo_u32 v2, v31, s68
	v_mul_lo_u32 v4, v30, s69
	v_mad_u64_u32 v[32:33], s[0:1], v30, s68, 0
	v_add3_u32 v33, v33, v4, v2
	v_lshl_add_u64 v[32:33], v[32:33], 3, s[76:77]
	global_load_dwordx2 v[34:35], v[32:33], off
	s_mov_b64 s[8:9], 0
	s_branch .LBB117_71
.LBB117_70:                             ;   in Loop: Header=BB117_71 Depth=2
	s_or_b64 exec, exec, s[10:11]
	s_waitcnt vmcnt(0)
	v_ashrrev_i32_e32 v2, 31, v35
	v_or_b32_e32 v4, 0x80000000, v2
	s_and_b64 s[0:1], exec, vcc
	v_xor_b32_e32 v4, v4, v35
	v_xor_b32_e32 v2, v2, v34
	v_cmp_o_f64_e32 vcc, v[34:35], v[34:35]
	s_or_b64 s[8:9], s[0:1], s[8:9]
	s_nop 0
	v_cndmask_b32_e32 v35, -1, v4, vcc
	v_cndmask_b32_e32 v34, -1, v2, vcc
	v_and_b32_e32 v45, v35, v27
	v_and_b32_e32 v44, v34, v26
	v_lshrrev_b64 v[34:35], s33, v[34:35]
	v_and_b32_e32 v2, 3, v34
	v_cmp_eq_u64_e32 vcc, v[44:45], v[24:25]
	v_cmp_eq_u64_e64 s[0:1], 0, v[2:3]
	s_and_b64 s[0:1], vcc, s[0:1]
	v_mov_b64_e32 v[34:35], v[32:33]
	v_cndmask_b32_e64 v4, 0, 1, s[0:1]
	v_cmp_ne_u32_e64 s[0:1], 0, v4
	s_bcnt1_i32_b64 s82, s[0:1]
	v_cmp_eq_u64_e64 s[0:1], 1, v[2:3]
	s_and_b64 s[0:1], vcc, s[0:1]
	v_lshl_add_u64 v[10:11], s[82:83], 0, v[10:11]
	v_cndmask_b32_e64 v4, 0, 1, s[0:1]
	v_cmp_ne_u32_e64 s[0:1], 0, v4
	s_bcnt1_i32_b64 s82, s[0:1]
	v_cmp_eq_u64_e64 s[0:1], 2, v[2:3]
	s_and_b64 s[0:1], vcc, s[0:1]
	v_lshl_add_u64 v[12:13], s[82:83], 0, v[12:13]
	;; [unrolled: 6-line block ×3, first 2 shown]
	v_cndmask_b32_e64 v2, 0, 1, s[0:1]
	v_cmp_ne_u32_e32 vcc, 0, v2
	s_bcnt1_i32_b64 s82, vcc
	v_lshl_add_u64 v[16:17], s[82:83], 0, v[16:17]
	s_andn2_b64 exec, exec, s[8:9]
	s_cbranch_execz .LBB117_73
.LBB117_71:                             ;   Parent Loop BB117_24 Depth=1
                                        ; =>  This Inner Loop Header: Depth=2
	v_lshl_add_u64 v[30:31], v[30:31], 0, v[6:7]
	v_cmp_gt_u64_e64 s[0:1], s[52:53], v[30:31]
	v_cmp_le_u64_e32 vcc, s[52:53], v[30:31]
	v_mov_b64_e32 v[32:33], 0
	s_and_saveexec_b64 s[10:11], s[0:1]
	s_cbranch_execz .LBB117_70
; %bb.72:                               ;   in Loop: Header=BB117_71 Depth=2
	v_mul_lo_u32 v2, v31, s68
	v_mul_lo_u32 v4, v30, s69
	v_mad_u64_u32 v[32:33], s[0:1], v30, s68, 0
	v_add3_u32 v33, v33, v4, v2
	v_lshl_add_u64 v[32:33], v[32:33], 3, s[76:77]
	global_load_dwordx2 v[32:33], v[32:33], off
	s_branch .LBB117_70
.LBB117_73:                             ;   in Loop: Header=BB117_24 Depth=1
	s_or_b64 exec, exec, s[8:9]
.LBB117_74:                             ;   in Loop: Header=BB117_24 Depth=1
	s_or_b64 exec, exec, s[2:3]
	s_branch .LBB117_53
.LBB117_75:                             ;   in Loop: Header=BB117_24 Depth=1
	global_load_ushort v4, v3, s[90:91]
	v_mov_b64_e32 v[10:11], 0
	v_mov_b64_e32 v[12:13], 0
	;; [unrolled: 1-line block ×4, first 2 shown]
	s_waitcnt vmcnt(0)
	v_readfirstlane_b32 s0, v4
	s_and_b32 s61, 0xffff, s0
	s_lshl_b32 s82, s61, 2
	v_cvt_f32_u32_e32 v2, s82
	s_sub_i32 s0, 0, s82
	v_rcp_iflag_f32_e32 v2, v2
	s_nop 0
	v_mul_f32_e32 v2, 0x4f7ffffe, v2
	v_cvt_u32_f32_e32 v2, v2
	s_nop 0
	v_readfirstlane_b32 s1, v2
	s_mul_i32 s0, s0, s1
	s_mul_hi_u32 s0, s1, s0
	s_add_i32 s1, s1, s0
	s_mul_hi_u32 s0, s60, s1
	s_mul_i32 s1, s0, s82
	s_sub_i32 s1, s60, s1
	s_add_i32 s2, s0, 1
	s_sub_i32 s3, s1, s82
	s_cmp_ge_u32 s1, s82
	s_cselect_b32 s0, s2, s0
	s_cselect_b32 s1, s3, s1
	s_add_i32 s2, s0, 1
	s_cmp_ge_u32 s1, s82
	s_cselect_b32 s0, s2, s0
	s_mul_hi_u32 s63, s61, s0
	s_mul_i32 s62, s61, s0
	s_lshl_b64 s[74:75], s[62:63], 2
	v_cmp_gt_u64_e32 vcc, s[74:75], v[20:21]
	s_and_saveexec_b64 s[54:55], vcc
	s_cbranch_execz .LBB117_79
; %bb.76:                               ;   in Loop: Header=BB117_24 Depth=1
	s_lshl_b32 s63, s61, 5
	s_mov_b64 s[72:73], 0
	v_mov_b32_e32 v44, v41
	s_mov_b64 s[92:93], 0
	s_mov_b64 s[94:95], 0
	;; [unrolled: 1-line block ×4, first 2 shown]
	v_mov_b64_e32 v[6:7], v[20:21]
.LBB117_77:                             ;   Parent Loop BB117_24 Depth=1
                                        ; =>  This Inner Loop Header: Depth=2
	ds_read_b128 v[14:17], v44
	ds_read_b128 v[10:13], v44 offset:16
	v_mov_b32_e32 v31, v3
	v_mov_b32_e32 v33, v3
	;; [unrolled: 1-line block ×3, first 2 shown]
	s_waitcnt lgkmcnt(1)
	v_ashrrev_i32_e32 v2, 31, v15
	v_ashrrev_i32_e32 v30, 31, v17
	s_waitcnt lgkmcnt(0)
	v_ashrrev_i32_e32 v32, 31, v11
	v_ashrrev_i32_e32 v34, 31, v13
	v_xor_b32_e32 v45, v30, v16
	v_cmp_o_f64_e64 s[0:1], v[16:17], v[16:17]
	v_xor_b32_e32 v16, v32, v10
	v_cmp_o_f64_e64 s[2:3], v[10:11], v[10:11]
	v_xor_b32_e32 v10, v2, v14
	v_or_b32_e32 v2, 0x80000000, v2
	v_xor_b32_e32 v50, v34, v12
	v_cmp_o_f64_e64 s[12:13], v[12:13], v[12:13]
	v_cmp_o_f64_e64 s[14:15], v[14:15], v[14:15]
	v_or_b32_e32 v12, 0x80000000, v30
	v_or_b32_e32 v14, 0x80000000, v32
	v_xor_b32_e32 v2, v2, v15
	v_or_b32_e32 v30, 0x80000000, v34
	v_xor_b32_e32 v15, v12, v17
	v_xor_b32_e32 v17, v14, v11
	v_cndmask_b32_e64 v10, -1, v10, s[14:15]
	v_cndmask_b32_e64 v11, -1, v2, s[14:15]
	v_xor_b32_e32 v30, v30, v13
	v_cndmask_b32_e64 v12, -1, v45, s[0:1]
	v_cndmask_b32_e64 v14, -1, v16, s[2:3]
	;; [unrolled: 1-line block ×4, first 2 shown]
	v_and_b32_e32 v50, v10, v26
	v_and_b32_e32 v51, v11, v27
	v_lshrrev_b64 v[10:11], s33, v[10:11]
	v_cndmask_b32_e64 v15, -1, v17, s[2:3]
	v_and_b32_e32 v52, v12, v26
	v_and_b32_e32 v53, v13, v27
	v_lshrrev_b64 v[12:13], s33, v[12:13]
	v_and_b32_e32 v2, 3, v10
	v_cndmask_b32_e64 v17, -1, v30, s[12:13]
	v_and_b32_e32 v54, v14, v26
	v_and_b32_e32 v55, v15, v27
	v_lshrrev_b64 v[14:15], s33, v[14:15]
	v_cmp_eq_u64_e64 s[16:17], v[50:51], v[24:25]
	v_and_b32_e32 v30, 3, v12
	v_cmp_eq_u64_e64 s[2:3], 0, v[2:3]
	v_and_b32_e32 v56, v16, v26
	v_and_b32_e32 v57, v17, v27
	v_lshrrev_b64 v[16:17], s33, v[16:17]
	v_cmp_eq_u64_e64 s[14:15], v[52:53], v[24:25]
	v_and_b32_e32 v32, 3, v14
	v_cmp_eq_u64_e64 s[28:29], 0, v[30:31]
	s_and_b64 s[2:3], s[16:17], s[2:3]
	v_cmp_eq_u64_e64 s[12:13], v[54:55], v[24:25]
	v_and_b32_e32 v34, 3, v16
	v_cmp_eq_u64_e64 s[30:31], 0, v[32:33]
	v_cmp_eq_u64_e64 s[36:37], 1, v[2:3]
	;; [unrolled: 1-line block ×4, first 2 shown]
	v_cndmask_b32_e64 v2, 0, 1, s[2:3]
	s_and_b64 s[2:3], s[14:15], s[28:29]
	v_cmp_eq_u64_e64 s[0:1], v[56:57], v[24:25]
	v_cmp_eq_u64_e64 s[34:35], 0, v[34:35]
	v_cndmask_b32_e64 v10, 0, 1, s[2:3]
	s_and_b64 s[2:3], s[12:13], s[30:31]
	v_cndmask_b32_e64 v11, 0, 1, s[2:3]
	s_and_b64 s[2:3], s[0:1], s[34:35]
	v_cndmask_b32_e64 v12, 0, 1, s[2:3]
	v_cmp_ne_u32_e64 s[2:3], 0, v2
	v_cmp_ne_u32_e64 s[28:29], 0, v10
	;; [unrolled: 1-line block ×4, first 2 shown]
	s_bcnt1_i32_b64 s2, s[2:3]
	s_bcnt1_i32_b64 s3, s[28:29]
	;; [unrolled: 1-line block ×4, first 2 shown]
	s_add_u32 s2, s2, s8
	s_addc_u32 s8, 0, s9
	s_add_u32 s2, s2, s3
	s_addc_u32 s3, s8, 0
	;; [unrolled: 2-line block ×3, first 2 shown]
	s_add_u32 s8, s2, s29
	v_cmp_eq_u64_e64 s[38:39], 1, v[30:31]
	s_addc_u32 s9, s3, 0
	s_and_b64 s[2:3], s[16:17], s[36:37]
	v_cmp_eq_u64_e64 s[40:41], 1, v[32:33]
	v_cndmask_b32_e64 v2, 0, 1, s[2:3]
	s_and_b64 s[2:3], s[14:15], s[38:39]
	v_cmp_eq_u64_e64 s[42:43], 1, v[34:35]
	v_cndmask_b32_e64 v12, 0, 1, s[2:3]
	s_and_b64 s[2:3], s[12:13], s[40:41]
	v_cndmask_b32_e64 v13, 0, 1, s[2:3]
	s_and_b64 s[2:3], s[0:1], s[42:43]
	v_cndmask_b32_e64 v14, 0, 1, s[2:3]
	v_cmp_ne_u32_e64 s[2:3], 0, v2
	v_cmp_ne_u32_e64 s[28:29], 0, v12
	;; [unrolled: 1-line block ×4, first 2 shown]
	s_bcnt1_i32_b64 s2, s[2:3]
	s_bcnt1_i32_b64 s3, s[28:29]
	;; [unrolled: 1-line block ×4, first 2 shown]
	s_add_u32 s2, s2, s10
	s_addc_u32 s10, 0, s11
	s_add_u32 s2, s2, s3
	s_addc_u32 s3, s10, 0
	;; [unrolled: 2-line block ×3, first 2 shown]
	s_add_u32 s10, s2, s29
	v_cmp_eq_u64_e64 s[46:47], 2, v[30:31]
	s_addc_u32 s11, s3, 0
	s_and_b64 s[2:3], s[16:17], s[44:45]
	v_cmp_eq_u64_e64 s[48:49], 2, v[32:33]
	v_cndmask_b32_e64 v2, 0, 1, s[2:3]
	s_and_b64 s[2:3], s[14:15], s[46:47]
	v_cmp_eq_u64_e64 s[50:51], 2, v[34:35]
	v_cndmask_b32_e64 v14, 0, 1, s[2:3]
	s_and_b64 s[2:3], s[12:13], s[48:49]
	v_cndmask_b32_e64 v15, 0, 1, s[2:3]
	s_and_b64 s[2:3], s[0:1], s[50:51]
	v_cndmask_b32_e64 v16, 0, 1, s[2:3]
	v_cmp_ne_u32_e64 s[2:3], 0, v2
	v_cmp_ne_u32_e64 s[28:29], 0, v14
	;; [unrolled: 1-line block ×4, first 2 shown]
	s_bcnt1_i32_b64 s2, s[2:3]
	s_bcnt1_i32_b64 s3, s[28:29]
	;; [unrolled: 1-line block ×4, first 2 shown]
	s_add_u32 s2, s2, s94
	s_addc_u32 s30, 0, s95
	s_add_u32 s2, s2, s3
	s_addc_u32 s3, s30, 0
	;; [unrolled: 2-line block ×3, first 2 shown]
	s_add_u32 s94, s2, s29
	v_cmp_eq_u64_e64 s[22:23], 3, v[30:31]
	s_addc_u32 s95, s3, 0
	s_and_b64 s[2:3], s[16:17], s[24:25]
	v_cmp_eq_u64_e64 s[20:21], 3, v[32:33]
	v_cmp_eq_u64_e64 s[18:19], 3, v[34:35]
	v_cndmask_b32_e64 v2, 0, 1, s[2:3]
	s_and_b64 s[2:3], s[14:15], s[22:23]
	v_cndmask_b32_e64 v16, 0, 1, s[2:3]
	s_and_b64 s[2:3], s[12:13], s[20:21]
	s_and_b64 s[0:1], s[0:1], s[18:19]
	v_cndmask_b32_e64 v17, 0, 1, s[2:3]
	v_cndmask_b32_e64 v30, 0, 1, s[0:1]
	v_cmp_ne_u32_e64 s[0:1], 0, v2
	v_cmp_ne_u32_e64 s[2:3], 0, v16
	;; [unrolled: 1-line block ×4, first 2 shown]
	s_bcnt1_i32_b64 s0, s[0:1]
	s_bcnt1_i32_b64 s1, s[2:3]
	s_bcnt1_i32_b64 s2, s[12:13]
	s_bcnt1_i32_b64 s3, s[14:15]
	s_add_u32 s0, s0, s92
	s_addc_u32 s12, 0, s93
	s_add_u32 s0, s0, s1
	s_addc_u32 s1, s12, 0
	;; [unrolled: 2-line block ×3, first 2 shown]
	v_lshl_add_u64 v[6:7], v[6:7], 0, s[82:83]
	s_add_u32 s92, s0, s3
	v_cmp_le_u64_e32 vcc, s[74:75], v[6:7]
	s_addc_u32 s93, s1, 0
	v_add_u32_e32 v44, s63, v44
	v_mov_b64_e32 v[10:11], s[8:9]
	v_mov_b64_e32 v[12:13], s[10:11]
	;; [unrolled: 1-line block ×3, first 2 shown]
	s_or_b64 s[72:73], vcc, s[72:73]
	v_mov_b64_e32 v[16:17], s[92:93]
	s_andn2_b64 exec, exec, s[72:73]
	s_cbranch_execnz .LBB117_77
; %bb.78:                               ;   in Loop: Header=BB117_24 Depth=1
	s_or_b64 exec, exec, s[72:73]
.LBB117_79:                             ;   in Loop: Header=BB117_24 Depth=1
	s_or_b64 exec, exec, s[54:55]
	s_and_b32 s8, s60, 0x7fffffff
	s_mov_b32 s9, s83
	v_lshl_add_u64 v[30:31], s[74:75], 0, v[0:1]
	v_and_b32_e32 v6, 0xffff, v4
	v_mov_b32_e32 v7, v3
	v_cmp_gt_u64_e32 vcc, s[8:9], v[30:31]
	s_and_saveexec_b64 s[10:11], vcc
	s_cbranch_execz .LBB117_83
; %bb.80:                               ;   in Loop: Header=BB117_24 Depth=1
	v_lshl_add_u32 v4, s62, 5, v37
	s_lshl_b32 s20, s61, 3
	s_mov_b64 s[18:19], 0
.LBB117_81:                             ;   Parent Loop BB117_24 Depth=1
                                        ; =>  This Inner Loop Header: Depth=2
	ds_read_b64 v[32:33], v4
	v_lshl_add_u64 v[30:31], v[30:31], 0, v[6:7]
	v_cmp_le_u64_e32 vcc, s[8:9], v[30:31]
	v_add_u32_e32 v4, s20, v4
	s_waitcnt lgkmcnt(0)
	v_ashrrev_i32_e32 v2, 31, v33
	v_or_b32_e32 v34, 0x80000000, v2
	v_xor_b32_e32 v2, v2, v32
	v_xor_b32_e32 v34, v34, v33
	v_cmp_o_f64_e64 s[0:1], v[32:33], v[32:33]
	s_nop 1
	v_cndmask_b32_e64 v33, -1, v34, s[0:1]
	v_cndmask_b32_e64 v32, -1, v2, s[0:1]
	v_and_b32_e32 v35, v33, v27
	v_and_b32_e32 v34, v32, v26
	v_lshrrev_b64 v[32:33], s33, v[32:33]
	v_and_b32_e32 v2, 3, v32
	v_cmp_eq_u64_e64 s[0:1], v[34:35], v[24:25]
	v_cmp_eq_u64_e64 s[2:3], 0, v[2:3]
	;; [unrolled: 1-line block ×3, first 2 shown]
	s_and_b64 s[2:3], s[0:1], s[2:3]
	v_cmp_eq_u64_e64 s[14:15], 2, v[2:3]
	v_cmp_eq_u64_e64 s[16:17], 3, v[2:3]
	v_cndmask_b32_e64 v2, 0, 1, s[2:3]
	s_and_b64 s[2:3], s[0:1], s[12:13]
	v_cndmask_b32_e64 v32, 0, 1, s[2:3]
	s_and_b64 s[2:3], s[0:1], s[14:15]
	s_and_b64 s[0:1], s[0:1], s[16:17]
	v_cndmask_b32_e64 v34, 0, 1, s[0:1]
	v_cmp_ne_u32_e64 s[0:1], 0, v2
	v_cndmask_b32_e64 v33, 0, 1, s[2:3]
	v_cmp_ne_u32_e64 s[2:3], 0, v32
	s_bcnt1_i32_b64 s82, s[0:1]
	v_cmp_ne_u32_e64 s[12:13], 0, v33
	v_lshl_add_u64 v[10:11], s[82:83], 0, v[10:11]
	s_bcnt1_i32_b64 s82, s[2:3]
	v_cmp_ne_u32_e64 s[14:15], 0, v34
	v_lshl_add_u64 v[12:13], s[82:83], 0, v[12:13]
	s_bcnt1_i32_b64 s82, s[12:13]
	v_lshl_add_u64 v[14:15], s[82:83], 0, v[14:15]
	s_bcnt1_i32_b64 s82, s[14:15]
	s_or_b64 s[18:19], vcc, s[18:19]
	v_lshl_add_u64 v[16:17], s[82:83], 0, v[16:17]
	s_andn2_b64 exec, exec, s[18:19]
	s_cbranch_execnz .LBB117_81
; %bb.82:                               ;   in Loop: Header=BB117_24 Depth=1
	s_or_b64 exec, exec, s[18:19]
.LBB117_83:                             ;   in Loop: Header=BB117_24 Depth=1
	s_or_b64 exec, exec, s[10:11]
	s_lshl_b32 s2, s65, 6
	s_and_saveexec_b64 s[0:1], s[4:5]
	s_cbranch_execnz .LBB117_54
	s_branch .LBB117_55
.LBB117_84:                             ;   in Loop: Header=BB117_24 Depth=1
                                        ; implicit-def: $sgpr0_sgpr1
	s_branch .LBB117_63
.LBB117_85:                             ;   in Loop: Header=BB117_24 Depth=1
	s_mov_b32 s3, 0
	v_mov_b64_e32 v[6:7], 0
.LBB117_86:                             ;   in Loop: Header=BB117_24 Depth=1
	v_readlane_b32 s8, v58, 33
	v_readlane_b32 s9, v58, 34
	s_andn2_b64 vcc, exec, s[8:9]
	s_cbranch_vccnz .LBB117_89
; %bb.87:                               ;   in Loop: Header=BB117_24 Depth=1
	s_lshl_b32 s8, s65, 9
	s_lshl_b32 s3, s3, 5
	s_add_i32 s8, s8, s3
	v_add_u32_e32 v2, s8, v42
	v_readlane_b32 s3, v58, 32
.LBB117_88:                             ;   Parent Loop BB117_24 Depth=1
                                        ; =>  This Inner Loop Header: Depth=2
	ds_read_b64 v[10:11], v2
	s_add_i32 s3, s3, -1
	v_add_u32_e32 v2, 32, v2
	s_cmp_lg_u32 s3, 0
	s_waitcnt lgkmcnt(0)
	v_lshl_add_u64 v[6:7], v[10:11], 0, v[6:7]
	s_cbranch_scc1 .LBB117_88
.LBB117_89:                             ;   in Loop: Header=BB117_24 Depth=1
	v_add_lshl_u32 v2, s2, v36, 3
	ds_write_b64 v2, v[6:7] offset:3072
.LBB117_90:                             ;   in Loop: Header=BB117_24 Depth=1
	s_or_b64 exec, exec, s[0:1]
	s_lshl_b32 s0, s2, 3
	v_mov_b32_e32 v2, s0
	s_waitcnt lgkmcnt(0)
	s_barrier
	ds_read_b128 v[14:17], v2 offset:3088
	ds_read_b128 v[10:13], v2 offset:3072
	s_lshl_b64 s[12:13], 3, s33
	v_cmp_eq_u64_e64 s[0:1], 1, v[28:29]
	s_not_b64 s[22:23], s[12:13]
	s_waitcnt lgkmcnt(1)
	v_readfirstlane_b32 s20, v14
	s_waitcnt lgkmcnt(0)
	v_cmp_eq_u64_e32 vcc, 1, v[10:11]
	v_readfirstlane_b32 s21, v15
	v_readfirstlane_b32 s2, v16
	;; [unrolled: 1-line block ×3, first 2 shown]
	s_and_b64 s[16:17], vcc, s[0:1]
	s_mov_b64 s[0:1], -1
	s_mov_b64 s[18:19], -1
                                        ; implicit-def: $sgpr10_sgpr11
                                        ; implicit-def: $sgpr8_sgpr9
	s_and_saveexec_b64 s[14:15], s[16:17]
	s_cbranch_execz .LBB117_124
; %bb.91:                               ;   in Loop: Header=BB117_24 Depth=1
	ds_read_b64 v[6:7], v3 offset:5120
	s_waitcnt lgkmcnt(0)
	s_barrier
	v_readfirstlane_b32 s24, v6
	v_readfirstlane_b32 s25, v7
	s_and_saveexec_b64 s[8:9], s[6:7]
; %bb.92:                               ;   in Loop: Header=BB117_24 Depth=1
	ds_write_b64 v38, v[48:49]
; %bb.93:                               ;   in Loop: Header=BB117_24 Depth=1
	s_or_b64 exec, exec, s[8:9]
	v_and_b32_e32 v25, s23, v25
	v_and_b32_e32 v24, s22, v24
	v_or_b32_e32 v27, s13, v27
	v_or_b32_e32 v26, s12, v26
	s_mov_b64 s[8:9], -1
	s_mov_b64 s[10:11], 0
	s_cmp_eq_u64 s[24:25], 0
	s_mov_b64 s[18:19], 0
	s_mov_b64 s[28:29], -1
	s_waitcnt lgkmcnt(0)
	s_barrier
                                        ; implicit-def: $vgpr8_vgpr9
	s_cbranch_scc1 .LBB117_108
; %bb.94:                               ;   in Loop: Header=BB117_24 Depth=1
	v_readlane_b32 s18, v58, 28
	s_add_u32 s34, s24, s18
	v_readlane_b32 s18, v58, 29
	s_addc_u32 s19, s25, s18
	s_mov_b32 s18, s83
	s_cmp_lg_u64 s[18:19], 0
	s_cbranch_scc0 .LBB117_151
; %bb.95:                               ;   in Loop: Header=BB117_24 Depth=1
	v_cvt_f32_u32_e32 v2, s80
	s_sub_u32 s18, 0, s80
	s_subb_u32 s30, 0, 0
	v_fmac_f32_e32 v2, 0, v43
	v_rcp_f32_e32 v2, v2
	s_nop 0
	v_mul_f32_e32 v2, 0x5f7ffffc, v2
	v_mul_f32_e32 v4, 0x2f800000, v2
	v_trunc_f32_e32 v4, v4
	v_fmac_f32_e32 v2, 0xcf800000, v4
	v_cvt_u32_f32_e32 v4, v4
	v_cvt_u32_f32_e32 v2, v2
	v_readfirstlane_b32 s31, v4
	v_readfirstlane_b32 s28, v2
	s_mul_i32 s29, s18, s31
	s_mul_hi_u32 s36, s18, s28
	s_mul_i32 s35, s30, s28
	s_add_i32 s29, s36, s29
	s_mul_i32 s37, s18, s28
	s_add_i32 s29, s29, s35
	s_mul_hi_u32 s36, s28, s37
	s_mul_i32 s38, s28, s29
	s_mul_hi_u32 s35, s28, s29
	s_add_u32 s36, s36, s38
	s_addc_u32 s35, 0, s35
	s_mul_hi_u32 s39, s31, s37
	s_mul_i32 s37, s31, s37
	s_add_u32 s36, s36, s37
	s_mul_hi_u32 s38, s31, s29
	s_addc_u32 s35, s35, s39
	s_addc_u32 s36, s38, 0
	s_mul_i32 s29, s31, s29
	s_add_u32 s29, s35, s29
	s_addc_u32 s35, 0, s36
	s_add_u32 s36, s28, s29
	s_cselect_b64 s[28:29], -1, 0
	s_cmp_lg_u64 s[28:29], 0
	s_addc_u32 s31, s31, s35
	s_mul_i32 s28, s18, s31
	s_mul_hi_u32 s29, s18, s36
	s_add_i32 s28, s29, s28
	s_mul_i32 s30, s30, s36
	s_add_i32 s28, s28, s30
	s_mul_i32 s18, s18, s36
	s_mul_hi_u32 s30, s31, s18
	s_mul_i32 s35, s31, s18
	s_mul_i32 s38, s36, s28
	s_mul_hi_u32 s18, s36, s18
	s_mul_hi_u32 s37, s36, s28
	s_add_u32 s18, s18, s38
	s_addc_u32 s37, 0, s37
	s_add_u32 s18, s18, s35
	s_mul_hi_u32 s29, s31, s28
	s_addc_u32 s18, s37, s30
	s_addc_u32 s29, s29, 0
	s_mul_i32 s28, s31, s28
	s_add_u32 s18, s18, s28
	s_addc_u32 s30, 0, s29
	s_add_u32 s18, s36, s18
	s_cselect_b64 s[28:29], -1, 0
	s_cmp_lg_u64 s[28:29], 0
	s_addc_u32 s28, s31, s30
	s_mul_i32 s30, s34, s28
	s_mul_hi_u32 s31, s34, s18
	s_mul_hi_u32 s29, s34, s28
	s_add_u32 s30, s31, s30
	s_addc_u32 s29, 0, s29
	s_mul_hi_u32 s35, s19, s18
	s_mul_i32 s18, s19, s18
	s_add_u32 s18, s30, s18
	s_mul_hi_u32 s31, s19, s28
	s_addc_u32 s18, s29, s35
	s_addc_u32 s29, s31, 0
	s_mul_i32 s28, s19, s28
	s_add_u32 s18, s18, s28
	s_addc_u32 s28, 0, s29
	s_mul_i32 s28, s80, s28
	s_mul_hi_u32 s29, s80, s18
	s_add_i32 s30, s29, s28
	s_mul_i32 s18, s80, s18
	s_sub_u32 s18, s34, s18
	s_cselect_b64 s[28:29], -1, 0
	s_cmp_lg_u64 s[28:29], 0
	s_subb_u32 s30, s19, s30
	s_sub_u32 s31, s18, s80
	s_cselect_b64 s[28:29], -1, 0
	s_cmp_lg_u64 s[28:29], 0
	s_subb_u32 s35, s30, 0
	;; [unrolled: 4-line block ×3, first 2 shown]
	s_cmp_ge_u32 s31, s80
	s_cselect_b32 s29, -1, 0
	s_cmp_eq_u32 s35, 0
	s_cselect_b32 s29, s29, -1
	s_cmp_lg_u32 s29, 0
	s_cselect_b32 s28, s28, s35
	s_cselect_b32 s31, s36, s31
	s_cmp_ge_u32 s18, s80
	s_cselect_b32 s29, -1, 0
	s_cmp_eq_u32 s30, 0
	s_cselect_b32 s29, s29, -1
	s_cmp_lg_u32 s29, 0
	s_cselect_b32 s29, s28, s30
	s_cselect_b32 s28, s31, s18
	s_cbranch_execnz .LBB117_97
.LBB117_96:                             ;   in Loop: Header=BB117_24 Depth=1
	v_cvt_f32_u32_e32 v2, s80
	s_sub_i32 s18, 0, s80
	v_rcp_iflag_f32_e32 v2, v2
	s_nop 0
	v_mul_f32_e32 v2, 0x4f7ffffe, v2
	v_cvt_u32_f32_e32 v2, v2
	s_nop 0
	v_readfirstlane_b32 s28, v2
	s_mul_i32 s18, s18, s28
	s_mul_hi_u32 s18, s28, s18
	s_add_i32 s28, s28, s18
	s_mul_hi_u32 s18, s34, s28
	s_mul_i32 s18, s18, s80
	s_sub_i32 s18, s34, s18
	s_sub_i32 s28, s18, s80
	s_cmp_ge_u32 s18, s80
	s_cselect_b32 s18, s28, s18
	s_sub_i32 s28, s18, s80
	s_cmp_ge_u32 s18, s80
	s_cselect_b32 s82, s28, s18
	s_mov_b64 s[28:29], s[82:83]
.LBB117_97:                             ;   in Loop: Header=BB117_24 Depth=1
	s_sub_u32 s34, s34, s28
	s_subb_u32 s35, s19, s29
	v_cmp_gt_u64_e32 vcc, s[34:35], v[0:1]
	s_mov_b64 s[28:29], 0
	s_mov_b64 s[18:19], 0
                                        ; implicit-def: $vgpr8_vgpr9
	s_and_saveexec_b64 s[30:31], vcc
	s_cbranch_execz .LBB117_107
; %bb.98:                               ;   in Loop: Header=BB117_24 Depth=1
	v_mov_b32_e32 v2, v37
	v_mov_b64_e32 v[14:15], v[0:1]
                                        ; implicit-def: $sgpr36_sgpr37
	s_branch .LBB117_102
.LBB117_99:                             ;   in Loop: Header=BB117_102 Depth=2
	s_or_b64 exec, exec, s[38:39]
	s_waitcnt lgkmcnt(0)
	s_barrier
	ds_read_b128 v[6:9], v3 offset:3072
	s_waitcnt lgkmcnt(0)
	s_barrier
	v_cmp_neq_f64_e32 vcc, 0, v[6:7]
	s_cbranch_vccnz .LBB117_105
; %bb.100:                              ;   in Loop: Header=BB117_102 Depth=2
	v_lshl_add_u64 v[14:15], v[14:15], 0, s[80:81]
	v_cmp_le_u64_e32 vcc, s[34:35], v[14:15]
	v_add_u32_e32 v2, s64, v2
	s_mov_b64 s[38:39], 0
	s_orn2_b64 s[40:41], vcc, exec
.LBB117_101:                            ;   in Loop: Header=BB117_102 Depth=2
	s_and_b64 s[40:41], exec, s[40:41]
	s_or_b64 s[18:19], s[40:41], s[18:19]
	s_andn2_b64 s[36:37], s[36:37], exec
	s_and_b64 s[38:39], s[38:39], exec
	s_or_b64 s[36:37], s[36:37], s[38:39]
	s_andn2_b64 exec, exec, s[18:19]
	s_cbranch_execz .LBB117_106
.LBB117_102:                            ;   Parent Loop BB117_24 Depth=1
                                        ; =>  This Inner Loop Header: Depth=2
	v_cmp_gt_u64_e32 vcc, s[24:25], v[14:15]
	s_and_saveexec_b64 s[38:39], vcc
	s_cbranch_execz .LBB117_99
; %bb.103:                              ;   in Loop: Header=BB117_102 Depth=2
	ds_read_b64 v[6:7], v2
	s_waitcnt lgkmcnt(0)
	v_ashrrev_i32_e32 v4, 31, v7
	v_or_b32_e32 v8, 0x80000000, v4
	v_xor_b32_e32 v4, v4, v6
	v_xor_b32_e32 v8, v8, v7
	v_cmp_o_f64_e32 vcc, v[6:7], v[6:7]
	s_nop 1
	v_cndmask_b32_e32 v4, -1, v4, vcc
	v_cndmask_b32_e32 v8, -1, v8, vcc
	v_and_b32_e32 v9, v8, v27
	v_and_b32_e32 v8, v4, v26
	v_cmp_eq_u64_e32 vcc, v[8:9], v[24:25]
	s_and_b64 exec, exec, vcc
	s_cbranch_execz .LBB117_99
; %bb.104:                              ;   in Loop: Header=BB117_102 Depth=2
	v_mov_b32_e32 v4, v3
	ds_write_b128 v3, v[4:7] offset:3072
	s_branch .LBB117_99
.LBB117_105:                            ;   in Loop: Header=BB117_102 Depth=2
	s_mov_b64 s[40:41], -1
                                        ; implicit-def: $vgpr14_vgpr15
                                        ; implicit-def: $vgpr2
	s_mov_b64 s[38:39], -1
	s_branch .LBB117_101
.LBB117_106:                            ;   in Loop: Header=BB117_24 Depth=1
	s_or_b64 exec, exec, s[18:19]
	s_and_b64 s[18:19], s[36:37], exec
.LBB117_107:                            ;   in Loop: Header=BB117_24 Depth=1
	s_or_b64 exec, exec, s[30:31]
.LBB117_108:                            ;   in Loop: Header=BB117_24 Depth=1
	s_and_b64 vcc, exec, s[28:29]
	s_cbranch_vccz .LBB117_123
; %bb.109:                              ;   in Loop: Header=BB117_24 Depth=1
	s_mov_b32 s88, s83
	s_cmp_lg_u64 s[88:89], 0
	s_cbranch_scc0 .LBB117_155
; %bb.110:                              ;   in Loop: Header=BB117_24 Depth=1
	v_cvt_f32_u32_e32 v2, s80
	s_sub_u32 s10, 0, s80
	s_subb_u32 s11, 0, 0
	v_fmac_f32_e32 v2, 0, v43
	v_rcp_f32_e32 v2, v2
	s_nop 0
	v_mul_f32_e32 v2, 0x5f7ffffc, v2
	v_mul_f32_e32 v4, 0x2f800000, v2
	v_trunc_f32_e32 v4, v4
	v_fmac_f32_e32 v2, 0xcf800000, v4
	v_cvt_u32_f32_e32 v4, v4
	v_cvt_u32_f32_e32 v2, v2
	v_readfirstlane_b32 s24, v4
	v_readfirstlane_b32 s8, v2
	s_mul_i32 s9, s10, s24
	s_mul_hi_u32 s28, s10, s8
	s_mul_i32 s25, s11, s8
	s_add_i32 s9, s28, s9
	s_mul_i32 s29, s10, s8
	s_add_i32 s9, s9, s25
	s_mul_hi_u32 s28, s8, s29
	s_mul_i32 s30, s8, s9
	s_mul_hi_u32 s25, s8, s9
	s_add_u32 s28, s28, s30
	s_addc_u32 s25, 0, s25
	s_mul_hi_u32 s31, s24, s29
	s_mul_i32 s29, s24, s29
	s_add_u32 s28, s28, s29
	s_mul_hi_u32 s30, s24, s9
	s_addc_u32 s25, s25, s31
	s_addc_u32 s28, s30, 0
	s_mul_i32 s9, s24, s9
	s_add_u32 s9, s25, s9
	s_addc_u32 s25, 0, s28
	s_add_u32 s28, s8, s9
	s_cselect_b64 s[8:9], -1, 0
	s_cmp_lg_u64 s[8:9], 0
	s_addc_u32 s24, s24, s25
	s_mul_i32 s8, s10, s24
	s_mul_hi_u32 s9, s10, s28
	s_add_i32 s8, s9, s8
	s_mul_i32 s11, s11, s28
	s_add_i32 s8, s8, s11
	s_mul_i32 s10, s10, s28
	s_mul_hi_u32 s11, s24, s10
	s_mul_i32 s25, s24, s10
	s_mul_i32 s30, s28, s8
	s_mul_hi_u32 s10, s28, s10
	s_mul_hi_u32 s29, s28, s8
	s_add_u32 s10, s10, s30
	s_addc_u32 s29, 0, s29
	s_add_u32 s10, s10, s25
	s_mul_hi_u32 s9, s24, s8
	s_addc_u32 s10, s29, s11
	s_addc_u32 s9, s9, 0
	s_mul_i32 s8, s24, s8
	s_add_u32 s8, s10, s8
	s_addc_u32 s10, 0, s9
	s_add_u32 s11, s28, s8
	s_cselect_b64 s[8:9], -1, 0
	s_cmp_lg_u64 s[8:9], 0
	s_addc_u32 s8, s24, s10
	s_mul_i32 s10, s26, s8
	s_mul_hi_u32 s24, s26, s11
	s_mul_hi_u32 s9, s26, s8
	s_add_u32 s10, s24, s10
	s_addc_u32 s9, 0, s9
	s_mul_hi_u32 s25, s89, s11
	s_mul_i32 s11, s89, s11
	s_add_u32 s10, s10, s11
	s_mul_hi_u32 s24, s89, s8
	s_addc_u32 s9, s9, s25
	s_addc_u32 s10, s24, 0
	s_mul_i32 s8, s89, s8
	s_add_u32 s8, s9, s8
	s_addc_u32 s9, 0, s10
	s_mul_i32 s9, s80, s9
	s_mul_hi_u32 s10, s80, s8
	s_add_i32 s10, s10, s9
	s_mul_i32 s8, s80, s8
	s_sub_u32 s11, s26, s8
	s_cselect_b64 s[8:9], -1, 0
	s_cmp_lg_u64 s[8:9], 0
	s_subb_u32 s10, s89, s10
	s_sub_u32 s24, s11, s80
	s_cselect_b64 s[8:9], -1, 0
	s_cmp_lg_u64 s[8:9], 0
	s_subb_u32 s25, s10, 0
	s_sub_u32 s28, s24, s80
	s_cselect_b64 s[8:9], -1, 0
	s_cmp_lg_u64 s[8:9], 0
	s_subb_u32 s8, s25, 0
	s_cmp_ge_u32 s24, s80
	s_cselect_b32 s9, -1, 0
	s_cmp_eq_u32 s25, 0
	s_cselect_b32 s9, s9, -1
	s_cmp_lg_u32 s9, 0
	s_cselect_b32 s8, s8, s25
	s_cselect_b32 s24, s28, s24
	s_cmp_ge_u32 s11, s80
	s_cselect_b32 s9, -1, 0
	s_cmp_eq_u32 s10, 0
	s_cselect_b32 s9, s9, -1
	s_cmp_lg_u32 s9, 0
	s_cselect_b32 s9, s8, s10
	s_cselect_b32 s8, s24, s11
	s_cbranch_execnz .LBB117_112
.LBB117_111:                            ;   in Loop: Header=BB117_24 Depth=1
	v_cvt_f32_u32_e32 v2, s80
	s_sub_i32 s8, 0, s80
	v_rcp_iflag_f32_e32 v2, v2
	s_nop 0
	v_mul_f32_e32 v2, 0x4f7ffffe, v2
	v_cvt_u32_f32_e32 v2, v2
	s_nop 0
	v_readfirstlane_b32 s9, v2
	s_mul_i32 s8, s8, s9
	s_mul_hi_u32 s8, s9, s8
	s_add_i32 s9, s9, s8
	s_mul_hi_u32 s8, s26, s9
	s_mul_i32 s8, s8, s80
	s_sub_i32 s8, s26, s8
	s_sub_i32 s9, s8, s80
	s_cmp_ge_u32 s8, s80
	s_cselect_b32 s8, s9, s8
	s_sub_i32 s9, s8, s80
	s_cmp_ge_u32 s8, s80
	s_cselect_b32 s82, s9, s8
	s_mov_b64 s[8:9], s[82:83]
.LBB117_112:                            ;   in Loop: Header=BB117_24 Depth=1
	s_sub_u32 s10, s26, s8
	s_subb_u32 s11, s89, s9
	v_cmp_gt_u64_e32 vcc, s[10:11], v[0:1]
                                        ; implicit-def: $vgpr8_vgpr9
	s_and_saveexec_b64 s[8:9], vcc
	s_cbranch_execz .LBB117_122
; %bb.113:                              ;   in Loop: Header=BB117_24 Depth=1
	s_mov_b64 s[28:29], 0
	v_mov_b64_e32 v[14:15], v[0:1]
                                        ; implicit-def: $sgpr24_sgpr25
	s_branch .LBB117_117
.LBB117_114:                            ;   in Loop: Header=BB117_117 Depth=2
	s_or_b64 exec, exec, s[30:31]
	s_waitcnt lgkmcnt(0)
	s_barrier
	ds_read_b128 v[6:9], v3 offset:3072
	s_waitcnt lgkmcnt(0)
	s_barrier
	v_cmp_neq_f64_e32 vcc, 0, v[6:7]
	s_cbranch_vccnz .LBB117_120
; %bb.115:                              ;   in Loop: Header=BB117_117 Depth=2
	v_lshl_add_u64 v[14:15], v[14:15], 0, s[80:81]
	v_cmp_le_u64_e32 vcc, s[10:11], v[14:15]
	s_mov_b64 s[30:31], 0
	s_orn2_b64 s[34:35], vcc, exec
.LBB117_116:                            ;   in Loop: Header=BB117_117 Depth=2
	s_and_b64 s[34:35], exec, s[34:35]
	s_or_b64 s[28:29], s[34:35], s[28:29]
	s_andn2_b64 s[24:25], s[24:25], exec
	s_and_b64 s[30:31], s[30:31], exec
	s_or_b64 s[24:25], s[24:25], s[30:31]
	s_andn2_b64 exec, exec, s[28:29]
	s_cbranch_execz .LBB117_121
.LBB117_117:                            ;   Parent Loop BB117_24 Depth=1
                                        ; =>  This Inner Loop Header: Depth=2
	v_cmp_gt_u64_e32 vcc, s[52:53], v[14:15]
	s_and_saveexec_b64 s[30:31], vcc
	s_cbranch_execz .LBB117_114
; %bb.118:                              ;   in Loop: Header=BB117_117 Depth=2
	v_mul_lo_u32 v2, v15, s68
	v_mul_lo_u32 v4, v14, s69
	v_mad_u64_u32 v[6:7], s[34:35], v14, s68, 0
	v_add3_u32 v7, v7, v4, v2
	v_lshl_add_u64 v[6:7], v[6:7], 3, s[76:77]
	global_load_dwordx2 v[6:7], v[6:7], off
	s_waitcnt vmcnt(0)
	v_ashrrev_i32_e32 v2, 31, v7
	v_or_b32_e32 v4, 0x80000000, v2
	v_xor_b32_e32 v2, v2, v6
	v_xor_b32_e32 v4, v4, v7
	v_cmp_o_f64_e32 vcc, v[6:7], v[6:7]
	s_nop 1
	v_cndmask_b32_e32 v4, -1, v4, vcc
	v_cndmask_b32_e32 v2, -1, v2, vcc
	v_and_b32_e32 v9, v4, v27
	v_and_b32_e32 v8, v2, v26
	v_cmp_eq_u64_e32 vcc, v[8:9], v[24:25]
	s_and_b64 exec, exec, vcc
	s_cbranch_execz .LBB117_114
; %bb.119:                              ;   in Loop: Header=BB117_117 Depth=2
	v_mov_b32_e32 v4, v3
	ds_write_b128 v3, v[4:7] offset:3072
	s_branch .LBB117_114
.LBB117_120:                            ;   in Loop: Header=BB117_117 Depth=2
	s_mov_b64 s[34:35], -1
                                        ; implicit-def: $vgpr14_vgpr15
	s_mov_b64 s[30:31], -1
	s_branch .LBB117_116
.LBB117_121:                            ;   in Loop: Header=BB117_24 Depth=1
	s_or_b64 exec, exec, s[28:29]
	s_andn2_b64 s[10:11], s[18:19], exec
	s_and_b64 s[18:19], s[24:25], exec
	s_or_b64 s[18:19], s[10:11], s[18:19]
.LBB117_122:                            ;   in Loop: Header=BB117_24 Depth=1
	s_or_b64 exec, exec, s[8:9]
	s_mov_b64 s[8:9], 0
	s_mov_b64 s[10:11], -1
.LBB117_123:                            ;   in Loop: Header=BB117_24 Depth=1
	s_orn2_b64 s[18:19], s[18:19], exec
.LBB117_124:                            ;   in Loop: Header=BB117_24 Depth=1
	s_or_b64 exec, exec, s[14:15]
	s_andn2_b64 s[14:15], s[66:67], exec
	s_and_b64 s[10:11], s[10:11], exec
	s_or_b64 s[66:67], s[14:15], s[10:11]
	s_andn2_b64 s[10:11], s[78:79], exec
	s_and_b64 s[8:9], s[8:9], exec
	s_andn2_b64 s[58:59], s[58:59], exec
	s_or_b64 s[78:79], s[10:11], s[8:9]
                                        ; implicit-def: $vgpr14_vgpr15
	s_and_saveexec_b64 s[14:15], s[18:19]
	s_cbranch_execz .LBB117_23
; %bb.125:                              ;   in Loop: Header=BB117_24 Depth=1
	s_xor_b64 s[8:9], s[16:17], -1
	v_mov_b32_e32 v2, 1
	s_mov_b64 s[10:11], 0
	v_mov_b64_e32 v[14:15], 1
	s_and_saveexec_b64 s[0:1], s[8:9]
	s_cbranch_execz .LBB117_134
; %bb.126:                              ;   in Loop: Header=BB117_24 Depth=1
	v_cmp_le_u64_e32 vcc, v[28:29], v[10:11]
	s_and_saveexec_b64 s[8:9], vcc
	s_xor_b64 s[8:9], exec, s[8:9]
	s_cbranch_execz .LBB117_131
; %bb.127:                              ;   in Loop: Header=BB117_24 Depth=1
	ds_read_b64 v[6:7], v3 offset:5120
	v_and_b32_e32 v25, s23, v25
	v_and_b32_e32 v24, s22, v24
	v_or_b32_e32 v27, s13, v27
	v_or_b32_e32 v26, s12, v26
	s_waitcnt lgkmcnt(0)
	v_cmp_ne_u64_e32 vcc, 0, v[6:7]
	s_cbranch_vccnz .LBB117_131
; %bb.128:                              ;   in Loop: Header=BB117_24 Depth=1
	s_mov_b64 s[10:11], exec
	v_readlane_b32 s16, v58, 16
	v_readlane_b32 s17, v58, 17
	s_and_b64 s[16:17], s[10:11], s[16:17]
	s_mov_b64 exec, s[16:17]
; %bb.129:                              ;   in Loop: Header=BB117_24 Depth=1
	ds_write_b64 v3, v[10:11] offset:5128
; %bb.130:                              ;   in Loop: Header=BB117_24 Depth=1
	s_or_b64 exec, exec, s[10:11]
	s_waitcnt lgkmcnt(0)
	s_barrier
.LBB117_131:                            ;   in Loop: Header=BB117_24 Depth=1
	s_or_saveexec_b64 s[8:9], s[8:9]
	s_mov_b64 s[10:11], 0
	v_mov_b32_e32 v2, 8
	s_xor_b64 exec, exec, s[8:9]
; %bb.132:                              ;   in Loop: Header=BB117_24 Depth=1
	v_sub_co_u32_e32 v28, vcc, v28, v10
	s_mov_b64 s[10:11], exec
	s_nop 0
	v_subb_co_u32_e32 v29, vcc, v29, v11, vcc
	v_mov_b32_e32 v2, 0
; %bb.133:                              ;   in Loop: Header=BB117_24 Depth=1
	s_or_b64 exec, exec, s[8:9]
	s_and_b64 s[10:11], s[10:11], exec
	v_mov_b64_e32 v[14:15], v[28:29]
.LBB117_134:                            ;   in Loop: Header=BB117_24 Depth=1
	s_or_b64 exec, exec, s[0:1]
	s_mov_b64 s[16:17], -1
	s_mov_b64 s[8:9], -1
                                        ; implicit-def: $sgpr0_sgpr1
                                        ; implicit-def: $sgpr24_sgpr25
	s_and_saveexec_b64 s[18:19], s[10:11]
	s_xor_b64 s[18:19], exec, s[18:19]
	s_cbranch_execz .LBB117_285
; %bb.135:                              ;   in Loop: Header=BB117_24 Depth=1
	v_cmp_eq_u64_e32 vcc, 1, v[12:13]
	v_cmp_eq_u64_e64 s[0:1], 1, v[14:15]
	s_and_b64 s[30:31], vcc, s[0:1]
                                        ; implicit-def: $sgpr24_sgpr25
                                        ; implicit-def: $sgpr0_sgpr1
	s_and_saveexec_b64 s[28:29], s[30:31]
	s_cbranch_execz .LBB117_174
; %bb.136:                              ;   in Loop: Header=BB117_24 Depth=1
	ds_read_b64 v[6:7], v3 offset:5120
	s_waitcnt lgkmcnt(0)
	s_barrier
	v_readfirstlane_b32 s10, v6
	v_readfirstlane_b32 s11, v7
	s_and_saveexec_b64 s[0:1], s[6:7]
; %bb.137:                              ;   in Loop: Header=BB117_24 Depth=1
	ds_write_b64 v38, v[48:49]
; %bb.138:                              ;   in Loop: Header=BB117_24 Depth=1
	s_or_b64 exec, exec, s[0:1]
	s_lshl_b64 s[0:1], 1, s33
	v_and_b32_e32 v4, s23, v25
	v_and_b32_e32 v6, s22, v24
	v_or_b32_e32 v25, s1, v4
	v_or_b32_e32 v24, s0, v6
	;; [unrolled: 1-line block ×4, first 2 shown]
	s_mov_b64 s[0:1], -1
	s_mov_b64 s[24:25], 0
	s_cmp_eq_u64 s[10:11], 0
	s_mov_b64 s[8:9], 0
	s_mov_b64 s[34:35], -1
	s_waitcnt lgkmcnt(0)
	s_barrier
                                        ; implicit-def: $vgpr8_vgpr9
	s_cbranch_scc1 .LBB117_158
; %bb.139:                              ;   in Loop: Header=BB117_24 Depth=1
	v_readlane_b32 s8, v58, 28
	s_add_u32 s38, s10, s8
	v_readlane_b32 s8, v58, 29
	s_addc_u32 s9, s11, s8
	s_mov_b32 s8, s83
	s_cmp_lg_u64 s[8:9], 0
	s_cbranch_scc0 .LBB117_202
; %bb.140:                              ;   in Loop: Header=BB117_24 Depth=1
	v_cvt_f32_u32_e32 v4, s80
	s_sub_u32 s8, 0, s80
	s_subb_u32 s36, 0, 0
	v_fmac_f32_e32 v4, 0, v43
	v_rcp_f32_e32 v4, v4
	s_nop 0
	v_mul_f32_e32 v4, 0x5f7ffffc, v4
	v_mul_f32_e32 v6, 0x2f800000, v4
	v_trunc_f32_e32 v6, v6
	v_fmac_f32_e32 v4, 0xcf800000, v6
	v_cvt_u32_f32_e32 v6, v6
	v_cvt_u32_f32_e32 v4, v4
	v_readfirstlane_b32 s37, v6
	v_readfirstlane_b32 s34, v4
	s_mul_i32 s35, s8, s37
	s_mul_hi_u32 s40, s8, s34
	s_mul_i32 s39, s36, s34
	s_add_i32 s35, s40, s35
	s_mul_i32 s41, s8, s34
	s_add_i32 s35, s35, s39
	s_mul_hi_u32 s40, s34, s41
	s_mul_i32 s42, s34, s35
	s_mul_hi_u32 s39, s34, s35
	s_add_u32 s40, s40, s42
	s_addc_u32 s39, 0, s39
	s_mul_hi_u32 s43, s37, s41
	s_mul_i32 s41, s37, s41
	s_add_u32 s40, s40, s41
	s_mul_hi_u32 s42, s37, s35
	s_addc_u32 s39, s39, s43
	s_addc_u32 s40, s42, 0
	s_mul_i32 s35, s37, s35
	s_add_u32 s35, s39, s35
	s_addc_u32 s39, 0, s40
	s_add_u32 s40, s34, s35
	s_cselect_b64 s[34:35], -1, 0
	s_cmp_lg_u64 s[34:35], 0
	s_addc_u32 s37, s37, s39
	s_mul_i32 s34, s8, s37
	s_mul_hi_u32 s35, s8, s40
	s_add_i32 s34, s35, s34
	s_mul_i32 s36, s36, s40
	s_add_i32 s34, s34, s36
	s_mul_i32 s8, s8, s40
	s_mul_hi_u32 s36, s37, s8
	s_mul_i32 s39, s37, s8
	s_mul_i32 s42, s40, s34
	s_mul_hi_u32 s8, s40, s8
	s_mul_hi_u32 s41, s40, s34
	s_add_u32 s8, s8, s42
	s_addc_u32 s41, 0, s41
	s_add_u32 s8, s8, s39
	s_mul_hi_u32 s35, s37, s34
	s_addc_u32 s8, s41, s36
	s_addc_u32 s35, s35, 0
	s_mul_i32 s34, s37, s34
	s_add_u32 s8, s8, s34
	s_addc_u32 s36, 0, s35
	s_add_u32 s8, s40, s8
	s_cselect_b64 s[34:35], -1, 0
	s_cmp_lg_u64 s[34:35], 0
	s_addc_u32 s34, s37, s36
	s_mul_i32 s36, s38, s34
	s_mul_hi_u32 s37, s38, s8
	s_mul_hi_u32 s35, s38, s34
	s_add_u32 s36, s37, s36
	s_addc_u32 s35, 0, s35
	s_mul_hi_u32 s39, s9, s8
	s_mul_i32 s8, s9, s8
	s_add_u32 s8, s36, s8
	s_mul_hi_u32 s37, s9, s34
	s_addc_u32 s8, s35, s39
	s_addc_u32 s35, s37, 0
	s_mul_i32 s34, s9, s34
	s_add_u32 s8, s8, s34
	s_addc_u32 s34, 0, s35
	s_mul_i32 s34, s80, s34
	s_mul_hi_u32 s35, s80, s8
	s_add_i32 s36, s35, s34
	s_mul_i32 s8, s80, s8
	s_sub_u32 s8, s38, s8
	s_cselect_b64 s[34:35], -1, 0
	s_cmp_lg_u64 s[34:35], 0
	s_subb_u32 s36, s9, s36
	s_sub_u32 s37, s8, s80
	s_cselect_b64 s[34:35], -1, 0
	s_cmp_lg_u64 s[34:35], 0
	s_subb_u32 s39, s36, 0
	;; [unrolled: 4-line block ×3, first 2 shown]
	s_cmp_ge_u32 s37, s80
	s_cselect_b32 s35, -1, 0
	s_cmp_eq_u32 s39, 0
	s_cselect_b32 s35, s35, -1
	s_cmp_lg_u32 s35, 0
	s_cselect_b32 s34, s34, s39
	s_cselect_b32 s37, s40, s37
	s_cmp_ge_u32 s8, s80
	s_cselect_b32 s35, -1, 0
	s_cmp_eq_u32 s36, 0
	s_cselect_b32 s35, s35, -1
	s_cmp_lg_u32 s35, 0
	s_cselect_b32 s35, s34, s36
	s_cselect_b32 s34, s37, s8
	s_cbranch_execnz .LBB117_142
.LBB117_141:                            ;   in Loop: Header=BB117_24 Depth=1
	v_cvt_f32_u32_e32 v4, s80
	s_sub_i32 s8, 0, s80
	v_rcp_iflag_f32_e32 v4, v4
	s_nop 0
	v_mul_f32_e32 v4, 0x4f7ffffe, v4
	v_cvt_u32_f32_e32 v4, v4
	s_nop 0
	v_readfirstlane_b32 s34, v4
	s_mul_i32 s8, s8, s34
	s_mul_hi_u32 s8, s34, s8
	s_add_i32 s34, s34, s8
	s_mul_hi_u32 s8, s38, s34
	s_mul_i32 s8, s8, s80
	s_sub_i32 s8, s38, s8
	s_sub_i32 s34, s8, s80
	s_cmp_ge_u32 s8, s80
	s_cselect_b32 s8, s34, s8
	s_sub_i32 s34, s8, s80
	s_cmp_ge_u32 s8, s80
	s_cselect_b32 s82, s34, s8
	s_mov_b64 s[34:35], s[82:83]
.LBB117_142:                            ;   in Loop: Header=BB117_24 Depth=1
	s_sub_u32 s38, s38, s34
	s_subb_u32 s39, s9, s35
	v_cmp_gt_u64_e32 vcc, s[38:39], v[0:1]
	s_mov_b64 s[34:35], 0
	s_mov_b64 s[8:9], 0
                                        ; implicit-def: $vgpr8_vgpr9
	s_and_saveexec_b64 s[36:37], vcc
	s_cbranch_execz .LBB117_157
; %bb.143:                              ;   in Loop: Header=BB117_24 Depth=1
	v_mov_b32_e32 v16, v37
	v_mov_b64_e32 v[10:11], v[0:1]
                                        ; implicit-def: $sgpr40_sgpr41
	s_branch .LBB117_147
.LBB117_144:                            ;   in Loop: Header=BB117_147 Depth=2
	s_or_b64 exec, exec, s[42:43]
	s_waitcnt lgkmcnt(0)
	s_barrier
	ds_read_b128 v[6:9], v3 offset:3072
	s_waitcnt lgkmcnt(0)
	s_barrier
	v_cmp_neq_f64_e32 vcc, 0, v[6:7]
	s_cbranch_vccnz .LBB117_150
; %bb.145:                              ;   in Loop: Header=BB117_147 Depth=2
	v_lshl_add_u64 v[10:11], v[10:11], 0, s[80:81]
	v_cmp_le_u64_e32 vcc, s[38:39], v[10:11]
	v_add_u32_e32 v16, s64, v16
	s_mov_b64 s[42:43], 0
	s_orn2_b64 s[44:45], vcc, exec
.LBB117_146:                            ;   in Loop: Header=BB117_147 Depth=2
	s_and_b64 s[44:45], exec, s[44:45]
	s_or_b64 s[8:9], s[44:45], s[8:9]
	s_andn2_b64 s[40:41], s[40:41], exec
	s_and_b64 s[42:43], s[42:43], exec
	s_or_b64 s[40:41], s[40:41], s[42:43]
	s_andn2_b64 exec, exec, s[8:9]
	s_cbranch_execz .LBB117_156
.LBB117_147:                            ;   Parent Loop BB117_24 Depth=1
                                        ; =>  This Inner Loop Header: Depth=2
	v_cmp_gt_u64_e32 vcc, s[10:11], v[10:11]
	s_and_saveexec_b64 s[42:43], vcc
	s_cbranch_execz .LBB117_144
; %bb.148:                              ;   in Loop: Header=BB117_147 Depth=2
	ds_read_b64 v[6:7], v16
	s_waitcnt lgkmcnt(0)
	v_ashrrev_i32_e32 v4, 31, v7
	v_or_b32_e32 v8, 0x80000000, v4
	v_xor_b32_e32 v4, v4, v6
	v_xor_b32_e32 v8, v8, v7
	v_cmp_o_f64_e32 vcc, v[6:7], v[6:7]
	s_nop 1
	v_cndmask_b32_e32 v4, -1, v4, vcc
	v_cndmask_b32_e32 v8, -1, v8, vcc
	v_and_b32_e32 v9, v8, v27
	v_and_b32_e32 v8, v4, v26
	v_cmp_eq_u64_e32 vcc, v[8:9], v[24:25]
	s_and_b64 exec, exec, vcc
	s_cbranch_execz .LBB117_144
; %bb.149:                              ;   in Loop: Header=BB117_147 Depth=2
	v_mov_b32_e32 v4, v3
	ds_write_b128 v3, v[4:7] offset:3072
	s_branch .LBB117_144
.LBB117_150:                            ;   in Loop: Header=BB117_147 Depth=2
	s_mov_b64 s[44:45], -1
                                        ; implicit-def: $vgpr10_vgpr11
                                        ; implicit-def: $vgpr16
	s_mov_b64 s[42:43], -1
	s_branch .LBB117_146
.LBB117_151:                            ;   in Loop: Header=BB117_24 Depth=1
                                        ; implicit-def: $sgpr28_sgpr29
	s_branch .LBB117_96
.LBB117_152:                            ;   in Loop: Header=BB117_24 Depth=1
	s_or_b64 exec, exec, s[10:11]
	s_waitcnt lgkmcnt(0)
	s_barrier
	s_mov_b64 s[0:1], exec
	v_readlane_b32 s2, v58, 16
	v_readlane_b32 s3, v58, 17
	s_and_b64 s[2:3], s[0:1], s[2:3]
	s_mov_b64 exec, s[2:3]
	s_cbranch_execz .LBB117_154
; %bb.153:                              ;   in Loop: Header=BB117_24 Depth=1
	ds_read_b32 v6, v3 offset:5144
	s_waitcnt lgkmcnt(0)
	v_ashrrev_i32_e32 v7, 31, v6
	ds_write_b64 v3, v[6:7] offset:5120
.LBB117_154:                            ;   in Loop: Header=BB117_24 Depth=1
	s_or_b64 exec, exec, s[0:1]
	s_waitcnt lgkmcnt(0)
	s_barrier
	s_mov_b64 s[0:1], -1
	s_and_b64 vcc, exec, s[8:9]
	s_cbranch_vccnz .LBB117_40
	s_branch .LBB117_49
.LBB117_155:                            ;   in Loop: Header=BB117_24 Depth=1
                                        ; implicit-def: $sgpr8_sgpr9
	s_branch .LBB117_111
.LBB117_156:                            ;   in Loop: Header=BB117_24 Depth=1
	s_or_b64 exec, exec, s[8:9]
	s_and_b64 s[8:9], s[40:41], exec
.LBB117_157:                            ;   in Loop: Header=BB117_24 Depth=1
	s_or_b64 exec, exec, s[36:37]
.LBB117_158:                            ;   in Loop: Header=BB117_24 Depth=1
	s_and_b64 vcc, exec, s[34:35]
	s_cbranch_vccz .LBB117_173
; %bb.159:                              ;   in Loop: Header=BB117_24 Depth=1
	s_mov_b32 s88, s83
	s_cmp_lg_u64 s[88:89], 0
	s_cbranch_scc0 .LBB117_203
; %bb.160:                              ;   in Loop: Header=BB117_24 Depth=1
	v_cvt_f32_u32_e32 v4, s80
	s_sub_u32 s10, 0, s80
	s_subb_u32 s11, 0, 0
	v_fmac_f32_e32 v4, 0, v43
	v_rcp_f32_e32 v4, v4
	s_nop 0
	v_mul_f32_e32 v4, 0x5f7ffffc, v4
	v_mul_f32_e32 v6, 0x2f800000, v4
	v_trunc_f32_e32 v6, v6
	v_fmac_f32_e32 v4, 0xcf800000, v6
	v_cvt_u32_f32_e32 v6, v6
	v_cvt_u32_f32_e32 v4, v4
	v_readfirstlane_b32 s24, v6
	v_readfirstlane_b32 s0, v4
	s_mul_i32 s1, s10, s24
	s_mul_hi_u32 s34, s10, s0
	s_mul_i32 s25, s11, s0
	s_add_i32 s1, s34, s1
	s_mul_i32 s35, s10, s0
	s_add_i32 s1, s1, s25
	s_mul_hi_u32 s34, s0, s35
	s_mul_i32 s36, s0, s1
	s_mul_hi_u32 s25, s0, s1
	s_add_u32 s34, s34, s36
	s_addc_u32 s25, 0, s25
	s_mul_hi_u32 s37, s24, s35
	s_mul_i32 s35, s24, s35
	s_add_u32 s34, s34, s35
	s_mul_hi_u32 s36, s24, s1
	s_addc_u32 s25, s25, s37
	s_addc_u32 s34, s36, 0
	s_mul_i32 s1, s24, s1
	s_add_u32 s1, s25, s1
	s_addc_u32 s25, 0, s34
	s_add_u32 s34, s0, s1
	s_cselect_b64 s[0:1], -1, 0
	s_cmp_lg_u64 s[0:1], 0
	s_addc_u32 s24, s24, s25
	s_mul_i32 s0, s10, s24
	s_mul_hi_u32 s1, s10, s34
	s_add_i32 s0, s1, s0
	s_mul_i32 s11, s11, s34
	s_add_i32 s0, s0, s11
	s_mul_i32 s10, s10, s34
	s_mul_hi_u32 s11, s24, s10
	s_mul_i32 s25, s24, s10
	s_mul_i32 s36, s34, s0
	s_mul_hi_u32 s10, s34, s10
	s_mul_hi_u32 s35, s34, s0
	s_add_u32 s10, s10, s36
	s_addc_u32 s35, 0, s35
	s_add_u32 s10, s10, s25
	s_mul_hi_u32 s1, s24, s0
	s_addc_u32 s10, s35, s11
	s_addc_u32 s1, s1, 0
	s_mul_i32 s0, s24, s0
	s_add_u32 s0, s10, s0
	s_addc_u32 s10, 0, s1
	s_add_u32 s11, s34, s0
	s_cselect_b64 s[0:1], -1, 0
	s_cmp_lg_u64 s[0:1], 0
	s_addc_u32 s0, s24, s10
	s_mul_i32 s10, s26, s0
	s_mul_hi_u32 s24, s26, s11
	s_mul_hi_u32 s1, s26, s0
	s_add_u32 s10, s24, s10
	s_addc_u32 s1, 0, s1
	s_mul_hi_u32 s25, s89, s11
	s_mul_i32 s11, s89, s11
	s_add_u32 s10, s10, s11
	s_mul_hi_u32 s24, s89, s0
	s_addc_u32 s1, s1, s25
	s_addc_u32 s10, s24, 0
	s_mul_i32 s0, s89, s0
	s_add_u32 s0, s1, s0
	s_addc_u32 s1, 0, s10
	s_mul_i32 s1, s80, s1
	s_mul_hi_u32 s10, s80, s0
	s_add_i32 s10, s10, s1
	s_mul_i32 s0, s80, s0
	s_sub_u32 s11, s26, s0
	s_cselect_b64 s[0:1], -1, 0
	s_cmp_lg_u64 s[0:1], 0
	s_subb_u32 s10, s89, s10
	s_sub_u32 s24, s11, s80
	s_cselect_b64 s[0:1], -1, 0
	s_cmp_lg_u64 s[0:1], 0
	s_subb_u32 s25, s10, 0
	;; [unrolled: 4-line block ×3, first 2 shown]
	s_cmp_ge_u32 s24, s80
	s_cselect_b32 s1, -1, 0
	s_cmp_eq_u32 s25, 0
	s_cselect_b32 s1, s1, -1
	s_cmp_lg_u32 s1, 0
	s_cselect_b32 s0, s0, s25
	s_cselect_b32 s24, s34, s24
	s_cmp_ge_u32 s11, s80
	s_cselect_b32 s1, -1, 0
	s_cmp_eq_u32 s10, 0
	s_cselect_b32 s1, s1, -1
	s_cmp_lg_u32 s1, 0
	s_cselect_b32 s1, s0, s10
	s_cselect_b32 s0, s24, s11
	s_cbranch_execnz .LBB117_162
.LBB117_161:                            ;   in Loop: Header=BB117_24 Depth=1
	v_cvt_f32_u32_e32 v4, s80
	s_sub_i32 s0, 0, s80
	v_rcp_iflag_f32_e32 v4, v4
	s_nop 0
	v_mul_f32_e32 v4, 0x4f7ffffe, v4
	v_cvt_u32_f32_e32 v4, v4
	s_nop 0
	v_readfirstlane_b32 s1, v4
	s_mul_i32 s0, s0, s1
	s_mul_hi_u32 s0, s1, s0
	s_add_i32 s1, s1, s0
	s_mul_hi_u32 s0, s26, s1
	s_mul_i32 s0, s0, s80
	s_sub_i32 s0, s26, s0
	s_sub_i32 s1, s0, s80
	s_cmp_ge_u32 s0, s80
	s_cselect_b32 s0, s1, s0
	s_sub_i32 s1, s0, s80
	s_cmp_ge_u32 s0, s80
	s_cselect_b32 s82, s1, s0
	s_mov_b64 s[0:1], s[82:83]
.LBB117_162:                            ;   in Loop: Header=BB117_24 Depth=1
	s_sub_u32 s10, s26, s0
	s_subb_u32 s11, s89, s1
	v_cmp_gt_u64_e32 vcc, s[10:11], v[0:1]
                                        ; implicit-def: $vgpr8_vgpr9
	s_and_saveexec_b64 s[0:1], vcc
	s_cbranch_execz .LBB117_172
; %bb.163:                              ;   in Loop: Header=BB117_24 Depth=1
	s_mov_b64 s[24:25], 0
	v_mov_b64_e32 v[10:11], v[0:1]
                                        ; implicit-def: $sgpr34_sgpr35
	s_branch .LBB117_167
.LBB117_164:                            ;   in Loop: Header=BB117_167 Depth=2
	s_or_b64 exec, exec, s[36:37]
	s_waitcnt lgkmcnt(0)
	s_barrier
	ds_read_b128 v[6:9], v3 offset:3072
	s_waitcnt lgkmcnt(0)
	s_barrier
	v_cmp_eq_f64_e32 vcc, 0, v[6:7]
	s_cbranch_vccz .LBB117_170
; %bb.165:                              ;   in Loop: Header=BB117_167 Depth=2
	v_lshl_add_u64 v[10:11], v[10:11], 0, s[80:81]
	v_cmp_le_u64_e32 vcc, s[10:11], v[10:11]
	s_mov_b64 s[36:37], 0
	s_orn2_b64 s[38:39], vcc, exec
.LBB117_166:                            ;   in Loop: Header=BB117_167 Depth=2
	s_and_b64 s[38:39], exec, s[38:39]
	s_or_b64 s[24:25], s[38:39], s[24:25]
	s_andn2_b64 s[34:35], s[34:35], exec
	s_and_b64 s[36:37], s[36:37], exec
	s_or_b64 s[34:35], s[34:35], s[36:37]
	s_andn2_b64 exec, exec, s[24:25]
	s_cbranch_execz .LBB117_171
.LBB117_167:                            ;   Parent Loop BB117_24 Depth=1
                                        ; =>  This Inner Loop Header: Depth=2
	v_cmp_gt_u64_e32 vcc, s[52:53], v[10:11]
	s_and_saveexec_b64 s[36:37], vcc
	s_cbranch_execz .LBB117_164
; %bb.168:                              ;   in Loop: Header=BB117_167 Depth=2
	v_mul_lo_u32 v4, v11, s68
	v_mul_lo_u32 v8, v10, s69
	v_mad_u64_u32 v[6:7], s[38:39], v10, s68, 0
	v_add3_u32 v7, v7, v8, v4
	v_lshl_add_u64 v[6:7], v[6:7], 3, s[76:77]
	global_load_dwordx2 v[6:7], v[6:7], off
	s_waitcnt vmcnt(0)
	v_ashrrev_i32_e32 v4, 31, v7
	v_or_b32_e32 v8, 0x80000000, v4
	v_xor_b32_e32 v4, v4, v6
	v_xor_b32_e32 v8, v8, v7
	v_cmp_o_f64_e32 vcc, v[6:7], v[6:7]
	s_nop 1
	v_cndmask_b32_e32 v4, -1, v4, vcc
	v_cndmask_b32_e32 v8, -1, v8, vcc
	v_and_b32_e32 v9, v8, v27
	v_and_b32_e32 v8, v4, v26
	v_cmp_eq_u64_e32 vcc, v[8:9], v[24:25]
	s_and_b64 exec, exec, vcc
	s_cbranch_execz .LBB117_164
; %bb.169:                              ;   in Loop: Header=BB117_167 Depth=2
	v_mov_b32_e32 v4, v3
	ds_write_b128 v3, v[4:7] offset:3072
	s_branch .LBB117_164
.LBB117_170:                            ;   in Loop: Header=BB117_167 Depth=2
	s_mov_b64 s[38:39], -1
                                        ; implicit-def: $vgpr10_vgpr11
	s_mov_b64 s[36:37], -1
	s_branch .LBB117_166
.LBB117_171:                            ;   in Loop: Header=BB117_24 Depth=1
	s_or_b64 exec, exec, s[24:25]
	s_andn2_b64 s[8:9], s[8:9], exec
	s_and_b64 s[10:11], s[34:35], exec
	s_or_b64 s[8:9], s[8:9], s[10:11]
.LBB117_172:                            ;   in Loop: Header=BB117_24 Depth=1
	s_or_b64 exec, exec, s[0:1]
	s_mov_b64 s[0:1], 0
	s_mov_b64 s[24:25], -1
.LBB117_173:                            ;   in Loop: Header=BB117_24 Depth=1
	s_orn2_b64 s[8:9], s[8:9], exec
.LBB117_174:                            ;   in Loop: Header=BB117_24 Depth=1
	s_or_b64 exec, exec, s[28:29]
	s_mov_b64 s[10:11], 0
	s_and_saveexec_b64 s[28:29], s[8:9]
	s_cbranch_execz .LBB117_284
; %bb.175:                              ;   in Loop: Header=BB117_24 Depth=1
	s_xor_b64 s[30:31], s[30:31], -1
	v_mov_b32_e32 v2, 1
	v_mov_b64_e32 v[10:11], 1
	s_and_saveexec_b64 s[8:9], s[30:31]
	s_cbranch_execz .LBB117_185
; %bb.176:                              ;   in Loop: Header=BB117_24 Depth=1
	v_cmp_le_u64_e32 vcc, v[14:15], v[12:13]
	s_and_saveexec_b64 s[10:11], vcc
	s_xor_b64 s[10:11], exec, s[10:11]
	s_cbranch_execz .LBB117_182
; %bb.177:                              ;   in Loop: Header=BB117_24 Depth=1
	ds_read_b64 v[6:7], v3 offset:5120
	s_lshl_b64 s[30:31], 1, s33
	v_and_b32_e32 v2, s23, v25
	v_and_b32_e32 v4, s22, v24
	v_or_b32_e32 v25, s31, v2
	s_waitcnt lgkmcnt(0)
	v_cmp_ne_u64_e32 vcc, 0, v[6:7]
	v_or_b32_e32 v24, s30, v4
	v_or_b32_e32 v27, s13, v27
	;; [unrolled: 1-line block ×3, first 2 shown]
	s_cbranch_vccnz .LBB117_181
; %bb.178:                              ;   in Loop: Header=BB117_24 Depth=1
	s_mov_b64 s[30:31], exec
	v_readlane_b32 s34, v58, 16
	v_readlane_b32 s35, v58, 17
	s_and_b64 s[34:35], s[30:31], s[34:35]
	s_mov_b64 exec, s[34:35]
; %bb.179:                              ;   in Loop: Header=BB117_24 Depth=1
	ds_write_b64 v3, v[12:13] offset:5128
; %bb.180:                              ;   in Loop: Header=BB117_24 Depth=1
	s_or_b64 exec, exec, s[30:31]
	s_waitcnt lgkmcnt(0)
	s_barrier
.LBB117_181:                            ;   in Loop: Header=BB117_24 Depth=1
                                        ; implicit-def: $vgpr10_vgpr11_vgpr12_vgpr13
.LBB117_182:                            ;   in Loop: Header=BB117_24 Depth=1
	s_or_saveexec_b64 s[10:11], s[10:11]
	s_mov_b64 s[30:31], 0
	v_mov_b32_e32 v2, 8
	s_xor_b64 exec, exec, s[10:11]
; %bb.183:                              ;   in Loop: Header=BB117_24 Depth=1
	v_sub_co_u32_e32 v14, vcc, v14, v12
	s_mov_b64 s[30:31], exec
	s_nop 0
	v_subb_co_u32_e32 v15, vcc, v15, v13, vcc
	v_mov_b32_e32 v2, 0
; %bb.184:                              ;   in Loop: Header=BB117_24 Depth=1
	s_or_b64 exec, exec, s[10:11]
	s_and_b64 s[10:11], s[30:31], exec
	v_mov_b64_e32 v[10:11], v[14:15]
.LBB117_185:                            ;   in Loop: Header=BB117_24 Depth=1
	s_or_b64 exec, exec, s[8:9]
	s_mov_b64 s[8:9], -1
                                        ; implicit-def: $sgpr34_sgpr35
                                        ; implicit-def: $sgpr36_sgpr37
	s_and_saveexec_b64 s[30:31], s[10:11]
	s_cbranch_execz .LBB117_283
; %bb.186:                              ;   in Loop: Header=BB117_24 Depth=1
	s_cmp_eq_u64 s[20:21], 1
	s_cselect_b64 s[8:9], -1, 0
	v_cmp_eq_u64_e32 vcc, 1, v[10:11]
	s_and_b64 s[40:41], s[8:9], vcc
	s_mov_b64 s[8:9], -1
                                        ; implicit-def: $sgpr36_sgpr37
                                        ; implicit-def: $sgpr34_sgpr35
	s_and_saveexec_b64 s[38:39], s[40:41]
	s_cbranch_execz .LBB117_222
; %bb.187:                              ;   in Loop: Header=BB117_24 Depth=1
	ds_read_b64 v[6:7], v3 offset:5120
	s_waitcnt lgkmcnt(0)
	s_barrier
	v_readfirstlane_b32 s10, v6
	v_readfirstlane_b32 s11, v7
	s_and_saveexec_b64 s[8:9], s[6:7]
; %bb.188:                              ;   in Loop: Header=BB117_24 Depth=1
	ds_write_b64 v38, v[48:49]
; %bb.189:                              ;   in Loop: Header=BB117_24 Depth=1
	s_or_b64 exec, exec, s[8:9]
	s_lshl_b64 s[8:9], 2, s33
	v_and_b32_e32 v4, s23, v25
	v_and_b32_e32 v6, s22, v24
	v_or_b32_e32 v25, s9, v4
	v_or_b32_e32 v24, s8, v6
	;; [unrolled: 1-line block ×4, first 2 shown]
	s_mov_b64 s[34:35], -1
	s_mov_b64 s[36:37], 0
	s_cmp_eq_u64 s[10:11], 0
	s_mov_b64 s[8:9], 0
	s_mov_b64 s[42:43], -1
	s_waitcnt lgkmcnt(0)
	s_barrier
                                        ; implicit-def: $vgpr8_vgpr9
	s_cbranch_scc1 .LBB117_206
; %bb.190:                              ;   in Loop: Header=BB117_24 Depth=1
	v_readlane_b32 s8, v58, 28
	s_add_u32 s46, s10, s8
	v_readlane_b32 s8, v58, 29
	s_addc_u32 s9, s11, s8
	s_mov_b32 s8, s83
	s_cmp_lg_u64 s[8:9], 0
	s_cbranch_scc0 .LBB117_249
; %bb.191:                              ;   in Loop: Header=BB117_24 Depth=1
	v_cvt_f32_u32_e32 v4, s80
	s_sub_u32 s8, 0, s80
	s_subb_u32 s44, 0, 0
	v_fmac_f32_e32 v4, 0, v43
	v_rcp_f32_e32 v4, v4
	s_nop 0
	v_mul_f32_e32 v4, 0x5f7ffffc, v4
	v_mul_f32_e32 v6, 0x2f800000, v4
	v_trunc_f32_e32 v6, v6
	v_fmac_f32_e32 v4, 0xcf800000, v6
	v_cvt_u32_f32_e32 v6, v6
	v_cvt_u32_f32_e32 v4, v4
	v_readfirstlane_b32 s45, v6
	v_readfirstlane_b32 s42, v4
	s_mul_i32 s43, s8, s45
	s_mul_hi_u32 s48, s8, s42
	s_mul_i32 s47, s44, s42
	s_add_i32 s43, s48, s43
	s_mul_i32 s49, s8, s42
	s_add_i32 s43, s43, s47
	s_mul_hi_u32 s48, s42, s49
	s_mul_i32 s50, s42, s43
	s_mul_hi_u32 s47, s42, s43
	s_add_u32 s48, s48, s50
	s_addc_u32 s47, 0, s47
	s_mul_hi_u32 s51, s45, s49
	s_mul_i32 s49, s45, s49
	s_add_u32 s48, s48, s49
	s_mul_hi_u32 s50, s45, s43
	s_addc_u32 s47, s47, s51
	s_addc_u32 s48, s50, 0
	s_mul_i32 s43, s45, s43
	s_add_u32 s43, s47, s43
	s_addc_u32 s47, 0, s48
	s_add_u32 s48, s42, s43
	s_cselect_b64 s[42:43], -1, 0
	s_cmp_lg_u64 s[42:43], 0
	s_addc_u32 s45, s45, s47
	s_mul_i32 s42, s8, s45
	s_mul_hi_u32 s43, s8, s48
	s_add_i32 s42, s43, s42
	s_mul_i32 s44, s44, s48
	s_add_i32 s42, s42, s44
	s_mul_i32 s8, s8, s48
	s_mul_hi_u32 s44, s45, s8
	s_mul_i32 s47, s45, s8
	s_mul_i32 s50, s48, s42
	s_mul_hi_u32 s8, s48, s8
	s_mul_hi_u32 s49, s48, s42
	s_add_u32 s8, s8, s50
	s_addc_u32 s49, 0, s49
	s_add_u32 s8, s8, s47
	s_mul_hi_u32 s43, s45, s42
	s_addc_u32 s8, s49, s44
	s_addc_u32 s43, s43, 0
	s_mul_i32 s42, s45, s42
	s_add_u32 s8, s8, s42
	s_addc_u32 s44, 0, s43
	s_add_u32 s8, s48, s8
	s_cselect_b64 s[42:43], -1, 0
	s_cmp_lg_u64 s[42:43], 0
	s_addc_u32 s42, s45, s44
	s_mul_i32 s44, s46, s42
	s_mul_hi_u32 s45, s46, s8
	s_mul_hi_u32 s43, s46, s42
	s_add_u32 s44, s45, s44
	s_addc_u32 s43, 0, s43
	s_mul_hi_u32 s47, s9, s8
	s_mul_i32 s8, s9, s8
	s_add_u32 s8, s44, s8
	s_mul_hi_u32 s45, s9, s42
	s_addc_u32 s8, s43, s47
	s_addc_u32 s43, s45, 0
	s_mul_i32 s42, s9, s42
	s_add_u32 s8, s8, s42
	s_addc_u32 s42, 0, s43
	s_mul_i32 s42, s80, s42
	s_mul_hi_u32 s43, s80, s8
	s_add_i32 s44, s43, s42
	s_mul_i32 s8, s80, s8
	s_sub_u32 s8, s46, s8
	s_cselect_b64 s[42:43], -1, 0
	s_cmp_lg_u64 s[42:43], 0
	s_subb_u32 s44, s9, s44
	s_sub_u32 s45, s8, s80
	s_cselect_b64 s[42:43], -1, 0
	s_cmp_lg_u64 s[42:43], 0
	s_subb_u32 s47, s44, 0
	s_sub_u32 s48, s45, s80
	s_cselect_b64 s[42:43], -1, 0
	s_cmp_lg_u64 s[42:43], 0
	s_subb_u32 s42, s47, 0
	s_cmp_ge_u32 s45, s80
	s_cselect_b32 s43, -1, 0
	s_cmp_eq_u32 s47, 0
	s_cselect_b32 s43, s43, -1
	s_cmp_lg_u32 s43, 0
	s_cselect_b32 s42, s42, s47
	s_cselect_b32 s45, s48, s45
	s_cmp_ge_u32 s8, s80
	s_cselect_b32 s43, -1, 0
	s_cmp_eq_u32 s44, 0
	s_cselect_b32 s43, s43, -1
	s_cmp_lg_u32 s43, 0
	s_cselect_b32 s43, s42, s44
	s_cselect_b32 s42, s45, s8
	s_cbranch_execnz .LBB117_193
.LBB117_192:                            ;   in Loop: Header=BB117_24 Depth=1
	v_cvt_f32_u32_e32 v4, s80
	s_sub_i32 s8, 0, s80
	v_rcp_iflag_f32_e32 v4, v4
	s_nop 0
	v_mul_f32_e32 v4, 0x4f7ffffe, v4
	v_cvt_u32_f32_e32 v4, v4
	s_nop 0
	v_readfirstlane_b32 s42, v4
	s_mul_i32 s8, s8, s42
	s_mul_hi_u32 s8, s42, s8
	s_add_i32 s42, s42, s8
	s_mul_hi_u32 s8, s46, s42
	s_mul_i32 s8, s8, s80
	s_sub_i32 s8, s46, s8
	s_sub_i32 s42, s8, s80
	s_cmp_ge_u32 s8, s80
	s_cselect_b32 s8, s42, s8
	s_sub_i32 s42, s8, s80
	s_cmp_ge_u32 s8, s80
	s_cselect_b32 s82, s42, s8
	s_mov_b64 s[42:43], s[82:83]
.LBB117_193:                            ;   in Loop: Header=BB117_24 Depth=1
	s_sub_u32 s46, s46, s42
	s_subb_u32 s47, s9, s43
	v_cmp_gt_u64_e32 vcc, s[46:47], v[0:1]
	s_mov_b64 s[42:43], 0
	s_mov_b64 s[8:9], 0
                                        ; implicit-def: $vgpr8_vgpr9
	s_and_saveexec_b64 s[44:45], vcc
	s_cbranch_execz .LBB117_205
; %bb.194:                              ;   in Loop: Header=BB117_24 Depth=1
	v_mov_b32_e32 v14, v37
	v_mov_b64_e32 v[12:13], v[0:1]
                                        ; implicit-def: $sgpr48_sgpr49
	s_branch .LBB117_198
.LBB117_195:                            ;   in Loop: Header=BB117_198 Depth=2
	s_or_b64 exec, exec, s[50:51]
	s_waitcnt lgkmcnt(0)
	s_barrier
	ds_read_b128 v[6:9], v3 offset:3072
	s_waitcnt lgkmcnt(0)
	s_barrier
	v_cmp_neq_f64_e32 vcc, 0, v[6:7]
	s_cbranch_vccnz .LBB117_201
; %bb.196:                              ;   in Loop: Header=BB117_198 Depth=2
	v_lshl_add_u64 v[12:13], v[12:13], 0, s[80:81]
	v_cmp_le_u64_e32 vcc, s[46:47], v[12:13]
	v_add_u32_e32 v14, s64, v14
	s_mov_b64 s[50:51], 0
	s_orn2_b64 s[54:55], vcc, exec
.LBB117_197:                            ;   in Loop: Header=BB117_198 Depth=2
	s_and_b64 s[54:55], exec, s[54:55]
	s_or_b64 s[8:9], s[54:55], s[8:9]
	s_andn2_b64 s[48:49], s[48:49], exec
	s_and_b64 s[50:51], s[50:51], exec
	s_or_b64 s[48:49], s[48:49], s[50:51]
	s_andn2_b64 exec, exec, s[8:9]
	s_cbranch_execz .LBB117_204
.LBB117_198:                            ;   Parent Loop BB117_24 Depth=1
                                        ; =>  This Inner Loop Header: Depth=2
	v_cmp_gt_u64_e32 vcc, s[10:11], v[12:13]
	s_and_saveexec_b64 s[50:51], vcc
	s_cbranch_execz .LBB117_195
; %bb.199:                              ;   in Loop: Header=BB117_198 Depth=2
	ds_read_b64 v[6:7], v14
	s_waitcnt lgkmcnt(0)
	v_ashrrev_i32_e32 v4, 31, v7
	v_or_b32_e32 v8, 0x80000000, v4
	v_xor_b32_e32 v4, v4, v6
	v_xor_b32_e32 v8, v8, v7
	v_cmp_o_f64_e32 vcc, v[6:7], v[6:7]
	s_nop 1
	v_cndmask_b32_e32 v4, -1, v4, vcc
	v_cndmask_b32_e32 v8, -1, v8, vcc
	v_and_b32_e32 v9, v8, v27
	v_and_b32_e32 v8, v4, v26
	v_cmp_eq_u64_e32 vcc, v[8:9], v[24:25]
	s_and_b64 exec, exec, vcc
	s_cbranch_execz .LBB117_195
; %bb.200:                              ;   in Loop: Header=BB117_198 Depth=2
	v_mov_b32_e32 v4, v3
	ds_write_b128 v3, v[4:7] offset:3072
	s_branch .LBB117_195
.LBB117_201:                            ;   in Loop: Header=BB117_198 Depth=2
	s_mov_b64 s[54:55], -1
                                        ; implicit-def: $vgpr12_vgpr13
                                        ; implicit-def: $vgpr14
	s_mov_b64 s[50:51], -1
	s_branch .LBB117_197
.LBB117_202:                            ;   in Loop: Header=BB117_24 Depth=1
                                        ; implicit-def: $sgpr34_sgpr35
	s_branch .LBB117_141
.LBB117_203:                            ;   in Loop: Header=BB117_24 Depth=1
                                        ; implicit-def: $sgpr0_sgpr1
	s_branch .LBB117_161
.LBB117_204:                            ;   in Loop: Header=BB117_24 Depth=1
	s_or_b64 exec, exec, s[8:9]
	s_and_b64 s[8:9], s[48:49], exec
.LBB117_205:                            ;   in Loop: Header=BB117_24 Depth=1
	s_or_b64 exec, exec, s[44:45]
.LBB117_206:                            ;   in Loop: Header=BB117_24 Depth=1
	s_and_b64 vcc, exec, s[42:43]
	s_cbranch_vccz .LBB117_221
; %bb.207:                              ;   in Loop: Header=BB117_24 Depth=1
	s_mov_b32 s88, s83
	s_cmp_lg_u64 s[88:89], 0
	s_cbranch_scc0 .LBB117_250
; %bb.208:                              ;   in Loop: Header=BB117_24 Depth=1
	v_cvt_f32_u32_e32 v4, s80
	s_sub_u32 s34, 0, s80
	s_subb_u32 s35, 0, 0
	v_fmac_f32_e32 v4, 0, v43
	v_rcp_f32_e32 v4, v4
	s_nop 0
	v_mul_f32_e32 v4, 0x5f7ffffc, v4
	v_mul_f32_e32 v6, 0x2f800000, v4
	v_trunc_f32_e32 v6, v6
	v_fmac_f32_e32 v4, 0xcf800000, v6
	v_cvt_u32_f32_e32 v6, v6
	v_cvt_u32_f32_e32 v4, v4
	v_readfirstlane_b32 s36, v6
	v_readfirstlane_b32 s10, v4
	s_mul_i32 s11, s34, s36
	s_mul_hi_u32 s42, s34, s10
	s_mul_i32 s37, s35, s10
	s_add_i32 s11, s42, s11
	s_mul_i32 s43, s34, s10
	s_add_i32 s11, s11, s37
	s_mul_hi_u32 s42, s10, s43
	s_mul_i32 s44, s10, s11
	s_mul_hi_u32 s37, s10, s11
	s_add_u32 s42, s42, s44
	s_addc_u32 s37, 0, s37
	s_mul_hi_u32 s45, s36, s43
	s_mul_i32 s43, s36, s43
	s_add_u32 s42, s42, s43
	s_mul_hi_u32 s44, s36, s11
	s_addc_u32 s37, s37, s45
	s_addc_u32 s42, s44, 0
	s_mul_i32 s11, s36, s11
	s_add_u32 s11, s37, s11
	s_addc_u32 s37, 0, s42
	s_add_u32 s42, s10, s11
	s_cselect_b64 s[10:11], -1, 0
	s_cmp_lg_u64 s[10:11], 0
	s_addc_u32 s36, s36, s37
	s_mul_i32 s10, s34, s36
	s_mul_hi_u32 s11, s34, s42
	s_add_i32 s10, s11, s10
	s_mul_i32 s35, s35, s42
	s_add_i32 s10, s10, s35
	s_mul_i32 s34, s34, s42
	s_mul_hi_u32 s35, s36, s34
	s_mul_i32 s37, s36, s34
	s_mul_i32 s44, s42, s10
	s_mul_hi_u32 s34, s42, s34
	s_mul_hi_u32 s43, s42, s10
	s_add_u32 s34, s34, s44
	s_addc_u32 s43, 0, s43
	s_add_u32 s34, s34, s37
	s_mul_hi_u32 s11, s36, s10
	s_addc_u32 s34, s43, s35
	s_addc_u32 s11, s11, 0
	s_mul_i32 s10, s36, s10
	s_add_u32 s10, s34, s10
	s_addc_u32 s34, 0, s11
	s_add_u32 s35, s42, s10
	s_cselect_b64 s[10:11], -1, 0
	s_cmp_lg_u64 s[10:11], 0
	s_addc_u32 s10, s36, s34
	s_mul_i32 s34, s26, s10
	s_mul_hi_u32 s36, s26, s35
	s_mul_hi_u32 s11, s26, s10
	s_add_u32 s34, s36, s34
	s_addc_u32 s11, 0, s11
	s_mul_hi_u32 s37, s89, s35
	s_mul_i32 s35, s89, s35
	s_add_u32 s34, s34, s35
	s_mul_hi_u32 s36, s89, s10
	s_addc_u32 s11, s11, s37
	s_addc_u32 s34, s36, 0
	s_mul_i32 s10, s89, s10
	s_add_u32 s10, s11, s10
	s_addc_u32 s11, 0, s34
	s_mul_i32 s11, s80, s11
	s_mul_hi_u32 s34, s80, s10
	s_add_i32 s34, s34, s11
	s_mul_i32 s10, s80, s10
	s_sub_u32 s35, s26, s10
	s_cselect_b64 s[10:11], -1, 0
	s_cmp_lg_u64 s[10:11], 0
	s_subb_u32 s34, s89, s34
	s_sub_u32 s36, s35, s80
	s_cselect_b64 s[10:11], -1, 0
	s_cmp_lg_u64 s[10:11], 0
	s_subb_u32 s37, s34, 0
	;; [unrolled: 4-line block ×3, first 2 shown]
	s_cmp_ge_u32 s36, s80
	s_cselect_b32 s11, -1, 0
	s_cmp_eq_u32 s37, 0
	s_cselect_b32 s11, s11, -1
	s_cmp_lg_u32 s11, 0
	s_cselect_b32 s10, s10, s37
	s_cselect_b32 s36, s42, s36
	s_cmp_ge_u32 s35, s80
	s_cselect_b32 s11, -1, 0
	s_cmp_eq_u32 s34, 0
	s_cselect_b32 s11, s11, -1
	s_cmp_lg_u32 s11, 0
	s_cselect_b32 s11, s10, s34
	s_cselect_b32 s10, s36, s35
	s_cbranch_execnz .LBB117_210
.LBB117_209:                            ;   in Loop: Header=BB117_24 Depth=1
	v_cvt_f32_u32_e32 v4, s80
	s_sub_i32 s10, 0, s80
	v_rcp_iflag_f32_e32 v4, v4
	s_nop 0
	v_mul_f32_e32 v4, 0x4f7ffffe, v4
	v_cvt_u32_f32_e32 v4, v4
	s_nop 0
	v_readfirstlane_b32 s11, v4
	s_mul_i32 s10, s10, s11
	s_mul_hi_u32 s10, s11, s10
	s_add_i32 s11, s11, s10
	s_mul_hi_u32 s10, s26, s11
	s_mul_i32 s10, s10, s80
	s_sub_i32 s10, s26, s10
	s_sub_i32 s11, s10, s80
	s_cmp_ge_u32 s10, s80
	s_cselect_b32 s10, s11, s10
	s_sub_i32 s11, s10, s80
	s_cmp_ge_u32 s10, s80
	s_cselect_b32 s82, s11, s10
	s_mov_b64 s[10:11], s[82:83]
.LBB117_210:                            ;   in Loop: Header=BB117_24 Depth=1
	s_sub_u32 s34, s26, s10
	s_subb_u32 s35, s89, s11
	v_cmp_gt_u64_e32 vcc, s[34:35], v[0:1]
                                        ; implicit-def: $vgpr8_vgpr9
	s_and_saveexec_b64 s[10:11], vcc
	s_cbranch_execz .LBB117_220
; %bb.211:                              ;   in Loop: Header=BB117_24 Depth=1
	s_mov_b64 s[36:37], 0
	v_mov_b64_e32 v[12:13], v[0:1]
                                        ; implicit-def: $sgpr42_sgpr43
	s_branch .LBB117_215
.LBB117_212:                            ;   in Loop: Header=BB117_215 Depth=2
	s_or_b64 exec, exec, s[44:45]
	s_waitcnt lgkmcnt(0)
	s_barrier
	ds_read_b128 v[6:9], v3 offset:3072
	s_waitcnt lgkmcnt(0)
	s_barrier
	v_cmp_eq_f64_e32 vcc, 0, v[6:7]
	s_cbranch_vccz .LBB117_218
; %bb.213:                              ;   in Loop: Header=BB117_215 Depth=2
	v_lshl_add_u64 v[12:13], v[12:13], 0, s[80:81]
	v_cmp_le_u64_e32 vcc, s[34:35], v[12:13]
	s_mov_b64 s[44:45], 0
	s_orn2_b64 s[46:47], vcc, exec
.LBB117_214:                            ;   in Loop: Header=BB117_215 Depth=2
	s_and_b64 s[46:47], exec, s[46:47]
	s_or_b64 s[36:37], s[46:47], s[36:37]
	s_andn2_b64 s[42:43], s[42:43], exec
	s_and_b64 s[44:45], s[44:45], exec
	s_or_b64 s[42:43], s[42:43], s[44:45]
	s_andn2_b64 exec, exec, s[36:37]
	s_cbranch_execz .LBB117_219
.LBB117_215:                            ;   Parent Loop BB117_24 Depth=1
                                        ; =>  This Inner Loop Header: Depth=2
	v_cmp_gt_u64_e32 vcc, s[52:53], v[12:13]
	s_and_saveexec_b64 s[44:45], vcc
	s_cbranch_execz .LBB117_212
; %bb.216:                              ;   in Loop: Header=BB117_215 Depth=2
	v_mul_lo_u32 v4, v13, s68
	v_mul_lo_u32 v8, v12, s69
	v_mad_u64_u32 v[6:7], s[46:47], v12, s68, 0
	v_add3_u32 v7, v7, v8, v4
	v_lshl_add_u64 v[6:7], v[6:7], 3, s[76:77]
	global_load_dwordx2 v[6:7], v[6:7], off
	s_waitcnt vmcnt(0)
	v_ashrrev_i32_e32 v4, 31, v7
	v_or_b32_e32 v8, 0x80000000, v4
	v_xor_b32_e32 v4, v4, v6
	v_xor_b32_e32 v8, v8, v7
	v_cmp_o_f64_e32 vcc, v[6:7], v[6:7]
	s_nop 1
	v_cndmask_b32_e32 v4, -1, v4, vcc
	v_cndmask_b32_e32 v8, -1, v8, vcc
	v_and_b32_e32 v9, v8, v27
	v_and_b32_e32 v8, v4, v26
	v_cmp_eq_u64_e32 vcc, v[8:9], v[24:25]
	s_and_b64 exec, exec, vcc
	s_cbranch_execz .LBB117_212
; %bb.217:                              ;   in Loop: Header=BB117_215 Depth=2
	v_mov_b32_e32 v4, v3
	ds_write_b128 v3, v[4:7] offset:3072
	s_branch .LBB117_212
.LBB117_218:                            ;   in Loop: Header=BB117_215 Depth=2
	s_mov_b64 s[46:47], -1
                                        ; implicit-def: $vgpr12_vgpr13
	s_mov_b64 s[44:45], -1
	s_branch .LBB117_214
.LBB117_219:                            ;   in Loop: Header=BB117_24 Depth=1
	s_or_b64 exec, exec, s[36:37]
	s_andn2_b64 s[8:9], s[8:9], exec
	s_and_b64 s[34:35], s[42:43], exec
	s_or_b64 s[8:9], s[8:9], s[34:35]
.LBB117_220:                            ;   in Loop: Header=BB117_24 Depth=1
	s_or_b64 exec, exec, s[10:11]
	s_mov_b64 s[34:35], 0
	s_mov_b64 s[36:37], -1
.LBB117_221:                            ;   in Loop: Header=BB117_24 Depth=1
	s_orn2_b64 s[8:9], s[8:9], exec
.LBB117_222:                            ;   in Loop: Header=BB117_24 Depth=1
	s_or_b64 exec, exec, s[38:39]
	s_mov_b64 s[10:11], 0
	s_and_saveexec_b64 s[38:39], s[8:9]
	s_cbranch_execz .LBB117_282
; %bb.223:                              ;   in Loop: Header=BB117_24 Depth=1
	s_xor_b64 s[40:41], s[40:41], -1
	v_mov_b32_e32 v2, 1
	v_mov_b64_e32 v[12:13], 1
	s_and_saveexec_b64 s[8:9], s[40:41]
	s_cbranch_execz .LBB117_232
; %bb.224:                              ;   in Loop: Header=BB117_24 Depth=1
	v_cmp_ge_u64_e32 vcc, s[20:21], v[10:11]
	s_and_saveexec_b64 s[10:11], vcc
	s_xor_b64 s[10:11], exec, s[10:11]
	s_cbranch_execz .LBB117_229
; %bb.225:                              ;   in Loop: Header=BB117_24 Depth=1
	ds_read_b64 v[6:7], v3 offset:5120
	s_lshl_b64 s[40:41], 2, s33
	v_and_b32_e32 v2, s23, v25
	v_and_b32_e32 v4, s22, v24
	v_or_b32_e32 v25, s41, v2
	s_waitcnt lgkmcnt(0)
	v_cmp_ne_u64_e32 vcc, 0, v[6:7]
	v_or_b32_e32 v24, s40, v4
	v_or_b32_e32 v27, s13, v27
	;; [unrolled: 1-line block ×3, first 2 shown]
	s_cbranch_vccnz .LBB117_229
; %bb.226:                              ;   in Loop: Header=BB117_24 Depth=1
	s_mov_b64 s[22:23], exec
	v_readlane_b32 s40, v58, 16
	v_readlane_b32 s41, v58, 17
	s_and_b64 s[40:41], s[22:23], s[40:41]
	s_mov_b64 exec, s[40:41]
; %bb.227:                              ;   in Loop: Header=BB117_24 Depth=1
	v_mov_b64_e32 v[6:7], s[20:21]
	ds_write_b64 v3, v[6:7] offset:5128
; %bb.228:                              ;   in Loop: Header=BB117_24 Depth=1
	s_or_b64 exec, exec, s[22:23]
	s_waitcnt lgkmcnt(0)
	s_barrier
.LBB117_229:                            ;   in Loop: Header=BB117_24 Depth=1
	s_or_saveexec_b64 s[10:11], s[10:11]
	s_mov_b64 s[22:23], 0
	v_mov_b32_e32 v2, 8
	s_xor_b64 exec, exec, s[10:11]
; %bb.230:                              ;   in Loop: Header=BB117_24 Depth=1
	v_mov_b32_e32 v2, s21
	v_subrev_co_u32_e32 v10, vcc, s20, v10
	s_mov_b64 s[22:23], exec
	s_nop 0
	v_subb_co_u32_e32 v11, vcc, v11, v2, vcc
	v_mov_b32_e32 v2, 0
; %bb.231:                              ;   in Loop: Header=BB117_24 Depth=1
	s_or_b64 exec, exec, s[10:11]
	s_and_b64 s[10:11], s[22:23], exec
	v_mov_b64_e32 v[12:13], v[10:11]
.LBB117_232:                            ;   in Loop: Header=BB117_24 Depth=1
	s_or_b64 exec, exec, s[8:9]
	s_mov_b64 s[8:9], -1
                                        ; implicit-def: $sgpr44_sgpr45
                                        ; implicit-def: $sgpr42_sgpr43
	s_and_saveexec_b64 s[20:21], s[10:11]
	s_cbranch_execz .LBB117_281
; %bb.233:                              ;   in Loop: Header=BB117_24 Depth=1
	s_cmp_eq_u64 s[2:3], 1
	s_cselect_b64 s[8:9], -1, 0
	v_cmp_eq_u64_e32 vcc, 1, v[12:13]
	s_and_b64 s[22:23], s[8:9], vcc
	s_mov_b64 s[10:11], -1
                                        ; implicit-def: $sgpr44_sgpr45
                                        ; implicit-def: $sgpr42_sgpr43
	s_and_saveexec_b64 s[40:41], s[22:23]
	s_cbranch_execz .LBB117_269
; %bb.234:                              ;   in Loop: Header=BB117_24 Depth=1
	ds_read_b64 v[6:7], v3 offset:5120
	s_waitcnt lgkmcnt(0)
	s_barrier
	v_readfirstlane_b32 s10, v6
	v_readfirstlane_b32 s11, v7
	s_and_saveexec_b64 s[8:9], s[6:7]
; %bb.235:                              ;   in Loop: Header=BB117_24 Depth=1
	ds_write_b64 v38, v[48:49]
; %bb.236:                              ;   in Loop: Header=BB117_24 Depth=1
	s_or_b64 exec, exec, s[8:9]
	v_or_b32_e32 v25, s13, v25
	v_or_b32_e32 v24, s12, v24
	;; [unrolled: 1-line block ×4, first 2 shown]
	s_mov_b64 s[42:43], -1
	s_mov_b64 s[44:45], 0
	s_cmp_eq_u64 s[10:11], 0
	s_mov_b64 s[8:9], 0
	s_mov_b64 s[46:47], -1
	s_waitcnt lgkmcnt(0)
	s_barrier
                                        ; implicit-def: $vgpr8_vgpr9
	s_cbranch_scc1 .LBB117_253
; %bb.237:                              ;   in Loop: Header=BB117_24 Depth=1
	v_readlane_b32 s8, v58, 28
	s_add_u32 s50, s10, s8
	v_readlane_b32 s8, v58, 29
	s_addc_u32 s9, s11, s8
	s_mov_b32 s8, s83
	s_cmp_lg_u64 s[8:9], 0
	s_cbranch_scc0 .LBB117_288
; %bb.238:                              ;   in Loop: Header=BB117_24 Depth=1
	v_cvt_f32_u32_e32 v4, s80
	s_sub_u32 s8, 0, s80
	s_subb_u32 s48, 0, 0
	v_fmac_f32_e32 v4, 0, v43
	v_rcp_f32_e32 v4, v4
	s_nop 0
	v_mul_f32_e32 v4, 0x5f7ffffc, v4
	v_mul_f32_e32 v6, 0x2f800000, v4
	v_trunc_f32_e32 v6, v6
	v_fmac_f32_e32 v4, 0xcf800000, v6
	v_cvt_u32_f32_e32 v6, v6
	v_cvt_u32_f32_e32 v4, v4
	v_readfirstlane_b32 s49, v6
	v_readfirstlane_b32 s46, v4
	s_mul_i32 s47, s8, s49
	s_mul_hi_u32 s54, s8, s46
	s_mul_i32 s51, s48, s46
	s_add_i32 s47, s54, s47
	s_mul_i32 s55, s8, s46
	s_add_i32 s47, s47, s51
	s_mul_hi_u32 s54, s46, s55
	s_mul_i32 s60, s46, s47
	s_mul_hi_u32 s51, s46, s47
	s_add_u32 s54, s54, s60
	s_addc_u32 s51, 0, s51
	s_mul_hi_u32 s61, s49, s55
	s_mul_i32 s55, s49, s55
	s_add_u32 s54, s54, s55
	s_mul_hi_u32 s60, s49, s47
	s_addc_u32 s51, s51, s61
	s_addc_u32 s54, s60, 0
	s_mul_i32 s47, s49, s47
	s_add_u32 s47, s51, s47
	s_addc_u32 s51, 0, s54
	s_add_u32 s54, s46, s47
	s_cselect_b64 s[46:47], -1, 0
	s_cmp_lg_u64 s[46:47], 0
	s_addc_u32 s49, s49, s51
	s_mul_i32 s46, s8, s49
	s_mul_hi_u32 s47, s8, s54
	s_add_i32 s46, s47, s46
	s_mul_i32 s48, s48, s54
	s_add_i32 s46, s46, s48
	s_mul_i32 s8, s8, s54
	s_mul_hi_u32 s48, s49, s8
	s_mul_i32 s51, s49, s8
	s_mul_i32 s60, s54, s46
	s_mul_hi_u32 s8, s54, s8
	s_mul_hi_u32 s55, s54, s46
	s_add_u32 s8, s8, s60
	s_addc_u32 s55, 0, s55
	s_add_u32 s8, s8, s51
	s_mul_hi_u32 s47, s49, s46
	s_addc_u32 s8, s55, s48
	s_addc_u32 s47, s47, 0
	s_mul_i32 s46, s49, s46
	s_add_u32 s8, s8, s46
	s_addc_u32 s48, 0, s47
	s_add_u32 s8, s54, s8
	s_cselect_b64 s[46:47], -1, 0
	s_cmp_lg_u64 s[46:47], 0
	s_addc_u32 s46, s49, s48
	s_mul_i32 s48, s50, s46
	s_mul_hi_u32 s49, s50, s8
	s_mul_hi_u32 s47, s50, s46
	s_add_u32 s48, s49, s48
	s_addc_u32 s47, 0, s47
	s_mul_hi_u32 s51, s9, s8
	s_mul_i32 s8, s9, s8
	s_add_u32 s8, s48, s8
	s_mul_hi_u32 s49, s9, s46
	s_addc_u32 s8, s47, s51
	s_addc_u32 s47, s49, 0
	s_mul_i32 s46, s9, s46
	s_add_u32 s8, s8, s46
	s_addc_u32 s46, 0, s47
	s_mul_i32 s46, s80, s46
	s_mul_hi_u32 s47, s80, s8
	s_add_i32 s48, s47, s46
	s_mul_i32 s8, s80, s8
	s_sub_u32 s8, s50, s8
	s_cselect_b64 s[46:47], -1, 0
	s_cmp_lg_u64 s[46:47], 0
	s_subb_u32 s48, s9, s48
	s_sub_u32 s49, s8, s80
	s_cselect_b64 s[46:47], -1, 0
	s_cmp_lg_u64 s[46:47], 0
	s_subb_u32 s51, s48, 0
	;; [unrolled: 4-line block ×3, first 2 shown]
	s_cmp_ge_u32 s49, s80
	s_cselect_b32 s47, -1, 0
	s_cmp_eq_u32 s51, 0
	s_cselect_b32 s47, s47, -1
	s_cmp_lg_u32 s47, 0
	s_cselect_b32 s46, s46, s51
	s_cselect_b32 s49, s54, s49
	s_cmp_ge_u32 s8, s80
	s_cselect_b32 s47, -1, 0
	s_cmp_eq_u32 s48, 0
	s_cselect_b32 s47, s47, -1
	s_cmp_lg_u32 s47, 0
	s_cselect_b32 s47, s46, s48
	s_cselect_b32 s46, s49, s8
	s_cbranch_execnz .LBB117_240
.LBB117_239:                            ;   in Loop: Header=BB117_24 Depth=1
	v_cvt_f32_u32_e32 v4, s80
	s_sub_i32 s8, 0, s80
	v_rcp_iflag_f32_e32 v4, v4
	s_nop 0
	v_mul_f32_e32 v4, 0x4f7ffffe, v4
	v_cvt_u32_f32_e32 v4, v4
	s_nop 0
	v_readfirstlane_b32 s46, v4
	s_mul_i32 s8, s8, s46
	s_mul_hi_u32 s8, s46, s8
	s_add_i32 s46, s46, s8
	s_mul_hi_u32 s8, s50, s46
	s_mul_i32 s8, s8, s80
	s_sub_i32 s8, s50, s8
	s_sub_i32 s46, s8, s80
	s_cmp_ge_u32 s8, s80
	s_cselect_b32 s8, s46, s8
	s_sub_i32 s46, s8, s80
	s_cmp_ge_u32 s8, s80
	s_cselect_b32 s82, s46, s8
	s_mov_b64 s[46:47], s[82:83]
.LBB117_240:                            ;   in Loop: Header=BB117_24 Depth=1
	s_sub_u32 s50, s50, s46
	s_subb_u32 s51, s9, s47
	v_cmp_gt_u64_e32 vcc, s[50:51], v[0:1]
	s_mov_b64 s[46:47], 0
	s_mov_b64 s[8:9], 0
                                        ; implicit-def: $vgpr8_vgpr9
	s_and_saveexec_b64 s[48:49], vcc
	s_cbranch_execz .LBB117_252
; %bb.241:                              ;   in Loop: Header=BB117_24 Depth=1
	v_mov_b32_e32 v14, v37
	v_mov_b64_e32 v[10:11], v[0:1]
                                        ; implicit-def: $sgpr54_sgpr55
	s_branch .LBB117_245
.LBB117_242:                            ;   in Loop: Header=BB117_245 Depth=2
	s_or_b64 exec, exec, s[60:61]
	s_waitcnt lgkmcnt(0)
	s_barrier
	ds_read_b128 v[6:9], v3 offset:3072
	s_waitcnt lgkmcnt(0)
	s_barrier
	v_cmp_neq_f64_e32 vcc, 0, v[6:7]
	s_cbranch_vccnz .LBB117_248
; %bb.243:                              ;   in Loop: Header=BB117_245 Depth=2
	v_lshl_add_u64 v[10:11], v[10:11], 0, s[80:81]
	v_cmp_le_u64_e32 vcc, s[50:51], v[10:11]
	v_add_u32_e32 v14, s64, v14
	s_mov_b64 s[60:61], 0
	s_orn2_b64 s[62:63], vcc, exec
.LBB117_244:                            ;   in Loop: Header=BB117_245 Depth=2
	s_and_b64 s[62:63], exec, s[62:63]
	s_or_b64 s[8:9], s[62:63], s[8:9]
	s_andn2_b64 s[54:55], s[54:55], exec
	s_and_b64 s[60:61], s[60:61], exec
	s_or_b64 s[54:55], s[54:55], s[60:61]
	s_andn2_b64 exec, exec, s[8:9]
	s_cbranch_execz .LBB117_251
.LBB117_245:                            ;   Parent Loop BB117_24 Depth=1
                                        ; =>  This Inner Loop Header: Depth=2
	v_cmp_gt_u64_e32 vcc, s[10:11], v[10:11]
	s_and_saveexec_b64 s[60:61], vcc
	s_cbranch_execz .LBB117_242
; %bb.246:                              ;   in Loop: Header=BB117_245 Depth=2
	ds_read_b64 v[6:7], v14
	s_waitcnt lgkmcnt(0)
	v_ashrrev_i32_e32 v4, 31, v7
	v_or_b32_e32 v8, 0x80000000, v4
	v_xor_b32_e32 v4, v4, v6
	v_xor_b32_e32 v8, v8, v7
	v_cmp_o_f64_e32 vcc, v[6:7], v[6:7]
	s_nop 1
	v_cndmask_b32_e32 v4, -1, v4, vcc
	v_cndmask_b32_e32 v8, -1, v8, vcc
	v_and_b32_e32 v9, v8, v27
	v_and_b32_e32 v8, v4, v26
	v_cmp_eq_u64_e32 vcc, v[8:9], v[24:25]
	s_and_b64 exec, exec, vcc
	s_cbranch_execz .LBB117_242
; %bb.247:                              ;   in Loop: Header=BB117_245 Depth=2
	v_mov_b32_e32 v4, v3
	ds_write_b128 v3, v[4:7] offset:3072
	s_branch .LBB117_242
.LBB117_248:                            ;   in Loop: Header=BB117_245 Depth=2
	s_mov_b64 s[62:63], -1
                                        ; implicit-def: $vgpr10_vgpr11
                                        ; implicit-def: $vgpr14
	s_mov_b64 s[60:61], -1
	s_branch .LBB117_244
.LBB117_249:                            ;   in Loop: Header=BB117_24 Depth=1
                                        ; implicit-def: $sgpr42_sgpr43
	s_branch .LBB117_192
.LBB117_250:                            ;   in Loop: Header=BB117_24 Depth=1
                                        ; implicit-def: $sgpr10_sgpr11
	s_branch .LBB117_209
.LBB117_251:                            ;   in Loop: Header=BB117_24 Depth=1
	s_or_b64 exec, exec, s[8:9]
	s_and_b64 s[8:9], s[54:55], exec
.LBB117_252:                            ;   in Loop: Header=BB117_24 Depth=1
	s_or_b64 exec, exec, s[48:49]
.LBB117_253:                            ;   in Loop: Header=BB117_24 Depth=1
	s_and_b64 vcc, exec, s[46:47]
	s_cbranch_vccz .LBB117_268
; %bb.254:                              ;   in Loop: Header=BB117_24 Depth=1
	s_mov_b32 s88, s83
	s_cmp_lg_u64 s[88:89], 0
	s_cbranch_scc0 .LBB117_289
; %bb.255:                              ;   in Loop: Header=BB117_24 Depth=1
	v_cvt_f32_u32_e32 v4, s80
	s_sub_u32 s42, 0, s80
	s_subb_u32 s43, 0, 0
	v_fmac_f32_e32 v4, 0, v43
	v_rcp_f32_e32 v4, v4
	s_nop 0
	v_mul_f32_e32 v4, 0x5f7ffffc, v4
	v_mul_f32_e32 v6, 0x2f800000, v4
	v_trunc_f32_e32 v6, v6
	v_fmac_f32_e32 v4, 0xcf800000, v6
	v_cvt_u32_f32_e32 v6, v6
	v_cvt_u32_f32_e32 v4, v4
	v_readfirstlane_b32 s44, v6
	v_readfirstlane_b32 s10, v4
	s_mul_i32 s11, s42, s44
	s_mul_hi_u32 s46, s42, s10
	s_mul_i32 s45, s43, s10
	s_add_i32 s11, s46, s11
	s_mul_i32 s47, s42, s10
	s_add_i32 s11, s11, s45
	s_mul_hi_u32 s46, s10, s47
	s_mul_i32 s48, s10, s11
	s_mul_hi_u32 s45, s10, s11
	s_add_u32 s46, s46, s48
	s_addc_u32 s45, 0, s45
	s_mul_hi_u32 s49, s44, s47
	s_mul_i32 s47, s44, s47
	s_add_u32 s46, s46, s47
	s_mul_hi_u32 s48, s44, s11
	s_addc_u32 s45, s45, s49
	s_addc_u32 s46, s48, 0
	s_mul_i32 s11, s44, s11
	s_add_u32 s11, s45, s11
	s_addc_u32 s45, 0, s46
	s_add_u32 s46, s10, s11
	s_cselect_b64 s[10:11], -1, 0
	s_cmp_lg_u64 s[10:11], 0
	s_addc_u32 s44, s44, s45
	s_mul_i32 s10, s42, s44
	s_mul_hi_u32 s11, s42, s46
	s_add_i32 s10, s11, s10
	s_mul_i32 s43, s43, s46
	s_add_i32 s10, s10, s43
	s_mul_i32 s42, s42, s46
	s_mul_hi_u32 s43, s44, s42
	s_mul_i32 s45, s44, s42
	s_mul_i32 s48, s46, s10
	s_mul_hi_u32 s42, s46, s42
	s_mul_hi_u32 s47, s46, s10
	s_add_u32 s42, s42, s48
	s_addc_u32 s47, 0, s47
	s_add_u32 s42, s42, s45
	s_mul_hi_u32 s11, s44, s10
	s_addc_u32 s42, s47, s43
	s_addc_u32 s11, s11, 0
	s_mul_i32 s10, s44, s10
	s_add_u32 s10, s42, s10
	s_addc_u32 s42, 0, s11
	s_add_u32 s43, s46, s10
	s_cselect_b64 s[10:11], -1, 0
	s_cmp_lg_u64 s[10:11], 0
	s_addc_u32 s10, s44, s42
	s_mul_i32 s42, s26, s10
	s_mul_hi_u32 s44, s26, s43
	s_mul_hi_u32 s11, s26, s10
	s_add_u32 s42, s44, s42
	s_addc_u32 s11, 0, s11
	s_mul_hi_u32 s45, s89, s43
	s_mul_i32 s43, s89, s43
	s_add_u32 s42, s42, s43
	s_mul_hi_u32 s44, s89, s10
	s_addc_u32 s11, s11, s45
	s_addc_u32 s42, s44, 0
	s_mul_i32 s10, s89, s10
	s_add_u32 s10, s11, s10
	s_addc_u32 s11, 0, s42
	s_mul_i32 s11, s80, s11
	s_mul_hi_u32 s42, s80, s10
	s_add_i32 s42, s42, s11
	s_mul_i32 s10, s80, s10
	s_sub_u32 s43, s26, s10
	s_cselect_b64 s[10:11], -1, 0
	s_cmp_lg_u64 s[10:11], 0
	s_subb_u32 s42, s89, s42
	s_sub_u32 s44, s43, s80
	s_cselect_b64 s[10:11], -1, 0
	s_cmp_lg_u64 s[10:11], 0
	s_subb_u32 s45, s42, 0
	;; [unrolled: 4-line block ×3, first 2 shown]
	s_cmp_ge_u32 s44, s80
	s_cselect_b32 s11, -1, 0
	s_cmp_eq_u32 s45, 0
	s_cselect_b32 s11, s11, -1
	s_cmp_lg_u32 s11, 0
	s_cselect_b32 s10, s10, s45
	s_cselect_b32 s44, s46, s44
	s_cmp_ge_u32 s43, s80
	s_cselect_b32 s11, -1, 0
	s_cmp_eq_u32 s42, 0
	s_cselect_b32 s11, s11, -1
	s_cmp_lg_u32 s11, 0
	s_cselect_b32 s11, s10, s42
	s_cselect_b32 s10, s44, s43
	s_cbranch_execnz .LBB117_257
.LBB117_256:                            ;   in Loop: Header=BB117_24 Depth=1
	v_cvt_f32_u32_e32 v4, s80
	s_sub_i32 s10, 0, s80
	v_rcp_iflag_f32_e32 v4, v4
	s_nop 0
	v_mul_f32_e32 v4, 0x4f7ffffe, v4
	v_cvt_u32_f32_e32 v4, v4
	s_nop 0
	v_readfirstlane_b32 s11, v4
	s_mul_i32 s10, s10, s11
	s_mul_hi_u32 s10, s11, s10
	s_add_i32 s11, s11, s10
	s_mul_hi_u32 s10, s26, s11
	s_mul_i32 s10, s10, s80
	s_sub_i32 s10, s26, s10
	s_sub_i32 s11, s10, s80
	s_cmp_ge_u32 s10, s80
	s_cselect_b32 s10, s11, s10
	s_sub_i32 s11, s10, s80
	s_cmp_ge_u32 s10, s80
	s_cselect_b32 s82, s11, s10
	s_mov_b64 s[10:11], s[82:83]
.LBB117_257:                            ;   in Loop: Header=BB117_24 Depth=1
	s_sub_u32 s42, s26, s10
	s_subb_u32 s43, s89, s11
	v_cmp_gt_u64_e32 vcc, s[42:43], v[0:1]
                                        ; implicit-def: $vgpr8_vgpr9
	s_and_saveexec_b64 s[10:11], vcc
	s_cbranch_execz .LBB117_267
; %bb.258:                              ;   in Loop: Header=BB117_24 Depth=1
	s_mov_b64 s[44:45], 0
	v_mov_b64_e32 v[10:11], v[0:1]
                                        ; implicit-def: $sgpr46_sgpr47
	s_branch .LBB117_262
.LBB117_259:                            ;   in Loop: Header=BB117_262 Depth=2
	s_or_b64 exec, exec, s[48:49]
	s_waitcnt lgkmcnt(0)
	s_barrier
	ds_read_b128 v[6:9], v3 offset:3072
	s_waitcnt lgkmcnt(0)
	s_barrier
	v_cmp_eq_f64_e32 vcc, 0, v[6:7]
	s_cbranch_vccz .LBB117_265
; %bb.260:                              ;   in Loop: Header=BB117_262 Depth=2
	v_lshl_add_u64 v[10:11], v[10:11], 0, s[80:81]
	v_cmp_le_u64_e32 vcc, s[42:43], v[10:11]
	s_mov_b64 s[48:49], 0
	s_orn2_b64 s[50:51], vcc, exec
.LBB117_261:                            ;   in Loop: Header=BB117_262 Depth=2
	s_and_b64 s[50:51], exec, s[50:51]
	s_or_b64 s[44:45], s[50:51], s[44:45]
	s_andn2_b64 s[46:47], s[46:47], exec
	s_and_b64 s[48:49], s[48:49], exec
	s_or_b64 s[46:47], s[46:47], s[48:49]
	s_andn2_b64 exec, exec, s[44:45]
	s_cbranch_execz .LBB117_266
.LBB117_262:                            ;   Parent Loop BB117_24 Depth=1
                                        ; =>  This Inner Loop Header: Depth=2
	v_cmp_gt_u64_e32 vcc, s[52:53], v[10:11]
	s_and_saveexec_b64 s[48:49], vcc
	s_cbranch_execz .LBB117_259
; %bb.263:                              ;   in Loop: Header=BB117_262 Depth=2
	v_mul_lo_u32 v4, v11, s68
	v_mul_lo_u32 v8, v10, s69
	v_mad_u64_u32 v[6:7], s[50:51], v10, s68, 0
	v_add3_u32 v7, v7, v8, v4
	v_lshl_add_u64 v[6:7], v[6:7], 3, s[76:77]
	global_load_dwordx2 v[6:7], v[6:7], off
	s_waitcnt vmcnt(0)
	v_ashrrev_i32_e32 v4, 31, v7
	v_or_b32_e32 v8, 0x80000000, v4
	v_xor_b32_e32 v4, v4, v6
	v_xor_b32_e32 v8, v8, v7
	v_cmp_o_f64_e32 vcc, v[6:7], v[6:7]
	s_nop 1
	v_cndmask_b32_e32 v4, -1, v4, vcc
	v_cndmask_b32_e32 v8, -1, v8, vcc
	v_and_b32_e32 v9, v8, v27
	v_and_b32_e32 v8, v4, v26
	v_cmp_eq_u64_e32 vcc, v[8:9], v[24:25]
	s_and_b64 exec, exec, vcc
	s_cbranch_execz .LBB117_259
; %bb.264:                              ;   in Loop: Header=BB117_262 Depth=2
	v_mov_b32_e32 v4, v3
	ds_write_b128 v3, v[4:7] offset:3072
	s_branch .LBB117_259
.LBB117_265:                            ;   in Loop: Header=BB117_262 Depth=2
	s_mov_b64 s[50:51], -1
                                        ; implicit-def: $vgpr10_vgpr11
	s_mov_b64 s[48:49], -1
	s_branch .LBB117_261
.LBB117_266:                            ;   in Loop: Header=BB117_24 Depth=1
	s_or_b64 exec, exec, s[44:45]
	s_andn2_b64 s[8:9], s[8:9], exec
	s_and_b64 s[42:43], s[46:47], exec
	s_or_b64 s[8:9], s[8:9], s[42:43]
.LBB117_267:                            ;   in Loop: Header=BB117_24 Depth=1
	s_or_b64 exec, exec, s[10:11]
	s_mov_b64 s[42:43], 0
	s_mov_b64 s[44:45], -1
.LBB117_268:                            ;   in Loop: Header=BB117_24 Depth=1
	s_orn2_b64 s[10:11], s[8:9], exec
.LBB117_269:                            ;   in Loop: Header=BB117_24 Depth=1
	s_or_b64 exec, exec, s[40:41]
	s_mov_b64 s[40:41], 0
	s_and_saveexec_b64 s[8:9], s[10:11]
	s_cbranch_execz .LBB117_280
; %bb.270:                              ;   in Loop: Header=BB117_24 Depth=1
	s_xor_b64 s[22:23], s[22:23], -1
	v_mov_b64_e32 v[6:7], 1
	v_mov_b32_e32 v2, 1
	s_and_saveexec_b64 s[10:11], s[22:23]
	s_cbranch_execz .LBB117_279
; %bb.271:                              ;   in Loop: Header=BB117_24 Depth=1
	v_cmp_ge_u64_e32 vcc, s[2:3], v[12:13]
	s_and_saveexec_b64 s[22:23], vcc
	s_xor_b64 s[22:23], exec, s[22:23]
	s_cbranch_execz .LBB117_276
; %bb.272:                              ;   in Loop: Header=BB117_24 Depth=1
	ds_read_b64 v[6:7], v3 offset:5120
	v_or_b32_e32 v25, s13, v25
	v_or_b32_e32 v24, s12, v24
	;; [unrolled: 1-line block ×4, first 2 shown]
	s_waitcnt lgkmcnt(0)
	v_cmp_ne_u64_e32 vcc, 0, v[6:7]
	s_cbranch_vccnz .LBB117_276
; %bb.273:                              ;   in Loop: Header=BB117_24 Depth=1
	s_mov_b64 s[12:13], exec
	v_readlane_b32 s40, v58, 16
	v_readlane_b32 s41, v58, 17
	s_and_b64 s[40:41], s[12:13], s[40:41]
	s_mov_b64 exec, s[40:41]
; %bb.274:                              ;   in Loop: Header=BB117_24 Depth=1
	v_mov_b64_e32 v[6:7], s[2:3]
	ds_write_b64 v3, v[6:7] offset:5128
; %bb.275:                              ;   in Loop: Header=BB117_24 Depth=1
	s_or_b64 exec, exec, s[12:13]
	s_waitcnt lgkmcnt(0)
	s_barrier
.LBB117_276:                            ;   in Loop: Header=BB117_24 Depth=1
	s_andn2_saveexec_b64 s[12:13], s[22:23]
; %bb.277:                              ;   in Loop: Header=BB117_24 Depth=1
	v_mov_b32_e32 v2, s3
	v_subrev_co_u32_e32 v12, vcc, s2, v12
	s_nop 1
	v_subb_co_u32_e32 v13, vcc, v13, v2, vcc
; %bb.278:                              ;   in Loop: Header=BB117_24 Depth=1
	s_or_b64 exec, exec, s[12:13]
	v_mov_b32_e32 v2, 8
	v_mov_b64_e32 v[6:7], v[12:13]
.LBB117_279:                            ;   in Loop: Header=BB117_24 Depth=1
	s_or_b64 exec, exec, s[10:11]
	s_mov_b64 s[40:41], exec
	v_mov_b64_e32 v[12:13], v[6:7]
.LBB117_280:                            ;   in Loop: Header=BB117_24 Depth=1
	s_or_b64 exec, exec, s[8:9]
	s_orn2_b64 s[8:9], s[40:41], exec
.LBB117_281:                            ;   in Loop: Header=BB117_24 Depth=1
	s_or_b64 exec, exec, s[20:21]
	s_andn2_b64 s[2:3], s[36:37], exec
	s_and_b64 s[10:11], s[44:45], exec
	s_or_b64 s[36:37], s[2:3], s[10:11]
	s_andn2_b64 s[2:3], s[34:35], exec
	s_and_b64 s[10:11], s[42:43], exec
	s_or_b64 s[34:35], s[2:3], s[10:11]
	s_and_b64 s[10:11], s[8:9], exec
	v_mov_b64_e32 v[10:11], v[12:13]
.LBB117_282:                            ;   in Loop: Header=BB117_24 Depth=1
	s_or_b64 exec, exec, s[38:39]
	s_orn2_b64 s[8:9], s[10:11], exec
.LBB117_283:                            ;   in Loop: Header=BB117_24 Depth=1
	s_or_b64 exec, exec, s[30:31]
	s_andn2_b64 s[2:3], s[24:25], exec
	s_and_b64 s[10:11], s[36:37], exec
	s_or_b64 s[24:25], s[2:3], s[10:11]
	s_andn2_b64 s[0:1], s[0:1], exec
	s_and_b64 s[2:3], s[34:35], exec
	s_or_b64 s[0:1], s[0:1], s[2:3]
	s_and_b64 s[10:11], s[8:9], exec
	v_mov_b64_e32 v[14:15], v[10:11]
.LBB117_284:                            ;   in Loop: Header=BB117_24 Depth=1
	s_or_b64 exec, exec, s[28:29]
	s_orn2_b64 s[8:9], s[10:11], exec
.LBB117_285:                            ;   in Loop: Header=BB117_24 Depth=1
	s_or_b64 exec, exec, s[18:19]
	s_mov_b64 s[10:11], 0
	s_and_saveexec_b64 s[2:3], s[8:9]
	s_xor_b64 s[2:3], exec, s[2:3]
	s_cbranch_execz .LBB117_22
; %bb.286:                              ;   in Loop: Header=BB117_24 Depth=1
	v_and_b32_e32 v2, 7, v2
	v_cmp_eq_u32_e32 vcc, 0, v2
	s_mov_b64 s[8:9], -1
	s_mov_b64 s[10:11], -1
	s_and_saveexec_b64 s[12:13], vcc
	s_cbranch_execz .LBB117_21
; %bb.287:                              ;   in Loop: Header=BB117_24 Depth=1
	s_xor_b32 s65, s65, 1
	s_add_i32 s16, s33, -2
	s_cmp_eq_u32 s33, 0
	s_cselect_b64 s[8:9], -1, 0
	s_xor_b64 s[10:11], exec, -1
	s_orn2_b64 s[8:9], s[8:9], exec
	s_mov_b32 s33, s16
	s_branch .LBB117_21
.LBB117_288:                            ;   in Loop: Header=BB117_24 Depth=1
                                        ; implicit-def: $sgpr46_sgpr47
	s_branch .LBB117_239
.LBB117_289:                            ;   in Loop: Header=BB117_24 Depth=1
                                        ; implicit-def: $sgpr10_sgpr11
	s_branch .LBB117_256
.LBB117_290:
	s_or_b64 exec, exec, s[96:97]
	s_xor_b64 s[4:5], s[56:57], -1
	s_xor_b64 s[2:3], s[98:99], -1
	;; [unrolled: 1-line block ×3, first 2 shown]
	s_mov_b64 s[0:1], 0
	s_and_saveexec_b64 s[8:9], s[2:3]
	s_xor_b64 s[2:3], exec, s[8:9]
	s_cbranch_execnz .LBB117_295
; %bb.291:
	s_andn2_saveexec_b64 s[2:3], s[2:3]
	s_cbranch_execnz .LBB117_308
.LBB117_292:
	s_or_b64 exec, exec, s[2:3]
	s_and_saveexec_b64 s[2:3], s[0:1]
.LBB117_293:
	; divergent unreachable
.LBB117_294:
	s_endpgm
.LBB117_295:
	s_and_saveexec_b64 s[0:1], s[4:5]
	s_xor_b64 s[4:5], exec, s[0:1]
	s_cbranch_execz .LBB117_306
; %bb.296:
	s_and_saveexec_b64 s[0:1], s[6:7]
	s_xor_b64 s[0:1], exec, s[0:1]
; %bb.297:
	v_lshrrev_b32_e32 v2, 31, v25
	v_mov_b32_e32 v3, 0
	v_lshl_add_u64 v[2:3], v[2:3], 0, -1
	v_or_b32_e32 v3, 0x80000000, v3
	v_xor_b32_e32 v9, v3, v25
	v_xor_b32_e32 v8, v2, v24
; %bb.298:
	s_or_b64 exec, exec, s[0:1]
	v_readlane_b32 s6, v58, 6
	v_readlane_b32 s0, v58, 4
	;; [unrolled: 1-line block ×4, first 2 shown]
	s_mov_b32 s8, s0
	s_mul_i32 s0, s0, s7
	s_mul_hi_u32 s1, s8, s6
	s_add_i32 s1, s1, s0
	s_mul_i32 s0, s8, s6
	v_readlane_b32 s6, v58, 12
	v_readlane_b32 s12, v58, 22
	;; [unrolled: 1-line block ×3, first 2 shown]
	s_sub_u32 s0, s6, s0
	v_readlane_b32 s14, v58, 24
	v_readlane_b32 s15, v58, 25
	s_subb_u32 s1, 0, s1
	s_mul_i32 s6, s0, s15
	s_mul_hi_u32 s7, s0, s14
	v_readlane_b32 s13, v58, 23
	s_add_i32 s6, s7, s6
	s_mul_i32 s1, s1, s14
	s_add_i32 s1, s6, s1
	s_mul_i32 s6, s8, s13
	s_mul_hi_u32 s7, s8, s12
	s_add_i32 s7, s7, s6
	s_mul_i32 s6, s8, s12
	s_lshl_b64 s[6:7], s[6:7], 3
	v_readlane_b32 s8, v58, 10
	s_mul_i32 s0, s0, s14
	v_readlane_b32 s9, v58, 11
	s_add_u32 s6, s8, s6
	s_addc_u32 s7, s9, s7
	s_lshl_b64 s[0:1], s[0:1], 3
	s_add_u32 s0, s6, s0
	s_addc_u32 s1, s7, s1
	v_mov_b32_e32 v2, 0
	global_store_dwordx2 v2, v[8:9], s[0:1]
	s_mov_b64 s[6:7], exec
	v_readlane_b32 s0, v58, 14
	v_readlane_b32 s1, v58, 15
	s_and_b64 s[0:1], s[6:7], s[0:1]
	s_mov_b64 exec, s[0:1]
	s_cbranch_execz .LBB117_305
; %bb.299:
	v_cmp_u_f64_e32 vcc, v[8:9], v[8:9]
	s_mov_b64 s[8:9], 0
	s_xor_b64 s[12:13], vcc, -1
                                        ; implicit-def: $sgpr10_sgpr11
                                        ; implicit-def: $sgpr16_sgpr17
                                        ; implicit-def: $sgpr14_sgpr15
	s_branch .LBB117_301
.LBB117_300:                            ;   in Loop: Header=BB117_301 Depth=1
	s_or_b64 exec, exec, s[0:1]
	s_and_b64 s[0:1], exec, s[16:17]
	s_or_b64 s[8:9], s[0:1], s[8:9]
	s_andn2_b64 s[0:1], s[10:11], exec
	s_and_b64 s[10:11], s[14:15], exec
	s_or_b64 s[10:11], s[0:1], s[10:11]
	s_andn2_b64 exec, exec, s[8:9]
	s_cbranch_execz .LBB117_303
.LBB117_301:                            ; =>This Inner Loop Header: Depth=1
	v_mov_b64_e32 v[2:3], v[0:1]
	v_mul_lo_u32 v4, v3, s68
	v_mul_lo_u32 v5, v2, s69
	v_mad_u64_u32 v[0:1], s[0:1], v2, s68, 0
	v_add3_u32 v1, v1, v5, v4
	v_lshl_add_u64 v[0:1], v[0:1], 3, s[76:77]
	global_load_dwordx2 v[0:1], v[0:1], off
	s_or_b64 s[14:15], s[14:15], exec
	s_or_b64 s[16:17], s[16:17], exec
	s_waitcnt vmcnt(0)
	v_cmp_o_f64_e64 s[0:1], v[0:1], v[0:1]
	v_cmp_neq_f64_e32 vcc, v[0:1], v[8:9]
	s_or_b64 s[0:1], s[0:1], s[12:13]
	s_and_b64 s[18:19], vcc, s[0:1]
                                        ; implicit-def: $vgpr0_vgpr1
	s_and_saveexec_b64 s[0:1], s[18:19]
	s_cbranch_execz .LBB117_300
; %bb.302:                              ;   in Loop: Header=BB117_301 Depth=1
	v_lshl_add_u64 v[0:1], v[2:3], 0, s[80:81]
	v_cmp_le_u64_e32 vcc, s[52:53], v[0:1]
	s_andn2_b64 s[16:17], s[16:17], exec
	s_and_b64 s[18:19], vcc, exec
	s_andn2_b64 s[14:15], s[14:15], exec
	s_or_b64 s[16:17], s[16:17], s[18:19]
	s_branch .LBB117_300
.LBB117_303:
	s_or_b64 exec, exec, s[8:9]
	s_and_saveexec_b64 s[0:1], s[10:11]
	s_xor_b64 s[0:1], exec, s[0:1]
	s_cbranch_execz .LBB117_305
; %bb.304:
	v_readlane_b32 s8, v58, 0
	v_readlane_b32 s0, v58, 2
	;; [unrolled: 1-line block ×4, first 2 shown]
	s_mov_b32 s10, s0
	s_mul_i32 s0, s0, s9
	s_mul_hi_u32 s1, s10, s8
	s_add_i32 s1, s1, s0
	s_mul_i32 s0, s10, s8
	v_readlane_b32 s8, v58, 12
	v_readlane_b32 s12, v58, 18
	;; [unrolled: 1-line block ×3, first 2 shown]
	s_sub_u32 s0, s8, s0
	v_readlane_b32 s14, v58, 20
	v_readlane_b32 s15, v58, 21
	s_subb_u32 s1, 0, s1
	s_mul_i32 s8, s0, s15
	s_mul_hi_u32 s9, s0, s14
	v_readlane_b32 s13, v58, 19
	s_add_i32 s8, s9, s8
	s_mul_i32 s1, s1, s14
	s_add_i32 s1, s8, s1
	s_mul_i32 s8, s10, s13
	s_mul_hi_u32 s9, s10, s12
	s_add_i32 s9, s9, s8
	s_mul_i32 s8, s10, s12
	s_lshl_b64 s[8:9], s[8:9], 3
	v_readlane_b32 s10, v58, 8
	s_mul_i32 s0, s0, s14
	v_readlane_b32 s11, v58, 9
	s_add_u32 s8, s10, s8
	s_addc_u32 s9, s11, s9
	s_lshl_b64 s[0:1], s[0:1], 3
	s_add_u32 s0, s8, s0
	s_addc_u32 s1, s9, s1
	v_mov_b32_e32 v0, 0
	global_store_dwordx2 v0, v[2:3], s[0:1]
.LBB117_305:
	s_or_b64 exec, exec, s[6:7]
.LBB117_306:
	s_or_saveexec_b64 s[0:1], s[4:5]
	s_mov_b64 s[4:5], 0
	s_xor_b64 exec, exec, s[0:1]
	s_cbranch_execnz .LBB117_309
.LBB117_307:
	s_or_b64 exec, exec, s[0:1]
	s_and_b64 s[0:1], s[4:5], exec
	s_andn2_saveexec_b64 s[2:3], s[2:3]
	s_cbranch_execz .LBB117_292
.LBB117_308:
	s_or_b64 s[0:1], s[0:1], exec
	s_trap 2
	s_or_b64 exec, exec, s[2:3]
	s_and_saveexec_b64 s[2:3], s[0:1]
	s_cbranch_execnz .LBB117_293
	s_branch .LBB117_294
.LBB117_309:
	s_mov_b64 s[4:5], exec
	s_trap 2
	s_branch .LBB117_307
	.section	.rodata,"a",@progbits
	.p2align	6, 0x0
	.amdhsa_kernel _ZN2at6native12_GLOBAL__N_112gatherMedianIdmLi2EEEvNS_4cuda6detail10TensorInfoIT_T0_EENS5_IlS7_EENS5_IKS6_S7_EES7_S7_S7_b
		.amdhsa_group_segment_fixed_size 5152
		.amdhsa_private_segment_fixed_size 0
		.amdhsa_kernarg_size 1536
		.amdhsa_user_sgpr_count 2
		.amdhsa_user_sgpr_dispatch_ptr 0
		.amdhsa_user_sgpr_queue_ptr 0
		.amdhsa_user_sgpr_kernarg_segment_ptr 1
		.amdhsa_user_sgpr_dispatch_id 0
		.amdhsa_user_sgpr_kernarg_preload_length 0
		.amdhsa_user_sgpr_kernarg_preload_offset 0
		.amdhsa_user_sgpr_private_segment_size 0
		.amdhsa_uses_dynamic_stack 0
		.amdhsa_enable_private_segment 0
		.amdhsa_system_sgpr_workgroup_id_x 1
		.amdhsa_system_sgpr_workgroup_id_y 1
		.amdhsa_system_sgpr_workgroup_id_z 1
		.amdhsa_system_sgpr_workgroup_info 0
		.amdhsa_system_vgpr_workitem_id 0
		.amdhsa_next_free_vgpr 59
		.amdhsa_next_free_sgpr 100
		.amdhsa_accum_offset 60
		.amdhsa_reserve_vcc 1
		.amdhsa_float_round_mode_32 0
		.amdhsa_float_round_mode_16_64 0
		.amdhsa_float_denorm_mode_32 3
		.amdhsa_float_denorm_mode_16_64 3
		.amdhsa_dx10_clamp 1
		.amdhsa_ieee_mode 1
		.amdhsa_fp16_overflow 0
		.amdhsa_tg_split 0
		.amdhsa_exception_fp_ieee_invalid_op 0
		.amdhsa_exception_fp_denorm_src 0
		.amdhsa_exception_fp_ieee_div_zero 0
		.amdhsa_exception_fp_ieee_overflow 0
		.amdhsa_exception_fp_ieee_underflow 0
		.amdhsa_exception_fp_ieee_inexact 0
		.amdhsa_exception_int_div_zero 0
	.end_amdhsa_kernel
	.section	.text._ZN2at6native12_GLOBAL__N_112gatherMedianIdmLi2EEEvNS_4cuda6detail10TensorInfoIT_T0_EENS5_IlS7_EENS5_IKS6_S7_EES7_S7_S7_b,"axG",@progbits,_ZN2at6native12_GLOBAL__N_112gatherMedianIdmLi2EEEvNS_4cuda6detail10TensorInfoIT_T0_EENS5_IlS7_EENS5_IKS6_S7_EES7_S7_S7_b,comdat
.Lfunc_end117:
	.size	_ZN2at6native12_GLOBAL__N_112gatherMedianIdmLi2EEEvNS_4cuda6detail10TensorInfoIT_T0_EENS5_IlS7_EENS5_IKS6_S7_EES7_S7_S7_b, .Lfunc_end117-_ZN2at6native12_GLOBAL__N_112gatherMedianIdmLi2EEEvNS_4cuda6detail10TensorInfoIT_T0_EENS5_IlS7_EENS5_IKS6_S7_EES7_S7_S7_b
                                        ; -- End function
	.set _ZN2at6native12_GLOBAL__N_112gatherMedianIdmLi2EEEvNS_4cuda6detail10TensorInfoIT_T0_EENS5_IlS7_EENS5_IKS6_S7_EES7_S7_S7_b.num_vgpr, 59
	.set _ZN2at6native12_GLOBAL__N_112gatherMedianIdmLi2EEEvNS_4cuda6detail10TensorInfoIT_T0_EENS5_IlS7_EENS5_IKS6_S7_EES7_S7_S7_b.num_agpr, 0
	.set _ZN2at6native12_GLOBAL__N_112gatherMedianIdmLi2EEEvNS_4cuda6detail10TensorInfoIT_T0_EENS5_IlS7_EENS5_IKS6_S7_EES7_S7_S7_b.numbered_sgpr, 100
	.set _ZN2at6native12_GLOBAL__N_112gatherMedianIdmLi2EEEvNS_4cuda6detail10TensorInfoIT_T0_EENS5_IlS7_EENS5_IKS6_S7_EES7_S7_S7_b.num_named_barrier, 0
	.set _ZN2at6native12_GLOBAL__N_112gatherMedianIdmLi2EEEvNS_4cuda6detail10TensorInfoIT_T0_EENS5_IlS7_EENS5_IKS6_S7_EES7_S7_S7_b.private_seg_size, 0
	.set _ZN2at6native12_GLOBAL__N_112gatherMedianIdmLi2EEEvNS_4cuda6detail10TensorInfoIT_T0_EENS5_IlS7_EENS5_IKS6_S7_EES7_S7_S7_b.uses_vcc, 1
	.set _ZN2at6native12_GLOBAL__N_112gatherMedianIdmLi2EEEvNS_4cuda6detail10TensorInfoIT_T0_EENS5_IlS7_EENS5_IKS6_S7_EES7_S7_S7_b.uses_flat_scratch, 0
	.set _ZN2at6native12_GLOBAL__N_112gatherMedianIdmLi2EEEvNS_4cuda6detail10TensorInfoIT_T0_EENS5_IlS7_EENS5_IKS6_S7_EES7_S7_S7_b.has_dyn_sized_stack, 0
	.set _ZN2at6native12_GLOBAL__N_112gatherMedianIdmLi2EEEvNS_4cuda6detail10TensorInfoIT_T0_EENS5_IlS7_EENS5_IKS6_S7_EES7_S7_S7_b.has_recursion, 0
	.set _ZN2at6native12_GLOBAL__N_112gatherMedianIdmLi2EEEvNS_4cuda6detail10TensorInfoIT_T0_EENS5_IlS7_EENS5_IKS6_S7_EES7_S7_S7_b.has_indirect_call, 0
	.section	.AMDGPU.csdata,"",@progbits
; Kernel info:
; codeLenInByte = 16056
; TotalNumSgprs: 106
; NumVgprs: 59
; NumAgprs: 0
; TotalNumVgprs: 59
; ScratchSize: 0
; MemoryBound: 0
; FloatMode: 240
; IeeeMode: 1
; LDSByteSize: 5152 bytes/workgroup (compile time only)
; SGPRBlocks: 13
; VGPRBlocks: 7
; NumSGPRsForWavesPerEU: 106
; NumVGPRsForWavesPerEU: 59
; AccumOffset: 60
; Occupancy: 7
; WaveLimiterHint : 1
; COMPUTE_PGM_RSRC2:SCRATCH_EN: 0
; COMPUTE_PGM_RSRC2:USER_SGPR: 2
; COMPUTE_PGM_RSRC2:TRAP_HANDLER: 0
; COMPUTE_PGM_RSRC2:TGID_X_EN: 1
; COMPUTE_PGM_RSRC2:TGID_Y_EN: 1
; COMPUTE_PGM_RSRC2:TGID_Z_EN: 1
; COMPUTE_PGM_RSRC2:TIDIG_COMP_CNT: 0
; COMPUTE_PGM_RSRC3_GFX90A:ACCUM_OFFSET: 14
; COMPUTE_PGM_RSRC3_GFX90A:TG_SPLIT: 0
	.section	.text._ZN2at6native12_GLOBAL__N_112gatherMedianIdmLi3EEEvNS_4cuda6detail10TensorInfoIT_T0_EENS5_IlS7_EENS5_IKS6_S7_EES7_S7_S7_b,"axG",@progbits,_ZN2at6native12_GLOBAL__N_112gatherMedianIdmLi3EEEvNS_4cuda6detail10TensorInfoIT_T0_EENS5_IlS7_EENS5_IKS6_S7_EES7_S7_S7_b,comdat
	.globl	_ZN2at6native12_GLOBAL__N_112gatherMedianIdmLi3EEEvNS_4cuda6detail10TensorInfoIT_T0_EENS5_IlS7_EENS5_IKS6_S7_EES7_S7_S7_b ; -- Begin function _ZN2at6native12_GLOBAL__N_112gatherMedianIdmLi3EEEvNS_4cuda6detail10TensorInfoIT_T0_EENS5_IlS7_EENS5_IKS6_S7_EES7_S7_S7_b
	.p2align	8
	.type	_ZN2at6native12_GLOBAL__N_112gatherMedianIdmLi3EEEvNS_4cuda6detail10TensorInfoIT_T0_EENS5_IlS7_EENS5_IKS6_S7_EES7_S7_S7_b,@function
_ZN2at6native12_GLOBAL__N_112gatherMedianIdmLi3EEEvNS_4cuda6detail10TensorInfoIT_T0_EENS5_IlS7_EENS5_IKS6_S7_EES7_S7_S7_b: ; @_ZN2at6native12_GLOBAL__N_112gatherMedianIdmLi3EEEvNS_4cuda6detail10TensorInfoIT_T0_EENS5_IlS7_EENS5_IKS6_S7_EES7_S7_S7_b
; %bb.0:
	s_load_dwordx2 s[12:13], s[0:1], 0x500
	s_load_dwordx4 s[52:55], s[0:1], 0x4e0
	s_add_u32 s14, s0, 0x500
	s_addc_u32 s15, s1, 0
	s_mov_b32 s25, 0
	s_waitcnt lgkmcnt(0)
	s_mul_i32 s4, s13, s4
	s_add_i32 s3, s4, s3
	s_mul_i32 s3, s3, s12
	s_add_i32 s24, s3, s2
	v_mov_b64_e32 v[2:3], s[24:25]
	v_cmp_le_u64_e32 vcc, s[54:55], v[2:3]
	s_cbranch_vccnz .LBB118_300
; %bb.1:
	s_load_dwordx4 s[8:11], s[0:1], 0x10
	s_mov_b64 s[18:19], 0
	s_mov_b64 s[16:17], 0
	s_waitcnt lgkmcnt(0)
	v_mov_b64_e32 v[2:3], s[10:11]
	v_cmp_lt_u64_e32 vcc, s[24:25], v[2:3]
	s_cbranch_vccnz .LBB118_3
; %bb.2:
	v_cvt_f32_u32_e32 v1, s10
	s_sub_i32 s3, 0, s10
	s_mov_b32 s17, 0
	v_rcp_iflag_f32_e32 v1, v1
	s_nop 0
	v_mul_f32_e32 v1, 0x4f7ffffe, v1
	v_cvt_u32_f32_e32 v1, v1
	s_nop 0
	v_readfirstlane_b32 s4, v1
	s_mul_i32 s3, s3, s4
	s_mul_hi_u32 s3, s4, s3
	s_add_i32 s4, s4, s3
	s_mul_hi_u32 s3, s24, s4
	s_mul_i32 s5, s3, s10
	s_sub_i32 s5, s24, s5
	s_add_i32 s4, s3, 1
	s_sub_i32 s6, s5, s10
	s_cmp_ge_u32 s5, s10
	s_cselect_b32 s3, s4, s3
	s_cselect_b32 s5, s6, s5
	s_add_i32 s4, s3, 1
	s_cmp_ge_u32 s5, s10
	s_cselect_b32 s16, s4, s3
.LBB118_3:
	s_load_dwordx4 s[20:23], s[0:1], 0x1b0
                                        ; implicit-def: $vgpr58 : SGPR spill to VGPR lane
	v_mov_b64_e32 v[2:3], s[8:9]
	v_cmp_lt_u64_e32 vcc, s[16:17], v[2:3]
	s_and_b64 vcc, exec, vcc
	s_waitcnt lgkmcnt(0)
	v_writelane_b32 v58, s20, 0
	s_nop 1
	v_writelane_b32 v58, s21, 1
	v_writelane_b32 v58, s22, 2
	;; [unrolled: 1-line block ×3, first 2 shown]
	s_cbranch_vccnz .LBB118_5
; %bb.4:
	v_cvt_f32_u32_e32 v1, s8
	s_sub_i32 s3, 0, s8
	s_load_dwordx4 s[20:23], s[0:1], 0x1b0
	v_rcp_iflag_f32_e32 v1, v1
	s_nop 0
	v_mul_f32_e32 v1, 0x4f7ffffe, v1
	v_cvt_u32_f32_e32 v1, v1
	s_nop 0
	v_readfirstlane_b32 s4, v1
	s_mul_i32 s3, s3, s4
	s_mul_hi_u32 s3, s4, s3
	s_add_i32 s4, s4, s3
	s_mul_hi_u32 s3, s16, s4
	s_mul_i32 s5, s3, s8
	s_sub_i32 s5, s16, s5
	s_add_i32 s4, s3, 1
	s_sub_i32 s6, s5, s8
	s_cmp_ge_u32 s5, s8
	s_cselect_b32 s3, s4, s3
	s_cselect_b32 s5, s6, s5
	s_add_i32 s4, s3, 1
	s_cmp_ge_u32 s5, s8
	s_cselect_b32 s18, s4, s3
.LBB118_5:
	v_writelane_b32 v58, s18, 4
	s_waitcnt lgkmcnt(0)
	v_mov_b64_e32 v[2:3], s[22:23]
	s_mov_b64 s[4:5], 0
	v_writelane_b32 v58, s19, 5
	v_writelane_b32 v58, s16, 6
	v_cmp_lt_u64_e32 vcc, s[24:25], v[2:3]
	s_and_b64 vcc, exec, vcc
	v_writelane_b32 v58, s17, 7
	v_writelane_b32 v58, s8, 8
	s_nop 1
	v_writelane_b32 v58, s9, 9
	v_writelane_b32 v58, s10, 10
	;; [unrolled: 1-line block ×4, first 2 shown]
	s_nop 1
	v_writelane_b32 v58, s5, 13
	s_mov_b64 s[4:5], 0
	s_cbranch_vccnz .LBB118_7
; %bb.6:
	v_cvt_f32_u32_e32 v1, s22
	s_sub_i32 s3, 0, s22
	s_mov_b32 s7, 0
	v_rcp_iflag_f32_e32 v1, v1
	s_nop 0
	v_mul_f32_e32 v1, 0x4f7ffffe, v1
	v_cvt_u32_f32_e32 v1, v1
	s_nop 0
	v_readfirstlane_b32 s4, v1
	s_mul_i32 s3, s3, s4
	s_mul_hi_u32 s3, s4, s3
	s_add_i32 s4, s4, s3
	s_mul_hi_u32 s3, s24, s4
	s_mul_i32 s5, s3, s22
	s_sub_i32 s5, s24, s5
	s_add_i32 s4, s3, 1
	s_sub_i32 s6, s5, s22
	s_cmp_ge_u32 s5, s22
	s_cselect_b32 s3, s4, s3
	s_cselect_b32 s5, s6, s5
	s_add_i32 s4, s3, 1
	s_cmp_ge_u32 s5, s22
	s_cselect_b32 s6, s4, s3
	s_mov_b64 s[4:5], s[6:7]
.LBB118_7:
	s_load_dwordx2 s[78:79], s[0:1], 0x4f0
	s_load_dwordx2 s[16:17], s[0:1], 0x420
	s_mov_b64 s[18:19], s[4:5]
	s_load_dwordx4 s[4:7], s[0:1], 0x410
	s_load_dwordx4 s[8:11], s[0:1], 0x350
	v_mov_b64_e32 v[2:3], s[20:21]
	v_writelane_b32 v58, s18, 14
	s_nop 1
	v_cmp_lt_u64_e32 vcc, s[18:19], v[2:3]
	v_writelane_b32 v58, s19, 15
	s_cbranch_vccnz .LBB118_9
; %bb.8:
	s_load_dwordx4 s[20:23], s[0:1], 0x1b0
	s_waitcnt lgkmcnt(0)
	v_readlane_b32 s22, v58, 14
	v_readlane_b32 s23, v58, 15
	v_cvt_f32_u32_e32 v1, s20
	s_sub_i32 s3, 0, s20
	v_rcp_iflag_f32_e32 v1, v1
	s_nop 0
	v_mul_f32_e32 v1, 0x4f7ffffe, v1
	v_cvt_u32_f32_e32 v1, v1
	s_nop 0
	v_readfirstlane_b32 s13, v1
	s_mul_i32 s3, s3, s13
	s_mul_hi_u32 s3, s13, s3
	s_add_i32 s13, s13, s3
	s_mul_hi_u32 s3, s22, s13
	s_mul_i32 s18, s3, s20
	s_sub_i32 s18, s22, s18
	s_add_i32 s13, s3, 1
	s_sub_i32 s19, s18, s20
	s_cmp_ge_u32 s18, s20
	s_cselect_b32 s3, s13, s3
	s_cselect_b32 s18, s19, s18
	s_add_i32 s13, s3, 1
	s_cmp_ge_u32 s18, s20
	s_cselect_b32 s18, s13, s3
	v_writelane_b32 v58, s18, 12
	s_nop 1
	v_writelane_b32 v58, s19, 13
.LBB118_9:
	s_load_dwordx2 s[18:19], s[0:1], 0x340
	s_waitcnt lgkmcnt(0)
	v_mov_b64_e32 v[2:3], s[10:11]
	v_cmp_lt_u64_e32 vcc, s[24:25], v[2:3]
	s_mov_b64 s[20:21], 0
	s_mov_b64 s[22:23], 0
	s_cbranch_vccnz .LBB118_11
; %bb.10:
	v_cvt_f32_u32_e32 v1, s10
	s_sub_i32 s3, 0, s10
	s_mov_b32 s23, 0
	v_rcp_iflag_f32_e32 v1, v1
	s_nop 0
	v_mul_f32_e32 v1, 0x4f7ffffe, v1
	v_cvt_u32_f32_e32 v1, v1
	s_nop 0
	v_readfirstlane_b32 s13, v1
	s_mul_i32 s3, s3, s13
	s_mul_hi_u32 s3, s13, s3
	s_add_i32 s13, s13, s3
	s_mul_hi_u32 s3, s24, s13
	s_mul_i32 s21, s3, s10
	s_sub_i32 s21, s24, s21
	s_add_i32 s13, s3, 1
	s_sub_i32 s22, s21, s10
	s_cmp_ge_u32 s21, s10
	s_cselect_b32 s3, s13, s3
	s_cselect_b32 s21, s22, s21
	s_add_i32 s13, s3, 1
	s_cmp_ge_u32 s21, s10
	s_cselect_b32 s22, s13, s3
.LBB118_11:
	s_load_dwordx2 s[26:27], s[0:1], 0x280
	s_load_dwordx4 s[28:31], s[0:1], 0x270
	v_mov_b64_e32 v[2:3], s[8:9]
	v_cmp_lt_u64_e32 vcc, s[22:23], v[2:3]
	s_and_b64 vcc, exec, vcc
	s_waitcnt lgkmcnt(0)
	v_writelane_b32 v58, s26, 16
	s_nop 1
	v_writelane_b32 v58, s27, 17
	v_writelane_b32 v58, s28, 18
	s_load_dwordx2 s[26:27], s[0:1], 0xe0
	s_nop 0
	v_writelane_b32 v58, s29, 19
	v_writelane_b32 v58, s30, 20
	;; [unrolled: 1-line block ×3, first 2 shown]
	s_load_dwordx4 s[28:31], s[0:1], 0xd0
	s_waitcnt lgkmcnt(0)
	v_writelane_b32 v58, s26, 22
	s_nop 1
	v_writelane_b32 v58, s27, 23
	v_writelane_b32 v58, s28, 24
	s_nop 1
	v_writelane_b32 v58, s29, 25
	v_writelane_b32 v58, s30, 26
	;; [unrolled: 1-line block ×3, first 2 shown]
	s_cbranch_vccnz .LBB118_13
; %bb.12:
	v_cvt_f32_u32_e32 v1, s8
	s_sub_i32 s3, 0, s8
	v_rcp_iflag_f32_e32 v1, v1
	s_nop 0
	v_mul_f32_e32 v1, 0x4f7ffffe, v1
	v_cvt_u32_f32_e32 v1, v1
	s_nop 0
	v_readfirstlane_b32 s13, v1
	s_mul_i32 s3, s3, s13
	s_mul_hi_u32 s3, s13, s3
	s_add_i32 s13, s13, s3
	s_mul_hi_u32 s3, s22, s13
	s_mul_i32 s20, s3, s8
	s_sub_i32 s20, s22, s20
	s_add_i32 s13, s3, 1
	s_sub_i32 s21, s20, s8
	s_cmp_ge_u32 s20, s8
	s_cselect_b32 s3, s13, s3
	s_cselect_b32 s20, s21, s20
	s_add_i32 s13, s3, 1
	s_cmp_ge_u32 s20, s8
	s_cselect_b32 s20, s13, s3
.LBB118_13:
	s_load_dwordx2 s[26:27], s[0:1], 0x1a0
	s_mul_i32 s3, s22, s11
	s_mul_hi_u32 s11, s22, s10
	s_add_i32 s11, s11, s3
	s_mul_i32 s3, s22, s10
	s_waitcnt lgkmcnt(0)
	v_writelane_b32 v58, s26, 28
	s_mov_b32 s10, s24
	s_sub_u32 s3, s24, s3
	v_writelane_b32 v58, s27, 29
	s_load_dwordx2 s[26:27], s[0:1], 0x0
	s_mul_hi_u32 s13, s3, s16
	v_mov_b32_e32 v1, 0
	v_mov_b64_e32 v[2:3], 0
	s_waitcnt lgkmcnt(0)
	v_writelane_b32 v58, s26, 30
	s_nop 1
	v_writelane_b32 v58, s27, 31
	v_writelane_b32 v58, s10, 32
	s_nop 1
	v_writelane_b32 v58, s11, 33
	s_subb_u32 s10, 0, s11
	s_mul_i32 s11, s3, s17
	s_add_i32 s11, s13, s11
	s_mul_i32 s10, s10, s16
	s_add_i32 s11, s11, s10
	s_mul_i32 s10, s3, s16
	s_mul_i32 s3, s20, s9
	s_mul_hi_u32 s9, s20, s8
	s_add_i32 s9, s9, s3
	s_mul_i32 s3, s20, s8
	s_sub_u32 s3, s22, s3
	s_subb_u32 s8, s23, s9
	s_mul_i32 s7, s3, s7
	s_mul_hi_u32 s9, s3, s6
	s_mul_i32 s8, s8, s6
	s_mul_i32 s6, s3, s6
	;; [unrolled: 1-line block ×3, first 2 shown]
	s_mul_hi_u32 s5, s20, s4
	s_add_i32 s7, s9, s7
	s_add_i32 s5, s5, s3
	s_mul_i32 s4, s20, s4
	s_add_i32 s7, s7, s8
	s_lshl_b64 s[4:5], s[4:5], 3
	s_add_u32 s3, s18, s4
	s_addc_u32 s8, s19, s5
	s_lshl_b64 s[4:5], s[6:7], 3
	s_add_u32 s3, s3, s4
	s_addc_u32 s6, s8, s5
	s_lshl_b64 s[4:5], s[10:11], 3
	s_add_u32 s86, s3, s4
	s_addc_u32 s87, s6, s5
	v_cmp_gt_u64_e64 s[6:7], s[52:53], v[0:1]
	s_mov_b64 s[4:5], exec
	s_nop 0
	v_writelane_b32 v58, s6, 34
	s_nop 1
	v_writelane_b32 v58, s7, 35
	s_and_b64 s[6:7], s[4:5], s[6:7]
	s_mov_b64 exec, s[6:7]
	s_cbranch_execz .LBB118_17
; %bb.14:
	s_load_dword s3, s[14:15], 0xc
	s_mov_b32 s7, 0
	s_mov_b64 s[8:9], 0
	v_mov_b64_e32 v[2:3], 0
	v_mov_b64_e32 v[4:5], v[0:1]
	s_waitcnt lgkmcnt(0)
	s_and_b32 s6, s3, 0xffff
.LBB118_15:                             ; =>This Inner Loop Header: Depth=1
	v_mul_lo_u32 v8, v5, s78
	v_mul_lo_u32 v9, v4, s79
	v_mad_u64_u32 v[6:7], s[10:11], v4, s78, 0
	v_add3_u32 v7, v7, v9, v8
	v_lshl_add_u64 v[6:7], v[6:7], 3, s[86:87]
	global_load_dwordx2 v[6:7], v[6:7], off
	v_lshl_add_u64 v[4:5], v[4:5], 0, s[6:7]
	v_cmp_le_u64_e32 vcc, s[52:53], v[4:5]
	s_or_b64 s[8:9], vcc, s[8:9]
	v_mov_b32_e32 v9, s7
	s_waitcnt vmcnt(0)
	v_cmp_u_f64_e32 vcc, v[6:7], v[6:7]
	s_nop 1
	v_cndmask_b32_e64 v8, 0, 1, vcc
	v_lshl_add_u64 v[2:3], v[2:3], 0, v[8:9]
	s_andn2_b64 exec, exec, s[8:9]
	s_cbranch_execnz .LBB118_15
; %bb.16:
	s_or_b64 exec, exec, s[8:9]
.LBB118_17:
	s_or_b64 exec, exec, s[4:5]
	v_cmp_eq_u32_e64 s[6:7], 0, v0
	s_mov_b64 s[4:5], exec
	s_nop 0
	v_writelane_b32 v58, s6, 36
	s_nop 1
	v_writelane_b32 v58, s7, 37
	s_and_b64 s[6:7], s[4:5], s[6:7]
	s_mov_b64 exec, s[6:7]
; %bb.18:
	v_mov_b32_e32 v4, 0
	v_mov_b32_e32 v5, v4
	ds_write_b64 v4, v[4:5] offset:5136
; %bb.19:
	s_or_b64 exec, exec, s[4:5]
	s_mov_b64 s[6:7], 0
	v_cmp_ne_u64_e32 vcc, 0, v[2:3]
	s_waitcnt lgkmcnt(0)
	s_barrier
	s_and_saveexec_b64 s[4:5], vcc
	s_cbranch_execz .LBB118_24
; %bb.20:
	s_mov_b64 s[8:9], exec
.LBB118_21:                             ; =>This Inner Loop Header: Depth=1
	s_ff1_i32_b64 s3, s[8:9]
	v_readlane_b32 s11, v2, s3
	v_readlane_b32 s10, v3, s3
	s_add_u32 s6, s6, s11
	s_addc_u32 s7, s7, s10
	s_lshl_b64 s[10:11], 1, s3
	s_andn2_b64 s[8:9], s[8:9], s[10:11]
	s_cmp_lg_u64 s[8:9], 0
	s_cbranch_scc1 .LBB118_21
; %bb.22:
	v_mbcnt_lo_u32_b32 v2, exec_lo, 0
	v_mbcnt_hi_u32_b32 v2, exec_hi, v2
	v_cmp_eq_u32_e32 vcc, 0, v2
	s_and_saveexec_b64 s[8:9], vcc
	s_xor_b64 s[8:9], exec, s[8:9]
; %bb.23:
	v_mov_b32_e32 v2, 0
	v_mov_b64_e32 v[4:5], s[6:7]
	ds_add_u64 v2, v[4:5] offset:5136
.LBB118_24:
	s_or_b64 exec, exec, s[4:5]
	v_mov_b32_e32 v3, 0
	s_waitcnt lgkmcnt(0)
	s_barrier
	ds_read_b64 v[4:5], v3 offset:5136
	s_waitcnt lgkmcnt(0)
	v_readfirstlane_b32 s4, v4
	v_readfirstlane_b32 s5, v5
	s_mov_b64 s[6:7], exec
	v_readlane_b32 s8, v58, 36
	v_readlane_b32 s9, v58, 37
	s_and_b64 s[8:9], s[6:7], s[8:9]
	s_mov_b64 exec, s[8:9]
	s_cbranch_execz .LBB118_26
; %bb.25:
	v_mov_b32_e32 v4, s52
	v_mov_b32_e32 v5, s53
	;; [unrolled: 1-line block ×3, first 2 shown]
	ds_write_b32 v3, v3 offset:5144
	ds_write_b128 v3, v[2:5] offset:5120
.LBB118_26:
	s_or_b64 exec, exec, s[6:7]
	s_load_dword s3, s[0:1], 0x4f8
	v_cmp_lt_i64_e64 s[0:1], s[4:5], 1
	v_mbcnt_lo_u32_b32 v2, -1, 0
	v_mbcnt_hi_u32_b32 v36, -1, v2
	v_cmp_gt_u32_e32 vcc, 64, v0
	s_waitcnt lgkmcnt(0)
	s_bitcmp1_b32 s3, 0
	s_cselect_b64 s[6:7], -1, 0
	s_not_b64 s[4:5], s[4:5]
	s_or_b64 s[0:1], s[6:7], s[0:1]
	s_add_u32 s4, s52, s4
	s_addc_u32 s5, s53, s5
	s_lshr_b64 s[4:5], s[4:5], 1
	s_add_u32 s3, s4, 1
	s_addc_u32 s4, s5, 0
	s_and_b64 s[0:1], s[0:1], exec
	v_cmp_gt_i32_e64 s[0:1], 4, v36
	v_mov_b64_e32 v[4:5], 0x180
	s_cselect_b32 s9, s4, s53
	s_cselect_b32 s8, s3, s52
	s_and_b64 s[96:97], vcc, s[0:1]
	v_cmp_gt_u64_e64 s[0:1], s[52:53], v[4:5]
	s_barrier
	s_nop 0
	v_writelane_b32 v58, s0, 38
	s_mov_b32 s95, 0
	s_nop 0
	v_writelane_b32 v58, s1, 39
	v_mad_u64_u32 v[4:5], s[0:1], s78, v0, 0
	v_mov_b32_e32 v2, v5
	v_mad_u64_u32 v[6:7], s[0:1], s79, v0, v[2:3]
	s_load_dword s0, s[14:15], 0xc
	v_lshlrev_b32_e32 v2, 2, v36
	v_and_b32_e32 v39, 0x100, v2
	v_lshrrev_b32_e32 v2, 1, v0
	v_mov_b32_e32 v5, v6
	s_waitcnt lgkmcnt(0)
	s_and_b32 s92, s0, 0xffff
	s_bfe_u32 s0, s0, 0xa0006
	s_cmp_gt_u32 s92, 63
	s_cselect_b64 s[98:99], -1, 0
	s_add_u32 s1, s92, -1
	s_addc_u32 s3, 0, -1
	s_add_u32 s26, s1, s52
	s_addc_u32 s85, s3, s53
	s_cmp_lt_u32 s2, s12
	v_writelane_b32 v58, s1, 40
	s_cselect_b32 s1, 12, 18
	s_add_u32 s82, s14, s1
	s_addc_u32 s83, s15, 0
	s_add_i32 s1, s0, -1
	s_bfe_u32 s2, s92, 0x30006
	s_and_b32 s1, s1, 0xffff
	s_cmp_gt_u32 s1, 6
	v_writelane_b32 v58, s3, 41
	s_cselect_b64 s[10:11], -1, 0
	v_writelane_b32 v58, s10, 42
	s_and_b32 s27, s0, 0x3f8
	v_and_b32_e32 v2, 0x1e0, v2
	v_writelane_b32 v58, s11, 43
	s_cmp_lg_u32 s2, 0
	v_lshlrev_b32_e32 v37, 3, v0
	v_lshl_add_u64 v[18:19], v[4:5], 3, s[86:87]
	v_lshlrev_b64 v[4:5], v36, -1
	v_or_b32_e32 v40, 0xc00, v2
	v_writelane_b32 v58, s2, 44
	s_cselect_b64 s[0:1], -1, 0
	v_mov_b32_e32 v2, 0xc00
	v_cmp_eq_u32_e64 s[4:5], 0, v36
	v_cmp_gt_u32_e64 s[6:7], 2, v0
	v_add_u32_e32 v38, 0xc00, v37
	v_lshlrev_b32_e32 v20, 2, v0
	v_mov_b32_e32 v21, v3
	v_not_b32_e32 v23, v5
	v_not_b32_e32 v22, v4
	s_mov_b32 s93, s95
	v_writelane_b32 v58, s0, 45
	v_lshlrev_b32_e32 v41, 5, v0
	v_lshl_or_b32 v42, v36, 3, v2
	s_lshl_b32 s72, s92, 3
	s_mov_b32 s33, 62
	v_mov_b64_e32 v[8:9], 0
	s_mov_b64 s[90:91], 0
	v_mov_b64_e32 v[28:29], s[8:9]
	v_mov_b64_e32 v[24:25], 0
	;; [unrolled: 1-line block ×4, first 2 shown]
	v_mov_b32_e32 v5, 0x3ff00000
	v_mov_b32_e32 v43, 0x4f800000
	;; [unrolled: 1-line block ×4, first 2 shown]
	s_mov_b32 s73, 0
	v_writelane_b32 v58, s1, 46
                                        ; implicit-def: $sgpr74_sgpr75
                                        ; implicit-def: $sgpr68_sgpr69
                                        ; implicit-def: $sgpr88_sgpr89
                                        ; implicit-def: $sgpr80_sgpr81
                                        ; implicit-def: $sgpr54_sgpr55
                                        ; implicit-def: $sgpr70_sgpr71
	s_branch .LBB118_30
.LBB118_27:                             ;   in Loop: Header=BB118_30 Depth=1
	s_or_b64 exec, exec, s[12:13]
	s_and_b64 s[10:11], s[10:11], exec
	s_andn2_b64 s[24:25], s[24:25], exec
	s_andn2_b64 s[0:1], s[0:1], exec
	s_orn2_b64 s[16:17], s[8:9], exec
.LBB118_28:                             ;   in Loop: Header=BB118_30 Depth=1
	s_or_b64 exec, exec, s[2:3]
	s_andn2_b64 s[2:3], s[70:71], exec
	s_and_b64 s[8:9], s[10:11], exec
	s_or_b64 s[70:71], s[2:3], s[8:9]
	s_andn2_b64 s[2:3], s[54:55], exec
	s_and_b64 s[8:9], s[24:25], exec
	s_or_b64 s[54:55], s[2:3], s[8:9]
	s_andn2_b64 s[2:3], s[80:81], exec
	s_and_b64 s[0:1], s[0:1], exec
	s_or_b64 s[80:81], s[2:3], s[0:1]
	s_orn2_b64 s[0:1], s[16:17], exec
.LBB118_29:                             ;   in Loop: Header=BB118_30 Depth=1
	s_or_b64 exec, exec, s[14:15]
	s_and_b64 s[0:1], exec, s[0:1]
	s_or_b64 s[90:91], s[0:1], s[90:91]
	s_andn2_b64 s[0:1], s[88:89], exec
	s_and_b64 s[2:3], s[70:71], exec
	s_or_b64 s[88:89], s[0:1], s[2:3]
	s_andn2_b64 s[0:1], s[68:69], exec
	s_and_b64 s[2:3], s[54:55], exec
	;; [unrolled: 3-line block ×3, first 2 shown]
	s_or_b64 s[74:75], s[0:1], s[2:3]
	v_mov_b64_e32 v[28:29], v[14:15]
	s_andn2_b64 exec, exec, s[90:91]
	s_cbranch_execz .LBB118_296
.LBB118_30:                             ; =>This Loop Header: Depth=1
                                        ;     Child Loop BB118_36 Depth 2
                                        ;     Child Loop BB118_49 Depth 2
	;; [unrolled: 1-line block ×16, first 2 shown]
	ds_read_b128 v[10:13], v3 offset:5120
	s_waitcnt lgkmcnt(0)
	v_readfirstlane_b32 s77, v11
	v_readfirstlane_b32 s76, v10
	s_cmp_lg_u64 s[76:77], 0
	s_cbranch_scc1 .LBB118_57
; %bb.31:                               ;   in Loop: Header=BB118_30 Depth=1
	v_readlane_b32 s0, v58, 38
	v_readlane_b32 s1, v58, 39
	s_and_b64 vcc, exec, s[0:1]
	s_cbranch_vccz .LBB118_44
; %bb.32:                               ;   in Loop: Header=BB118_30 Depth=1
	s_mov_b64 s[0:1], 0x181
	v_cmp_gt_u64_e32 vcc, s[0:1], v[12:13]
	s_mov_b64 s[8:9], 0
	s_mov_b64 s[0:1], 0
	s_cbranch_vccz .LBB118_45
; %bb.33:                               ;   in Loop: Header=BB118_30 Depth=1
	s_mov_b64 s[10:11], exec
	v_readlane_b32 s0, v58, 34
	v_readlane_b32 s1, v58, 35
	s_and_b64 s[0:1], s[10:11], s[0:1]
	s_mov_b64 exec, s[0:1]
	s_cbranch_execz .LBB118_158
; %bb.34:                               ;   in Loop: Header=BB118_30 Depth=1
	global_load_ushort v2, v3, s[82:83]
	global_load_dwordx2 v[6:7], v[18:19], off
	s_mov_b64 s[12:13], 0
	v_mov_b64_e32 v[10:11], v[0:1]
	s_waitcnt vmcnt(1)
	v_and_b32_e32 v2, 0xffff, v2
	s_branch .LBB118_36
.LBB118_35:                             ;   in Loop: Header=BB118_36 Depth=2
	s_or_b64 exec, exec, s[2:3]
	v_mov_b64_e32 v[6:7], v[12:13]
	s_andn2_b64 exec, exec, s[12:13]
	s_cbranch_execz .LBB118_158
.LBB118_36:                             ;   Parent Loop BB118_30 Depth=1
                                        ; =>  This Inner Loop Header: Depth=2
	v_lshl_add_u64 v[10:11], v[10:11], 0, v[2:3]
	v_cmp_gt_u64_e64 s[0:1], s[52:53], v[10:11]
	v_cmp_le_u64_e32 vcc, s[52:53], v[10:11]
	v_mov_b64_e32 v[12:13], 0
	s_and_saveexec_b64 s[2:3], s[0:1]
	s_cbranch_execz .LBB118_38
; %bb.37:                               ;   in Loop: Header=BB118_36 Depth=2
	s_waitcnt lgkmcnt(0)
	v_mul_lo_u32 v4, v11, s78
	v_mul_lo_u32 v14, v10, s79
	v_mad_u64_u32 v[12:13], s[0:1], v10, s78, 0
	v_add3_u32 v13, v13, v14, v4
	v_lshl_add_u64 v[12:13], v[12:13], 3, s[86:87]
	global_load_dwordx2 v[12:13], v[12:13], off
.LBB118_38:                             ;   in Loop: Header=BB118_36 Depth=2
	s_or_b64 exec, exec, s[2:3]
	s_waitcnt vmcnt(0) lgkmcnt(0)
	v_ashrrev_i32_e32 v4, 31, v7
	v_or_b32_e32 v14, 0x80000000, v4
	v_xor_b32_e32 v14, v14, v7
	v_xor_b32_e32 v4, v4, v6
	v_cmp_o_f64_e64 s[0:1], v[6:7], v[6:7]
	s_nop 1
	v_cndmask_b32_e64 v14, -1, v14, s[0:1]
	v_cndmask_b32_e64 v4, -1, v4, s[0:1]
	v_and_b32_e32 v15, v14, v27
	v_and_b32_e32 v14, v4, v26
	v_cmp_eq_u64_e64 s[0:1], v[14:15], v[24:25]
	s_cmp_lg_u64 s[0:1], 0
	s_cselect_b64 s[2:3], -1, 0
	s_and_b64 s[2:3], s[4:5], s[2:3]
	v_mov_b32_e32 v4, 0
	s_and_saveexec_b64 s[14:15], s[2:3]
	s_cbranch_execz .LBB118_42
; %bb.39:                               ;   in Loop: Header=BB118_36 Depth=2
	s_mov_b64 s[18:19], exec
	v_mbcnt_lo_u32_b32 v4, s18, 0
	v_mbcnt_hi_u32_b32 v4, s19, v4
	s_bcnt1_i32_b64 s20, s[0:1]
	v_cmp_eq_u32_e64 s[2:3], 0, v4
                                        ; implicit-def: $vgpr14
	s_and_saveexec_b64 s[16:17], s[2:3]
; %bb.40:                               ;   in Loop: Header=BB118_36 Depth=2
	s_bcnt1_i32_b64 s2, s[18:19]
	s_mul_i32 s2, s20, s2
	v_mov_b32_e32 v14, s2
	ds_add_rtn_u32 v14, v3, v14 offset:5144
; %bb.41:                               ;   in Loop: Header=BB118_36 Depth=2
	s_or_b64 exec, exec, s[16:17]
	s_waitcnt lgkmcnt(0)
	v_readfirstlane_b32 s2, v14
	s_nop 1
	v_mov_b32_e32 v14, s2
	v_mad_u32_u24 v4, s20, v4, v14
.LBB118_42:                             ;   in Loop: Header=BB118_36 Depth=2
	s_or_b64 exec, exec, s[14:15]
	ds_bpermute_b32 v4, v39, v4
	s_and_b64 s[2:3], exec, vcc
	s_or_b64 s[12:13], s[2:3], s[12:13]
	s_and_saveexec_b64 s[2:3], s[0:1]
	s_cbranch_execz .LBB118_35
; %bb.43:                               ;   in Loop: Header=BB118_36 Depth=2
	v_and_b32_e32 v15, s0, v22
	v_and_b32_e32 v14, s1, v23
	v_bcnt_u32_b32 v15, v15, 0
	v_bcnt_u32_b32 v14, v14, v15
	v_lshlrev_b32_e32 v14, 3, v14
	s_waitcnt lgkmcnt(0)
	v_lshl_add_u32 v4, v4, 3, v14
	ds_write_b64 v4, v[6:7]
	s_branch .LBB118_35
.LBB118_44:                             ;   in Loop: Header=BB118_30 Depth=1
	s_mov_b64 s[8:9], -1
	s_mov_b64 s[0:1], 0
.LBB118_45:                             ;   in Loop: Header=BB118_30 Depth=1
	s_and_b64 vcc, exec, s[8:9]
	s_cbranch_vccz .LBB118_55
.LBB118_46:                             ;   in Loop: Header=BB118_30 Depth=1
	s_mov_b64 s[0:1], exec
	v_readlane_b32 s2, v58, 34
	v_readlane_b32 s3, v58, 35
	s_and_b64 s[2:3], s[0:1], s[2:3]
	s_mov_b64 exec, s[2:3]
	s_cbranch_execz .LBB118_52
; %bb.47:                               ;   in Loop: Header=BB118_30 Depth=1
	global_load_ushort v2, v3, s[82:83]
	global_load_dwordx2 v[10:11], v[18:19], off
	v_mov_b32_e32 v4, v0
	s_waitcnt vmcnt(1)
	v_and_b32_e32 v6, 0xffff, v2
	v_add_u32_e32 v2, v6, v0
	v_cmp_gt_u64_e32 vcc, s[52:53], v[2:3]
	s_and_saveexec_b64 s[2:3], vcc
	s_cbranch_execz .LBB118_51
; %bb.48:                               ;   in Loop: Header=BB118_30 Depth=1
	v_mov_b32_e32 v7, v3
	s_mov_b64 s[8:9], 0
	v_mov_b64_e32 v[16:17], v[2:3]
	v_mov_b64_e32 v[12:13], v[0:1]
.LBB118_49:                             ;   Parent Loop BB118_30 Depth=1
                                        ; =>  This Inner Loop Header: Depth=2
	v_mov_b64_e32 v[30:31], v[16:17]
	v_mul_lo_u32 v2, v31, s78
	v_mul_lo_u32 v4, v30, s79
	v_mad_u64_u32 v[14:15], s[10:11], v30, s78, 0
	v_add3_u32 v15, v15, v4, v2
	v_lshl_add_u64 v[14:15], v[14:15], 3, s[86:87]
	global_load_dwordx2 v[14:15], v[14:15], off
	v_lshl_add_u64 v[16:17], v[30:31], 0, v[6:7]
	v_lshlrev_b32_e32 v2, 3, v12
	v_cmp_le_u64_e32 vcc, s[52:53], v[16:17]
	s_waitcnt vmcnt(1)
	ds_write_b64 v2, v[10:11]
	v_mov_b64_e32 v[12:13], v[30:31]
	s_or_b64 s[8:9], vcc, s[8:9]
	s_waitcnt vmcnt(0)
	v_mov_b64_e32 v[10:11], v[14:15]
	s_andn2_b64 exec, exec, s[8:9]
	s_cbranch_execnz .LBB118_49
; %bb.50:                               ;   in Loop: Header=BB118_30 Depth=1
	s_or_b64 exec, exec, s[8:9]
	v_sub_u32_e32 v4, v16, v6
	v_mov_b64_e32 v[10:11], v[14:15]
.LBB118_51:                             ;   in Loop: Header=BB118_30 Depth=1
	s_or_b64 exec, exec, s[2:3]
	v_lshlrev_b32_e32 v2, 3, v4
	s_waitcnt vmcnt(0)
	ds_write_b64 v2, v[10:11]
.LBB118_52:                             ;   in Loop: Header=BB118_30 Depth=1
	s_or_b64 exec, exec, s[0:1]
	s_waitcnt lgkmcnt(0)
	s_barrier
	s_mov_b64 s[0:1], exec
	v_readlane_b32 s2, v58, 36
	v_readlane_b32 s3, v58, 37
	s_and_b64 s[2:3], s[0:1], s[2:3]
	s_mov_b64 exec, s[2:3]
; %bb.53:                               ;   in Loop: Header=BB118_30 Depth=1
	ds_write_b64 v3, v[46:47] offset:5120
; %bb.54:                               ;   in Loop: Header=BB118_30 Depth=1
	s_or_b64 exec, exec, s[0:1]
	s_mov_b64 s[0:1], -1
	s_waitcnt lgkmcnt(0)
	s_barrier
.LBB118_55:                             ;   in Loop: Header=BB118_30 Depth=1
	s_mov_b64 s[76:77], 0
	s_and_b64 vcc, exec, s[0:1]
	s_cbranch_vccz .LBB118_57
; %bb.56:                               ;   in Loop: Header=BB118_30 Depth=1
	ds_read_b64 v[6:7], v3 offset:5120
	s_waitcnt lgkmcnt(0)
	v_readfirstlane_b32 s76, v6
.LBB118_57:                             ;   in Loop: Header=BB118_30 Depth=1
	s_cmp_lt_i32 s76, 1
	s_mov_b64 s[0:1], -1
                                        ; implicit-def: $vgpr10_vgpr11
                                        ; implicit-def: $vgpr14_vgpr15
	s_cbranch_scc1 .LBB118_67
; %bb.58:                               ;   in Loop: Header=BB118_30 Depth=1
	s_and_b64 vcc, exec, s[0:1]
	s_cbranch_vccnz .LBB118_81
.LBB118_59:                             ;   in Loop: Header=BB118_30 Depth=1
	s_lshl_b32 s2, s73, 6
	s_and_saveexec_b64 s[0:1], s[4:5]
	s_cbranch_execz .LBB118_61
.LBB118_60:                             ;   in Loop: Header=BB118_30 Depth=1
	v_lshl_add_u32 v2, s2, 3, v40
	ds_write_b128 v2, v[10:13]
	ds_write_b128 v2, v[14:17] offset:16
.LBB118_61:                             ;   in Loop: Header=BB118_30 Depth=1
	s_or_b64 exec, exec, s[0:1]
	s_waitcnt lgkmcnt(0)
	s_barrier
	s_and_saveexec_b64 s[0:1], s[96:97]
	s_cbranch_execz .LBB118_96
; %bb.62:                               ;   in Loop: Header=BB118_30 Depth=1
	s_andn2_b64 vcc, exec, s[98:99]
	v_mov_b64_e32 v[6:7], 0
	s_cbranch_vccnz .LBB118_95
; %bb.63:                               ;   in Loop: Header=BB118_30 Depth=1
	v_readlane_b32 s8, v58, 42
	v_readlane_b32 s9, v58, 43
	s_andn2_b64 vcc, exec, s[8:9]
	s_cbranch_vccnz .LBB118_91
; %bb.64:                               ;   in Loop: Header=BB118_30 Depth=1
	v_lshl_add_u32 v2, s73, 9, v42
	v_mov_b64_e32 v[6:7], 0
	s_mov_b32 s3, 0
.LBB118_65:                             ;   Parent Loop BB118_30 Depth=1
                                        ; =>  This Inner Loop Header: Depth=2
	ds_read2_b64 v[10:13], v2 offset1:4
	ds_read2_b64 v[14:17], v2 offset0:8 offset1:12
	ds_read2_b64 v[30:33], v2 offset0:16 offset1:20
	;; [unrolled: 1-line block ×3, first 2 shown]
	s_add_i32 s3, s3, 8
	s_waitcnt lgkmcnt(3)
	v_lshl_add_u64 v[6:7], v[10:11], 0, v[6:7]
	v_lshl_add_u64 v[6:7], v[12:13], 0, v[6:7]
	s_waitcnt lgkmcnt(2)
	v_lshl_add_u64 v[6:7], v[14:15], 0, v[6:7]
	v_lshl_add_u64 v[6:7], v[16:17], 0, v[6:7]
	;; [unrolled: 3-line block ×3, first 2 shown]
	s_waitcnt lgkmcnt(0)
	v_lshl_add_u64 v[6:7], v[50:51], 0, v[6:7]
	v_add_u32_e32 v2, 0x100, v2
	s_cmp_eq_u32 s27, s3
	v_lshl_add_u64 v[6:7], v[52:53], 0, v[6:7]
	s_cbranch_scc0 .LBB118_65
; %bb.66:                               ;   in Loop: Header=BB118_30 Depth=1
	s_mov_b32 s3, s27
	s_branch .LBB118_92
.LBB118_67:                             ;   in Loop: Header=BB118_30 Depth=1
	global_load_ushort v4, v3, s[82:83]
	s_mov_b32 s0, s95
	s_waitcnt vmcnt(0)
	v_readfirstlane_b32 s1, v4
	s_and_b32 s1, 0xffff, s1
	s_lshl_b32 s94, s1, 2
	s_mov_b32 s1, s53
	s_cmp_lg_u64 s[0:1], 0
	s_cbranch_scc0 .LBB118_90
; %bb.68:                               ;   in Loop: Header=BB118_30 Depth=1
	v_cvt_f32_u32_e32 v2, s94
	s_sub_u32 s2, 0, s94
	s_subb_u32 s3, 0, 0
	v_fmac_f32_e32 v2, 0, v43
	v_rcp_f32_e32 v2, v2
	s_nop 0
	v_mul_f32_e32 v2, 0x5f7ffffc, v2
	v_mul_f32_e32 v6, 0x2f800000, v2
	v_trunc_f32_e32 v6, v6
	v_fmac_f32_e32 v2, 0xcf800000, v6
	v_cvt_u32_f32_e32 v6, v6
	v_cvt_u32_f32_e32 v2, v2
	v_readfirstlane_b32 s8, v6
	v_readfirstlane_b32 s0, v2
	s_mul_i32 s1, s2, s8
	s_mul_hi_u32 s10, s2, s0
	s_mul_i32 s9, s3, s0
	s_add_i32 s1, s10, s1
	s_mul_i32 s11, s2, s0
	s_add_i32 s1, s1, s9
	s_mul_hi_u32 s10, s0, s11
	s_mul_i32 s12, s0, s1
	s_mul_hi_u32 s9, s0, s1
	s_add_u32 s10, s10, s12
	s_addc_u32 s9, 0, s9
	s_mul_hi_u32 s13, s8, s11
	s_mul_i32 s11, s8, s11
	s_add_u32 s10, s10, s11
	s_mul_hi_u32 s12, s8, s1
	s_addc_u32 s9, s9, s13
	s_addc_u32 s10, s12, 0
	s_mul_i32 s1, s8, s1
	s_add_u32 s1, s9, s1
	s_addc_u32 s9, 0, s10
	s_add_u32 s10, s0, s1
	s_cselect_b64 s[0:1], -1, 0
	s_cmp_lg_u64 s[0:1], 0
	s_addc_u32 s8, s8, s9
	s_mul_i32 s0, s2, s8
	s_mul_hi_u32 s1, s2, s10
	s_add_i32 s0, s1, s0
	s_mul_i32 s3, s3, s10
	s_add_i32 s0, s0, s3
	s_mul_i32 s2, s2, s10
	s_mul_hi_u32 s3, s8, s2
	s_mul_i32 s9, s8, s2
	s_mul_i32 s12, s10, s0
	s_mul_hi_u32 s2, s10, s2
	s_mul_hi_u32 s11, s10, s0
	s_add_u32 s2, s2, s12
	s_addc_u32 s11, 0, s11
	s_add_u32 s2, s2, s9
	s_mul_hi_u32 s1, s8, s0
	s_addc_u32 s2, s11, s3
	s_addc_u32 s1, s1, 0
	s_mul_i32 s0, s8, s0
	s_add_u32 s0, s2, s0
	s_addc_u32 s2, 0, s1
	s_add_u32 s3, s10, s0
	s_cselect_b64 s[0:1], -1, 0
	s_cmp_lg_u64 s[0:1], 0
	s_addc_u32 s0, s8, s2
	s_mul_i32 s2, s52, s0
	s_mul_hi_u32 s8, s52, s3
	s_mul_hi_u32 s1, s52, s0
	s_add_u32 s2, s8, s2
	s_addc_u32 s1, 0, s1
	s_mul_hi_u32 s9, s53, s3
	s_mul_i32 s3, s53, s3
	s_add_u32 s2, s2, s3
	s_mul_hi_u32 s8, s53, s0
	s_addc_u32 s1, s1, s9
	s_addc_u32 s2, s8, 0
	s_mul_i32 s0, s53, s0
	s_add_u32 s0, s1, s0
	s_addc_u32 s1, 0, s2
	s_mul_i32 s1, s94, s1
	s_mul_hi_u32 s2, s94, s0
	s_add_i32 s2, s2, s1
	s_mul_i32 s0, s94, s0
	s_sub_u32 s3, s52, s0
	s_cselect_b64 s[0:1], -1, 0
	s_cmp_lg_u64 s[0:1], 0
	s_subb_u32 s2, s53, s2
	s_sub_u32 s8, s3, s94
	s_cselect_b64 s[0:1], -1, 0
	s_cmp_lg_u64 s[0:1], 0
	s_subb_u32 s9, s2, 0
	;; [unrolled: 4-line block ×3, first 2 shown]
	s_cmp_ge_u32 s8, s94
	s_cselect_b32 s1, -1, 0
	s_cmp_eq_u32 s9, 0
	s_cselect_b32 s1, s1, -1
	s_cmp_lg_u32 s1, 0
	s_cselect_b32 s0, s0, s9
	s_cselect_b32 s8, s10, s8
	s_cmp_ge_u32 s3, s94
	s_cselect_b32 s1, -1, 0
	s_cmp_eq_u32 s2, 0
	s_cselect_b32 s1, s1, -1
	s_cmp_lg_u32 s1, 0
	s_cselect_b32 s1, s0, s2
	s_cselect_b32 s0, s8, s3
	s_cbranch_execnz .LBB118_70
.LBB118_69:                             ;   in Loop: Header=BB118_30 Depth=1
	v_cvt_f32_u32_e32 v2, s94
	s_sub_i32 s0, 0, s94
	v_rcp_iflag_f32_e32 v2, v2
	s_nop 0
	v_mul_f32_e32 v2, 0x4f7ffffe, v2
	v_cvt_u32_f32_e32 v2, v2
	s_nop 0
	v_readfirstlane_b32 s1, v2
	s_mul_i32 s0, s0, s1
	s_mul_hi_u32 s0, s1, s0
	s_add_i32 s1, s1, s0
	s_mul_hi_u32 s0, s52, s1
	s_mul_i32 s0, s0, s94
	s_sub_i32 s0, s52, s0
	s_sub_i32 s1, s0, s94
	s_cmp_ge_u32 s0, s94
	s_cselect_b32 s0, s1, s0
	s_sub_i32 s1, s0, s94
	s_cmp_ge_u32 s0, s94
	s_cselect_b32 s0, s1, s0
	s_mov_b32 s1, s95
.LBB118_70:                             ;   in Loop: Header=BB118_30 Depth=1
	s_sub_u32 s50, s52, s0
	s_subb_u32 s51, s53, s1
	v_cmp_gt_u64_e32 vcc, s[50:51], v[20:21]
	v_mov_b64_e32 v[10:11], 0
	v_mov_b64_e32 v[12:13], 0
	;; [unrolled: 1-line block ×4, first 2 shown]
	s_and_saveexec_b64 s[56:57], vcc
	s_cbranch_execz .LBB118_74
; %bb.71:                               ;   in Loop: Header=BB118_30 Depth=1
	s_mov_b64 s[58:59], 0
	s_mov_b64 s[64:65], 0
	;; [unrolled: 1-line block ×5, first 2 shown]
	v_mov_b64_e32 v[6:7], v[20:21]
.LBB118_72:                             ;   Parent Loop BB118_30 Depth=1
                                        ; =>  This Inner Loop Header: Depth=2
	v_mul_lo_u32 v2, v7, s78
	v_mul_lo_u32 v10, v6, s79
	v_mad_u64_u32 v[16:17], s[0:1], v6, s78, 0
	v_add3_u32 v17, v17, v10, v2
	s_lshl_b64 s[0:1], s[78:79], 3
	v_lshl_add_u64 v[16:17], v[16:17], 3, s[86:87]
	global_load_dwordx2 v[30:31], v[16:17], off
	v_lshl_add_u64 v[16:17], v[16:17], 0, s[0:1]
	global_load_dwordx2 v[32:33], v[16:17], off
	;; [unrolled: 2-line block ×4, first 2 shown]
	v_mov_b32_e32 v15, v3
	v_mov_b32_e32 v13, v3
	v_mov_b32_e32 v11, v3
	v_lshl_add_u64 v[6:7], v[6:7], 0, s[94:95]
	v_cmp_le_u64_e32 vcc, s[50:51], v[6:7]
	s_waitcnt vmcnt(3)
	v_ashrrev_i32_e32 v2, 31, v31
	v_xor_b32_e32 v10, v2, v30
	v_or_b32_e32 v2, 0x80000000, v2
	s_waitcnt vmcnt(2)
	v_ashrrev_i32_e32 v12, 31, v33
	v_cmp_o_f64_e64 s[0:1], v[30:31], v[30:31]
	v_xor_b32_e32 v14, v12, v32
	v_cmp_o_f64_e64 s[2:3], v[32:33], v[32:33]
	v_xor_b32_e32 v2, v2, v31
	v_or_b32_e32 v12, 0x80000000, v12
	s_waitcnt vmcnt(1)
	v_ashrrev_i32_e32 v32, 31, v35
	v_cndmask_b32_e64 v30, -1, v10, s[0:1]
	v_cndmask_b32_e64 v31, -1, v2, s[0:1]
	v_xor_b32_e32 v2, v12, v33
	v_or_b32_e32 v12, 0x80000000, v32
	s_waitcnt vmcnt(0)
	v_ashrrev_i32_e32 v44, 31, v17
	v_xor_b32_e32 v10, v32, v34
	v_cmp_o_f64_e64 s[12:13], v[34:35], v[34:35]
	v_cndmask_b32_e64 v32, -1, v14, s[2:3]
	v_and_b32_e32 v34, v30, v26
	v_cndmask_b32_e64 v33, -1, v2, s[2:3]
	v_xor_b32_e32 v2, v12, v35
	v_or_b32_e32 v12, 0x80000000, v44
	v_and_b32_e32 v35, v31, v27
	v_lshrrev_b64 v[30:31], s33, v[30:31]
	v_xor_b32_e32 v14, v44, v16
	v_cmp_o_f64_e64 s[14:15], v[16:17], v[16:17]
	v_cndmask_b32_e64 v44, -1, v10, s[12:13]
	v_and_b32_e32 v16, v32, v26
	v_cndmask_b32_e64 v45, -1, v2, s[12:13]
	v_xor_b32_e32 v10, v12, v17
	v_and_b32_e32 v17, v33, v27
	v_and_b32_e32 v2, 3, v30
	v_lshrrev_b64 v[30:31], s33, v[32:33]
	v_cmp_eq_u64_e64 s[0:1], v[34:35], v[24:25]
	v_cndmask_b32_e64 v32, -1, v14, s[14:15]
	v_cndmask_b32_e64 v33, -1, v10, s[14:15]
	v_cmp_eq_u64_e64 s[12:13], v[16:17], v[24:25]
	v_and_b32_e32 v14, 3, v30
	v_lshrrev_b64 v[16:17], s33, v[44:45]
	v_cmp_eq_u64_e64 s[2:3], 0, v[2:3]
	v_and_b32_e32 v34, v44, v26
	v_and_b32_e32 v35, v45, v27
	v_and_b32_e32 v12, 3, v16
	v_lshrrev_b64 v[16:17], s33, v[32:33]
	v_cmp_eq_u64_e64 s[24:25], 0, v[14:15]
	s_and_b64 s[2:3], s[0:1], s[2:3]
	v_cmp_eq_u64_e64 s[28:29], 1, v[2:3]
	v_cmp_eq_u64_e64 s[30:31], 2, v[2:3]
	;; [unrolled: 1-line block ×3, first 2 shown]
	v_and_b32_e32 v30, v32, v26
	v_cmp_eq_u64_e64 s[14:15], v[34:35], v[24:25]
	v_and_b32_e32 v31, v33, v27
	v_cndmask_b32_e64 v2, 0, 1, s[2:3]
	v_and_b32_e32 v10, 3, v16
	v_cmp_eq_u64_e64 s[2:3], 0, v[12:13]
	s_and_b64 s[8:9], s[12:13], s[24:25]
	v_cmp_eq_u64_e64 s[18:19], v[30:31], v[24:25]
	v_cmp_ne_u32_e64 s[42:43], 0, v2
	v_cndmask_b32_e64 v2, 0, 1, s[8:9]
	v_cmp_eq_u64_e64 s[44:45], 0, v[10:11]
	s_and_b64 s[2:3], s[14:15], s[2:3]
	s_bcnt1_i32_b64 s10, s[42:43]
	v_cmp_ne_u32_e64 s[42:43], 0, v2
	v_cndmask_b32_e64 v2, 0, 1, s[2:3]
	s_and_b64 s[8:9], s[18:19], s[44:45]
	v_cmp_ne_u32_e64 s[2:3], 0, v2
	v_cndmask_b32_e64 v2, 0, 1, s[8:9]
	s_bcnt1_i32_b64 s8, s[2:3]
	v_cmp_ne_u32_e64 s[2:3], 0, v2
	s_bcnt1_i32_b64 s11, s[42:43]
	s_bcnt1_i32_b64 s2, s[2:3]
	s_add_u32 s3, s10, s62
	s_addc_u32 s9, 0, s63
	s_add_u32 s3, s3, s11
	s_addc_u32 s9, s9, 0
	s_add_u32 s3, s3, s8
	s_addc_u32 s8, s9, 0
	s_add_u32 s62, s3, s2
	v_cmp_eq_u64_e64 s[34:35], 1, v[14:15]
	s_addc_u32 s63, s8, 0
	s_and_b64 s[2:3], s[0:1], s[28:29]
	v_cmp_eq_u64_e64 s[38:39], 1, v[12:13]
	v_cndmask_b32_e64 v2, 0, 1, s[2:3]
	s_and_b64 s[2:3], s[12:13], s[34:35]
	v_cmp_eq_u64_e64 s[40:41], 2, v[12:13]
	v_cmp_eq_u64_e64 s[22:23], 3, v[12:13]
	;; [unrolled: 1-line block ×3, first 2 shown]
	v_cndmask_b32_e64 v12, 0, 1, s[2:3]
	s_and_b64 s[2:3], s[14:15], s[38:39]
	v_cndmask_b32_e64 v13, 0, 1, s[2:3]
	s_and_b64 s[2:3], s[18:19], s[46:47]
	v_cmp_eq_u64_e64 s[36:37], 2, v[14:15]
	v_cmp_eq_u64_e64 s[20:21], 3, v[14:15]
	v_cndmask_b32_e64 v14, 0, 1, s[2:3]
	v_cmp_ne_u32_e64 s[2:3], 0, v2
	v_cmp_ne_u32_e64 s[28:29], 0, v12
	;; [unrolled: 1-line block ×4, first 2 shown]
	s_bcnt1_i32_b64 s2, s[2:3]
	s_bcnt1_i32_b64 s3, s[28:29]
	;; [unrolled: 1-line block ×4, first 2 shown]
	s_add_u32 s2, s2, s60
	s_addc_u32 s10, 0, s61
	s_add_u32 s2, s2, s3
	s_addc_u32 s3, s10, 0
	;; [unrolled: 2-line block ×4, first 2 shown]
	s_and_b64 s[2:3], s[0:1], s[30:31]
	v_cndmask_b32_e64 v2, 0, 1, s[2:3]
	s_and_b64 s[2:3], s[12:13], s[36:37]
	v_cmp_eq_u64_e64 s[48:49], 2, v[10:11]
	v_cndmask_b32_e64 v14, 0, 1, s[2:3]
	s_and_b64 s[2:3], s[14:15], s[40:41]
	v_cndmask_b32_e64 v15, 0, 1, s[2:3]
	s_and_b64 s[2:3], s[18:19], s[48:49]
	v_cndmask_b32_e64 v16, 0, 1, s[2:3]
	v_cmp_ne_u32_e64 s[2:3], 0, v2
	v_cmp_ne_u32_e64 s[28:29], 0, v14
	;; [unrolled: 1-line block ×4, first 2 shown]
	s_bcnt1_i32_b64 s2, s[2:3]
	s_bcnt1_i32_b64 s3, s[28:29]
	;; [unrolled: 1-line block ×4, first 2 shown]
	s_add_u32 s2, s2, s66
	s_addc_u32 s10, 0, s67
	s_add_u32 s2, s2, s3
	s_addc_u32 s3, s10, 0
	;; [unrolled: 2-line block ×4, first 2 shown]
	s_and_b64 s[0:1], s[0:1], s[16:17]
	v_cndmask_b32_e64 v2, 0, 1, s[0:1]
	s_and_b64 s[0:1], s[12:13], s[20:21]
	v_cmp_eq_u64_e64 s[24:25], 3, v[10:11]
	v_cndmask_b32_e64 v16, 0, 1, s[0:1]
	s_and_b64 s[0:1], s[14:15], s[22:23]
	v_cndmask_b32_e64 v17, 0, 1, s[0:1]
	s_and_b64 s[0:1], s[18:19], s[24:25]
	v_cndmask_b32_e64 v30, 0, 1, s[0:1]
	v_cmp_ne_u32_e64 s[0:1], 0, v2
	v_cmp_ne_u32_e64 s[2:3], 0, v16
	;; [unrolled: 1-line block ×4, first 2 shown]
	s_bcnt1_i32_b64 s0, s[0:1]
	s_bcnt1_i32_b64 s1, s[2:3]
	;; [unrolled: 1-line block ×4, first 2 shown]
	s_add_u32 s0, s0, s64
	s_addc_u32 s8, 0, s65
	s_add_u32 s0, s0, s1
	s_addc_u32 s1, s8, 0
	s_add_u32 s0, s0, s2
	s_addc_u32 s1, s1, 0
	s_add_u32 s64, s0, s3
	s_addc_u32 s65, s1, 0
	v_mov_b64_e32 v[10:11], s[62:63]
	v_mov_b64_e32 v[12:13], s[60:61]
	;; [unrolled: 1-line block ×3, first 2 shown]
	s_or_b64 s[58:59], vcc, s[58:59]
	v_mov_b64_e32 v[16:17], s[64:65]
	s_andn2_b64 exec, exec, s[58:59]
	s_cbranch_execnz .LBB118_72
; %bb.73:                               ;   in Loop: Header=BB118_30 Depth=1
	s_or_b64 exec, exec, s[58:59]
.LBB118_74:                             ;   in Loop: Header=BB118_30 Depth=1
	s_or_b64 exec, exec, s[56:57]
	v_lshl_add_u64 v[30:31], s[50:51], 0, v[0:1]
	v_and_b32_e32 v6, 0xffff, v4
	v_mov_b32_e32 v7, v3
	v_cmp_gt_u64_e32 vcc, s[52:53], v[30:31]
	s_and_saveexec_b64 s[2:3], vcc
	s_cbranch_execz .LBB118_80
; %bb.75:                               ;   in Loop: Header=BB118_30 Depth=1
	v_mul_lo_u32 v2, v31, s78
	v_mul_lo_u32 v4, v30, s79
	v_mad_u64_u32 v[32:33], s[0:1], v30, s78, 0
	v_add3_u32 v33, v33, v4, v2
	v_lshl_add_u64 v[32:33], v[32:33], 3, s[86:87]
	global_load_dwordx2 v[34:35], v[32:33], off
	s_mov_b64 s[8:9], 0
	s_branch .LBB118_77
.LBB118_76:                             ;   in Loop: Header=BB118_77 Depth=2
	s_or_b64 exec, exec, s[10:11]
	s_waitcnt vmcnt(0)
	v_ashrrev_i32_e32 v2, 31, v35
	v_or_b32_e32 v4, 0x80000000, v2
	s_and_b64 s[0:1], exec, vcc
	v_xor_b32_e32 v4, v4, v35
	v_xor_b32_e32 v2, v2, v34
	v_cmp_o_f64_e32 vcc, v[34:35], v[34:35]
	s_or_b64 s[8:9], s[0:1], s[8:9]
	s_nop 0
	v_cndmask_b32_e32 v35, -1, v4, vcc
	v_cndmask_b32_e32 v34, -1, v2, vcc
	v_and_b32_e32 v45, v35, v27
	v_and_b32_e32 v44, v34, v26
	v_lshrrev_b64 v[34:35], s33, v[34:35]
	v_and_b32_e32 v2, 3, v34
	v_cmp_eq_u64_e32 vcc, v[44:45], v[24:25]
	v_cmp_eq_u64_e64 s[0:1], 0, v[2:3]
	s_and_b64 s[0:1], vcc, s[0:1]
	v_mov_b64_e32 v[34:35], v[32:33]
	v_cndmask_b32_e64 v4, 0, 1, s[0:1]
	v_cmp_ne_u32_e64 s[0:1], 0, v4
	s_bcnt1_i32_b64 s94, s[0:1]
	v_cmp_eq_u64_e64 s[0:1], 1, v[2:3]
	s_and_b64 s[0:1], vcc, s[0:1]
	v_lshl_add_u64 v[10:11], s[94:95], 0, v[10:11]
	v_cndmask_b32_e64 v4, 0, 1, s[0:1]
	v_cmp_ne_u32_e64 s[0:1], 0, v4
	s_bcnt1_i32_b64 s94, s[0:1]
	v_cmp_eq_u64_e64 s[0:1], 2, v[2:3]
	s_and_b64 s[0:1], vcc, s[0:1]
	v_lshl_add_u64 v[12:13], s[94:95], 0, v[12:13]
	;; [unrolled: 6-line block ×3, first 2 shown]
	v_cndmask_b32_e64 v2, 0, 1, s[0:1]
	v_cmp_ne_u32_e32 vcc, 0, v2
	s_bcnt1_i32_b64 s94, vcc
	v_lshl_add_u64 v[16:17], s[94:95], 0, v[16:17]
	s_andn2_b64 exec, exec, s[8:9]
	s_cbranch_execz .LBB118_79
.LBB118_77:                             ;   Parent Loop BB118_30 Depth=1
                                        ; =>  This Inner Loop Header: Depth=2
	v_lshl_add_u64 v[30:31], v[30:31], 0, v[6:7]
	v_cmp_gt_u64_e64 s[0:1], s[52:53], v[30:31]
	v_cmp_le_u64_e32 vcc, s[52:53], v[30:31]
	v_mov_b64_e32 v[32:33], 0
	s_and_saveexec_b64 s[10:11], s[0:1]
	s_cbranch_execz .LBB118_76
; %bb.78:                               ;   in Loop: Header=BB118_77 Depth=2
	v_mul_lo_u32 v2, v31, s78
	v_mul_lo_u32 v4, v30, s79
	v_mad_u64_u32 v[32:33], s[0:1], v30, s78, 0
	v_add3_u32 v33, v33, v4, v2
	v_lshl_add_u64 v[32:33], v[32:33], 3, s[86:87]
	global_load_dwordx2 v[32:33], v[32:33], off
	s_branch .LBB118_76
.LBB118_79:                             ;   in Loop: Header=BB118_30 Depth=1
	s_or_b64 exec, exec, s[8:9]
.LBB118_80:                             ;   in Loop: Header=BB118_30 Depth=1
	s_or_b64 exec, exec, s[2:3]
	s_branch .LBB118_59
.LBB118_81:                             ;   in Loop: Header=BB118_30 Depth=1
	global_load_ushort v4, v3, s[82:83]
	v_mov_b64_e32 v[10:11], 0
	v_mov_b64_e32 v[12:13], 0
	v_mov_b64_e32 v[14:15], 0
	v_mov_b64_e32 v[16:17], 0
	s_waitcnt vmcnt(0)
	v_readfirstlane_b32 s0, v4
	s_and_b32 s77, 0xffff, s0
	s_lshl_b32 s94, s77, 2
	v_cvt_f32_u32_e32 v2, s94
	s_sub_i32 s0, 0, s94
	v_rcp_iflag_f32_e32 v2, v2
	s_nop 0
	v_mul_f32_e32 v2, 0x4f7ffffe, v2
	v_cvt_u32_f32_e32 v2, v2
	s_nop 0
	v_readfirstlane_b32 s1, v2
	s_mul_i32 s0, s0, s1
	s_mul_hi_u32 s0, s1, s0
	s_add_i32 s1, s1, s0
	s_mul_hi_u32 s0, s76, s1
	s_mul_i32 s1, s0, s94
	s_sub_i32 s1, s76, s1
	s_add_i32 s2, s0, 1
	s_sub_i32 s3, s1, s94
	s_cmp_ge_u32 s1, s94
	s_cselect_b32 s0, s2, s0
	s_cselect_b32 s1, s3, s1
	s_add_i32 s2, s0, 1
	s_cmp_ge_u32 s1, s94
	s_cselect_b32 s0, s2, s0
	s_mul_hi_u32 s57, s77, s0
	s_mul_i32 s56, s77, s0
	s_lshl_b64 s[58:59], s[56:57], 2
	v_cmp_gt_u64_e32 vcc, s[58:59], v[20:21]
	s_and_saveexec_b64 s[60:61], vcc
	s_cbranch_execz .LBB118_85
; %bb.82:                               ;   in Loop: Header=BB118_30 Depth=1
	s_lshl_b32 s57, s77, 5
	s_mov_b64 s[62:63], 0
	v_mov_b32_e32 v44, v41
	s_mov_b64 s[64:65], 0
	s_mov_b64 s[66:67], 0
	;; [unrolled: 1-line block ×4, first 2 shown]
	v_mov_b64_e32 v[6:7], v[20:21]
.LBB118_83:                             ;   Parent Loop BB118_30 Depth=1
                                        ; =>  This Inner Loop Header: Depth=2
	ds_read_b128 v[14:17], v44
	ds_read_b128 v[10:13], v44 offset:16
	v_mov_b32_e32 v31, v3
	v_mov_b32_e32 v33, v3
	v_mov_b32_e32 v35, v3
	s_waitcnt lgkmcnt(1)
	v_ashrrev_i32_e32 v2, 31, v15
	v_ashrrev_i32_e32 v30, 31, v17
	s_waitcnt lgkmcnt(0)
	v_ashrrev_i32_e32 v32, 31, v11
	v_ashrrev_i32_e32 v34, 31, v13
	v_xor_b32_e32 v45, v30, v16
	v_cmp_o_f64_e64 s[0:1], v[16:17], v[16:17]
	v_xor_b32_e32 v16, v32, v10
	v_cmp_o_f64_e64 s[2:3], v[10:11], v[10:11]
	v_xor_b32_e32 v10, v2, v14
	v_or_b32_e32 v2, 0x80000000, v2
	v_xor_b32_e32 v50, v34, v12
	v_cmp_o_f64_e64 s[12:13], v[12:13], v[12:13]
	v_cmp_o_f64_e64 s[14:15], v[14:15], v[14:15]
	v_or_b32_e32 v12, 0x80000000, v30
	v_or_b32_e32 v14, 0x80000000, v32
	v_xor_b32_e32 v2, v2, v15
	v_or_b32_e32 v30, 0x80000000, v34
	v_xor_b32_e32 v15, v12, v17
	v_xor_b32_e32 v17, v14, v11
	v_cndmask_b32_e64 v10, -1, v10, s[14:15]
	v_cndmask_b32_e64 v11, -1, v2, s[14:15]
	v_xor_b32_e32 v30, v30, v13
	v_cndmask_b32_e64 v12, -1, v45, s[0:1]
	v_cndmask_b32_e64 v14, -1, v16, s[2:3]
	;; [unrolled: 1-line block ×4, first 2 shown]
	v_and_b32_e32 v50, v10, v26
	v_and_b32_e32 v51, v11, v27
	v_lshrrev_b64 v[10:11], s33, v[10:11]
	v_cndmask_b32_e64 v15, -1, v17, s[2:3]
	v_and_b32_e32 v52, v12, v26
	v_and_b32_e32 v53, v13, v27
	v_lshrrev_b64 v[12:13], s33, v[12:13]
	v_and_b32_e32 v2, 3, v10
	v_cndmask_b32_e64 v17, -1, v30, s[12:13]
	v_and_b32_e32 v54, v14, v26
	v_and_b32_e32 v55, v15, v27
	v_lshrrev_b64 v[14:15], s33, v[14:15]
	v_cmp_eq_u64_e64 s[16:17], v[50:51], v[24:25]
	v_and_b32_e32 v30, 3, v12
	v_cmp_eq_u64_e64 s[2:3], 0, v[2:3]
	v_and_b32_e32 v56, v16, v26
	v_and_b32_e32 v57, v17, v27
	v_lshrrev_b64 v[16:17], s33, v[16:17]
	v_cmp_eq_u64_e64 s[14:15], v[52:53], v[24:25]
	v_and_b32_e32 v32, 3, v14
	v_cmp_eq_u64_e64 s[28:29], 0, v[30:31]
	s_and_b64 s[2:3], s[16:17], s[2:3]
	v_cmp_eq_u64_e64 s[12:13], v[54:55], v[24:25]
	v_and_b32_e32 v34, 3, v16
	v_cmp_eq_u64_e64 s[30:31], 0, v[32:33]
	v_cmp_eq_u64_e64 s[36:37], 1, v[2:3]
	;; [unrolled: 1-line block ×4, first 2 shown]
	v_cndmask_b32_e64 v2, 0, 1, s[2:3]
	s_and_b64 s[2:3], s[14:15], s[28:29]
	v_cmp_eq_u64_e64 s[0:1], v[56:57], v[24:25]
	v_cmp_eq_u64_e64 s[34:35], 0, v[34:35]
	v_cndmask_b32_e64 v10, 0, 1, s[2:3]
	s_and_b64 s[2:3], s[12:13], s[30:31]
	v_cndmask_b32_e64 v11, 0, 1, s[2:3]
	s_and_b64 s[2:3], s[0:1], s[34:35]
	v_cndmask_b32_e64 v12, 0, 1, s[2:3]
	v_cmp_ne_u32_e64 s[2:3], 0, v2
	v_cmp_ne_u32_e64 s[28:29], 0, v10
	;; [unrolled: 1-line block ×4, first 2 shown]
	s_bcnt1_i32_b64 s2, s[2:3]
	s_bcnt1_i32_b64 s3, s[28:29]
	;; [unrolled: 1-line block ×4, first 2 shown]
	s_add_u32 s2, s2, s8
	s_addc_u32 s8, 0, s9
	s_add_u32 s2, s2, s3
	s_addc_u32 s3, s8, 0
	;; [unrolled: 2-line block ×3, first 2 shown]
	s_add_u32 s8, s2, s29
	v_cmp_eq_u64_e64 s[38:39], 1, v[30:31]
	s_addc_u32 s9, s3, 0
	s_and_b64 s[2:3], s[16:17], s[36:37]
	v_cmp_eq_u64_e64 s[40:41], 1, v[32:33]
	v_cndmask_b32_e64 v2, 0, 1, s[2:3]
	s_and_b64 s[2:3], s[14:15], s[38:39]
	v_cmp_eq_u64_e64 s[42:43], 1, v[34:35]
	v_cndmask_b32_e64 v12, 0, 1, s[2:3]
	s_and_b64 s[2:3], s[12:13], s[40:41]
	v_cndmask_b32_e64 v13, 0, 1, s[2:3]
	s_and_b64 s[2:3], s[0:1], s[42:43]
	v_cndmask_b32_e64 v14, 0, 1, s[2:3]
	v_cmp_ne_u32_e64 s[2:3], 0, v2
	v_cmp_ne_u32_e64 s[28:29], 0, v12
	;; [unrolled: 1-line block ×4, first 2 shown]
	s_bcnt1_i32_b64 s2, s[2:3]
	s_bcnt1_i32_b64 s3, s[28:29]
	;; [unrolled: 1-line block ×4, first 2 shown]
	s_add_u32 s2, s2, s10
	s_addc_u32 s10, 0, s11
	s_add_u32 s2, s2, s3
	s_addc_u32 s3, s10, 0
	s_add_u32 s2, s2, s28
	s_addc_u32 s3, s3, 0
	s_add_u32 s10, s2, s29
	v_cmp_eq_u64_e64 s[46:47], 2, v[30:31]
	s_addc_u32 s11, s3, 0
	s_and_b64 s[2:3], s[16:17], s[44:45]
	v_cmp_eq_u64_e64 s[48:49], 2, v[32:33]
	v_cndmask_b32_e64 v2, 0, 1, s[2:3]
	s_and_b64 s[2:3], s[14:15], s[46:47]
	v_cmp_eq_u64_e64 s[50:51], 2, v[34:35]
	v_cndmask_b32_e64 v14, 0, 1, s[2:3]
	s_and_b64 s[2:3], s[12:13], s[48:49]
	v_cndmask_b32_e64 v15, 0, 1, s[2:3]
	s_and_b64 s[2:3], s[0:1], s[50:51]
	v_cndmask_b32_e64 v16, 0, 1, s[2:3]
	v_cmp_ne_u32_e64 s[2:3], 0, v2
	v_cmp_ne_u32_e64 s[28:29], 0, v14
	v_cmp_ne_u32_e64 s[30:31], 0, v15
	v_cmp_ne_u32_e64 s[34:35], 0, v16
	s_bcnt1_i32_b64 s2, s[2:3]
	s_bcnt1_i32_b64 s3, s[28:29]
	;; [unrolled: 1-line block ×4, first 2 shown]
	s_add_u32 s2, s2, s66
	s_addc_u32 s30, 0, s67
	s_add_u32 s2, s2, s3
	s_addc_u32 s3, s30, 0
	s_add_u32 s2, s2, s28
	s_addc_u32 s3, s3, 0
	s_add_u32 s66, s2, s29
	v_cmp_eq_u64_e64 s[22:23], 3, v[30:31]
	s_addc_u32 s67, s3, 0
	s_and_b64 s[2:3], s[16:17], s[24:25]
	v_cmp_eq_u64_e64 s[20:21], 3, v[32:33]
	v_cmp_eq_u64_e64 s[18:19], 3, v[34:35]
	v_cndmask_b32_e64 v2, 0, 1, s[2:3]
	s_and_b64 s[2:3], s[14:15], s[22:23]
	v_cndmask_b32_e64 v16, 0, 1, s[2:3]
	s_and_b64 s[2:3], s[12:13], s[20:21]
	s_and_b64 s[0:1], s[0:1], s[18:19]
	v_cndmask_b32_e64 v17, 0, 1, s[2:3]
	v_cndmask_b32_e64 v30, 0, 1, s[0:1]
	v_cmp_ne_u32_e64 s[0:1], 0, v2
	v_cmp_ne_u32_e64 s[2:3], 0, v16
	;; [unrolled: 1-line block ×4, first 2 shown]
	s_bcnt1_i32_b64 s0, s[0:1]
	s_bcnt1_i32_b64 s1, s[2:3]
	;; [unrolled: 1-line block ×4, first 2 shown]
	s_add_u32 s0, s0, s64
	s_addc_u32 s12, 0, s65
	s_add_u32 s0, s0, s1
	s_addc_u32 s1, s12, 0
	;; [unrolled: 2-line block ×3, first 2 shown]
	v_lshl_add_u64 v[6:7], v[6:7], 0, s[94:95]
	s_add_u32 s64, s0, s3
	v_cmp_le_u64_e32 vcc, s[58:59], v[6:7]
	s_addc_u32 s65, s1, 0
	v_add_u32_e32 v44, s57, v44
	v_mov_b64_e32 v[10:11], s[8:9]
	v_mov_b64_e32 v[12:13], s[10:11]
	;; [unrolled: 1-line block ×3, first 2 shown]
	s_or_b64 s[62:63], vcc, s[62:63]
	v_mov_b64_e32 v[16:17], s[64:65]
	s_andn2_b64 exec, exec, s[62:63]
	s_cbranch_execnz .LBB118_83
; %bb.84:                               ;   in Loop: Header=BB118_30 Depth=1
	s_or_b64 exec, exec, s[62:63]
.LBB118_85:                             ;   in Loop: Header=BB118_30 Depth=1
	s_or_b64 exec, exec, s[60:61]
	s_and_b32 s8, s76, 0x7fffffff
	s_mov_b32 s9, s95
	v_lshl_add_u64 v[30:31], s[58:59], 0, v[0:1]
	v_and_b32_e32 v6, 0xffff, v4
	v_mov_b32_e32 v7, v3
	v_cmp_gt_u64_e32 vcc, s[8:9], v[30:31]
	s_and_saveexec_b64 s[10:11], vcc
	s_cbranch_execz .LBB118_89
; %bb.86:                               ;   in Loop: Header=BB118_30 Depth=1
	v_lshl_add_u32 v4, s56, 5, v37
	s_lshl_b32 s20, s77, 3
	s_mov_b64 s[18:19], 0
.LBB118_87:                             ;   Parent Loop BB118_30 Depth=1
                                        ; =>  This Inner Loop Header: Depth=2
	ds_read_b64 v[32:33], v4
	v_lshl_add_u64 v[30:31], v[30:31], 0, v[6:7]
	v_cmp_le_u64_e32 vcc, s[8:9], v[30:31]
	v_add_u32_e32 v4, s20, v4
	s_waitcnt lgkmcnt(0)
	v_ashrrev_i32_e32 v2, 31, v33
	v_xor_b32_e32 v34, v2, v32
	v_or_b32_e32 v2, 0x80000000, v2
	v_cmp_o_f64_e64 s[0:1], v[32:33], v[32:33]
	v_xor_b32_e32 v2, v2, v33
	s_nop 0
	v_cndmask_b32_e64 v32, -1, v34, s[0:1]
	v_cndmask_b32_e64 v33, -1, v2, s[0:1]
	v_and_b32_e32 v34, v32, v26
	v_and_b32_e32 v35, v33, v27
	v_lshrrev_b64 v[32:33], s33, v[32:33]
	v_and_b32_e32 v2, 3, v32
	v_cmp_eq_u64_e64 s[0:1], v[34:35], v[24:25]
	v_cmp_eq_u64_e64 s[2:3], 0, v[2:3]
	;; [unrolled: 1-line block ×3, first 2 shown]
	s_and_b64 s[2:3], s[0:1], s[2:3]
	v_cmp_eq_u64_e64 s[14:15], 2, v[2:3]
	v_cmp_eq_u64_e64 s[16:17], 3, v[2:3]
	v_cndmask_b32_e64 v2, 0, 1, s[2:3]
	s_and_b64 s[2:3], s[0:1], s[12:13]
	v_cndmask_b32_e64 v32, 0, 1, s[2:3]
	s_and_b64 s[2:3], s[0:1], s[14:15]
	s_and_b64 s[0:1], s[0:1], s[16:17]
	v_cndmask_b32_e64 v34, 0, 1, s[0:1]
	v_cmp_ne_u32_e64 s[0:1], 0, v2
	v_cndmask_b32_e64 v33, 0, 1, s[2:3]
	v_cmp_ne_u32_e64 s[2:3], 0, v32
	s_bcnt1_i32_b64 s94, s[0:1]
	v_cmp_ne_u32_e64 s[12:13], 0, v33
	v_lshl_add_u64 v[10:11], s[94:95], 0, v[10:11]
	s_bcnt1_i32_b64 s94, s[2:3]
	v_cmp_ne_u32_e64 s[14:15], 0, v34
	v_lshl_add_u64 v[12:13], s[94:95], 0, v[12:13]
	s_bcnt1_i32_b64 s94, s[12:13]
	v_lshl_add_u64 v[14:15], s[94:95], 0, v[14:15]
	s_bcnt1_i32_b64 s94, s[14:15]
	s_or_b64 s[18:19], vcc, s[18:19]
	v_lshl_add_u64 v[16:17], s[94:95], 0, v[16:17]
	s_andn2_b64 exec, exec, s[18:19]
	s_cbranch_execnz .LBB118_87
; %bb.88:                               ;   in Loop: Header=BB118_30 Depth=1
	s_or_b64 exec, exec, s[18:19]
.LBB118_89:                             ;   in Loop: Header=BB118_30 Depth=1
	s_or_b64 exec, exec, s[10:11]
	s_lshl_b32 s2, s73, 6
	s_and_saveexec_b64 s[0:1], s[4:5]
	s_cbranch_execnz .LBB118_60
	s_branch .LBB118_61
.LBB118_90:                             ;   in Loop: Header=BB118_30 Depth=1
                                        ; implicit-def: $sgpr0_sgpr1
	s_branch .LBB118_69
.LBB118_91:                             ;   in Loop: Header=BB118_30 Depth=1
	s_mov_b32 s3, 0
	v_mov_b64_e32 v[6:7], 0
.LBB118_92:                             ;   in Loop: Header=BB118_30 Depth=1
	v_readlane_b32 s8, v58, 45
	v_readlane_b32 s9, v58, 46
	s_andn2_b64 vcc, exec, s[8:9]
	s_cbranch_vccnz .LBB118_95
; %bb.93:                               ;   in Loop: Header=BB118_30 Depth=1
	s_lshl_b32 s8, s73, 9
	s_lshl_b32 s3, s3, 5
	s_add_i32 s8, s8, s3
	v_add_u32_e32 v2, s8, v42
	v_readlane_b32 s3, v58, 44
.LBB118_94:                             ;   Parent Loop BB118_30 Depth=1
                                        ; =>  This Inner Loop Header: Depth=2
	ds_read_b64 v[10:11], v2
	s_add_i32 s3, s3, -1
	v_add_u32_e32 v2, 32, v2
	s_cmp_lg_u32 s3, 0
	s_waitcnt lgkmcnt(0)
	v_lshl_add_u64 v[6:7], v[10:11], 0, v[6:7]
	s_cbranch_scc1 .LBB118_94
.LBB118_95:                             ;   in Loop: Header=BB118_30 Depth=1
	v_add_lshl_u32 v2, s2, v36, 3
	ds_write_b64 v2, v[6:7] offset:3072
.LBB118_96:                             ;   in Loop: Header=BB118_30 Depth=1
	s_or_b64 exec, exec, s[0:1]
	s_lshl_b32 s0, s2, 3
	v_mov_b32_e32 v2, s0
	s_waitcnt lgkmcnt(0)
	s_barrier
	ds_read_b128 v[14:17], v2 offset:3088
	ds_read_b128 v[10:13], v2 offset:3072
	s_lshl_b64 s[12:13], 3, s33
	v_cmp_eq_u64_e64 s[0:1], 1, v[28:29]
	s_not_b64 s[22:23], s[12:13]
	s_waitcnt lgkmcnt(1)
	v_readfirstlane_b32 s20, v14
	s_waitcnt lgkmcnt(0)
	v_cmp_eq_u64_e32 vcc, 1, v[10:11]
	v_readfirstlane_b32 s21, v15
	v_readfirstlane_b32 s2, v16
	;; [unrolled: 1-line block ×3, first 2 shown]
	s_and_b64 s[16:17], vcc, s[0:1]
	s_mov_b64 s[0:1], -1
	s_mov_b64 s[18:19], -1
                                        ; implicit-def: $sgpr10_sgpr11
                                        ; implicit-def: $sgpr8_sgpr9
	s_and_saveexec_b64 s[14:15], s[16:17]
	s_cbranch_execz .LBB118_130
; %bb.97:                               ;   in Loop: Header=BB118_30 Depth=1
	ds_read_b64 v[6:7], v3 offset:5120
	s_waitcnt lgkmcnt(0)
	s_barrier
	v_readfirstlane_b32 s24, v6
	v_readfirstlane_b32 s25, v7
	s_and_saveexec_b64 s[8:9], s[6:7]
; %bb.98:                               ;   in Loop: Header=BB118_30 Depth=1
	ds_write_b64 v38, v[48:49]
; %bb.99:                               ;   in Loop: Header=BB118_30 Depth=1
	s_or_b64 exec, exec, s[8:9]
	v_and_b32_e32 v25, s23, v25
	v_and_b32_e32 v24, s22, v24
	v_or_b32_e32 v27, s13, v27
	v_or_b32_e32 v26, s12, v26
	s_mov_b64 s[8:9], -1
	s_mov_b64 s[10:11], 0
	s_cmp_eq_u64 s[24:25], 0
	s_mov_b64 s[18:19], 0
	s_mov_b64 s[28:29], -1
	s_waitcnt lgkmcnt(0)
	s_barrier
                                        ; implicit-def: $vgpr8_vgpr9
	s_cbranch_scc1 .LBB118_114
; %bb.100:                              ;   in Loop: Header=BB118_30 Depth=1
	v_readlane_b32 s18, v58, 40
	s_add_u32 s34, s24, s18
	v_readlane_b32 s18, v58, 41
	s_addc_u32 s19, s25, s18
	s_mov_b32 s18, s95
	s_cmp_lg_u64 s[18:19], 0
	s_cbranch_scc0 .LBB118_157
; %bb.101:                              ;   in Loop: Header=BB118_30 Depth=1
	v_cvt_f32_u32_e32 v2, s92
	s_sub_u32 s18, 0, s92
	s_subb_u32 s30, 0, 0
	v_fmac_f32_e32 v2, 0, v43
	v_rcp_f32_e32 v2, v2
	s_nop 0
	v_mul_f32_e32 v2, 0x5f7ffffc, v2
	v_mul_f32_e32 v4, 0x2f800000, v2
	v_trunc_f32_e32 v4, v4
	v_fmac_f32_e32 v2, 0xcf800000, v4
	v_cvt_u32_f32_e32 v4, v4
	v_cvt_u32_f32_e32 v2, v2
	v_readfirstlane_b32 s31, v4
	v_readfirstlane_b32 s28, v2
	s_mul_i32 s29, s18, s31
	s_mul_hi_u32 s36, s18, s28
	s_mul_i32 s35, s30, s28
	s_add_i32 s29, s36, s29
	s_mul_i32 s37, s18, s28
	s_add_i32 s29, s29, s35
	s_mul_hi_u32 s36, s28, s37
	s_mul_i32 s38, s28, s29
	s_mul_hi_u32 s35, s28, s29
	s_add_u32 s36, s36, s38
	s_addc_u32 s35, 0, s35
	s_mul_hi_u32 s39, s31, s37
	s_mul_i32 s37, s31, s37
	s_add_u32 s36, s36, s37
	s_mul_hi_u32 s38, s31, s29
	s_addc_u32 s35, s35, s39
	s_addc_u32 s36, s38, 0
	s_mul_i32 s29, s31, s29
	s_add_u32 s29, s35, s29
	s_addc_u32 s35, 0, s36
	s_add_u32 s36, s28, s29
	s_cselect_b64 s[28:29], -1, 0
	s_cmp_lg_u64 s[28:29], 0
	s_addc_u32 s31, s31, s35
	s_mul_i32 s28, s18, s31
	s_mul_hi_u32 s29, s18, s36
	s_add_i32 s28, s29, s28
	s_mul_i32 s30, s30, s36
	s_add_i32 s28, s28, s30
	s_mul_i32 s18, s18, s36
	s_mul_hi_u32 s30, s31, s18
	s_mul_i32 s35, s31, s18
	s_mul_i32 s38, s36, s28
	s_mul_hi_u32 s18, s36, s18
	s_mul_hi_u32 s37, s36, s28
	s_add_u32 s18, s18, s38
	s_addc_u32 s37, 0, s37
	s_add_u32 s18, s18, s35
	s_mul_hi_u32 s29, s31, s28
	s_addc_u32 s18, s37, s30
	s_addc_u32 s29, s29, 0
	s_mul_i32 s28, s31, s28
	s_add_u32 s18, s18, s28
	s_addc_u32 s30, 0, s29
	s_add_u32 s18, s36, s18
	s_cselect_b64 s[28:29], -1, 0
	s_cmp_lg_u64 s[28:29], 0
	s_addc_u32 s28, s31, s30
	s_mul_i32 s30, s34, s28
	s_mul_hi_u32 s31, s34, s18
	s_mul_hi_u32 s29, s34, s28
	s_add_u32 s30, s31, s30
	s_addc_u32 s29, 0, s29
	s_mul_hi_u32 s35, s19, s18
	s_mul_i32 s18, s19, s18
	s_add_u32 s18, s30, s18
	s_mul_hi_u32 s31, s19, s28
	s_addc_u32 s18, s29, s35
	s_addc_u32 s29, s31, 0
	s_mul_i32 s28, s19, s28
	s_add_u32 s18, s18, s28
	s_addc_u32 s28, 0, s29
	s_mul_i32 s28, s92, s28
	s_mul_hi_u32 s29, s92, s18
	s_add_i32 s30, s29, s28
	s_mul_i32 s18, s92, s18
	s_sub_u32 s18, s34, s18
	s_cselect_b64 s[28:29], -1, 0
	s_cmp_lg_u64 s[28:29], 0
	s_subb_u32 s30, s19, s30
	s_sub_u32 s31, s18, s92
	s_cselect_b64 s[28:29], -1, 0
	s_cmp_lg_u64 s[28:29], 0
	s_subb_u32 s35, s30, 0
	;; [unrolled: 4-line block ×3, first 2 shown]
	s_cmp_ge_u32 s31, s92
	s_cselect_b32 s29, -1, 0
	s_cmp_eq_u32 s35, 0
	s_cselect_b32 s29, s29, -1
	s_cmp_lg_u32 s29, 0
	s_cselect_b32 s28, s28, s35
	s_cselect_b32 s31, s36, s31
	s_cmp_ge_u32 s18, s92
	s_cselect_b32 s29, -1, 0
	s_cmp_eq_u32 s30, 0
	s_cselect_b32 s29, s29, -1
	s_cmp_lg_u32 s29, 0
	s_cselect_b32 s29, s28, s30
	s_cselect_b32 s28, s31, s18
	s_cbranch_execnz .LBB118_103
.LBB118_102:                            ;   in Loop: Header=BB118_30 Depth=1
	v_cvt_f32_u32_e32 v2, s92
	s_sub_i32 s18, 0, s92
	v_rcp_iflag_f32_e32 v2, v2
	s_nop 0
	v_mul_f32_e32 v2, 0x4f7ffffe, v2
	v_cvt_u32_f32_e32 v2, v2
	s_nop 0
	v_readfirstlane_b32 s28, v2
	s_mul_i32 s18, s18, s28
	s_mul_hi_u32 s18, s28, s18
	s_add_i32 s28, s28, s18
	s_mul_hi_u32 s18, s34, s28
	s_mul_i32 s18, s18, s92
	s_sub_i32 s18, s34, s18
	s_sub_i32 s28, s18, s92
	s_cmp_ge_u32 s18, s92
	s_cselect_b32 s18, s28, s18
	s_sub_i32 s28, s18, s92
	s_cmp_ge_u32 s18, s92
	s_cselect_b32 s94, s28, s18
	s_mov_b64 s[28:29], s[94:95]
.LBB118_103:                            ;   in Loop: Header=BB118_30 Depth=1
	s_sub_u32 s34, s34, s28
	s_subb_u32 s35, s19, s29
	v_cmp_gt_u64_e32 vcc, s[34:35], v[0:1]
	s_mov_b64 s[28:29], 0
	s_mov_b64 s[18:19], 0
                                        ; implicit-def: $vgpr8_vgpr9
	s_and_saveexec_b64 s[30:31], vcc
	s_cbranch_execz .LBB118_113
; %bb.104:                              ;   in Loop: Header=BB118_30 Depth=1
	v_mov_b32_e32 v2, v37
	v_mov_b64_e32 v[14:15], v[0:1]
                                        ; implicit-def: $sgpr36_sgpr37
	s_branch .LBB118_108
.LBB118_105:                            ;   in Loop: Header=BB118_108 Depth=2
	s_or_b64 exec, exec, s[38:39]
	s_waitcnt lgkmcnt(0)
	s_barrier
	ds_read_b128 v[6:9], v3 offset:3072
	s_waitcnt lgkmcnt(0)
	s_barrier
	v_cmp_neq_f64_e32 vcc, 0, v[6:7]
	s_cbranch_vccnz .LBB118_111
; %bb.106:                              ;   in Loop: Header=BB118_108 Depth=2
	v_lshl_add_u64 v[14:15], v[14:15], 0, s[92:93]
	v_cmp_le_u64_e32 vcc, s[34:35], v[14:15]
	v_add_u32_e32 v2, s72, v2
	s_mov_b64 s[38:39], 0
	s_orn2_b64 s[40:41], vcc, exec
.LBB118_107:                            ;   in Loop: Header=BB118_108 Depth=2
	s_and_b64 s[40:41], exec, s[40:41]
	s_or_b64 s[18:19], s[40:41], s[18:19]
	s_andn2_b64 s[36:37], s[36:37], exec
	s_and_b64 s[38:39], s[38:39], exec
	s_or_b64 s[36:37], s[36:37], s[38:39]
	s_andn2_b64 exec, exec, s[18:19]
	s_cbranch_execz .LBB118_112
.LBB118_108:                            ;   Parent Loop BB118_30 Depth=1
                                        ; =>  This Inner Loop Header: Depth=2
	v_cmp_gt_u64_e32 vcc, s[24:25], v[14:15]
	s_and_saveexec_b64 s[38:39], vcc
	s_cbranch_execz .LBB118_105
; %bb.109:                              ;   in Loop: Header=BB118_108 Depth=2
	ds_read_b64 v[6:7], v2
	s_waitcnt lgkmcnt(0)
	v_ashrrev_i32_e32 v4, 31, v7
	v_or_b32_e32 v8, 0x80000000, v4
	v_xor_b32_e32 v4, v4, v6
	v_xor_b32_e32 v8, v8, v7
	v_cmp_o_f64_e32 vcc, v[6:7], v[6:7]
	s_nop 1
	v_cndmask_b32_e32 v4, -1, v4, vcc
	v_cndmask_b32_e32 v8, -1, v8, vcc
	v_and_b32_e32 v9, v8, v27
	v_and_b32_e32 v8, v4, v26
	v_cmp_eq_u64_e32 vcc, v[8:9], v[24:25]
	s_and_b64 exec, exec, vcc
	s_cbranch_execz .LBB118_105
; %bb.110:                              ;   in Loop: Header=BB118_108 Depth=2
	v_mov_b32_e32 v4, v3
	ds_write_b128 v3, v[4:7] offset:3072
	s_branch .LBB118_105
.LBB118_111:                            ;   in Loop: Header=BB118_108 Depth=2
	s_mov_b64 s[40:41], -1
                                        ; implicit-def: $vgpr14_vgpr15
                                        ; implicit-def: $vgpr2
	s_mov_b64 s[38:39], -1
	s_branch .LBB118_107
.LBB118_112:                            ;   in Loop: Header=BB118_30 Depth=1
	s_or_b64 exec, exec, s[18:19]
	s_and_b64 s[18:19], s[36:37], exec
.LBB118_113:                            ;   in Loop: Header=BB118_30 Depth=1
	s_or_b64 exec, exec, s[30:31]
.LBB118_114:                            ;   in Loop: Header=BB118_30 Depth=1
	s_and_b64 vcc, exec, s[28:29]
	s_cbranch_vccz .LBB118_129
; %bb.115:                              ;   in Loop: Header=BB118_30 Depth=1
	s_mov_b32 s84, s95
	s_cmp_lg_u64 s[84:85], 0
	s_cbranch_scc0 .LBB118_161
; %bb.116:                              ;   in Loop: Header=BB118_30 Depth=1
	v_cvt_f32_u32_e32 v2, s92
	s_sub_u32 s10, 0, s92
	s_subb_u32 s11, 0, 0
	v_fmac_f32_e32 v2, 0, v43
	v_rcp_f32_e32 v2, v2
	s_nop 0
	v_mul_f32_e32 v2, 0x5f7ffffc, v2
	v_mul_f32_e32 v4, 0x2f800000, v2
	v_trunc_f32_e32 v4, v4
	v_fmac_f32_e32 v2, 0xcf800000, v4
	v_cvt_u32_f32_e32 v4, v4
	v_cvt_u32_f32_e32 v2, v2
	v_readfirstlane_b32 s24, v4
	v_readfirstlane_b32 s8, v2
	s_mul_i32 s9, s10, s24
	s_mul_hi_u32 s28, s10, s8
	s_mul_i32 s25, s11, s8
	s_add_i32 s9, s28, s9
	s_mul_i32 s29, s10, s8
	s_add_i32 s9, s9, s25
	s_mul_hi_u32 s28, s8, s29
	s_mul_i32 s30, s8, s9
	s_mul_hi_u32 s25, s8, s9
	s_add_u32 s28, s28, s30
	s_addc_u32 s25, 0, s25
	s_mul_hi_u32 s31, s24, s29
	s_mul_i32 s29, s24, s29
	s_add_u32 s28, s28, s29
	s_mul_hi_u32 s30, s24, s9
	s_addc_u32 s25, s25, s31
	s_addc_u32 s28, s30, 0
	s_mul_i32 s9, s24, s9
	s_add_u32 s9, s25, s9
	s_addc_u32 s25, 0, s28
	s_add_u32 s28, s8, s9
	s_cselect_b64 s[8:9], -1, 0
	s_cmp_lg_u64 s[8:9], 0
	s_addc_u32 s24, s24, s25
	s_mul_i32 s8, s10, s24
	s_mul_hi_u32 s9, s10, s28
	s_add_i32 s8, s9, s8
	s_mul_i32 s11, s11, s28
	s_add_i32 s8, s8, s11
	s_mul_i32 s10, s10, s28
	s_mul_hi_u32 s11, s24, s10
	s_mul_i32 s25, s24, s10
	s_mul_i32 s30, s28, s8
	s_mul_hi_u32 s10, s28, s10
	s_mul_hi_u32 s29, s28, s8
	s_add_u32 s10, s10, s30
	s_addc_u32 s29, 0, s29
	s_add_u32 s10, s10, s25
	s_mul_hi_u32 s9, s24, s8
	s_addc_u32 s10, s29, s11
	s_addc_u32 s9, s9, 0
	s_mul_i32 s8, s24, s8
	s_add_u32 s8, s10, s8
	s_addc_u32 s10, 0, s9
	s_add_u32 s11, s28, s8
	s_cselect_b64 s[8:9], -1, 0
	s_cmp_lg_u64 s[8:9], 0
	s_addc_u32 s8, s24, s10
	s_mul_i32 s10, s26, s8
	s_mul_hi_u32 s24, s26, s11
	s_mul_hi_u32 s9, s26, s8
	s_add_u32 s10, s24, s10
	s_addc_u32 s9, 0, s9
	s_mul_hi_u32 s25, s85, s11
	s_mul_i32 s11, s85, s11
	s_add_u32 s10, s10, s11
	s_mul_hi_u32 s24, s85, s8
	s_addc_u32 s9, s9, s25
	s_addc_u32 s10, s24, 0
	s_mul_i32 s8, s85, s8
	s_add_u32 s8, s9, s8
	s_addc_u32 s9, 0, s10
	s_mul_i32 s9, s92, s9
	s_mul_hi_u32 s10, s92, s8
	s_add_i32 s10, s10, s9
	s_mul_i32 s8, s92, s8
	s_sub_u32 s11, s26, s8
	s_cselect_b64 s[8:9], -1, 0
	s_cmp_lg_u64 s[8:9], 0
	s_subb_u32 s10, s85, s10
	s_sub_u32 s24, s11, s92
	s_cselect_b64 s[8:9], -1, 0
	s_cmp_lg_u64 s[8:9], 0
	s_subb_u32 s25, s10, 0
	;; [unrolled: 4-line block ×3, first 2 shown]
	s_cmp_ge_u32 s24, s92
	s_cselect_b32 s9, -1, 0
	s_cmp_eq_u32 s25, 0
	s_cselect_b32 s9, s9, -1
	s_cmp_lg_u32 s9, 0
	s_cselect_b32 s8, s8, s25
	s_cselect_b32 s24, s28, s24
	s_cmp_ge_u32 s11, s92
	s_cselect_b32 s9, -1, 0
	s_cmp_eq_u32 s10, 0
	s_cselect_b32 s9, s9, -1
	s_cmp_lg_u32 s9, 0
	s_cselect_b32 s9, s8, s10
	s_cselect_b32 s8, s24, s11
	s_cbranch_execnz .LBB118_118
.LBB118_117:                            ;   in Loop: Header=BB118_30 Depth=1
	v_cvt_f32_u32_e32 v2, s92
	s_sub_i32 s8, 0, s92
	v_rcp_iflag_f32_e32 v2, v2
	s_nop 0
	v_mul_f32_e32 v2, 0x4f7ffffe, v2
	v_cvt_u32_f32_e32 v2, v2
	s_nop 0
	v_readfirstlane_b32 s9, v2
	s_mul_i32 s8, s8, s9
	s_mul_hi_u32 s8, s9, s8
	s_add_i32 s9, s9, s8
	s_mul_hi_u32 s8, s26, s9
	s_mul_i32 s8, s8, s92
	s_sub_i32 s8, s26, s8
	s_sub_i32 s9, s8, s92
	s_cmp_ge_u32 s8, s92
	s_cselect_b32 s8, s9, s8
	s_sub_i32 s9, s8, s92
	s_cmp_ge_u32 s8, s92
	s_cselect_b32 s94, s9, s8
	s_mov_b64 s[8:9], s[94:95]
.LBB118_118:                            ;   in Loop: Header=BB118_30 Depth=1
	s_sub_u32 s10, s26, s8
	s_subb_u32 s11, s85, s9
	v_cmp_gt_u64_e32 vcc, s[10:11], v[0:1]
                                        ; implicit-def: $vgpr8_vgpr9
	s_and_saveexec_b64 s[8:9], vcc
	s_cbranch_execz .LBB118_128
; %bb.119:                              ;   in Loop: Header=BB118_30 Depth=1
	s_mov_b64 s[28:29], 0
	v_mov_b64_e32 v[14:15], v[0:1]
                                        ; implicit-def: $sgpr24_sgpr25
	s_branch .LBB118_123
.LBB118_120:                            ;   in Loop: Header=BB118_123 Depth=2
	s_or_b64 exec, exec, s[30:31]
	s_waitcnt lgkmcnt(0)
	s_barrier
	ds_read_b128 v[6:9], v3 offset:3072
	s_waitcnt lgkmcnt(0)
	s_barrier
	v_cmp_neq_f64_e32 vcc, 0, v[6:7]
	s_cbranch_vccnz .LBB118_126
; %bb.121:                              ;   in Loop: Header=BB118_123 Depth=2
	v_lshl_add_u64 v[14:15], v[14:15], 0, s[92:93]
	v_cmp_le_u64_e32 vcc, s[10:11], v[14:15]
	s_mov_b64 s[30:31], 0
	s_orn2_b64 s[34:35], vcc, exec
.LBB118_122:                            ;   in Loop: Header=BB118_123 Depth=2
	s_and_b64 s[34:35], exec, s[34:35]
	s_or_b64 s[28:29], s[34:35], s[28:29]
	s_andn2_b64 s[24:25], s[24:25], exec
	s_and_b64 s[30:31], s[30:31], exec
	s_or_b64 s[24:25], s[24:25], s[30:31]
	s_andn2_b64 exec, exec, s[28:29]
	s_cbranch_execz .LBB118_127
.LBB118_123:                            ;   Parent Loop BB118_30 Depth=1
                                        ; =>  This Inner Loop Header: Depth=2
	v_cmp_gt_u64_e32 vcc, s[52:53], v[14:15]
	s_and_saveexec_b64 s[30:31], vcc
	s_cbranch_execz .LBB118_120
; %bb.124:                              ;   in Loop: Header=BB118_123 Depth=2
	v_mul_lo_u32 v2, v15, s78
	v_mul_lo_u32 v4, v14, s79
	v_mad_u64_u32 v[6:7], s[34:35], v14, s78, 0
	v_add3_u32 v7, v7, v4, v2
	v_lshl_add_u64 v[6:7], v[6:7], 3, s[86:87]
	global_load_dwordx2 v[6:7], v[6:7], off
	s_waitcnt vmcnt(0)
	v_ashrrev_i32_e32 v2, 31, v7
	v_or_b32_e32 v4, 0x80000000, v2
	v_xor_b32_e32 v2, v2, v6
	v_xor_b32_e32 v4, v4, v7
	v_cmp_o_f64_e32 vcc, v[6:7], v[6:7]
	s_nop 1
	v_cndmask_b32_e32 v2, -1, v2, vcc
	v_cndmask_b32_e32 v4, -1, v4, vcc
	v_and_b32_e32 v9, v4, v27
	v_and_b32_e32 v8, v2, v26
	v_cmp_eq_u64_e32 vcc, v[8:9], v[24:25]
	s_and_b64 exec, exec, vcc
	s_cbranch_execz .LBB118_120
; %bb.125:                              ;   in Loop: Header=BB118_123 Depth=2
	v_mov_b32_e32 v4, v3
	ds_write_b128 v3, v[4:7] offset:3072
	s_branch .LBB118_120
.LBB118_126:                            ;   in Loop: Header=BB118_123 Depth=2
	s_mov_b64 s[34:35], -1
                                        ; implicit-def: $vgpr14_vgpr15
	s_mov_b64 s[30:31], -1
	s_branch .LBB118_122
.LBB118_127:                            ;   in Loop: Header=BB118_30 Depth=1
	s_or_b64 exec, exec, s[28:29]
	s_andn2_b64 s[10:11], s[18:19], exec
	s_and_b64 s[18:19], s[24:25], exec
	s_or_b64 s[18:19], s[10:11], s[18:19]
.LBB118_128:                            ;   in Loop: Header=BB118_30 Depth=1
	s_or_b64 exec, exec, s[8:9]
	s_mov_b64 s[8:9], 0
	s_mov_b64 s[10:11], -1
.LBB118_129:                            ;   in Loop: Header=BB118_30 Depth=1
	s_orn2_b64 s[18:19], s[18:19], exec
.LBB118_130:                            ;   in Loop: Header=BB118_30 Depth=1
	s_or_b64 exec, exec, s[14:15]
	s_andn2_b64 s[14:15], s[54:55], exec
	s_and_b64 s[10:11], s[10:11], exec
	s_or_b64 s[54:55], s[14:15], s[10:11]
	s_andn2_b64 s[10:11], s[80:81], exec
	s_and_b64 s[8:9], s[8:9], exec
	s_andn2_b64 s[70:71], s[70:71], exec
	s_or_b64 s[80:81], s[10:11], s[8:9]
                                        ; implicit-def: $vgpr14_vgpr15
	s_and_saveexec_b64 s[14:15], s[18:19]
	s_cbranch_execz .LBB118_29
; %bb.131:                              ;   in Loop: Header=BB118_30 Depth=1
	s_xor_b64 s[8:9], s[16:17], -1
	v_mov_b32_e32 v2, 1
	s_mov_b64 s[10:11], 0
	v_mov_b64_e32 v[14:15], 1
	s_and_saveexec_b64 s[0:1], s[8:9]
	s_cbranch_execz .LBB118_140
; %bb.132:                              ;   in Loop: Header=BB118_30 Depth=1
	v_cmp_le_u64_e32 vcc, v[28:29], v[10:11]
	s_and_saveexec_b64 s[8:9], vcc
	s_xor_b64 s[8:9], exec, s[8:9]
	s_cbranch_execz .LBB118_137
; %bb.133:                              ;   in Loop: Header=BB118_30 Depth=1
	ds_read_b64 v[6:7], v3 offset:5120
	v_and_b32_e32 v25, s23, v25
	v_and_b32_e32 v24, s22, v24
	v_or_b32_e32 v27, s13, v27
	v_or_b32_e32 v26, s12, v26
	s_waitcnt lgkmcnt(0)
	v_cmp_ne_u64_e32 vcc, 0, v[6:7]
	s_cbranch_vccnz .LBB118_137
; %bb.134:                              ;   in Loop: Header=BB118_30 Depth=1
	s_mov_b64 s[10:11], exec
	v_readlane_b32 s16, v58, 36
	v_readlane_b32 s17, v58, 37
	s_and_b64 s[16:17], s[10:11], s[16:17]
	s_mov_b64 exec, s[16:17]
; %bb.135:                              ;   in Loop: Header=BB118_30 Depth=1
	ds_write_b64 v3, v[10:11] offset:5128
; %bb.136:                              ;   in Loop: Header=BB118_30 Depth=1
	s_or_b64 exec, exec, s[10:11]
	s_waitcnt lgkmcnt(0)
	s_barrier
.LBB118_137:                            ;   in Loop: Header=BB118_30 Depth=1
	s_or_saveexec_b64 s[8:9], s[8:9]
	s_mov_b64 s[10:11], 0
	v_mov_b32_e32 v2, 8
	s_xor_b64 exec, exec, s[8:9]
; %bb.138:                              ;   in Loop: Header=BB118_30 Depth=1
	v_sub_co_u32_e32 v28, vcc, v28, v10
	s_mov_b64 s[10:11], exec
	s_nop 0
	v_subb_co_u32_e32 v29, vcc, v29, v11, vcc
	v_mov_b32_e32 v2, 0
; %bb.139:                              ;   in Loop: Header=BB118_30 Depth=1
	s_or_b64 exec, exec, s[8:9]
	s_and_b64 s[10:11], s[10:11], exec
	v_mov_b64_e32 v[14:15], v[28:29]
.LBB118_140:                            ;   in Loop: Header=BB118_30 Depth=1
	s_or_b64 exec, exec, s[0:1]
	s_mov_b64 s[16:17], -1
	s_mov_b64 s[8:9], -1
                                        ; implicit-def: $sgpr0_sgpr1
                                        ; implicit-def: $sgpr24_sgpr25
	s_and_saveexec_b64 s[18:19], s[10:11]
	s_xor_b64 s[18:19], exec, s[18:19]
	s_cbranch_execz .LBB118_291
; %bb.141:                              ;   in Loop: Header=BB118_30 Depth=1
	v_cmp_eq_u64_e32 vcc, 1, v[12:13]
	v_cmp_eq_u64_e64 s[0:1], 1, v[14:15]
	s_and_b64 s[30:31], vcc, s[0:1]
                                        ; implicit-def: $sgpr24_sgpr25
                                        ; implicit-def: $sgpr0_sgpr1
	s_and_saveexec_b64 s[28:29], s[30:31]
	s_cbranch_execz .LBB118_180
; %bb.142:                              ;   in Loop: Header=BB118_30 Depth=1
	ds_read_b64 v[6:7], v3 offset:5120
	s_waitcnt lgkmcnt(0)
	s_barrier
	v_readfirstlane_b32 s10, v6
	v_readfirstlane_b32 s11, v7
	s_and_saveexec_b64 s[0:1], s[6:7]
; %bb.143:                              ;   in Loop: Header=BB118_30 Depth=1
	ds_write_b64 v38, v[48:49]
; %bb.144:                              ;   in Loop: Header=BB118_30 Depth=1
	s_or_b64 exec, exec, s[0:1]
	s_lshl_b64 s[0:1], 1, s33
	v_and_b32_e32 v4, s23, v25
	v_and_b32_e32 v6, s22, v24
	v_or_b32_e32 v25, s1, v4
	v_or_b32_e32 v24, s0, v6
	;; [unrolled: 1-line block ×4, first 2 shown]
	s_mov_b64 s[0:1], -1
	s_mov_b64 s[24:25], 0
	s_cmp_eq_u64 s[10:11], 0
	s_mov_b64 s[8:9], 0
	s_mov_b64 s[34:35], -1
	s_waitcnt lgkmcnt(0)
	s_barrier
                                        ; implicit-def: $vgpr8_vgpr9
	s_cbranch_scc1 .LBB118_164
; %bb.145:                              ;   in Loop: Header=BB118_30 Depth=1
	v_readlane_b32 s8, v58, 40
	s_add_u32 s38, s10, s8
	v_readlane_b32 s8, v58, 41
	s_addc_u32 s9, s11, s8
	s_mov_b32 s8, s95
	s_cmp_lg_u64 s[8:9], 0
	s_cbranch_scc0 .LBB118_208
; %bb.146:                              ;   in Loop: Header=BB118_30 Depth=1
	v_cvt_f32_u32_e32 v4, s92
	s_sub_u32 s8, 0, s92
	s_subb_u32 s36, 0, 0
	v_fmac_f32_e32 v4, 0, v43
	v_rcp_f32_e32 v4, v4
	s_nop 0
	v_mul_f32_e32 v4, 0x5f7ffffc, v4
	v_mul_f32_e32 v6, 0x2f800000, v4
	v_trunc_f32_e32 v6, v6
	v_fmac_f32_e32 v4, 0xcf800000, v6
	v_cvt_u32_f32_e32 v6, v6
	v_cvt_u32_f32_e32 v4, v4
	v_readfirstlane_b32 s37, v6
	v_readfirstlane_b32 s34, v4
	s_mul_i32 s35, s8, s37
	s_mul_hi_u32 s40, s8, s34
	s_mul_i32 s39, s36, s34
	s_add_i32 s35, s40, s35
	s_mul_i32 s41, s8, s34
	s_add_i32 s35, s35, s39
	s_mul_hi_u32 s40, s34, s41
	s_mul_i32 s42, s34, s35
	s_mul_hi_u32 s39, s34, s35
	s_add_u32 s40, s40, s42
	s_addc_u32 s39, 0, s39
	s_mul_hi_u32 s43, s37, s41
	s_mul_i32 s41, s37, s41
	s_add_u32 s40, s40, s41
	s_mul_hi_u32 s42, s37, s35
	s_addc_u32 s39, s39, s43
	s_addc_u32 s40, s42, 0
	s_mul_i32 s35, s37, s35
	s_add_u32 s35, s39, s35
	s_addc_u32 s39, 0, s40
	s_add_u32 s40, s34, s35
	s_cselect_b64 s[34:35], -1, 0
	s_cmp_lg_u64 s[34:35], 0
	s_addc_u32 s37, s37, s39
	s_mul_i32 s34, s8, s37
	s_mul_hi_u32 s35, s8, s40
	s_add_i32 s34, s35, s34
	s_mul_i32 s36, s36, s40
	s_add_i32 s34, s34, s36
	s_mul_i32 s8, s8, s40
	s_mul_hi_u32 s36, s37, s8
	s_mul_i32 s39, s37, s8
	s_mul_i32 s42, s40, s34
	s_mul_hi_u32 s8, s40, s8
	s_mul_hi_u32 s41, s40, s34
	s_add_u32 s8, s8, s42
	s_addc_u32 s41, 0, s41
	s_add_u32 s8, s8, s39
	s_mul_hi_u32 s35, s37, s34
	s_addc_u32 s8, s41, s36
	s_addc_u32 s35, s35, 0
	s_mul_i32 s34, s37, s34
	s_add_u32 s8, s8, s34
	s_addc_u32 s36, 0, s35
	s_add_u32 s8, s40, s8
	s_cselect_b64 s[34:35], -1, 0
	s_cmp_lg_u64 s[34:35], 0
	s_addc_u32 s34, s37, s36
	s_mul_i32 s36, s38, s34
	s_mul_hi_u32 s37, s38, s8
	s_mul_hi_u32 s35, s38, s34
	s_add_u32 s36, s37, s36
	s_addc_u32 s35, 0, s35
	s_mul_hi_u32 s39, s9, s8
	s_mul_i32 s8, s9, s8
	s_add_u32 s8, s36, s8
	s_mul_hi_u32 s37, s9, s34
	s_addc_u32 s8, s35, s39
	s_addc_u32 s35, s37, 0
	s_mul_i32 s34, s9, s34
	s_add_u32 s8, s8, s34
	s_addc_u32 s34, 0, s35
	s_mul_i32 s34, s92, s34
	s_mul_hi_u32 s35, s92, s8
	s_add_i32 s36, s35, s34
	s_mul_i32 s8, s92, s8
	s_sub_u32 s8, s38, s8
	s_cselect_b64 s[34:35], -1, 0
	s_cmp_lg_u64 s[34:35], 0
	s_subb_u32 s36, s9, s36
	s_sub_u32 s37, s8, s92
	s_cselect_b64 s[34:35], -1, 0
	s_cmp_lg_u64 s[34:35], 0
	s_subb_u32 s39, s36, 0
	;; [unrolled: 4-line block ×3, first 2 shown]
	s_cmp_ge_u32 s37, s92
	s_cselect_b32 s35, -1, 0
	s_cmp_eq_u32 s39, 0
	s_cselect_b32 s35, s35, -1
	s_cmp_lg_u32 s35, 0
	s_cselect_b32 s34, s34, s39
	s_cselect_b32 s37, s40, s37
	s_cmp_ge_u32 s8, s92
	s_cselect_b32 s35, -1, 0
	s_cmp_eq_u32 s36, 0
	s_cselect_b32 s35, s35, -1
	s_cmp_lg_u32 s35, 0
	s_cselect_b32 s35, s34, s36
	s_cselect_b32 s34, s37, s8
	s_cbranch_execnz .LBB118_148
.LBB118_147:                            ;   in Loop: Header=BB118_30 Depth=1
	v_cvt_f32_u32_e32 v4, s92
	s_sub_i32 s8, 0, s92
	v_rcp_iflag_f32_e32 v4, v4
	s_nop 0
	v_mul_f32_e32 v4, 0x4f7ffffe, v4
	v_cvt_u32_f32_e32 v4, v4
	s_nop 0
	v_readfirstlane_b32 s34, v4
	s_mul_i32 s8, s8, s34
	s_mul_hi_u32 s8, s34, s8
	s_add_i32 s34, s34, s8
	s_mul_hi_u32 s8, s38, s34
	s_mul_i32 s8, s8, s92
	s_sub_i32 s8, s38, s8
	s_sub_i32 s34, s8, s92
	s_cmp_ge_u32 s8, s92
	s_cselect_b32 s8, s34, s8
	s_sub_i32 s34, s8, s92
	s_cmp_ge_u32 s8, s92
	s_cselect_b32 s94, s34, s8
	s_mov_b64 s[34:35], s[94:95]
.LBB118_148:                            ;   in Loop: Header=BB118_30 Depth=1
	s_sub_u32 s38, s38, s34
	s_subb_u32 s39, s9, s35
	v_cmp_gt_u64_e32 vcc, s[38:39], v[0:1]
	s_mov_b64 s[34:35], 0
	s_mov_b64 s[8:9], 0
                                        ; implicit-def: $vgpr8_vgpr9
	s_and_saveexec_b64 s[36:37], vcc
	s_cbranch_execz .LBB118_163
; %bb.149:                              ;   in Loop: Header=BB118_30 Depth=1
	v_mov_b32_e32 v16, v37
	v_mov_b64_e32 v[10:11], v[0:1]
                                        ; implicit-def: $sgpr40_sgpr41
	s_branch .LBB118_153
.LBB118_150:                            ;   in Loop: Header=BB118_153 Depth=2
	s_or_b64 exec, exec, s[42:43]
	s_waitcnt lgkmcnt(0)
	s_barrier
	ds_read_b128 v[6:9], v3 offset:3072
	s_waitcnt lgkmcnt(0)
	s_barrier
	v_cmp_neq_f64_e32 vcc, 0, v[6:7]
	s_cbranch_vccnz .LBB118_156
; %bb.151:                              ;   in Loop: Header=BB118_153 Depth=2
	v_lshl_add_u64 v[10:11], v[10:11], 0, s[92:93]
	v_cmp_le_u64_e32 vcc, s[38:39], v[10:11]
	v_add_u32_e32 v16, s72, v16
	s_mov_b64 s[42:43], 0
	s_orn2_b64 s[44:45], vcc, exec
.LBB118_152:                            ;   in Loop: Header=BB118_153 Depth=2
	s_and_b64 s[44:45], exec, s[44:45]
	s_or_b64 s[8:9], s[44:45], s[8:9]
	s_andn2_b64 s[40:41], s[40:41], exec
	s_and_b64 s[42:43], s[42:43], exec
	s_or_b64 s[40:41], s[40:41], s[42:43]
	s_andn2_b64 exec, exec, s[8:9]
	s_cbranch_execz .LBB118_162
.LBB118_153:                            ;   Parent Loop BB118_30 Depth=1
                                        ; =>  This Inner Loop Header: Depth=2
	v_cmp_gt_u64_e32 vcc, s[10:11], v[10:11]
	s_and_saveexec_b64 s[42:43], vcc
	s_cbranch_execz .LBB118_150
; %bb.154:                              ;   in Loop: Header=BB118_153 Depth=2
	ds_read_b64 v[6:7], v16
	s_waitcnt lgkmcnt(0)
	v_ashrrev_i32_e32 v4, 31, v7
	v_or_b32_e32 v8, 0x80000000, v4
	v_xor_b32_e32 v4, v4, v6
	v_xor_b32_e32 v8, v8, v7
	v_cmp_o_f64_e32 vcc, v[6:7], v[6:7]
	s_nop 1
	v_cndmask_b32_e32 v4, -1, v4, vcc
	v_cndmask_b32_e32 v8, -1, v8, vcc
	v_and_b32_e32 v9, v8, v27
	v_and_b32_e32 v8, v4, v26
	v_cmp_eq_u64_e32 vcc, v[8:9], v[24:25]
	s_and_b64 exec, exec, vcc
	s_cbranch_execz .LBB118_150
; %bb.155:                              ;   in Loop: Header=BB118_153 Depth=2
	v_mov_b32_e32 v4, v3
	ds_write_b128 v3, v[4:7] offset:3072
	s_branch .LBB118_150
.LBB118_156:                            ;   in Loop: Header=BB118_153 Depth=2
	s_mov_b64 s[44:45], -1
                                        ; implicit-def: $vgpr10_vgpr11
                                        ; implicit-def: $vgpr16
	s_mov_b64 s[42:43], -1
	s_branch .LBB118_152
.LBB118_157:                            ;   in Loop: Header=BB118_30 Depth=1
                                        ; implicit-def: $sgpr28_sgpr29
	s_branch .LBB118_102
.LBB118_158:                            ;   in Loop: Header=BB118_30 Depth=1
	s_or_b64 exec, exec, s[10:11]
	s_waitcnt lgkmcnt(0)
	s_barrier
	s_mov_b64 s[0:1], exec
	v_readlane_b32 s2, v58, 36
	v_readlane_b32 s3, v58, 37
	s_and_b64 s[2:3], s[0:1], s[2:3]
	s_mov_b64 exec, s[2:3]
	s_cbranch_execz .LBB118_160
; %bb.159:                              ;   in Loop: Header=BB118_30 Depth=1
	ds_read_b32 v6, v3 offset:5144
	s_waitcnt lgkmcnt(0)
	v_ashrrev_i32_e32 v7, 31, v6
	ds_write_b64 v3, v[6:7] offset:5120
.LBB118_160:                            ;   in Loop: Header=BB118_30 Depth=1
	s_or_b64 exec, exec, s[0:1]
	s_waitcnt lgkmcnt(0)
	s_barrier
	s_mov_b64 s[0:1], -1
	s_and_b64 vcc, exec, s[8:9]
	s_cbranch_vccnz .LBB118_46
	s_branch .LBB118_55
.LBB118_161:                            ;   in Loop: Header=BB118_30 Depth=1
                                        ; implicit-def: $sgpr8_sgpr9
	s_branch .LBB118_117
.LBB118_162:                            ;   in Loop: Header=BB118_30 Depth=1
	s_or_b64 exec, exec, s[8:9]
	s_and_b64 s[8:9], s[40:41], exec
.LBB118_163:                            ;   in Loop: Header=BB118_30 Depth=1
	s_or_b64 exec, exec, s[36:37]
.LBB118_164:                            ;   in Loop: Header=BB118_30 Depth=1
	s_and_b64 vcc, exec, s[34:35]
	s_cbranch_vccz .LBB118_179
; %bb.165:                              ;   in Loop: Header=BB118_30 Depth=1
	s_mov_b32 s84, s95
	s_cmp_lg_u64 s[84:85], 0
	s_cbranch_scc0 .LBB118_209
; %bb.166:                              ;   in Loop: Header=BB118_30 Depth=1
	v_cvt_f32_u32_e32 v4, s92
	s_sub_u32 s10, 0, s92
	s_subb_u32 s11, 0, 0
	v_fmac_f32_e32 v4, 0, v43
	v_rcp_f32_e32 v4, v4
	s_nop 0
	v_mul_f32_e32 v4, 0x5f7ffffc, v4
	v_mul_f32_e32 v6, 0x2f800000, v4
	v_trunc_f32_e32 v6, v6
	v_fmac_f32_e32 v4, 0xcf800000, v6
	v_cvt_u32_f32_e32 v6, v6
	v_cvt_u32_f32_e32 v4, v4
	v_readfirstlane_b32 s24, v6
	v_readfirstlane_b32 s0, v4
	s_mul_i32 s1, s10, s24
	s_mul_hi_u32 s34, s10, s0
	s_mul_i32 s25, s11, s0
	s_add_i32 s1, s34, s1
	s_mul_i32 s35, s10, s0
	s_add_i32 s1, s1, s25
	s_mul_hi_u32 s34, s0, s35
	s_mul_i32 s36, s0, s1
	s_mul_hi_u32 s25, s0, s1
	s_add_u32 s34, s34, s36
	s_addc_u32 s25, 0, s25
	s_mul_hi_u32 s37, s24, s35
	s_mul_i32 s35, s24, s35
	s_add_u32 s34, s34, s35
	s_mul_hi_u32 s36, s24, s1
	s_addc_u32 s25, s25, s37
	s_addc_u32 s34, s36, 0
	s_mul_i32 s1, s24, s1
	s_add_u32 s1, s25, s1
	s_addc_u32 s25, 0, s34
	s_add_u32 s34, s0, s1
	s_cselect_b64 s[0:1], -1, 0
	s_cmp_lg_u64 s[0:1], 0
	s_addc_u32 s24, s24, s25
	s_mul_i32 s0, s10, s24
	s_mul_hi_u32 s1, s10, s34
	s_add_i32 s0, s1, s0
	s_mul_i32 s11, s11, s34
	s_add_i32 s0, s0, s11
	s_mul_i32 s10, s10, s34
	s_mul_hi_u32 s11, s24, s10
	s_mul_i32 s25, s24, s10
	s_mul_i32 s36, s34, s0
	s_mul_hi_u32 s10, s34, s10
	s_mul_hi_u32 s35, s34, s0
	s_add_u32 s10, s10, s36
	s_addc_u32 s35, 0, s35
	s_add_u32 s10, s10, s25
	s_mul_hi_u32 s1, s24, s0
	s_addc_u32 s10, s35, s11
	s_addc_u32 s1, s1, 0
	s_mul_i32 s0, s24, s0
	s_add_u32 s0, s10, s0
	s_addc_u32 s10, 0, s1
	s_add_u32 s11, s34, s0
	s_cselect_b64 s[0:1], -1, 0
	s_cmp_lg_u64 s[0:1], 0
	s_addc_u32 s0, s24, s10
	s_mul_i32 s10, s26, s0
	s_mul_hi_u32 s24, s26, s11
	s_mul_hi_u32 s1, s26, s0
	s_add_u32 s10, s24, s10
	s_addc_u32 s1, 0, s1
	s_mul_hi_u32 s25, s85, s11
	s_mul_i32 s11, s85, s11
	s_add_u32 s10, s10, s11
	s_mul_hi_u32 s24, s85, s0
	s_addc_u32 s1, s1, s25
	s_addc_u32 s10, s24, 0
	s_mul_i32 s0, s85, s0
	s_add_u32 s0, s1, s0
	s_addc_u32 s1, 0, s10
	s_mul_i32 s1, s92, s1
	s_mul_hi_u32 s10, s92, s0
	s_add_i32 s10, s10, s1
	s_mul_i32 s0, s92, s0
	s_sub_u32 s11, s26, s0
	s_cselect_b64 s[0:1], -1, 0
	s_cmp_lg_u64 s[0:1], 0
	s_subb_u32 s10, s85, s10
	s_sub_u32 s24, s11, s92
	s_cselect_b64 s[0:1], -1, 0
	s_cmp_lg_u64 s[0:1], 0
	s_subb_u32 s25, s10, 0
	;; [unrolled: 4-line block ×3, first 2 shown]
	s_cmp_ge_u32 s24, s92
	s_cselect_b32 s1, -1, 0
	s_cmp_eq_u32 s25, 0
	s_cselect_b32 s1, s1, -1
	s_cmp_lg_u32 s1, 0
	s_cselect_b32 s0, s0, s25
	s_cselect_b32 s24, s34, s24
	s_cmp_ge_u32 s11, s92
	s_cselect_b32 s1, -1, 0
	s_cmp_eq_u32 s10, 0
	s_cselect_b32 s1, s1, -1
	s_cmp_lg_u32 s1, 0
	s_cselect_b32 s1, s0, s10
	s_cselect_b32 s0, s24, s11
	s_cbranch_execnz .LBB118_168
.LBB118_167:                            ;   in Loop: Header=BB118_30 Depth=1
	v_cvt_f32_u32_e32 v4, s92
	s_sub_i32 s0, 0, s92
	v_rcp_iflag_f32_e32 v4, v4
	s_nop 0
	v_mul_f32_e32 v4, 0x4f7ffffe, v4
	v_cvt_u32_f32_e32 v4, v4
	s_nop 0
	v_readfirstlane_b32 s1, v4
	s_mul_i32 s0, s0, s1
	s_mul_hi_u32 s0, s1, s0
	s_add_i32 s1, s1, s0
	s_mul_hi_u32 s0, s26, s1
	s_mul_i32 s0, s0, s92
	s_sub_i32 s0, s26, s0
	s_sub_i32 s1, s0, s92
	s_cmp_ge_u32 s0, s92
	s_cselect_b32 s0, s1, s0
	s_sub_i32 s1, s0, s92
	s_cmp_ge_u32 s0, s92
	s_cselect_b32 s94, s1, s0
	s_mov_b64 s[0:1], s[94:95]
.LBB118_168:                            ;   in Loop: Header=BB118_30 Depth=1
	s_sub_u32 s10, s26, s0
	s_subb_u32 s11, s85, s1
	v_cmp_gt_u64_e32 vcc, s[10:11], v[0:1]
                                        ; implicit-def: $vgpr8_vgpr9
	s_and_saveexec_b64 s[0:1], vcc
	s_cbranch_execz .LBB118_178
; %bb.169:                              ;   in Loop: Header=BB118_30 Depth=1
	s_mov_b64 s[24:25], 0
	v_mov_b64_e32 v[10:11], v[0:1]
                                        ; implicit-def: $sgpr34_sgpr35
	s_branch .LBB118_173
.LBB118_170:                            ;   in Loop: Header=BB118_173 Depth=2
	s_or_b64 exec, exec, s[36:37]
	s_waitcnt lgkmcnt(0)
	s_barrier
	ds_read_b128 v[6:9], v3 offset:3072
	s_waitcnt lgkmcnt(0)
	s_barrier
	v_cmp_eq_f64_e32 vcc, 0, v[6:7]
	s_cbranch_vccz .LBB118_176
; %bb.171:                              ;   in Loop: Header=BB118_173 Depth=2
	v_lshl_add_u64 v[10:11], v[10:11], 0, s[92:93]
	v_cmp_le_u64_e32 vcc, s[10:11], v[10:11]
	s_mov_b64 s[36:37], 0
	s_orn2_b64 s[38:39], vcc, exec
.LBB118_172:                            ;   in Loop: Header=BB118_173 Depth=2
	s_and_b64 s[38:39], exec, s[38:39]
	s_or_b64 s[24:25], s[38:39], s[24:25]
	s_andn2_b64 s[34:35], s[34:35], exec
	s_and_b64 s[36:37], s[36:37], exec
	s_or_b64 s[34:35], s[34:35], s[36:37]
	s_andn2_b64 exec, exec, s[24:25]
	s_cbranch_execz .LBB118_177
.LBB118_173:                            ;   Parent Loop BB118_30 Depth=1
                                        ; =>  This Inner Loop Header: Depth=2
	v_cmp_gt_u64_e32 vcc, s[52:53], v[10:11]
	s_and_saveexec_b64 s[36:37], vcc
	s_cbranch_execz .LBB118_170
; %bb.174:                              ;   in Loop: Header=BB118_173 Depth=2
	v_mul_lo_u32 v4, v11, s78
	v_mul_lo_u32 v8, v10, s79
	v_mad_u64_u32 v[6:7], s[38:39], v10, s78, 0
	v_add3_u32 v7, v7, v8, v4
	v_lshl_add_u64 v[6:7], v[6:7], 3, s[86:87]
	global_load_dwordx2 v[6:7], v[6:7], off
	s_waitcnt vmcnt(0)
	v_ashrrev_i32_e32 v4, 31, v7
	v_or_b32_e32 v8, 0x80000000, v4
	v_xor_b32_e32 v4, v4, v6
	v_xor_b32_e32 v8, v8, v7
	v_cmp_o_f64_e32 vcc, v[6:7], v[6:7]
	s_nop 1
	v_cndmask_b32_e32 v4, -1, v4, vcc
	v_cndmask_b32_e32 v8, -1, v8, vcc
	v_and_b32_e32 v9, v8, v27
	v_and_b32_e32 v8, v4, v26
	v_cmp_eq_u64_e32 vcc, v[8:9], v[24:25]
	s_and_b64 exec, exec, vcc
	s_cbranch_execz .LBB118_170
; %bb.175:                              ;   in Loop: Header=BB118_173 Depth=2
	v_mov_b32_e32 v4, v3
	ds_write_b128 v3, v[4:7] offset:3072
	s_branch .LBB118_170
.LBB118_176:                            ;   in Loop: Header=BB118_173 Depth=2
	s_mov_b64 s[38:39], -1
                                        ; implicit-def: $vgpr10_vgpr11
	s_mov_b64 s[36:37], -1
	s_branch .LBB118_172
.LBB118_177:                            ;   in Loop: Header=BB118_30 Depth=1
	s_or_b64 exec, exec, s[24:25]
	s_andn2_b64 s[8:9], s[8:9], exec
	s_and_b64 s[10:11], s[34:35], exec
	s_or_b64 s[8:9], s[8:9], s[10:11]
.LBB118_178:                            ;   in Loop: Header=BB118_30 Depth=1
	s_or_b64 exec, exec, s[0:1]
	s_mov_b64 s[0:1], 0
	s_mov_b64 s[24:25], -1
.LBB118_179:                            ;   in Loop: Header=BB118_30 Depth=1
	s_orn2_b64 s[8:9], s[8:9], exec
.LBB118_180:                            ;   in Loop: Header=BB118_30 Depth=1
	s_or_b64 exec, exec, s[28:29]
	s_mov_b64 s[10:11], 0
	s_and_saveexec_b64 s[28:29], s[8:9]
	s_cbranch_execz .LBB118_290
; %bb.181:                              ;   in Loop: Header=BB118_30 Depth=1
	s_xor_b64 s[30:31], s[30:31], -1
	v_mov_b32_e32 v2, 1
	v_mov_b64_e32 v[10:11], 1
	s_and_saveexec_b64 s[8:9], s[30:31]
	s_cbranch_execz .LBB118_191
; %bb.182:                              ;   in Loop: Header=BB118_30 Depth=1
	v_cmp_le_u64_e32 vcc, v[14:15], v[12:13]
	s_and_saveexec_b64 s[10:11], vcc
	s_xor_b64 s[10:11], exec, s[10:11]
	s_cbranch_execz .LBB118_188
; %bb.183:                              ;   in Loop: Header=BB118_30 Depth=1
	ds_read_b64 v[6:7], v3 offset:5120
	s_lshl_b64 s[30:31], 1, s33
	v_and_b32_e32 v2, s23, v25
	v_and_b32_e32 v4, s22, v24
	v_or_b32_e32 v25, s31, v2
	s_waitcnt lgkmcnt(0)
	v_cmp_ne_u64_e32 vcc, 0, v[6:7]
	v_or_b32_e32 v24, s30, v4
	v_or_b32_e32 v27, s13, v27
	v_or_b32_e32 v26, s12, v26
	s_cbranch_vccnz .LBB118_187
; %bb.184:                              ;   in Loop: Header=BB118_30 Depth=1
	s_mov_b64 s[30:31], exec
	v_readlane_b32 s34, v58, 36
	v_readlane_b32 s35, v58, 37
	s_and_b64 s[34:35], s[30:31], s[34:35]
	s_mov_b64 exec, s[34:35]
; %bb.185:                              ;   in Loop: Header=BB118_30 Depth=1
	ds_write_b64 v3, v[12:13] offset:5128
; %bb.186:                              ;   in Loop: Header=BB118_30 Depth=1
	s_or_b64 exec, exec, s[30:31]
	s_waitcnt lgkmcnt(0)
	s_barrier
.LBB118_187:                            ;   in Loop: Header=BB118_30 Depth=1
                                        ; implicit-def: $vgpr10_vgpr11_vgpr12_vgpr13
.LBB118_188:                            ;   in Loop: Header=BB118_30 Depth=1
	s_or_saveexec_b64 s[10:11], s[10:11]
	s_mov_b64 s[30:31], 0
	v_mov_b32_e32 v2, 8
	s_xor_b64 exec, exec, s[10:11]
; %bb.189:                              ;   in Loop: Header=BB118_30 Depth=1
	v_sub_co_u32_e32 v14, vcc, v14, v12
	s_mov_b64 s[30:31], exec
	s_nop 0
	v_subb_co_u32_e32 v15, vcc, v15, v13, vcc
	v_mov_b32_e32 v2, 0
; %bb.190:                              ;   in Loop: Header=BB118_30 Depth=1
	s_or_b64 exec, exec, s[10:11]
	s_and_b64 s[10:11], s[30:31], exec
	v_mov_b64_e32 v[10:11], v[14:15]
.LBB118_191:                            ;   in Loop: Header=BB118_30 Depth=1
	s_or_b64 exec, exec, s[8:9]
	s_mov_b64 s[8:9], -1
                                        ; implicit-def: $sgpr34_sgpr35
                                        ; implicit-def: $sgpr36_sgpr37
	s_and_saveexec_b64 s[30:31], s[10:11]
	s_cbranch_execz .LBB118_289
; %bb.192:                              ;   in Loop: Header=BB118_30 Depth=1
	s_cmp_eq_u64 s[20:21], 1
	s_cselect_b64 s[8:9], -1, 0
	v_cmp_eq_u64_e32 vcc, 1, v[10:11]
	s_and_b64 s[40:41], s[8:9], vcc
	s_mov_b64 s[8:9], -1
                                        ; implicit-def: $sgpr36_sgpr37
                                        ; implicit-def: $sgpr34_sgpr35
	s_and_saveexec_b64 s[38:39], s[40:41]
	s_cbranch_execz .LBB118_228
; %bb.193:                              ;   in Loop: Header=BB118_30 Depth=1
	ds_read_b64 v[6:7], v3 offset:5120
	s_waitcnt lgkmcnt(0)
	s_barrier
	v_readfirstlane_b32 s10, v6
	v_readfirstlane_b32 s11, v7
	s_and_saveexec_b64 s[8:9], s[6:7]
; %bb.194:                              ;   in Loop: Header=BB118_30 Depth=1
	ds_write_b64 v38, v[48:49]
; %bb.195:                              ;   in Loop: Header=BB118_30 Depth=1
	s_or_b64 exec, exec, s[8:9]
	s_lshl_b64 s[8:9], 2, s33
	v_and_b32_e32 v4, s23, v25
	v_and_b32_e32 v6, s22, v24
	v_or_b32_e32 v25, s9, v4
	v_or_b32_e32 v24, s8, v6
	;; [unrolled: 1-line block ×4, first 2 shown]
	s_mov_b64 s[34:35], -1
	s_mov_b64 s[36:37], 0
	s_cmp_eq_u64 s[10:11], 0
	s_mov_b64 s[8:9], 0
	s_mov_b64 s[42:43], -1
	s_waitcnt lgkmcnt(0)
	s_barrier
                                        ; implicit-def: $vgpr8_vgpr9
	s_cbranch_scc1 .LBB118_212
; %bb.196:                              ;   in Loop: Header=BB118_30 Depth=1
	v_readlane_b32 s8, v58, 40
	s_add_u32 s46, s10, s8
	v_readlane_b32 s8, v58, 41
	s_addc_u32 s9, s11, s8
	s_mov_b32 s8, s95
	s_cmp_lg_u64 s[8:9], 0
	s_cbranch_scc0 .LBB118_255
; %bb.197:                              ;   in Loop: Header=BB118_30 Depth=1
	v_cvt_f32_u32_e32 v4, s92
	s_sub_u32 s8, 0, s92
	s_subb_u32 s44, 0, 0
	v_fmac_f32_e32 v4, 0, v43
	v_rcp_f32_e32 v4, v4
	s_nop 0
	v_mul_f32_e32 v4, 0x5f7ffffc, v4
	v_mul_f32_e32 v6, 0x2f800000, v4
	v_trunc_f32_e32 v6, v6
	v_fmac_f32_e32 v4, 0xcf800000, v6
	v_cvt_u32_f32_e32 v6, v6
	v_cvt_u32_f32_e32 v4, v4
	v_readfirstlane_b32 s45, v6
	v_readfirstlane_b32 s42, v4
	s_mul_i32 s43, s8, s45
	s_mul_hi_u32 s48, s8, s42
	s_mul_i32 s47, s44, s42
	s_add_i32 s43, s48, s43
	s_mul_i32 s49, s8, s42
	s_add_i32 s43, s43, s47
	s_mul_hi_u32 s48, s42, s49
	s_mul_i32 s50, s42, s43
	s_mul_hi_u32 s47, s42, s43
	s_add_u32 s48, s48, s50
	s_addc_u32 s47, 0, s47
	s_mul_hi_u32 s51, s45, s49
	s_mul_i32 s49, s45, s49
	s_add_u32 s48, s48, s49
	s_mul_hi_u32 s50, s45, s43
	s_addc_u32 s47, s47, s51
	s_addc_u32 s48, s50, 0
	s_mul_i32 s43, s45, s43
	s_add_u32 s43, s47, s43
	s_addc_u32 s47, 0, s48
	s_add_u32 s48, s42, s43
	s_cselect_b64 s[42:43], -1, 0
	s_cmp_lg_u64 s[42:43], 0
	s_addc_u32 s45, s45, s47
	s_mul_i32 s42, s8, s45
	s_mul_hi_u32 s43, s8, s48
	s_add_i32 s42, s43, s42
	s_mul_i32 s44, s44, s48
	s_add_i32 s42, s42, s44
	s_mul_i32 s8, s8, s48
	s_mul_hi_u32 s44, s45, s8
	s_mul_i32 s47, s45, s8
	s_mul_i32 s50, s48, s42
	s_mul_hi_u32 s8, s48, s8
	s_mul_hi_u32 s49, s48, s42
	s_add_u32 s8, s8, s50
	s_addc_u32 s49, 0, s49
	s_add_u32 s8, s8, s47
	s_mul_hi_u32 s43, s45, s42
	s_addc_u32 s8, s49, s44
	s_addc_u32 s43, s43, 0
	s_mul_i32 s42, s45, s42
	s_add_u32 s8, s8, s42
	s_addc_u32 s44, 0, s43
	s_add_u32 s8, s48, s8
	s_cselect_b64 s[42:43], -1, 0
	s_cmp_lg_u64 s[42:43], 0
	s_addc_u32 s42, s45, s44
	s_mul_i32 s44, s46, s42
	s_mul_hi_u32 s45, s46, s8
	s_mul_hi_u32 s43, s46, s42
	s_add_u32 s44, s45, s44
	s_addc_u32 s43, 0, s43
	s_mul_hi_u32 s47, s9, s8
	s_mul_i32 s8, s9, s8
	s_add_u32 s8, s44, s8
	s_mul_hi_u32 s45, s9, s42
	s_addc_u32 s8, s43, s47
	s_addc_u32 s43, s45, 0
	s_mul_i32 s42, s9, s42
	s_add_u32 s8, s8, s42
	s_addc_u32 s42, 0, s43
	s_mul_i32 s42, s92, s42
	s_mul_hi_u32 s43, s92, s8
	s_add_i32 s44, s43, s42
	s_mul_i32 s8, s92, s8
	s_sub_u32 s8, s46, s8
	s_cselect_b64 s[42:43], -1, 0
	s_cmp_lg_u64 s[42:43], 0
	s_subb_u32 s44, s9, s44
	s_sub_u32 s45, s8, s92
	s_cselect_b64 s[42:43], -1, 0
	s_cmp_lg_u64 s[42:43], 0
	s_subb_u32 s47, s44, 0
	;; [unrolled: 4-line block ×3, first 2 shown]
	s_cmp_ge_u32 s45, s92
	s_cselect_b32 s43, -1, 0
	s_cmp_eq_u32 s47, 0
	s_cselect_b32 s43, s43, -1
	s_cmp_lg_u32 s43, 0
	s_cselect_b32 s42, s42, s47
	s_cselect_b32 s45, s48, s45
	s_cmp_ge_u32 s8, s92
	s_cselect_b32 s43, -1, 0
	s_cmp_eq_u32 s44, 0
	s_cselect_b32 s43, s43, -1
	s_cmp_lg_u32 s43, 0
	s_cselect_b32 s43, s42, s44
	s_cselect_b32 s42, s45, s8
	s_cbranch_execnz .LBB118_199
.LBB118_198:                            ;   in Loop: Header=BB118_30 Depth=1
	v_cvt_f32_u32_e32 v4, s92
	s_sub_i32 s8, 0, s92
	v_rcp_iflag_f32_e32 v4, v4
	s_nop 0
	v_mul_f32_e32 v4, 0x4f7ffffe, v4
	v_cvt_u32_f32_e32 v4, v4
	s_nop 0
	v_readfirstlane_b32 s42, v4
	s_mul_i32 s8, s8, s42
	s_mul_hi_u32 s8, s42, s8
	s_add_i32 s42, s42, s8
	s_mul_hi_u32 s8, s46, s42
	s_mul_i32 s8, s8, s92
	s_sub_i32 s8, s46, s8
	s_sub_i32 s42, s8, s92
	s_cmp_ge_u32 s8, s92
	s_cselect_b32 s8, s42, s8
	s_sub_i32 s42, s8, s92
	s_cmp_ge_u32 s8, s92
	s_cselect_b32 s94, s42, s8
	s_mov_b64 s[42:43], s[94:95]
.LBB118_199:                            ;   in Loop: Header=BB118_30 Depth=1
	s_sub_u32 s46, s46, s42
	s_subb_u32 s47, s9, s43
	v_cmp_gt_u64_e32 vcc, s[46:47], v[0:1]
	s_mov_b64 s[42:43], 0
	s_mov_b64 s[8:9], 0
                                        ; implicit-def: $vgpr8_vgpr9
	s_and_saveexec_b64 s[44:45], vcc
	s_cbranch_execz .LBB118_211
; %bb.200:                              ;   in Loop: Header=BB118_30 Depth=1
	v_mov_b32_e32 v14, v37
	v_mov_b64_e32 v[12:13], v[0:1]
                                        ; implicit-def: $sgpr48_sgpr49
	s_branch .LBB118_204
.LBB118_201:                            ;   in Loop: Header=BB118_204 Depth=2
	s_or_b64 exec, exec, s[50:51]
	s_waitcnt lgkmcnt(0)
	s_barrier
	ds_read_b128 v[6:9], v3 offset:3072
	s_waitcnt lgkmcnt(0)
	s_barrier
	v_cmp_neq_f64_e32 vcc, 0, v[6:7]
	s_cbranch_vccnz .LBB118_207
; %bb.202:                              ;   in Loop: Header=BB118_204 Depth=2
	v_lshl_add_u64 v[12:13], v[12:13], 0, s[92:93]
	v_cmp_le_u64_e32 vcc, s[46:47], v[12:13]
	v_add_u32_e32 v14, s72, v14
	s_mov_b64 s[50:51], 0
	s_orn2_b64 s[56:57], vcc, exec
.LBB118_203:                            ;   in Loop: Header=BB118_204 Depth=2
	s_and_b64 s[56:57], exec, s[56:57]
	s_or_b64 s[8:9], s[56:57], s[8:9]
	s_andn2_b64 s[48:49], s[48:49], exec
	s_and_b64 s[50:51], s[50:51], exec
	s_or_b64 s[48:49], s[48:49], s[50:51]
	s_andn2_b64 exec, exec, s[8:9]
	s_cbranch_execz .LBB118_210
.LBB118_204:                            ;   Parent Loop BB118_30 Depth=1
                                        ; =>  This Inner Loop Header: Depth=2
	v_cmp_gt_u64_e32 vcc, s[10:11], v[12:13]
	s_and_saveexec_b64 s[50:51], vcc
	s_cbranch_execz .LBB118_201
; %bb.205:                              ;   in Loop: Header=BB118_204 Depth=2
	ds_read_b64 v[6:7], v14
	s_waitcnt lgkmcnt(0)
	v_ashrrev_i32_e32 v4, 31, v7
	v_or_b32_e32 v8, 0x80000000, v4
	v_xor_b32_e32 v4, v4, v6
	v_xor_b32_e32 v8, v8, v7
	v_cmp_o_f64_e32 vcc, v[6:7], v[6:7]
	s_nop 1
	v_cndmask_b32_e32 v4, -1, v4, vcc
	v_cndmask_b32_e32 v8, -1, v8, vcc
	v_and_b32_e32 v9, v8, v27
	v_and_b32_e32 v8, v4, v26
	v_cmp_eq_u64_e32 vcc, v[8:9], v[24:25]
	s_and_b64 exec, exec, vcc
	s_cbranch_execz .LBB118_201
; %bb.206:                              ;   in Loop: Header=BB118_204 Depth=2
	v_mov_b32_e32 v4, v3
	ds_write_b128 v3, v[4:7] offset:3072
	s_branch .LBB118_201
.LBB118_207:                            ;   in Loop: Header=BB118_204 Depth=2
	s_mov_b64 s[56:57], -1
                                        ; implicit-def: $vgpr12_vgpr13
                                        ; implicit-def: $vgpr14
	s_mov_b64 s[50:51], -1
	s_branch .LBB118_203
.LBB118_208:                            ;   in Loop: Header=BB118_30 Depth=1
                                        ; implicit-def: $sgpr34_sgpr35
	s_branch .LBB118_147
.LBB118_209:                            ;   in Loop: Header=BB118_30 Depth=1
                                        ; implicit-def: $sgpr0_sgpr1
	s_branch .LBB118_167
.LBB118_210:                            ;   in Loop: Header=BB118_30 Depth=1
	s_or_b64 exec, exec, s[8:9]
	s_and_b64 s[8:9], s[48:49], exec
.LBB118_211:                            ;   in Loop: Header=BB118_30 Depth=1
	s_or_b64 exec, exec, s[44:45]
.LBB118_212:                            ;   in Loop: Header=BB118_30 Depth=1
	s_and_b64 vcc, exec, s[42:43]
	s_cbranch_vccz .LBB118_227
; %bb.213:                              ;   in Loop: Header=BB118_30 Depth=1
	s_mov_b32 s84, s95
	s_cmp_lg_u64 s[84:85], 0
	s_cbranch_scc0 .LBB118_256
; %bb.214:                              ;   in Loop: Header=BB118_30 Depth=1
	v_cvt_f32_u32_e32 v4, s92
	s_sub_u32 s34, 0, s92
	s_subb_u32 s35, 0, 0
	v_fmac_f32_e32 v4, 0, v43
	v_rcp_f32_e32 v4, v4
	s_nop 0
	v_mul_f32_e32 v4, 0x5f7ffffc, v4
	v_mul_f32_e32 v6, 0x2f800000, v4
	v_trunc_f32_e32 v6, v6
	v_fmac_f32_e32 v4, 0xcf800000, v6
	v_cvt_u32_f32_e32 v6, v6
	v_cvt_u32_f32_e32 v4, v4
	v_readfirstlane_b32 s36, v6
	v_readfirstlane_b32 s10, v4
	s_mul_i32 s11, s34, s36
	s_mul_hi_u32 s42, s34, s10
	s_mul_i32 s37, s35, s10
	s_add_i32 s11, s42, s11
	s_mul_i32 s43, s34, s10
	s_add_i32 s11, s11, s37
	s_mul_hi_u32 s42, s10, s43
	s_mul_i32 s44, s10, s11
	s_mul_hi_u32 s37, s10, s11
	s_add_u32 s42, s42, s44
	s_addc_u32 s37, 0, s37
	s_mul_hi_u32 s45, s36, s43
	s_mul_i32 s43, s36, s43
	s_add_u32 s42, s42, s43
	s_mul_hi_u32 s44, s36, s11
	s_addc_u32 s37, s37, s45
	s_addc_u32 s42, s44, 0
	s_mul_i32 s11, s36, s11
	s_add_u32 s11, s37, s11
	s_addc_u32 s37, 0, s42
	s_add_u32 s42, s10, s11
	s_cselect_b64 s[10:11], -1, 0
	s_cmp_lg_u64 s[10:11], 0
	s_addc_u32 s36, s36, s37
	s_mul_i32 s10, s34, s36
	s_mul_hi_u32 s11, s34, s42
	s_add_i32 s10, s11, s10
	s_mul_i32 s35, s35, s42
	s_add_i32 s10, s10, s35
	s_mul_i32 s34, s34, s42
	s_mul_hi_u32 s35, s36, s34
	s_mul_i32 s37, s36, s34
	s_mul_i32 s44, s42, s10
	s_mul_hi_u32 s34, s42, s34
	s_mul_hi_u32 s43, s42, s10
	s_add_u32 s34, s34, s44
	s_addc_u32 s43, 0, s43
	s_add_u32 s34, s34, s37
	s_mul_hi_u32 s11, s36, s10
	s_addc_u32 s34, s43, s35
	s_addc_u32 s11, s11, 0
	s_mul_i32 s10, s36, s10
	s_add_u32 s10, s34, s10
	s_addc_u32 s34, 0, s11
	s_add_u32 s35, s42, s10
	s_cselect_b64 s[10:11], -1, 0
	s_cmp_lg_u64 s[10:11], 0
	s_addc_u32 s10, s36, s34
	s_mul_i32 s34, s26, s10
	s_mul_hi_u32 s36, s26, s35
	s_mul_hi_u32 s11, s26, s10
	s_add_u32 s34, s36, s34
	s_addc_u32 s11, 0, s11
	s_mul_hi_u32 s37, s85, s35
	s_mul_i32 s35, s85, s35
	s_add_u32 s34, s34, s35
	s_mul_hi_u32 s36, s85, s10
	s_addc_u32 s11, s11, s37
	s_addc_u32 s34, s36, 0
	s_mul_i32 s10, s85, s10
	s_add_u32 s10, s11, s10
	s_addc_u32 s11, 0, s34
	s_mul_i32 s11, s92, s11
	s_mul_hi_u32 s34, s92, s10
	s_add_i32 s34, s34, s11
	s_mul_i32 s10, s92, s10
	s_sub_u32 s35, s26, s10
	s_cselect_b64 s[10:11], -1, 0
	s_cmp_lg_u64 s[10:11], 0
	s_subb_u32 s34, s85, s34
	s_sub_u32 s36, s35, s92
	s_cselect_b64 s[10:11], -1, 0
	s_cmp_lg_u64 s[10:11], 0
	s_subb_u32 s37, s34, 0
	;; [unrolled: 4-line block ×3, first 2 shown]
	s_cmp_ge_u32 s36, s92
	s_cselect_b32 s11, -1, 0
	s_cmp_eq_u32 s37, 0
	s_cselect_b32 s11, s11, -1
	s_cmp_lg_u32 s11, 0
	s_cselect_b32 s10, s10, s37
	s_cselect_b32 s36, s42, s36
	s_cmp_ge_u32 s35, s92
	s_cselect_b32 s11, -1, 0
	s_cmp_eq_u32 s34, 0
	s_cselect_b32 s11, s11, -1
	s_cmp_lg_u32 s11, 0
	s_cselect_b32 s11, s10, s34
	s_cselect_b32 s10, s36, s35
	s_cbranch_execnz .LBB118_216
.LBB118_215:                            ;   in Loop: Header=BB118_30 Depth=1
	v_cvt_f32_u32_e32 v4, s92
	s_sub_i32 s10, 0, s92
	v_rcp_iflag_f32_e32 v4, v4
	s_nop 0
	v_mul_f32_e32 v4, 0x4f7ffffe, v4
	v_cvt_u32_f32_e32 v4, v4
	s_nop 0
	v_readfirstlane_b32 s11, v4
	s_mul_i32 s10, s10, s11
	s_mul_hi_u32 s10, s11, s10
	s_add_i32 s11, s11, s10
	s_mul_hi_u32 s10, s26, s11
	s_mul_i32 s10, s10, s92
	s_sub_i32 s10, s26, s10
	s_sub_i32 s11, s10, s92
	s_cmp_ge_u32 s10, s92
	s_cselect_b32 s10, s11, s10
	s_sub_i32 s11, s10, s92
	s_cmp_ge_u32 s10, s92
	s_cselect_b32 s94, s11, s10
	s_mov_b64 s[10:11], s[94:95]
.LBB118_216:                            ;   in Loop: Header=BB118_30 Depth=1
	s_sub_u32 s34, s26, s10
	s_subb_u32 s35, s85, s11
	v_cmp_gt_u64_e32 vcc, s[34:35], v[0:1]
                                        ; implicit-def: $vgpr8_vgpr9
	s_and_saveexec_b64 s[10:11], vcc
	s_cbranch_execz .LBB118_226
; %bb.217:                              ;   in Loop: Header=BB118_30 Depth=1
	s_mov_b64 s[36:37], 0
	v_mov_b64_e32 v[12:13], v[0:1]
                                        ; implicit-def: $sgpr42_sgpr43
	s_branch .LBB118_221
.LBB118_218:                            ;   in Loop: Header=BB118_221 Depth=2
	s_or_b64 exec, exec, s[44:45]
	s_waitcnt lgkmcnt(0)
	s_barrier
	ds_read_b128 v[6:9], v3 offset:3072
	s_waitcnt lgkmcnt(0)
	s_barrier
	v_cmp_eq_f64_e32 vcc, 0, v[6:7]
	s_cbranch_vccz .LBB118_224
; %bb.219:                              ;   in Loop: Header=BB118_221 Depth=2
	v_lshl_add_u64 v[12:13], v[12:13], 0, s[92:93]
	v_cmp_le_u64_e32 vcc, s[34:35], v[12:13]
	s_mov_b64 s[44:45], 0
	s_orn2_b64 s[46:47], vcc, exec
.LBB118_220:                            ;   in Loop: Header=BB118_221 Depth=2
	s_and_b64 s[46:47], exec, s[46:47]
	s_or_b64 s[36:37], s[46:47], s[36:37]
	s_andn2_b64 s[42:43], s[42:43], exec
	s_and_b64 s[44:45], s[44:45], exec
	s_or_b64 s[42:43], s[42:43], s[44:45]
	s_andn2_b64 exec, exec, s[36:37]
	s_cbranch_execz .LBB118_225
.LBB118_221:                            ;   Parent Loop BB118_30 Depth=1
                                        ; =>  This Inner Loop Header: Depth=2
	v_cmp_gt_u64_e32 vcc, s[52:53], v[12:13]
	s_and_saveexec_b64 s[44:45], vcc
	s_cbranch_execz .LBB118_218
; %bb.222:                              ;   in Loop: Header=BB118_221 Depth=2
	v_mul_lo_u32 v4, v13, s78
	v_mul_lo_u32 v8, v12, s79
	v_mad_u64_u32 v[6:7], s[46:47], v12, s78, 0
	v_add3_u32 v7, v7, v8, v4
	v_lshl_add_u64 v[6:7], v[6:7], 3, s[86:87]
	global_load_dwordx2 v[6:7], v[6:7], off
	s_waitcnt vmcnt(0)
	v_ashrrev_i32_e32 v4, 31, v7
	v_or_b32_e32 v8, 0x80000000, v4
	v_xor_b32_e32 v4, v4, v6
	v_xor_b32_e32 v8, v8, v7
	v_cmp_o_f64_e32 vcc, v[6:7], v[6:7]
	s_nop 1
	v_cndmask_b32_e32 v4, -1, v4, vcc
	v_cndmask_b32_e32 v8, -1, v8, vcc
	v_and_b32_e32 v9, v8, v27
	v_and_b32_e32 v8, v4, v26
	v_cmp_eq_u64_e32 vcc, v[8:9], v[24:25]
	s_and_b64 exec, exec, vcc
	s_cbranch_execz .LBB118_218
; %bb.223:                              ;   in Loop: Header=BB118_221 Depth=2
	v_mov_b32_e32 v4, v3
	ds_write_b128 v3, v[4:7] offset:3072
	s_branch .LBB118_218
.LBB118_224:                            ;   in Loop: Header=BB118_221 Depth=2
	s_mov_b64 s[46:47], -1
                                        ; implicit-def: $vgpr12_vgpr13
	s_mov_b64 s[44:45], -1
	s_branch .LBB118_220
.LBB118_225:                            ;   in Loop: Header=BB118_30 Depth=1
	s_or_b64 exec, exec, s[36:37]
	s_andn2_b64 s[8:9], s[8:9], exec
	s_and_b64 s[34:35], s[42:43], exec
	s_or_b64 s[8:9], s[8:9], s[34:35]
.LBB118_226:                            ;   in Loop: Header=BB118_30 Depth=1
	s_or_b64 exec, exec, s[10:11]
	s_mov_b64 s[34:35], 0
	s_mov_b64 s[36:37], -1
.LBB118_227:                            ;   in Loop: Header=BB118_30 Depth=1
	s_orn2_b64 s[8:9], s[8:9], exec
.LBB118_228:                            ;   in Loop: Header=BB118_30 Depth=1
	s_or_b64 exec, exec, s[38:39]
	s_mov_b64 s[10:11], 0
	s_and_saveexec_b64 s[38:39], s[8:9]
	s_cbranch_execz .LBB118_288
; %bb.229:                              ;   in Loop: Header=BB118_30 Depth=1
	s_xor_b64 s[40:41], s[40:41], -1
	v_mov_b32_e32 v2, 1
	v_mov_b64_e32 v[12:13], 1
	s_and_saveexec_b64 s[8:9], s[40:41]
	s_cbranch_execz .LBB118_238
; %bb.230:                              ;   in Loop: Header=BB118_30 Depth=1
	v_cmp_ge_u64_e32 vcc, s[20:21], v[10:11]
	s_and_saveexec_b64 s[10:11], vcc
	s_xor_b64 s[10:11], exec, s[10:11]
	s_cbranch_execz .LBB118_235
; %bb.231:                              ;   in Loop: Header=BB118_30 Depth=1
	ds_read_b64 v[6:7], v3 offset:5120
	s_lshl_b64 s[40:41], 2, s33
	v_and_b32_e32 v2, s23, v25
	v_and_b32_e32 v4, s22, v24
	v_or_b32_e32 v25, s41, v2
	s_waitcnt lgkmcnt(0)
	v_cmp_ne_u64_e32 vcc, 0, v[6:7]
	v_or_b32_e32 v24, s40, v4
	v_or_b32_e32 v27, s13, v27
	;; [unrolled: 1-line block ×3, first 2 shown]
	s_cbranch_vccnz .LBB118_235
; %bb.232:                              ;   in Loop: Header=BB118_30 Depth=1
	s_mov_b64 s[22:23], exec
	v_readlane_b32 s40, v58, 36
	v_readlane_b32 s41, v58, 37
	s_and_b64 s[40:41], s[22:23], s[40:41]
	s_mov_b64 exec, s[40:41]
; %bb.233:                              ;   in Loop: Header=BB118_30 Depth=1
	v_mov_b64_e32 v[6:7], s[20:21]
	ds_write_b64 v3, v[6:7] offset:5128
; %bb.234:                              ;   in Loop: Header=BB118_30 Depth=1
	s_or_b64 exec, exec, s[22:23]
	s_waitcnt lgkmcnt(0)
	s_barrier
.LBB118_235:                            ;   in Loop: Header=BB118_30 Depth=1
	s_or_saveexec_b64 s[10:11], s[10:11]
	s_mov_b64 s[22:23], 0
	v_mov_b32_e32 v2, 8
	s_xor_b64 exec, exec, s[10:11]
; %bb.236:                              ;   in Loop: Header=BB118_30 Depth=1
	v_mov_b32_e32 v2, s21
	v_subrev_co_u32_e32 v10, vcc, s20, v10
	s_mov_b64 s[22:23], exec
	s_nop 0
	v_subb_co_u32_e32 v11, vcc, v11, v2, vcc
	v_mov_b32_e32 v2, 0
; %bb.237:                              ;   in Loop: Header=BB118_30 Depth=1
	s_or_b64 exec, exec, s[10:11]
	s_and_b64 s[10:11], s[22:23], exec
	v_mov_b64_e32 v[12:13], v[10:11]
.LBB118_238:                            ;   in Loop: Header=BB118_30 Depth=1
	s_or_b64 exec, exec, s[8:9]
	s_mov_b64 s[8:9], -1
                                        ; implicit-def: $sgpr44_sgpr45
                                        ; implicit-def: $sgpr42_sgpr43
	s_and_saveexec_b64 s[20:21], s[10:11]
	s_cbranch_execz .LBB118_287
; %bb.239:                              ;   in Loop: Header=BB118_30 Depth=1
	s_cmp_eq_u64 s[2:3], 1
	s_cselect_b64 s[8:9], -1, 0
	v_cmp_eq_u64_e32 vcc, 1, v[12:13]
	s_and_b64 s[22:23], s[8:9], vcc
	s_mov_b64 s[10:11], -1
                                        ; implicit-def: $sgpr44_sgpr45
                                        ; implicit-def: $sgpr42_sgpr43
	s_and_saveexec_b64 s[40:41], s[22:23]
	s_cbranch_execz .LBB118_275
; %bb.240:                              ;   in Loop: Header=BB118_30 Depth=1
	ds_read_b64 v[6:7], v3 offset:5120
	s_waitcnt lgkmcnt(0)
	s_barrier
	v_readfirstlane_b32 s10, v6
	v_readfirstlane_b32 s11, v7
	s_and_saveexec_b64 s[8:9], s[6:7]
; %bb.241:                              ;   in Loop: Header=BB118_30 Depth=1
	ds_write_b64 v38, v[48:49]
; %bb.242:                              ;   in Loop: Header=BB118_30 Depth=1
	s_or_b64 exec, exec, s[8:9]
	v_or_b32_e32 v25, s13, v25
	v_or_b32_e32 v24, s12, v24
	;; [unrolled: 1-line block ×4, first 2 shown]
	s_mov_b64 s[42:43], -1
	s_mov_b64 s[44:45], 0
	s_cmp_eq_u64 s[10:11], 0
	s_mov_b64 s[8:9], 0
	s_mov_b64 s[46:47], -1
	s_waitcnt lgkmcnt(0)
	s_barrier
                                        ; implicit-def: $vgpr8_vgpr9
	s_cbranch_scc1 .LBB118_259
; %bb.243:                              ;   in Loop: Header=BB118_30 Depth=1
	v_readlane_b32 s8, v58, 40
	s_add_u32 s50, s10, s8
	v_readlane_b32 s8, v58, 41
	s_addc_u32 s9, s11, s8
	s_mov_b32 s8, s95
	s_cmp_lg_u64 s[8:9], 0
	s_cbranch_scc0 .LBB118_294
; %bb.244:                              ;   in Loop: Header=BB118_30 Depth=1
	v_cvt_f32_u32_e32 v4, s92
	s_sub_u32 s8, 0, s92
	s_subb_u32 s48, 0, 0
	v_fmac_f32_e32 v4, 0, v43
	v_rcp_f32_e32 v4, v4
	s_nop 0
	v_mul_f32_e32 v4, 0x5f7ffffc, v4
	v_mul_f32_e32 v6, 0x2f800000, v4
	v_trunc_f32_e32 v6, v6
	v_fmac_f32_e32 v4, 0xcf800000, v6
	v_cvt_u32_f32_e32 v6, v6
	v_cvt_u32_f32_e32 v4, v4
	v_readfirstlane_b32 s49, v6
	v_readfirstlane_b32 s46, v4
	s_mul_i32 s47, s8, s49
	s_mul_hi_u32 s56, s8, s46
	s_mul_i32 s51, s48, s46
	s_add_i32 s47, s56, s47
	s_mul_i32 s57, s8, s46
	s_add_i32 s47, s47, s51
	s_mul_hi_u32 s56, s46, s57
	s_mul_i32 s58, s46, s47
	s_mul_hi_u32 s51, s46, s47
	s_add_u32 s56, s56, s58
	s_addc_u32 s51, 0, s51
	s_mul_hi_u32 s59, s49, s57
	s_mul_i32 s57, s49, s57
	s_add_u32 s56, s56, s57
	s_mul_hi_u32 s58, s49, s47
	s_addc_u32 s51, s51, s59
	s_addc_u32 s56, s58, 0
	s_mul_i32 s47, s49, s47
	s_add_u32 s47, s51, s47
	s_addc_u32 s51, 0, s56
	s_add_u32 s56, s46, s47
	s_cselect_b64 s[46:47], -1, 0
	s_cmp_lg_u64 s[46:47], 0
	s_addc_u32 s49, s49, s51
	s_mul_i32 s46, s8, s49
	s_mul_hi_u32 s47, s8, s56
	s_add_i32 s46, s47, s46
	s_mul_i32 s48, s48, s56
	s_add_i32 s46, s46, s48
	s_mul_i32 s8, s8, s56
	s_mul_hi_u32 s48, s49, s8
	s_mul_i32 s51, s49, s8
	s_mul_i32 s58, s56, s46
	s_mul_hi_u32 s8, s56, s8
	s_mul_hi_u32 s57, s56, s46
	s_add_u32 s8, s8, s58
	s_addc_u32 s57, 0, s57
	s_add_u32 s8, s8, s51
	s_mul_hi_u32 s47, s49, s46
	s_addc_u32 s8, s57, s48
	s_addc_u32 s47, s47, 0
	s_mul_i32 s46, s49, s46
	s_add_u32 s8, s8, s46
	s_addc_u32 s48, 0, s47
	s_add_u32 s8, s56, s8
	s_cselect_b64 s[46:47], -1, 0
	s_cmp_lg_u64 s[46:47], 0
	s_addc_u32 s46, s49, s48
	s_mul_i32 s48, s50, s46
	s_mul_hi_u32 s49, s50, s8
	s_mul_hi_u32 s47, s50, s46
	s_add_u32 s48, s49, s48
	s_addc_u32 s47, 0, s47
	s_mul_hi_u32 s51, s9, s8
	s_mul_i32 s8, s9, s8
	s_add_u32 s8, s48, s8
	s_mul_hi_u32 s49, s9, s46
	s_addc_u32 s8, s47, s51
	s_addc_u32 s47, s49, 0
	s_mul_i32 s46, s9, s46
	s_add_u32 s8, s8, s46
	s_addc_u32 s46, 0, s47
	s_mul_i32 s46, s92, s46
	s_mul_hi_u32 s47, s92, s8
	s_add_i32 s48, s47, s46
	s_mul_i32 s8, s92, s8
	s_sub_u32 s8, s50, s8
	s_cselect_b64 s[46:47], -1, 0
	s_cmp_lg_u64 s[46:47], 0
	s_subb_u32 s48, s9, s48
	s_sub_u32 s49, s8, s92
	s_cselect_b64 s[46:47], -1, 0
	s_cmp_lg_u64 s[46:47], 0
	s_subb_u32 s51, s48, 0
	;; [unrolled: 4-line block ×3, first 2 shown]
	s_cmp_ge_u32 s49, s92
	s_cselect_b32 s47, -1, 0
	s_cmp_eq_u32 s51, 0
	s_cselect_b32 s47, s47, -1
	s_cmp_lg_u32 s47, 0
	s_cselect_b32 s46, s46, s51
	s_cselect_b32 s49, s56, s49
	s_cmp_ge_u32 s8, s92
	s_cselect_b32 s47, -1, 0
	s_cmp_eq_u32 s48, 0
	s_cselect_b32 s47, s47, -1
	s_cmp_lg_u32 s47, 0
	s_cselect_b32 s47, s46, s48
	s_cselect_b32 s46, s49, s8
	s_cbranch_execnz .LBB118_246
.LBB118_245:                            ;   in Loop: Header=BB118_30 Depth=1
	v_cvt_f32_u32_e32 v4, s92
	s_sub_i32 s8, 0, s92
	v_rcp_iflag_f32_e32 v4, v4
	s_nop 0
	v_mul_f32_e32 v4, 0x4f7ffffe, v4
	v_cvt_u32_f32_e32 v4, v4
	s_nop 0
	v_readfirstlane_b32 s46, v4
	s_mul_i32 s8, s8, s46
	s_mul_hi_u32 s8, s46, s8
	s_add_i32 s46, s46, s8
	s_mul_hi_u32 s8, s50, s46
	s_mul_i32 s8, s8, s92
	s_sub_i32 s8, s50, s8
	s_sub_i32 s46, s8, s92
	s_cmp_ge_u32 s8, s92
	s_cselect_b32 s8, s46, s8
	s_sub_i32 s46, s8, s92
	s_cmp_ge_u32 s8, s92
	s_cselect_b32 s94, s46, s8
	s_mov_b64 s[46:47], s[94:95]
.LBB118_246:                            ;   in Loop: Header=BB118_30 Depth=1
	s_sub_u32 s50, s50, s46
	s_subb_u32 s51, s9, s47
	v_cmp_gt_u64_e32 vcc, s[50:51], v[0:1]
	s_mov_b64 s[46:47], 0
	s_mov_b64 s[8:9], 0
                                        ; implicit-def: $vgpr8_vgpr9
	s_and_saveexec_b64 s[48:49], vcc
	s_cbranch_execz .LBB118_258
; %bb.247:                              ;   in Loop: Header=BB118_30 Depth=1
	v_mov_b32_e32 v14, v37
	v_mov_b64_e32 v[10:11], v[0:1]
                                        ; implicit-def: $sgpr56_sgpr57
	s_branch .LBB118_251
.LBB118_248:                            ;   in Loop: Header=BB118_251 Depth=2
	s_or_b64 exec, exec, s[58:59]
	s_waitcnt lgkmcnt(0)
	s_barrier
	ds_read_b128 v[6:9], v3 offset:3072
	s_waitcnt lgkmcnt(0)
	s_barrier
	v_cmp_neq_f64_e32 vcc, 0, v[6:7]
	s_cbranch_vccnz .LBB118_254
; %bb.249:                              ;   in Loop: Header=BB118_251 Depth=2
	v_lshl_add_u64 v[10:11], v[10:11], 0, s[92:93]
	v_cmp_le_u64_e32 vcc, s[50:51], v[10:11]
	v_add_u32_e32 v14, s72, v14
	s_mov_b64 s[58:59], 0
	s_orn2_b64 s[60:61], vcc, exec
.LBB118_250:                            ;   in Loop: Header=BB118_251 Depth=2
	s_and_b64 s[60:61], exec, s[60:61]
	s_or_b64 s[8:9], s[60:61], s[8:9]
	s_andn2_b64 s[56:57], s[56:57], exec
	s_and_b64 s[58:59], s[58:59], exec
	s_or_b64 s[56:57], s[56:57], s[58:59]
	s_andn2_b64 exec, exec, s[8:9]
	s_cbranch_execz .LBB118_257
.LBB118_251:                            ;   Parent Loop BB118_30 Depth=1
                                        ; =>  This Inner Loop Header: Depth=2
	v_cmp_gt_u64_e32 vcc, s[10:11], v[10:11]
	s_and_saveexec_b64 s[58:59], vcc
	s_cbranch_execz .LBB118_248
; %bb.252:                              ;   in Loop: Header=BB118_251 Depth=2
	ds_read_b64 v[6:7], v14
	s_waitcnt lgkmcnt(0)
	v_ashrrev_i32_e32 v4, 31, v7
	v_or_b32_e32 v8, 0x80000000, v4
	v_xor_b32_e32 v4, v4, v6
	v_xor_b32_e32 v8, v8, v7
	v_cmp_o_f64_e32 vcc, v[6:7], v[6:7]
	s_nop 1
	v_cndmask_b32_e32 v4, -1, v4, vcc
	v_cndmask_b32_e32 v8, -1, v8, vcc
	v_and_b32_e32 v9, v8, v27
	v_and_b32_e32 v8, v4, v26
	v_cmp_eq_u64_e32 vcc, v[8:9], v[24:25]
	s_and_b64 exec, exec, vcc
	s_cbranch_execz .LBB118_248
; %bb.253:                              ;   in Loop: Header=BB118_251 Depth=2
	v_mov_b32_e32 v4, v3
	ds_write_b128 v3, v[4:7] offset:3072
	s_branch .LBB118_248
.LBB118_254:                            ;   in Loop: Header=BB118_251 Depth=2
	s_mov_b64 s[60:61], -1
                                        ; implicit-def: $vgpr10_vgpr11
                                        ; implicit-def: $vgpr14
	s_mov_b64 s[58:59], -1
	s_branch .LBB118_250
.LBB118_255:                            ;   in Loop: Header=BB118_30 Depth=1
                                        ; implicit-def: $sgpr42_sgpr43
	s_branch .LBB118_198
.LBB118_256:                            ;   in Loop: Header=BB118_30 Depth=1
                                        ; implicit-def: $sgpr10_sgpr11
	s_branch .LBB118_215
.LBB118_257:                            ;   in Loop: Header=BB118_30 Depth=1
	s_or_b64 exec, exec, s[8:9]
	s_and_b64 s[8:9], s[56:57], exec
.LBB118_258:                            ;   in Loop: Header=BB118_30 Depth=1
	s_or_b64 exec, exec, s[48:49]
.LBB118_259:                            ;   in Loop: Header=BB118_30 Depth=1
	s_and_b64 vcc, exec, s[46:47]
	s_cbranch_vccz .LBB118_274
; %bb.260:                              ;   in Loop: Header=BB118_30 Depth=1
	s_mov_b32 s84, s95
	s_cmp_lg_u64 s[84:85], 0
	s_cbranch_scc0 .LBB118_295
; %bb.261:                              ;   in Loop: Header=BB118_30 Depth=1
	v_cvt_f32_u32_e32 v4, s92
	s_sub_u32 s42, 0, s92
	s_subb_u32 s43, 0, 0
	v_fmac_f32_e32 v4, 0, v43
	v_rcp_f32_e32 v4, v4
	s_nop 0
	v_mul_f32_e32 v4, 0x5f7ffffc, v4
	v_mul_f32_e32 v6, 0x2f800000, v4
	v_trunc_f32_e32 v6, v6
	v_fmac_f32_e32 v4, 0xcf800000, v6
	v_cvt_u32_f32_e32 v6, v6
	v_cvt_u32_f32_e32 v4, v4
	v_readfirstlane_b32 s44, v6
	v_readfirstlane_b32 s10, v4
	s_mul_i32 s11, s42, s44
	s_mul_hi_u32 s46, s42, s10
	s_mul_i32 s45, s43, s10
	s_add_i32 s11, s46, s11
	s_mul_i32 s47, s42, s10
	s_add_i32 s11, s11, s45
	s_mul_hi_u32 s46, s10, s47
	s_mul_i32 s48, s10, s11
	s_mul_hi_u32 s45, s10, s11
	s_add_u32 s46, s46, s48
	s_addc_u32 s45, 0, s45
	s_mul_hi_u32 s49, s44, s47
	s_mul_i32 s47, s44, s47
	s_add_u32 s46, s46, s47
	s_mul_hi_u32 s48, s44, s11
	s_addc_u32 s45, s45, s49
	s_addc_u32 s46, s48, 0
	s_mul_i32 s11, s44, s11
	s_add_u32 s11, s45, s11
	s_addc_u32 s45, 0, s46
	s_add_u32 s46, s10, s11
	s_cselect_b64 s[10:11], -1, 0
	s_cmp_lg_u64 s[10:11], 0
	s_addc_u32 s44, s44, s45
	s_mul_i32 s10, s42, s44
	s_mul_hi_u32 s11, s42, s46
	s_add_i32 s10, s11, s10
	s_mul_i32 s43, s43, s46
	s_add_i32 s10, s10, s43
	s_mul_i32 s42, s42, s46
	s_mul_hi_u32 s43, s44, s42
	s_mul_i32 s45, s44, s42
	s_mul_i32 s48, s46, s10
	s_mul_hi_u32 s42, s46, s42
	s_mul_hi_u32 s47, s46, s10
	s_add_u32 s42, s42, s48
	s_addc_u32 s47, 0, s47
	s_add_u32 s42, s42, s45
	s_mul_hi_u32 s11, s44, s10
	s_addc_u32 s42, s47, s43
	s_addc_u32 s11, s11, 0
	s_mul_i32 s10, s44, s10
	s_add_u32 s10, s42, s10
	s_addc_u32 s42, 0, s11
	s_add_u32 s43, s46, s10
	s_cselect_b64 s[10:11], -1, 0
	s_cmp_lg_u64 s[10:11], 0
	s_addc_u32 s10, s44, s42
	s_mul_i32 s42, s26, s10
	s_mul_hi_u32 s44, s26, s43
	s_mul_hi_u32 s11, s26, s10
	s_add_u32 s42, s44, s42
	s_addc_u32 s11, 0, s11
	s_mul_hi_u32 s45, s85, s43
	s_mul_i32 s43, s85, s43
	s_add_u32 s42, s42, s43
	s_mul_hi_u32 s44, s85, s10
	s_addc_u32 s11, s11, s45
	s_addc_u32 s42, s44, 0
	s_mul_i32 s10, s85, s10
	s_add_u32 s10, s11, s10
	s_addc_u32 s11, 0, s42
	s_mul_i32 s11, s92, s11
	s_mul_hi_u32 s42, s92, s10
	s_add_i32 s42, s42, s11
	s_mul_i32 s10, s92, s10
	s_sub_u32 s43, s26, s10
	s_cselect_b64 s[10:11], -1, 0
	s_cmp_lg_u64 s[10:11], 0
	s_subb_u32 s42, s85, s42
	s_sub_u32 s44, s43, s92
	s_cselect_b64 s[10:11], -1, 0
	s_cmp_lg_u64 s[10:11], 0
	s_subb_u32 s45, s42, 0
	;; [unrolled: 4-line block ×3, first 2 shown]
	s_cmp_ge_u32 s44, s92
	s_cselect_b32 s11, -1, 0
	s_cmp_eq_u32 s45, 0
	s_cselect_b32 s11, s11, -1
	s_cmp_lg_u32 s11, 0
	s_cselect_b32 s10, s10, s45
	s_cselect_b32 s44, s46, s44
	s_cmp_ge_u32 s43, s92
	s_cselect_b32 s11, -1, 0
	s_cmp_eq_u32 s42, 0
	s_cselect_b32 s11, s11, -1
	s_cmp_lg_u32 s11, 0
	s_cselect_b32 s11, s10, s42
	s_cselect_b32 s10, s44, s43
	s_cbranch_execnz .LBB118_263
.LBB118_262:                            ;   in Loop: Header=BB118_30 Depth=1
	v_cvt_f32_u32_e32 v4, s92
	s_sub_i32 s10, 0, s92
	v_rcp_iflag_f32_e32 v4, v4
	s_nop 0
	v_mul_f32_e32 v4, 0x4f7ffffe, v4
	v_cvt_u32_f32_e32 v4, v4
	s_nop 0
	v_readfirstlane_b32 s11, v4
	s_mul_i32 s10, s10, s11
	s_mul_hi_u32 s10, s11, s10
	s_add_i32 s11, s11, s10
	s_mul_hi_u32 s10, s26, s11
	s_mul_i32 s10, s10, s92
	s_sub_i32 s10, s26, s10
	s_sub_i32 s11, s10, s92
	s_cmp_ge_u32 s10, s92
	s_cselect_b32 s10, s11, s10
	s_sub_i32 s11, s10, s92
	s_cmp_ge_u32 s10, s92
	s_cselect_b32 s94, s11, s10
	s_mov_b64 s[10:11], s[94:95]
.LBB118_263:                            ;   in Loop: Header=BB118_30 Depth=1
	s_sub_u32 s42, s26, s10
	s_subb_u32 s43, s85, s11
	v_cmp_gt_u64_e32 vcc, s[42:43], v[0:1]
                                        ; implicit-def: $vgpr8_vgpr9
	s_and_saveexec_b64 s[10:11], vcc
	s_cbranch_execz .LBB118_273
; %bb.264:                              ;   in Loop: Header=BB118_30 Depth=1
	s_mov_b64 s[44:45], 0
	v_mov_b64_e32 v[10:11], v[0:1]
                                        ; implicit-def: $sgpr46_sgpr47
	s_branch .LBB118_268
.LBB118_265:                            ;   in Loop: Header=BB118_268 Depth=2
	s_or_b64 exec, exec, s[48:49]
	s_waitcnt lgkmcnt(0)
	s_barrier
	ds_read_b128 v[6:9], v3 offset:3072
	s_waitcnt lgkmcnt(0)
	s_barrier
	v_cmp_eq_f64_e32 vcc, 0, v[6:7]
	s_cbranch_vccz .LBB118_271
; %bb.266:                              ;   in Loop: Header=BB118_268 Depth=2
	v_lshl_add_u64 v[10:11], v[10:11], 0, s[92:93]
	v_cmp_le_u64_e32 vcc, s[42:43], v[10:11]
	s_mov_b64 s[48:49], 0
	s_orn2_b64 s[50:51], vcc, exec
.LBB118_267:                            ;   in Loop: Header=BB118_268 Depth=2
	s_and_b64 s[50:51], exec, s[50:51]
	s_or_b64 s[44:45], s[50:51], s[44:45]
	s_andn2_b64 s[46:47], s[46:47], exec
	s_and_b64 s[48:49], s[48:49], exec
	s_or_b64 s[46:47], s[46:47], s[48:49]
	s_andn2_b64 exec, exec, s[44:45]
	s_cbranch_execz .LBB118_272
.LBB118_268:                            ;   Parent Loop BB118_30 Depth=1
                                        ; =>  This Inner Loop Header: Depth=2
	v_cmp_gt_u64_e32 vcc, s[52:53], v[10:11]
	s_and_saveexec_b64 s[48:49], vcc
	s_cbranch_execz .LBB118_265
; %bb.269:                              ;   in Loop: Header=BB118_268 Depth=2
	v_mul_lo_u32 v4, v11, s78
	v_mul_lo_u32 v8, v10, s79
	v_mad_u64_u32 v[6:7], s[50:51], v10, s78, 0
	v_add3_u32 v7, v7, v8, v4
	v_lshl_add_u64 v[6:7], v[6:7], 3, s[86:87]
	global_load_dwordx2 v[6:7], v[6:7], off
	s_waitcnt vmcnt(0)
	v_ashrrev_i32_e32 v4, 31, v7
	v_or_b32_e32 v8, 0x80000000, v4
	v_xor_b32_e32 v4, v4, v6
	v_xor_b32_e32 v8, v8, v7
	v_cmp_o_f64_e32 vcc, v[6:7], v[6:7]
	s_nop 1
	v_cndmask_b32_e32 v4, -1, v4, vcc
	v_cndmask_b32_e32 v8, -1, v8, vcc
	v_and_b32_e32 v9, v8, v27
	v_and_b32_e32 v8, v4, v26
	v_cmp_eq_u64_e32 vcc, v[8:9], v[24:25]
	s_and_b64 exec, exec, vcc
	s_cbranch_execz .LBB118_265
; %bb.270:                              ;   in Loop: Header=BB118_268 Depth=2
	v_mov_b32_e32 v4, v3
	ds_write_b128 v3, v[4:7] offset:3072
	s_branch .LBB118_265
.LBB118_271:                            ;   in Loop: Header=BB118_268 Depth=2
	s_mov_b64 s[50:51], -1
                                        ; implicit-def: $vgpr10_vgpr11
	s_mov_b64 s[48:49], -1
	s_branch .LBB118_267
.LBB118_272:                            ;   in Loop: Header=BB118_30 Depth=1
	s_or_b64 exec, exec, s[44:45]
	s_andn2_b64 s[8:9], s[8:9], exec
	s_and_b64 s[42:43], s[46:47], exec
	s_or_b64 s[8:9], s[8:9], s[42:43]
.LBB118_273:                            ;   in Loop: Header=BB118_30 Depth=1
	s_or_b64 exec, exec, s[10:11]
	s_mov_b64 s[42:43], 0
	s_mov_b64 s[44:45], -1
.LBB118_274:                            ;   in Loop: Header=BB118_30 Depth=1
	s_orn2_b64 s[10:11], s[8:9], exec
.LBB118_275:                            ;   in Loop: Header=BB118_30 Depth=1
	s_or_b64 exec, exec, s[40:41]
	s_mov_b64 s[40:41], 0
	s_and_saveexec_b64 s[8:9], s[10:11]
	s_cbranch_execz .LBB118_286
; %bb.276:                              ;   in Loop: Header=BB118_30 Depth=1
	s_xor_b64 s[22:23], s[22:23], -1
	v_mov_b64_e32 v[6:7], 1
	v_mov_b32_e32 v2, 1
	s_and_saveexec_b64 s[10:11], s[22:23]
	s_cbranch_execz .LBB118_285
; %bb.277:                              ;   in Loop: Header=BB118_30 Depth=1
	v_cmp_ge_u64_e32 vcc, s[2:3], v[12:13]
	s_and_saveexec_b64 s[22:23], vcc
	s_xor_b64 s[22:23], exec, s[22:23]
	s_cbranch_execz .LBB118_282
; %bb.278:                              ;   in Loop: Header=BB118_30 Depth=1
	ds_read_b64 v[6:7], v3 offset:5120
	v_or_b32_e32 v25, s13, v25
	v_or_b32_e32 v24, s12, v24
	;; [unrolled: 1-line block ×4, first 2 shown]
	s_waitcnt lgkmcnt(0)
	v_cmp_ne_u64_e32 vcc, 0, v[6:7]
	s_cbranch_vccnz .LBB118_282
; %bb.279:                              ;   in Loop: Header=BB118_30 Depth=1
	s_mov_b64 s[12:13], exec
	v_readlane_b32 s40, v58, 36
	v_readlane_b32 s41, v58, 37
	s_and_b64 s[40:41], s[12:13], s[40:41]
	s_mov_b64 exec, s[40:41]
; %bb.280:                              ;   in Loop: Header=BB118_30 Depth=1
	v_mov_b64_e32 v[6:7], s[2:3]
	ds_write_b64 v3, v[6:7] offset:5128
; %bb.281:                              ;   in Loop: Header=BB118_30 Depth=1
	s_or_b64 exec, exec, s[12:13]
	s_waitcnt lgkmcnt(0)
	s_barrier
.LBB118_282:                            ;   in Loop: Header=BB118_30 Depth=1
	s_andn2_saveexec_b64 s[12:13], s[22:23]
; %bb.283:                              ;   in Loop: Header=BB118_30 Depth=1
	v_mov_b32_e32 v2, s3
	v_subrev_co_u32_e32 v12, vcc, s2, v12
	s_nop 1
	v_subb_co_u32_e32 v13, vcc, v13, v2, vcc
; %bb.284:                              ;   in Loop: Header=BB118_30 Depth=1
	s_or_b64 exec, exec, s[12:13]
	v_mov_b32_e32 v2, 8
	v_mov_b64_e32 v[6:7], v[12:13]
.LBB118_285:                            ;   in Loop: Header=BB118_30 Depth=1
	s_or_b64 exec, exec, s[10:11]
	s_mov_b64 s[40:41], exec
	v_mov_b64_e32 v[12:13], v[6:7]
.LBB118_286:                            ;   in Loop: Header=BB118_30 Depth=1
	s_or_b64 exec, exec, s[8:9]
	s_orn2_b64 s[8:9], s[40:41], exec
.LBB118_287:                            ;   in Loop: Header=BB118_30 Depth=1
	s_or_b64 exec, exec, s[20:21]
	s_andn2_b64 s[2:3], s[36:37], exec
	s_and_b64 s[10:11], s[44:45], exec
	s_or_b64 s[36:37], s[2:3], s[10:11]
	s_andn2_b64 s[2:3], s[34:35], exec
	s_and_b64 s[10:11], s[42:43], exec
	s_or_b64 s[34:35], s[2:3], s[10:11]
	s_and_b64 s[10:11], s[8:9], exec
	v_mov_b64_e32 v[10:11], v[12:13]
.LBB118_288:                            ;   in Loop: Header=BB118_30 Depth=1
	s_or_b64 exec, exec, s[38:39]
	s_orn2_b64 s[8:9], s[10:11], exec
.LBB118_289:                            ;   in Loop: Header=BB118_30 Depth=1
	s_or_b64 exec, exec, s[30:31]
	s_andn2_b64 s[2:3], s[24:25], exec
	s_and_b64 s[10:11], s[36:37], exec
	s_or_b64 s[24:25], s[2:3], s[10:11]
	s_andn2_b64 s[0:1], s[0:1], exec
	s_and_b64 s[2:3], s[34:35], exec
	s_or_b64 s[0:1], s[0:1], s[2:3]
	s_and_b64 s[10:11], s[8:9], exec
	v_mov_b64_e32 v[14:15], v[10:11]
.LBB118_290:                            ;   in Loop: Header=BB118_30 Depth=1
	s_or_b64 exec, exec, s[28:29]
	s_orn2_b64 s[8:9], s[10:11], exec
.LBB118_291:                            ;   in Loop: Header=BB118_30 Depth=1
	s_or_b64 exec, exec, s[18:19]
	s_mov_b64 s[10:11], 0
	s_and_saveexec_b64 s[2:3], s[8:9]
	s_xor_b64 s[2:3], exec, s[2:3]
	s_cbranch_execz .LBB118_28
; %bb.292:                              ;   in Loop: Header=BB118_30 Depth=1
	v_and_b32_e32 v2, 7, v2
	v_cmp_eq_u32_e32 vcc, 0, v2
	s_mov_b64 s[8:9], -1
	s_mov_b64 s[10:11], -1
	s_and_saveexec_b64 s[12:13], vcc
	s_cbranch_execz .LBB118_27
; %bb.293:                              ;   in Loop: Header=BB118_30 Depth=1
	s_xor_b32 s73, s73, 1
	s_add_i32 s16, s33, -2
	s_cmp_eq_u32 s33, 0
	s_cselect_b64 s[8:9], -1, 0
	s_xor_b64 s[10:11], exec, -1
	s_orn2_b64 s[8:9], s[8:9], exec
	s_mov_b32 s33, s16
	s_branch .LBB118_27
.LBB118_294:                            ;   in Loop: Header=BB118_30 Depth=1
                                        ; implicit-def: $sgpr46_sgpr47
	s_branch .LBB118_245
.LBB118_295:                            ;   in Loop: Header=BB118_30 Depth=1
                                        ; implicit-def: $sgpr10_sgpr11
	s_branch .LBB118_262
.LBB118_296:
	s_or_b64 exec, exec, s[90:91]
	s_xor_b64 s[4:5], s[68:69], -1
	s_xor_b64 s[2:3], s[74:75], -1
	;; [unrolled: 1-line block ×3, first 2 shown]
	s_mov_b64 s[0:1], 0
	s_and_saveexec_b64 s[8:9], s[2:3]
	s_xor_b64 s[2:3], exec, s[8:9]
	s_cbranch_execnz .LBB118_301
; %bb.297:
	s_andn2_saveexec_b64 s[2:3], s[2:3]
	s_cbranch_execnz .LBB118_314
.LBB118_298:
	s_or_b64 exec, exec, s[2:3]
	s_and_saveexec_b64 s[2:3], s[0:1]
.LBB118_299:
	; divergent unreachable
.LBB118_300:
	s_endpgm
.LBB118_301:
	s_and_saveexec_b64 s[0:1], s[4:5]
	s_xor_b64 s[4:5], exec, s[0:1]
	s_cbranch_execz .LBB118_312
; %bb.302:
	s_and_saveexec_b64 s[0:1], s[6:7]
	s_xor_b64 s[0:1], exec, s[0:1]
; %bb.303:
	v_lshrrev_b32_e32 v2, 31, v25
	v_mov_b32_e32 v3, 0
	v_lshl_add_u64 v[2:3], v[2:3], 0, -1
	v_or_b32_e32 v3, 0x80000000, v3
	v_xor_b32_e32 v9, v3, v25
	v_xor_b32_e32 v8, v2, v24
; %bb.304:
	s_or_b64 exec, exec, s[0:1]
	v_readlane_b32 s8, v58, 8
	v_readlane_b32 s0, v58, 4
	;; [unrolled: 1-line block ×4, first 2 shown]
	s_mov_b32 s14, s0
	s_mul_i32 s0, s0, s9
	s_mul_hi_u32 s1, s14, s8
	s_add_i32 s1, s1, s0
	s_mul_i32 s0, s14, s8
	v_readlane_b32 s12, v58, 6
	v_readlane_b32 s16, v58, 24
	;; [unrolled: 1-line block ×3, first 2 shown]
	s_sub_u32 s0, s12, s0
	v_readlane_b32 s18, v58, 26
	v_readlane_b32 s19, v58, 27
	s_subb_u32 s1, s13, s1
	s_mul_i32 s6, s0, s19
	s_mul_hi_u32 s7, s0, s18
	v_readlane_b32 s10, v58, 10
	v_readlane_b32 s11, v58, 11
	;; [unrolled: 1-line block ×3, first 2 shown]
	s_add_i32 s6, s7, s6
	s_mul_i32 s1, s1, s18
	s_add_i32 s1, s6, s1
	s_mul_i32 s6, s14, s17
	s_mul_hi_u32 s7, s14, s16
	s_mul_i32 s8, s12, s11
	s_mul_hi_u32 s9, s12, s10
	s_add_i32 s7, s7, s6
	s_add_i32 s9, s9, s8
	s_mul_i32 s8, s12, s10
	v_readlane_b32 s10, v58, 32
	v_readlane_b32 s12, v58, 22
	;; [unrolled: 1-line block ×3, first 2 shown]
	s_sub_u32 s8, s10, s8
	v_readlane_b32 s13, v58, 23
	s_subb_u32 s9, 0, s9
	s_mul_i32 s10, s8, s13
	s_mul_hi_u32 s11, s8, s12
	s_mul_i32 s6, s14, s16
	s_add_i32 s10, s11, s10
	s_mul_i32 s9, s9, s12
	s_add_i32 s9, s10, s9
	s_lshl_b64 s[6:7], s[6:7], 3
	v_readlane_b32 s10, v58, 30
	s_mul_i32 s0, s0, s18
	v_readlane_b32 s11, v58, 31
	s_add_u32 s6, s10, s6
	s_addc_u32 s7, s11, s7
	s_lshl_b64 s[0:1], s[0:1], 3
	s_mul_i32 s8, s8, s12
	s_add_u32 s6, s6, s0
	s_addc_u32 s7, s7, s1
	s_lshl_b64 s[0:1], s[8:9], 3
	s_add_u32 s0, s6, s0
	s_addc_u32 s1, s7, s1
	v_mov_b32_e32 v2, 0
	global_store_dwordx2 v2, v[8:9], s[0:1]
	s_mov_b64 s[6:7], exec
	v_readlane_b32 s0, v58, 34
	v_readlane_b32 s1, v58, 35
	s_and_b64 s[0:1], s[6:7], s[0:1]
	s_mov_b64 exec, s[0:1]
	s_cbranch_execz .LBB118_311
; %bb.305:
	v_cmp_u_f64_e32 vcc, v[8:9], v[8:9]
	s_mov_b64 s[8:9], 0
	s_xor_b64 s[12:13], vcc, -1
                                        ; implicit-def: $sgpr10_sgpr11
                                        ; implicit-def: $sgpr16_sgpr17
                                        ; implicit-def: $sgpr14_sgpr15
	s_branch .LBB118_307
.LBB118_306:                            ;   in Loop: Header=BB118_307 Depth=1
	s_or_b64 exec, exec, s[0:1]
	s_and_b64 s[0:1], exec, s[16:17]
	s_or_b64 s[8:9], s[0:1], s[8:9]
	s_andn2_b64 s[0:1], s[10:11], exec
	s_and_b64 s[10:11], s[14:15], exec
	s_or_b64 s[10:11], s[0:1], s[10:11]
	s_andn2_b64 exec, exec, s[8:9]
	s_cbranch_execz .LBB118_309
.LBB118_307:                            ; =>This Inner Loop Header: Depth=1
	v_mov_b64_e32 v[2:3], v[0:1]
	v_mul_lo_u32 v4, v3, s78
	v_mul_lo_u32 v5, v2, s79
	v_mad_u64_u32 v[0:1], s[0:1], v2, s78, 0
	v_add3_u32 v1, v1, v5, v4
	v_lshl_add_u64 v[0:1], v[0:1], 3, s[86:87]
	global_load_dwordx2 v[0:1], v[0:1], off
	s_or_b64 s[14:15], s[14:15], exec
	s_or_b64 s[16:17], s[16:17], exec
	s_waitcnt vmcnt(0)
	v_cmp_o_f64_e64 s[0:1], v[0:1], v[0:1]
	v_cmp_neq_f64_e32 vcc, v[0:1], v[8:9]
	s_or_b64 s[0:1], s[0:1], s[12:13]
	s_and_b64 s[18:19], vcc, s[0:1]
                                        ; implicit-def: $vgpr0_vgpr1
	s_and_saveexec_b64 s[0:1], s[18:19]
	s_cbranch_execz .LBB118_306
; %bb.308:                              ;   in Loop: Header=BB118_307 Depth=1
	v_lshl_add_u64 v[0:1], v[2:3], 0, s[92:93]
	v_cmp_le_u64_e32 vcc, s[52:53], v[0:1]
	s_andn2_b64 s[16:17], s[16:17], exec
	s_and_b64 s[18:19], vcc, exec
	s_andn2_b64 s[14:15], s[14:15], exec
	s_or_b64 s[16:17], s[16:17], s[18:19]
	s_branch .LBB118_306
.LBB118_309:
	s_or_b64 exec, exec, s[8:9]
	s_and_saveexec_b64 s[0:1], s[10:11]
	s_xor_b64 s[0:1], exec, s[0:1]
	s_cbranch_execz .LBB118_311
; %bb.310:
	v_readlane_b32 s12, v58, 0
	v_readlane_b32 s0, v58, 12
	;; [unrolled: 1-line block ×4, first 2 shown]
	s_mov_b32 s10, s0
	s_mul_i32 s0, s0, s13
	s_mul_hi_u32 s1, s10, s12
	s_add_i32 s1, s1, s0
	s_mul_i32 s0, s10, s12
	v_readlane_b32 s12, v58, 14
	v_readlane_b32 s16, v58, 18
	;; [unrolled: 1-line block ×3, first 2 shown]
	s_sub_u32 s0, s12, s0
	v_readlane_b32 s18, v58, 20
	v_readlane_b32 s19, v58, 21
	s_subb_u32 s1, s13, s1
	s_mul_i32 s8, s0, s19
	s_mul_hi_u32 s9, s0, s18
	v_readlane_b32 s17, v58, 19
	s_add_i32 s8, s9, s8
	s_mul_i32 s1, s1, s18
	v_readlane_b32 s14, v58, 2
	v_readlane_b32 s15, v58, 3
	s_add_i32 s1, s8, s1
	s_mul_i32 s8, s10, s17
	s_mul_hi_u32 s9, s10, s16
	s_add_i32 s9, s9, s8
	s_mul_i32 s8, s10, s16
	s_mul_i32 s10, s12, s15
	s_mul_hi_u32 s11, s12, s14
	s_add_i32 s11, s11, s10
	s_mul_i32 s10, s12, s14
	v_readlane_b32 s12, v58, 32
	v_readlane_b32 s14, v58, 16
	;; [unrolled: 1-line block ×3, first 2 shown]
	s_sub_u32 s10, s12, s10
	v_readlane_b32 s15, v58, 17
	s_subb_u32 s11, 0, s11
	s_mul_i32 s12, s10, s15
	s_mul_hi_u32 s13, s10, s14
	s_add_i32 s12, s13, s12
	s_mul_i32 s11, s11, s14
	s_add_i32 s11, s12, s11
	s_lshl_b64 s[8:9], s[8:9], 3
	v_readlane_b32 s12, v58, 28
	s_mul_i32 s0, s0, s18
	v_readlane_b32 s13, v58, 29
	s_add_u32 s8, s12, s8
	s_addc_u32 s9, s13, s9
	s_lshl_b64 s[0:1], s[0:1], 3
	s_mul_i32 s10, s10, s14
	s_add_u32 s8, s8, s0
	s_addc_u32 s9, s9, s1
	s_lshl_b64 s[0:1], s[10:11], 3
	s_add_u32 s0, s8, s0
	s_addc_u32 s1, s9, s1
	v_mov_b32_e32 v0, 0
	global_store_dwordx2 v0, v[2:3], s[0:1]
.LBB118_311:
	s_or_b64 exec, exec, s[6:7]
.LBB118_312:
	s_or_saveexec_b64 s[0:1], s[4:5]
	s_mov_b64 s[4:5], 0
	s_xor_b64 exec, exec, s[0:1]
	s_cbranch_execnz .LBB118_315
.LBB118_313:
	s_or_b64 exec, exec, s[0:1]
	s_and_b64 s[0:1], s[4:5], exec
	s_andn2_saveexec_b64 s[2:3], s[2:3]
	s_cbranch_execz .LBB118_298
.LBB118_314:
	s_or_b64 s[0:1], s[0:1], exec
	s_trap 2
	s_or_b64 exec, exec, s[2:3]
	s_and_saveexec_b64 s[2:3], s[0:1]
	s_cbranch_execnz .LBB118_299
	s_branch .LBB118_300
.LBB118_315:
	s_mov_b64 s[4:5], exec
	s_trap 2
	s_branch .LBB118_313
	.section	.rodata,"a",@progbits
	.p2align	6, 0x0
	.amdhsa_kernel _ZN2at6native12_GLOBAL__N_112gatherMedianIdmLi3EEEvNS_4cuda6detail10TensorInfoIT_T0_EENS5_IlS7_EENS5_IKS6_S7_EES7_S7_S7_b
		.amdhsa_group_segment_fixed_size 5152
		.amdhsa_private_segment_fixed_size 0
		.amdhsa_kernarg_size 1536
		.amdhsa_user_sgpr_count 2
		.amdhsa_user_sgpr_dispatch_ptr 0
		.amdhsa_user_sgpr_queue_ptr 0
		.amdhsa_user_sgpr_kernarg_segment_ptr 1
		.amdhsa_user_sgpr_dispatch_id 0
		.amdhsa_user_sgpr_kernarg_preload_length 0
		.amdhsa_user_sgpr_kernarg_preload_offset 0
		.amdhsa_user_sgpr_private_segment_size 0
		.amdhsa_uses_dynamic_stack 0
		.amdhsa_enable_private_segment 0
		.amdhsa_system_sgpr_workgroup_id_x 1
		.amdhsa_system_sgpr_workgroup_id_y 1
		.amdhsa_system_sgpr_workgroup_id_z 1
		.amdhsa_system_sgpr_workgroup_info 0
		.amdhsa_system_vgpr_workitem_id 0
		.amdhsa_next_free_vgpr 59
		.amdhsa_next_free_sgpr 100
		.amdhsa_accum_offset 60
		.amdhsa_reserve_vcc 1
		.amdhsa_float_round_mode_32 0
		.amdhsa_float_round_mode_16_64 0
		.amdhsa_float_denorm_mode_32 3
		.amdhsa_float_denorm_mode_16_64 3
		.amdhsa_dx10_clamp 1
		.amdhsa_ieee_mode 1
		.amdhsa_fp16_overflow 0
		.amdhsa_tg_split 0
		.amdhsa_exception_fp_ieee_invalid_op 0
		.amdhsa_exception_fp_denorm_src 0
		.amdhsa_exception_fp_ieee_div_zero 0
		.amdhsa_exception_fp_ieee_overflow 0
		.amdhsa_exception_fp_ieee_underflow 0
		.amdhsa_exception_fp_ieee_inexact 0
		.amdhsa_exception_int_div_zero 0
	.end_amdhsa_kernel
	.section	.text._ZN2at6native12_GLOBAL__N_112gatherMedianIdmLi3EEEvNS_4cuda6detail10TensorInfoIT_T0_EENS5_IlS7_EENS5_IKS6_S7_EES7_S7_S7_b,"axG",@progbits,_ZN2at6native12_GLOBAL__N_112gatherMedianIdmLi3EEEvNS_4cuda6detail10TensorInfoIT_T0_EENS5_IlS7_EENS5_IKS6_S7_EES7_S7_S7_b,comdat
.Lfunc_end118:
	.size	_ZN2at6native12_GLOBAL__N_112gatherMedianIdmLi3EEEvNS_4cuda6detail10TensorInfoIT_T0_EENS5_IlS7_EENS5_IKS6_S7_EES7_S7_S7_b, .Lfunc_end118-_ZN2at6native12_GLOBAL__N_112gatherMedianIdmLi3EEEvNS_4cuda6detail10TensorInfoIT_T0_EENS5_IlS7_EENS5_IKS6_S7_EES7_S7_S7_b
                                        ; -- End function
	.set _ZN2at6native12_GLOBAL__N_112gatherMedianIdmLi3EEEvNS_4cuda6detail10TensorInfoIT_T0_EENS5_IlS7_EENS5_IKS6_S7_EES7_S7_S7_b.num_vgpr, 59
	.set _ZN2at6native12_GLOBAL__N_112gatherMedianIdmLi3EEEvNS_4cuda6detail10TensorInfoIT_T0_EENS5_IlS7_EENS5_IKS6_S7_EES7_S7_S7_b.num_agpr, 0
	.set _ZN2at6native12_GLOBAL__N_112gatherMedianIdmLi3EEEvNS_4cuda6detail10TensorInfoIT_T0_EENS5_IlS7_EENS5_IKS6_S7_EES7_S7_S7_b.numbered_sgpr, 100
	.set _ZN2at6native12_GLOBAL__N_112gatherMedianIdmLi3EEEvNS_4cuda6detail10TensorInfoIT_T0_EENS5_IlS7_EENS5_IKS6_S7_EES7_S7_S7_b.num_named_barrier, 0
	.set _ZN2at6native12_GLOBAL__N_112gatherMedianIdmLi3EEEvNS_4cuda6detail10TensorInfoIT_T0_EENS5_IlS7_EENS5_IKS6_S7_EES7_S7_S7_b.private_seg_size, 0
	.set _ZN2at6native12_GLOBAL__N_112gatherMedianIdmLi3EEEvNS_4cuda6detail10TensorInfoIT_T0_EENS5_IlS7_EENS5_IKS6_S7_EES7_S7_S7_b.uses_vcc, 1
	.set _ZN2at6native12_GLOBAL__N_112gatherMedianIdmLi3EEEvNS_4cuda6detail10TensorInfoIT_T0_EENS5_IlS7_EENS5_IKS6_S7_EES7_S7_S7_b.uses_flat_scratch, 0
	.set _ZN2at6native12_GLOBAL__N_112gatherMedianIdmLi3EEEvNS_4cuda6detail10TensorInfoIT_T0_EENS5_IlS7_EENS5_IKS6_S7_EES7_S7_S7_b.has_dyn_sized_stack, 0
	.set _ZN2at6native12_GLOBAL__N_112gatherMedianIdmLi3EEEvNS_4cuda6detail10TensorInfoIT_T0_EENS5_IlS7_EENS5_IKS6_S7_EES7_S7_S7_b.has_recursion, 0
	.set _ZN2at6native12_GLOBAL__N_112gatherMedianIdmLi3EEEvNS_4cuda6detail10TensorInfoIT_T0_EENS5_IlS7_EENS5_IKS6_S7_EES7_S7_S7_b.has_indirect_call, 0
	.section	.AMDGPU.csdata,"",@progbits
; Kernel info:
; codeLenInByte = 16836
; TotalNumSgprs: 106
; NumVgprs: 59
; NumAgprs: 0
; TotalNumVgprs: 59
; ScratchSize: 0
; MemoryBound: 0
; FloatMode: 240
; IeeeMode: 1
; LDSByteSize: 5152 bytes/workgroup (compile time only)
; SGPRBlocks: 13
; VGPRBlocks: 7
; NumSGPRsForWavesPerEU: 106
; NumVGPRsForWavesPerEU: 59
; AccumOffset: 60
; Occupancy: 7
; WaveLimiterHint : 1
; COMPUTE_PGM_RSRC2:SCRATCH_EN: 0
; COMPUTE_PGM_RSRC2:USER_SGPR: 2
; COMPUTE_PGM_RSRC2:TRAP_HANDLER: 0
; COMPUTE_PGM_RSRC2:TGID_X_EN: 1
; COMPUTE_PGM_RSRC2:TGID_Y_EN: 1
; COMPUTE_PGM_RSRC2:TGID_Z_EN: 1
; COMPUTE_PGM_RSRC2:TIDIG_COMP_CNT: 0
; COMPUTE_PGM_RSRC3_GFX90A:ACCUM_OFFSET: 14
; COMPUTE_PGM_RSRC3_GFX90A:TG_SPLIT: 0
	.section	.text._ZN2at6native12_GLOBAL__N_112gatherMedianIdmLin1EEEvNS_4cuda6detail10TensorInfoIT_T0_EENS5_IlS7_EENS5_IKS6_S7_EES7_S7_S7_b,"axG",@progbits,_ZN2at6native12_GLOBAL__N_112gatherMedianIdmLin1EEEvNS_4cuda6detail10TensorInfoIT_T0_EENS5_IlS7_EENS5_IKS6_S7_EES7_S7_S7_b,comdat
	.globl	_ZN2at6native12_GLOBAL__N_112gatherMedianIdmLin1EEEvNS_4cuda6detail10TensorInfoIT_T0_EENS5_IlS7_EENS5_IKS6_S7_EES7_S7_S7_b ; -- Begin function _ZN2at6native12_GLOBAL__N_112gatherMedianIdmLin1EEEvNS_4cuda6detail10TensorInfoIT_T0_EENS5_IlS7_EENS5_IKS6_S7_EES7_S7_S7_b
	.p2align	8
	.type	_ZN2at6native12_GLOBAL__N_112gatherMedianIdmLin1EEEvNS_4cuda6detail10TensorInfoIT_T0_EENS5_IlS7_EENS5_IKS6_S7_EES7_S7_S7_b,@function
_ZN2at6native12_GLOBAL__N_112gatherMedianIdmLin1EEEvNS_4cuda6detail10TensorInfoIT_T0_EENS5_IlS7_EENS5_IKS6_S7_EES7_S7_S7_b: ; @_ZN2at6native12_GLOBAL__N_112gatherMedianIdmLin1EEEvNS_4cuda6detail10TensorInfoIT_T0_EENS5_IlS7_EENS5_IKS6_S7_EES7_S7_S7_b
; %bb.0:
	s_load_dwordx2 s[10:11], s[0:1], 0x500
	s_load_dwordx4 s[52:55], s[0:1], 0x4e0
	s_add_u32 s12, s0, 0x500
	s_addc_u32 s13, s1, 0
	s_mov_b32 s5, 0
	s_waitcnt lgkmcnt(0)
	s_mul_i32 s4, s11, s4
	s_add_i32 s3, s4, s3
	s_mul_i32 s3, s3, s10
	s_add_i32 s4, s3, s2
	v_mov_b64_e32 v[2:3], s[4:5]
	v_cmp_le_u64_e32 vcc, s[54:55], v[2:3]
	s_cbranch_vccnz .LBB119_313
; %bb.1:
	s_load_dword s6, s[0:1], 0x198
	s_load_dwordx2 s[56:57], s[0:1], 0x4f0
	s_mov_b64 s[54:55], 0
	s_mov_b64 s[20:21], s[4:5]
	s_waitcnt lgkmcnt(0)
	s_cmp_lt_i32 s6, 2
	s_cbranch_scc1 .LBB119_9
; %bb.2:
	s_add_i32 s3, s6, 1
	s_add_i32 s8, s6, -1
	s_mov_b32 s6, 0
	s_mov_b32 s9, s6
	s_lshl_b64 s[8:9], s[8:9], 3
	s_add_u32 s7, s0, s8
	s_addc_u32 s9, s1, s9
	s_add_u32 s8, s7, 8
	s_addc_u32 s9, s9, 0
	s_mov_b64 s[14:15], s[4:5]
.LBB119_3:                              ; =>This Inner Loop Header: Depth=1
	s_load_dwordx2 s[16:17], s[8:9], 0x0
	s_waitcnt lgkmcnt(0)
	s_or_b64 s[18:19], s[14:15], s[16:17]
	s_mov_b32 s7, s19
	s_cmp_lg_u64 s[6:7], 0
	s_cbranch_scc0 .LBB119_8
; %bb.4:                                ;   in Loop: Header=BB119_3 Depth=1
	v_cvt_f32_u32_e32 v1, s16
	v_cvt_f32_u32_e32 v2, s17
	s_sub_u32 s7, 0, s16
	s_subb_u32 s11, 0, s17
	v_fmac_f32_e32 v1, 0x4f800000, v2
	v_rcp_f32_e32 v1, v1
	s_nop 0
	v_mul_f32_e32 v1, 0x5f7ffffc, v1
	v_mul_f32_e32 v2, 0x2f800000, v1
	v_trunc_f32_e32 v2, v2
	v_fmac_f32_e32 v1, 0xcf800000, v2
	v_cvt_u32_f32_e32 v2, v2
	v_cvt_u32_f32_e32 v1, v1
	v_readfirstlane_b32 s20, v2
	v_readfirstlane_b32 s18, v1
	s_mul_i32 s19, s7, s20
	s_mul_hi_u32 s22, s7, s18
	s_mul_i32 s21, s11, s18
	s_add_i32 s19, s22, s19
	s_mul_i32 s23, s7, s18
	s_add_i32 s19, s19, s21
	s_mul_i32 s22, s18, s19
	s_mul_hi_u32 s24, s18, s23
	s_mul_hi_u32 s21, s18, s19
	s_add_u32 s22, s24, s22
	s_addc_u32 s21, 0, s21
	s_mul_hi_u32 s25, s20, s23
	s_mul_i32 s23, s20, s23
	s_add_u32 s22, s22, s23
	s_mul_hi_u32 s24, s20, s19
	s_addc_u32 s21, s21, s25
	s_addc_u32 s22, s24, 0
	s_mul_i32 s19, s20, s19
	s_add_u32 s19, s21, s19
	s_addc_u32 s21, 0, s22
	s_add_u32 s22, s18, s19
	s_cselect_b64 s[18:19], -1, 0
	s_cmp_lg_u64 s[18:19], 0
	s_addc_u32 s20, s20, s21
	s_mul_i32 s18, s7, s20
	s_mul_hi_u32 s19, s7, s22
	s_add_i32 s18, s19, s18
	s_mul_i32 s11, s11, s22
	s_add_i32 s18, s18, s11
	s_mul_i32 s7, s7, s22
	s_mul_hi_u32 s19, s20, s7
	s_mul_i32 s21, s20, s7
	s_mul_i32 s24, s22, s18
	s_mul_hi_u32 s7, s22, s7
	s_mul_hi_u32 s23, s22, s18
	s_add_u32 s7, s7, s24
	s_addc_u32 s23, 0, s23
	s_add_u32 s7, s7, s21
	s_mul_hi_u32 s11, s20, s18
	s_addc_u32 s7, s23, s19
	s_addc_u32 s11, s11, 0
	s_mul_i32 s18, s20, s18
	s_add_u32 s7, s7, s18
	s_addc_u32 s11, 0, s11
	s_add_u32 s7, s22, s7
	s_cselect_b64 s[18:19], -1, 0
	s_cmp_lg_u64 s[18:19], 0
	s_addc_u32 s11, s20, s11
	s_mul_i32 s19, s14, s11
	s_mul_hi_u32 s20, s14, s7
	s_mul_hi_u32 s18, s14, s11
	s_add_u32 s19, s20, s19
	s_addc_u32 s18, 0, s18
	s_mul_hi_u32 s21, s15, s7
	s_mul_i32 s7, s15, s7
	s_add_u32 s7, s19, s7
	s_mul_hi_u32 s20, s15, s11
	s_addc_u32 s7, s18, s21
	s_addc_u32 s18, s20, 0
	s_mul_i32 s11, s15, s11
	s_add_u32 s7, s7, s11
	s_addc_u32 s11, 0, s18
	s_mul_i32 s18, s16, s11
	s_mul_hi_u32 s19, s16, s7
	s_add_i32 s18, s19, s18
	s_mul_i32 s19, s17, s7
	s_add_i32 s22, s18, s19
	s_sub_i32 s20, s15, s22
	s_mul_i32 s18, s16, s7
	s_sub_u32 s23, s14, s18
	s_cselect_b64 s[18:19], -1, 0
	s_cmp_lg_u64 s[18:19], 0
	s_subb_u32 s24, s20, s17
	s_sub_u32 s25, s23, s16
	s_cselect_b64 s[20:21], -1, 0
	s_cmp_lg_u64 s[20:21], 0
	s_subb_u32 s20, s24, 0
	s_cmp_ge_u32 s20, s17
	s_cselect_b32 s21, -1, 0
	s_cmp_ge_u32 s25, s16
	s_cselect_b32 s24, -1, 0
	s_cmp_eq_u32 s20, s17
	s_cselect_b32 s20, s24, s21
	s_add_u32 s21, s7, 1
	s_addc_u32 s24, s11, 0
	s_add_u32 s25, s7, 2
	s_addc_u32 s26, s11, 0
	s_cmp_lg_u32 s20, 0
	s_cselect_b32 s20, s25, s21
	s_cselect_b32 s21, s26, s24
	s_cmp_lg_u64 s[18:19], 0
	s_subb_u32 s18, s15, s22
	s_cmp_ge_u32 s18, s17
	s_cselect_b32 s19, -1, 0
	s_cmp_ge_u32 s23, s16
	s_cselect_b32 s22, -1, 0
	s_cmp_eq_u32 s18, s17
	s_cselect_b32 s18, s22, s19
	s_cmp_lg_u32 s18, 0
	s_cselect_b32 s21, s21, s11
	s_cselect_b32 s20, s20, s7
	s_cbranch_execnz .LBB119_6
.LBB119_5:                              ;   in Loop: Header=BB119_3 Depth=1
	v_cvt_f32_u32_e32 v1, s16
	s_sub_i32 s7, 0, s16
	s_mov_b32 s21, s6
	v_rcp_iflag_f32_e32 v1, v1
	s_nop 0
	v_mul_f32_e32 v1, 0x4f7ffffe, v1
	v_cvt_u32_f32_e32 v1, v1
	s_nop 0
	v_readfirstlane_b32 s11, v1
	s_mul_i32 s7, s7, s11
	s_mul_hi_u32 s7, s11, s7
	s_add_i32 s11, s11, s7
	s_mul_hi_u32 s7, s14, s11
	s_mul_i32 s18, s7, s16
	s_sub_i32 s18, s14, s18
	s_add_i32 s11, s7, 1
	s_sub_i32 s19, s18, s16
	s_cmp_ge_u32 s18, s16
	s_cselect_b32 s7, s11, s7
	s_cselect_b32 s18, s19, s18
	s_add_i32 s11, s7, 1
	s_cmp_ge_u32 s18, s16
	s_cselect_b32 s20, s11, s7
.LBB119_6:                              ;   in Loop: Header=BB119_3 Depth=1
	s_mul_i32 s7, s20, s17
	s_mul_hi_u32 s11, s20, s16
	s_load_dwordx2 s[18:19], s[8:9], 0xc8
	s_add_i32 s7, s11, s7
	s_mul_i32 s11, s21, s16
	s_add_i32 s7, s7, s11
	s_mul_i32 s11, s20, s16
	s_sub_u32 s11, s14, s11
	s_subb_u32 s7, s15, s7
	s_waitcnt lgkmcnt(0)
	s_mul_i32 s7, s18, s7
	s_mul_hi_u32 s14, s18, s11
	s_add_i32 s7, s14, s7
	s_mul_i32 s14, s19, s11
	s_add_i32 s7, s7, s14
	s_mul_i32 s11, s18, s11
	s_add_u32 s54, s11, s54
	s_addc_u32 s55, s7, s55
	s_add_i32 s3, s3, -1
	s_add_u32 s8, s8, -8
	s_addc_u32 s9, s9, -1
	s_cmp_gt_u32 s3, 2
	s_cbranch_scc0 .LBB119_9
; %bb.7:                                ;   in Loop: Header=BB119_3 Depth=1
	s_mov_b64 s[14:15], s[20:21]
	s_branch .LBB119_3
.LBB119_8:                              ;   in Loop: Header=BB119_3 Depth=1
                                        ; implicit-def: $sgpr20_sgpr21
	s_branch .LBB119_5
.LBB119_9:
	s_load_dword s8, s[0:1], 0x338
	s_load_dwordx2 s[6:7], s[0:1], 0xd0
                                        ; implicit-def: $vgpr74 : SGPR spill to VGPR lane
	s_mov_b64 s[58:59], 0
	v_writelane_b32 v74, s20, 0
	s_mov_b64 s[64:65], s[4:5]
	s_nop 0
	v_writelane_b32 v74, s21, 1
	s_waitcnt lgkmcnt(0)
	v_writelane_b32 v74, s6, 2
	s_nop 1
	v_writelane_b32 v74, s7, 3
	s_add_u32 s6, s0, 0x1a0
	s_addc_u32 s7, s1, 0
	s_cmp_lt_i32 s8, 2
	s_cbranch_scc1 .LBB119_17
; %bb.10:
	s_add_i32 s3, s8, 1
	s_add_i32 s14, s8, -1
	s_mov_b32 s8, 0
	s_mov_b32 s15, s8
	s_lshl_b64 s[14:15], s[14:15], 3
	s_add_u32 s9, s6, s14
	s_addc_u32 s11, s7, s15
	s_add_u32 s14, s9, 8
	s_addc_u32 s15, s11, 0
	s_mov_b64 s[16:17], s[4:5]
.LBB119_11:                             ; =>This Inner Loop Header: Depth=1
	s_load_dwordx2 s[18:19], s[14:15], 0x0
	s_waitcnt lgkmcnt(0)
	s_or_b64 s[20:21], s[16:17], s[18:19]
	s_mov_b32 s9, s21
	s_cmp_lg_u64 s[8:9], 0
	s_cbranch_scc0 .LBB119_16
; %bb.12:                               ;   in Loop: Header=BB119_11 Depth=1
	v_cvt_f32_u32_e32 v1, s18
	v_cvt_f32_u32_e32 v2, s19
	s_sub_u32 s9, 0, s18
	s_subb_u32 s11, 0, s19
	v_fmac_f32_e32 v1, 0x4f800000, v2
	v_rcp_f32_e32 v1, v1
	s_nop 0
	v_mul_f32_e32 v1, 0x5f7ffffc, v1
	v_mul_f32_e32 v2, 0x2f800000, v1
	v_trunc_f32_e32 v2, v2
	v_fmac_f32_e32 v1, 0xcf800000, v2
	v_cvt_u32_f32_e32 v2, v2
	v_cvt_u32_f32_e32 v1, v1
	v_readfirstlane_b32 s22, v2
	v_readfirstlane_b32 s20, v1
	s_mul_i32 s21, s9, s22
	s_mul_hi_u32 s24, s9, s20
	s_mul_i32 s23, s11, s20
	s_add_i32 s21, s24, s21
	s_mul_i32 s25, s9, s20
	s_add_i32 s21, s21, s23
	s_mul_i32 s24, s20, s21
	s_mul_hi_u32 s26, s20, s25
	s_mul_hi_u32 s23, s20, s21
	s_add_u32 s24, s26, s24
	s_addc_u32 s23, 0, s23
	s_mul_hi_u32 s27, s22, s25
	s_mul_i32 s25, s22, s25
	s_add_u32 s24, s24, s25
	s_mul_hi_u32 s26, s22, s21
	s_addc_u32 s23, s23, s27
	s_addc_u32 s24, s26, 0
	s_mul_i32 s21, s22, s21
	s_add_u32 s21, s23, s21
	s_addc_u32 s23, 0, s24
	s_add_u32 s24, s20, s21
	s_cselect_b64 s[20:21], -1, 0
	s_cmp_lg_u64 s[20:21], 0
	s_addc_u32 s22, s22, s23
	s_mul_i32 s20, s9, s22
	s_mul_hi_u32 s21, s9, s24
	s_add_i32 s20, s21, s20
	s_mul_i32 s11, s11, s24
	s_add_i32 s20, s20, s11
	s_mul_i32 s9, s9, s24
	s_mul_hi_u32 s21, s22, s9
	s_mul_i32 s23, s22, s9
	s_mul_i32 s26, s24, s20
	s_mul_hi_u32 s9, s24, s9
	s_mul_hi_u32 s25, s24, s20
	s_add_u32 s9, s9, s26
	s_addc_u32 s25, 0, s25
	s_add_u32 s9, s9, s23
	s_mul_hi_u32 s11, s22, s20
	s_addc_u32 s9, s25, s21
	s_addc_u32 s11, s11, 0
	s_mul_i32 s20, s22, s20
	s_add_u32 s9, s9, s20
	s_addc_u32 s11, 0, s11
	s_add_u32 s9, s24, s9
	s_cselect_b64 s[20:21], -1, 0
	s_cmp_lg_u64 s[20:21], 0
	s_addc_u32 s11, s22, s11
	s_mul_i32 s21, s16, s11
	s_mul_hi_u32 s22, s16, s9
	s_mul_hi_u32 s20, s16, s11
	s_add_u32 s21, s22, s21
	s_addc_u32 s20, 0, s20
	s_mul_hi_u32 s23, s17, s9
	s_mul_i32 s9, s17, s9
	s_add_u32 s9, s21, s9
	s_mul_hi_u32 s22, s17, s11
	s_addc_u32 s9, s20, s23
	s_addc_u32 s20, s22, 0
	s_mul_i32 s11, s17, s11
	s_add_u32 s9, s9, s11
	s_addc_u32 s11, 0, s20
	s_mul_i32 s20, s18, s11
	s_mul_hi_u32 s21, s18, s9
	s_add_i32 s20, s21, s20
	s_mul_i32 s21, s19, s9
	s_add_i32 s24, s20, s21
	s_sub_i32 s22, s17, s24
	s_mul_i32 s20, s18, s9
	s_sub_u32 s25, s16, s20
	s_cselect_b64 s[20:21], -1, 0
	s_cmp_lg_u64 s[20:21], 0
	s_subb_u32 s26, s22, s19
	s_sub_u32 s27, s25, s18
	s_cselect_b64 s[22:23], -1, 0
	s_cmp_lg_u64 s[22:23], 0
	s_subb_u32 s22, s26, 0
	s_cmp_ge_u32 s22, s19
	s_cselect_b32 s23, -1, 0
	s_cmp_ge_u32 s27, s18
	s_cselect_b32 s26, -1, 0
	s_cmp_eq_u32 s22, s19
	s_cselect_b32 s22, s26, s23
	s_add_u32 s23, s9, 1
	s_addc_u32 s26, s11, 0
	s_add_u32 s27, s9, 2
	s_addc_u32 s28, s11, 0
	s_cmp_lg_u32 s22, 0
	s_cselect_b32 s22, s27, s23
	s_cselect_b32 s23, s28, s26
	s_cmp_lg_u64 s[20:21], 0
	s_subb_u32 s20, s17, s24
	s_cmp_ge_u32 s20, s19
	s_cselect_b32 s21, -1, 0
	s_cmp_ge_u32 s25, s18
	s_cselect_b32 s24, -1, 0
	s_cmp_eq_u32 s20, s19
	s_cselect_b32 s20, s24, s21
	s_cmp_lg_u32 s20, 0
	s_cselect_b32 s65, s23, s11
	s_cselect_b32 s64, s22, s9
	s_cbranch_execnz .LBB119_14
.LBB119_13:                             ;   in Loop: Header=BB119_11 Depth=1
	v_cvt_f32_u32_e32 v1, s18
	s_sub_i32 s9, 0, s18
	s_mov_b32 s65, s8
	v_rcp_iflag_f32_e32 v1, v1
	s_nop 0
	v_mul_f32_e32 v1, 0x4f7ffffe, v1
	v_cvt_u32_f32_e32 v1, v1
	s_nop 0
	v_readfirstlane_b32 s11, v1
	s_mul_i32 s9, s9, s11
	s_mul_hi_u32 s9, s11, s9
	s_add_i32 s11, s11, s9
	s_mul_hi_u32 s9, s16, s11
	s_mul_i32 s20, s9, s18
	s_sub_i32 s20, s16, s20
	s_add_i32 s11, s9, 1
	s_sub_i32 s21, s20, s18
	s_cmp_ge_u32 s20, s18
	s_cselect_b32 s9, s11, s9
	s_cselect_b32 s20, s21, s20
	s_add_i32 s11, s9, 1
	s_cmp_ge_u32 s20, s18
	s_cselect_b32 s64, s11, s9
.LBB119_14:                             ;   in Loop: Header=BB119_11 Depth=1
	s_mul_i32 s9, s64, s19
	s_mul_hi_u32 s11, s64, s18
	s_load_dwordx2 s[20:21], s[14:15], 0xc8
	s_add_i32 s9, s11, s9
	s_mul_i32 s11, s65, s18
	s_add_i32 s9, s9, s11
	s_mul_i32 s11, s64, s18
	s_sub_u32 s11, s16, s11
	s_subb_u32 s9, s17, s9
	s_waitcnt lgkmcnt(0)
	s_mul_i32 s9, s20, s9
	s_mul_hi_u32 s16, s20, s11
	s_add_i32 s9, s16, s9
	s_mul_i32 s16, s21, s11
	s_add_i32 s9, s9, s16
	s_mul_i32 s11, s20, s11
	s_add_u32 s58, s11, s58
	s_addc_u32 s59, s9, s59
	s_add_i32 s3, s3, -1
	s_add_u32 s14, s14, -8
	s_addc_u32 s15, s15, -1
	s_cmp_gt_u32 s3, 2
	s_cbranch_scc0 .LBB119_17
; %bb.15:                               ;   in Loop: Header=BB119_11 Depth=1
	s_mov_b64 s[16:17], s[64:65]
	s_branch .LBB119_11
.LBB119_16:                             ;   in Loop: Header=BB119_11 Depth=1
                                        ; implicit-def: $sgpr64_sgpr65
	s_branch .LBB119_13
.LBB119_17:
	s_load_dword s8, s[0:1], 0x4d8
	s_load_dwordx2 s[14:15], s[6:7], 0xd0
	s_add_u32 s9, s0, 0x340
	s_addc_u32 s11, s1, 0
                                        ; kill: killed $sgpr6 killed $sgpr7
	s_mov_b64 s[6:7], 0
	s_waitcnt lgkmcnt(0)
	s_cmp_lt_i32 s8, 2
	v_writelane_b32 v74, s14, 4
	s_nop 1
	v_writelane_b32 v74, s15, 5
	s_cbranch_scc1 .LBB119_25
; %bb.18:
	s_add_i32 s3, s8, 1
	s_add_i32 s6, s8, -1
	s_mov_b32 s8, 0
	s_mov_b32 s7, s8
	s_lshl_b64 s[6:7], s[6:7], 3
	s_add_u32 s6, s9, s6
	s_addc_u32 s7, s11, s7
	s_add_u32 s14, s6, 8
	s_addc_u32 s15, s7, 0
	s_mov_b64 s[6:7], 0
.LBB119_19:                             ; =>This Inner Loop Header: Depth=1
	s_load_dwordx2 s[16:17], s[14:15], 0x0
	s_waitcnt lgkmcnt(0)
	s_or_b64 s[18:19], s[4:5], s[16:17]
	s_mov_b32 s9, s19
	s_cmp_lg_u64 s[8:9], 0
	s_cbranch_scc0 .LBB119_24
; %bb.20:                               ;   in Loop: Header=BB119_19 Depth=1
	v_cvt_f32_u32_e32 v1, s16
	v_cvt_f32_u32_e32 v2, s17
	s_sub_u32 s9, 0, s16
	s_subb_u32 s11, 0, s17
	v_fmac_f32_e32 v1, 0x4f800000, v2
	v_rcp_f32_e32 v1, v1
	s_nop 0
	v_mul_f32_e32 v1, 0x5f7ffffc, v1
	v_mul_f32_e32 v2, 0x2f800000, v1
	v_trunc_f32_e32 v2, v2
	v_fmac_f32_e32 v1, 0xcf800000, v2
	v_cvt_u32_f32_e32 v2, v2
	v_cvt_u32_f32_e32 v1, v1
	v_readfirstlane_b32 s20, v2
	v_readfirstlane_b32 s18, v1
	s_mul_i32 s19, s9, s20
	s_mul_hi_u32 s22, s9, s18
	s_mul_i32 s21, s11, s18
	s_add_i32 s19, s22, s19
	s_mul_i32 s23, s9, s18
	s_add_i32 s19, s19, s21
	s_mul_i32 s22, s18, s19
	s_mul_hi_u32 s24, s18, s23
	s_mul_hi_u32 s21, s18, s19
	s_add_u32 s22, s24, s22
	s_addc_u32 s21, 0, s21
	s_mul_hi_u32 s25, s20, s23
	s_mul_i32 s23, s20, s23
	s_add_u32 s22, s22, s23
	s_mul_hi_u32 s24, s20, s19
	s_addc_u32 s21, s21, s25
	s_addc_u32 s22, s24, 0
	s_mul_i32 s19, s20, s19
	s_add_u32 s19, s21, s19
	s_addc_u32 s21, 0, s22
	s_add_u32 s22, s18, s19
	s_cselect_b64 s[18:19], -1, 0
	s_cmp_lg_u64 s[18:19], 0
	s_addc_u32 s20, s20, s21
	s_mul_i32 s18, s9, s20
	s_mul_hi_u32 s19, s9, s22
	s_add_i32 s18, s19, s18
	s_mul_i32 s11, s11, s22
	s_add_i32 s18, s18, s11
	s_mul_i32 s9, s9, s22
	s_mul_hi_u32 s19, s20, s9
	s_mul_i32 s21, s20, s9
	s_mul_i32 s24, s22, s18
	s_mul_hi_u32 s9, s22, s9
	s_mul_hi_u32 s23, s22, s18
	s_add_u32 s9, s9, s24
	s_addc_u32 s23, 0, s23
	s_add_u32 s9, s9, s21
	s_mul_hi_u32 s11, s20, s18
	s_addc_u32 s9, s23, s19
	s_addc_u32 s11, s11, 0
	s_mul_i32 s18, s20, s18
	s_add_u32 s9, s9, s18
	s_addc_u32 s11, 0, s11
	s_add_u32 s9, s22, s9
	s_cselect_b64 s[18:19], -1, 0
	s_cmp_lg_u64 s[18:19], 0
	s_addc_u32 s11, s20, s11
	s_mul_i32 s19, s4, s11
	s_mul_hi_u32 s20, s4, s9
	s_mul_hi_u32 s18, s4, s11
	s_add_u32 s19, s20, s19
	s_addc_u32 s18, 0, s18
	s_mul_hi_u32 s21, s5, s9
	s_mul_i32 s9, s5, s9
	s_add_u32 s9, s19, s9
	s_mul_hi_u32 s20, s5, s11
	s_addc_u32 s9, s18, s21
	s_addc_u32 s18, s20, 0
	s_mul_i32 s11, s5, s11
	s_add_u32 s9, s9, s11
	s_addc_u32 s11, 0, s18
	s_mul_i32 s18, s16, s11
	s_mul_hi_u32 s19, s16, s9
	s_add_i32 s18, s19, s18
	s_mul_i32 s19, s17, s9
	s_add_i32 s22, s18, s19
	s_sub_i32 s20, s5, s22
	s_mul_i32 s18, s16, s9
	s_sub_u32 s23, s4, s18
	s_cselect_b64 s[18:19], -1, 0
	s_cmp_lg_u64 s[18:19], 0
	s_subb_u32 s24, s20, s17
	s_sub_u32 s25, s23, s16
	s_cselect_b64 s[20:21], -1, 0
	s_cmp_lg_u64 s[20:21], 0
	s_subb_u32 s20, s24, 0
	s_cmp_ge_u32 s20, s17
	s_cselect_b32 s21, -1, 0
	s_cmp_ge_u32 s25, s16
	s_cselect_b32 s24, -1, 0
	s_cmp_eq_u32 s20, s17
	s_cselect_b32 s20, s24, s21
	s_add_u32 s21, s9, 1
	s_addc_u32 s24, s11, 0
	s_add_u32 s25, s9, 2
	s_addc_u32 s26, s11, 0
	s_cmp_lg_u32 s20, 0
	s_cselect_b32 s20, s25, s21
	s_cselect_b32 s21, s26, s24
	s_cmp_lg_u64 s[18:19], 0
	s_subb_u32 s18, s5, s22
	s_cmp_ge_u32 s18, s17
	s_cselect_b32 s19, -1, 0
	s_cmp_ge_u32 s23, s16
	s_cselect_b32 s22, -1, 0
	s_cmp_eq_u32 s18, s17
	s_cselect_b32 s18, s22, s19
	s_cmp_lg_u32 s18, 0
	s_cselect_b32 s19, s21, s11
	s_cselect_b32 s18, s20, s9
	s_cbranch_execnz .LBB119_22
.LBB119_21:                             ;   in Loop: Header=BB119_19 Depth=1
	v_cvt_f32_u32_e32 v1, s16
	s_sub_i32 s9, 0, s16
	v_rcp_iflag_f32_e32 v1, v1
	s_nop 0
	v_mul_f32_e32 v1, 0x4f7ffffe, v1
	v_cvt_u32_f32_e32 v1, v1
	s_nop 0
	v_readfirstlane_b32 s11, v1
	s_mul_i32 s9, s9, s11
	s_mul_hi_u32 s9, s11, s9
	s_add_i32 s11, s11, s9
	s_mul_hi_u32 s9, s4, s11
	s_mul_i32 s18, s9, s16
	s_sub_i32 s18, s4, s18
	s_add_i32 s11, s9, 1
	s_sub_i32 s19, s18, s16
	s_cmp_ge_u32 s18, s16
	s_cselect_b32 s9, s11, s9
	s_cselect_b32 s18, s19, s18
	s_add_i32 s11, s9, 1
	s_cmp_ge_u32 s18, s16
	s_cselect_b32 s18, s11, s9
	s_mov_b32 s19, s8
.LBB119_22:                             ;   in Loop: Header=BB119_19 Depth=1
	s_mul_i32 s9, s18, s17
	s_mul_hi_u32 s11, s18, s16
	s_load_dwordx2 s[20:21], s[14:15], 0xc8
	s_add_i32 s9, s11, s9
	s_mul_i32 s11, s19, s16
	s_add_i32 s9, s9, s11
	s_mul_i32 s11, s18, s16
	s_sub_u32 s4, s4, s11
	s_subb_u32 s5, s5, s9
	s_waitcnt lgkmcnt(0)
	s_mul_i32 s5, s20, s5
	s_mul_hi_u32 s9, s20, s4
	s_add_i32 s5, s9, s5
	s_mul_i32 s9, s21, s4
	s_add_i32 s5, s5, s9
	s_mul_i32 s4, s20, s4
	s_add_u32 s6, s4, s6
	s_addc_u32 s7, s5, s7
	s_add_i32 s3, s3, -1
	s_add_u32 s14, s14, -8
	s_addc_u32 s15, s15, -1
	s_cmp_gt_u32 s3, 2
	s_cbranch_scc0 .LBB119_26
; %bb.23:                               ;   in Loop: Header=BB119_19 Depth=1
	s_mov_b64 s[4:5], s[18:19]
	s_branch .LBB119_19
.LBB119_24:                             ;   in Loop: Header=BB119_19 Depth=1
                                        ; implicit-def: $sgpr18_sgpr19
	s_branch .LBB119_21
.LBB119_25:
	s_mov_b64 s[18:19], s[4:5]
.LBB119_26:
	s_load_dwordx2 s[4:5], s[0:1], 0x410
	s_load_dwordx2 s[8:9], s[0:1], 0x0
	v_mov_b32_e32 v1, 0
	v_mov_b64_e32 v[2:3], 0
	v_cmp_gt_u64_e64 s[16:17], s[52:53], v[0:1]
	s_waitcnt lgkmcnt(0)
	s_mul_i32 s3, s4, s19
	v_writelane_b32 v74, s8, 6
	s_mul_hi_u32 s11, s4, s18
	s_add_i32 s3, s11, s3
	v_writelane_b32 v74, s9, 7
	s_load_dwordx2 s[8:9], s[0:1], 0x1a0
	s_mul_i32 s5, s5, s18
	s_add_i32 s5, s3, s5
	s_mul_i32 s4, s4, s18
	s_waitcnt lgkmcnt(0)
	v_writelane_b32 v74, s8, 8
	s_nop 1
	v_writelane_b32 v74, s9, 9
	s_load_dwordx2 s[8:9], s[0:1], 0x340
	s_mov_b64 s[14:15], exec
	v_writelane_b32 v74, s16, 10
	s_nop 1
	v_writelane_b32 v74, s17, 11
	s_and_b64 s[16:17], s[14:15], s[16:17]
	s_mov_b64 exec, s[16:17]
	s_cbranch_execz .LBB119_30
; %bb.27:
	s_load_dword s3, s[12:13], 0xc
	v_mad_u64_u32 v[2:3], s[20:21], s56, v0, 0
	v_mov_b32_e32 v4, v3
	v_mad_u64_u32 v[4:5], s[20:21], s57, v0, v[4:5]
	s_lshl_b64 s[18:19], s[4:5], 3
	s_waitcnt lgkmcnt(0)
	s_and_b32 s16, s3, 0xffff
	s_lshl_b64 s[20:21], s[6:7], 3
	s_add_u32 s3, s8, s20
	s_addc_u32 s11, s9, s21
	s_add_u32 s18, s3, s18
	v_mov_b32_e32 v3, v4
	s_addc_u32 s19, s11, s19
	s_mul_i32 s3, s57, s16
	s_mul_hi_u32 s11, s56, s16
	v_lshl_add_u64 v[4:5], v[2:3], 3, s[18:19]
	s_add_i32 s19, s11, s3
	s_mul_i32 s18, s56, s16
	s_mov_b32 s17, 0
	s_lshl_b64 s[20:21], s[18:19], 3
	s_mov_b64 s[18:19], 0
	v_mov_b64_e32 v[2:3], 0
	v_mov_b64_e32 v[6:7], v[0:1]
.LBB119_28:                             ; =>This Inner Loop Header: Depth=1
	global_load_dwordx2 v[8:9], v[4:5], off
	v_lshl_add_u64 v[6:7], v[6:7], 0, s[16:17]
	v_cmp_le_u64_e32 vcc, s[52:53], v[6:7]
	s_or_b64 s[18:19], vcc, s[18:19]
	v_mov_b32_e32 v11, s17
	v_lshl_add_u64 v[4:5], v[4:5], 0, s[20:21]
	s_waitcnt vmcnt(0)
	v_cmp_u_f64_e32 vcc, v[8:9], v[8:9]
	s_nop 1
	v_cndmask_b32_e64 v10, 0, 1, vcc
	v_lshl_add_u64 v[2:3], v[2:3], 0, v[10:11]
	s_andn2_b64 exec, exec, s[18:19]
	s_cbranch_execnz .LBB119_28
; %bb.29:
	s_or_b64 exec, exec, s[18:19]
.LBB119_30:
	s_or_b64 exec, exec, s[14:15]
	v_cmp_eq_u32_e64 s[16:17], 0, v0
	s_mov_b64 s[14:15], exec
	s_nop 0
	v_writelane_b32 v74, s16, 12
	s_nop 1
	v_writelane_b32 v74, s17, 13
	s_and_b64 s[16:17], s[14:15], s[16:17]
	s_mov_b64 exec, s[16:17]
; %bb.31:
	v_mov_b32_e32 v4, 0
	v_mov_b32_e32 v5, v4
	ds_write_b64 v4, v[4:5] offset:5136
; %bb.32:
	s_or_b64 exec, exec, s[14:15]
	s_mov_b64 s[16:17], 0
	v_cmp_ne_u64_e32 vcc, 0, v[2:3]
	s_waitcnt lgkmcnt(0)
	s_barrier
	s_and_saveexec_b64 s[14:15], vcc
	s_cbranch_execz .LBB119_37
; %bb.33:
	s_mov_b64 s[18:19], exec
.LBB119_34:                             ; =>This Inner Loop Header: Depth=1
	s_ff1_i32_b64 s3, s[18:19]
	v_readlane_b32 s20, v2, s3
	v_readlane_b32 s11, v3, s3
	s_add_u32 s16, s16, s20
	s_addc_u32 s17, s17, s11
	s_lshl_b64 s[20:21], 1, s3
	s_andn2_b64 s[18:19], s[18:19], s[20:21]
	s_cmp_lg_u64 s[18:19], 0
	s_cbranch_scc1 .LBB119_34
; %bb.35:
	v_mbcnt_lo_u32_b32 v2, exec_lo, 0
	v_mbcnt_hi_u32_b32 v2, exec_hi, v2
	v_cmp_eq_u32_e32 vcc, 0, v2
	s_and_saveexec_b64 s[18:19], vcc
	s_xor_b64 s[18:19], exec, s[18:19]
; %bb.36:
	v_mov_b32_e32 v2, 0
	v_mov_b64_e32 v[4:5], s[16:17]
	ds_add_u64 v2, v[4:5] offset:5136
.LBB119_37:
	s_or_b64 exec, exec, s[14:15]
	v_mov_b32_e32 v3, 0
	s_waitcnt lgkmcnt(0)
	s_barrier
	ds_read_b64 v[4:5], v3 offset:5136
	s_waitcnt lgkmcnt(0)
	v_readfirstlane_b32 s14, v4
	v_readfirstlane_b32 s15, v5
	s_mov_b64 s[16:17], exec
	v_readlane_b32 s18, v74, 12
	v_readlane_b32 s19, v74, 13
	s_and_b64 s[18:19], s[16:17], s[18:19]
	s_mov_b64 exec, s[18:19]
	s_cbranch_execz .LBB119_39
; %bb.38:
	v_mov_b32_e32 v4, s52
	v_mov_b32_e32 v5, s53
	;; [unrolled: 1-line block ×3, first 2 shown]
	ds_write_b32 v3, v3 offset:5144
	ds_write_b128 v3, v[2:5] offset:5120
.LBB119_39:
	s_or_b64 exec, exec, s[16:17]
	s_load_dword s3, s[0:1], 0x4f8
	v_cmp_lt_i64_e64 s[0:1], s[14:15], 1
	v_mbcnt_lo_u32_b32 v2, -1, 0
	v_mbcnt_hi_u32_b32 v54, -1, v2
	v_cmp_gt_u32_e32 vcc, 64, v0
	s_waitcnt lgkmcnt(0)
	s_bitcmp1_b32 s3, 0
	s_cselect_b64 s[16:17], -1, 0
	s_not_b64 s[14:15], s[14:15]
	s_or_b64 s[0:1], s[16:17], s[0:1]
	s_add_u32 s14, s52, s14
	s_addc_u32 s15, s53, s15
	s_lshr_b64 s[14:15], s[14:15], 1
	s_add_u32 s3, s14, 1
	s_addc_u32 s11, s15, 0
	s_and_b64 s[0:1], s[0:1], exec
	s_cselect_b32 s15, s11, s53
	s_cselect_b32 s14, s3, s52
	s_lshl_b64 s[16:17], s[4:5], 3
	s_add_u32 s18, s8, s16
	s_addc_u32 s19, s9, s17
	s_lshl_b64 s[76:77], s[6:7], 3
	s_add_u32 s78, s18, s76
	v_cmp_gt_i32_e64 s[0:1], 4, v54
	s_addc_u32 s79, s19, s77
	s_and_b64 s[50:51], vcc, s[0:1]
	v_cmp_gt_u32_e64 s[0:1], 2, v0
	v_mov_b64_e32 v[4:5], 0x180
	s_nop 0
	v_writelane_b32 v74, s0, 14
	s_barrier
	s_nop 0
	v_writelane_b32 v74, s1, 15
	v_cmp_gt_u64_e64 s[0:1], s[52:53], v[4:5]
	v_lshlrev_b64 v[8:9], v54, -1
	v_lshlrev_b32_e32 v12, 5, v0
	v_writelane_b32 v74, s0, 16
	v_not_b32_e32 v25, v9
	v_not_b32_e32 v24, v8
	v_writelane_b32 v74, s1, 17
	v_mad_u64_u32 v[4:5], s[0:1], s56, v0, 0
	v_mov_b32_e32 v2, v5
	v_mad_u64_u32 v[6:7], s[0:1], s57, v0, v[2:3]
	s_load_dword s0, s[12:13], 0xc
	v_lshlrev_b32_e32 v2, 2, v54
	v_and_b32_e32 v57, 0x100, v2
	v_lshrrev_b32_e32 v2, 1, v0
	v_or_b32_e32 v10, 24, v12
	s_waitcnt lgkmcnt(0)
	s_and_b32 s72, s0, 0xffff
	s_bfe_u32 s0, s0, 0xa0006
	s_cmp_gt_u32 s72, 63
	s_cselect_b64 s[4:5], -1, 0
	s_add_u32 s1, s72, -1
	s_addc_u32 s3, 0, -1
	s_add_u32 s99, s1, s52
	v_writelane_b32 v74, s4, 18
	s_addc_u32 s61, s3, s53
	s_cmp_lt_u32 s2, s10
	v_writelane_b32 v74, s5, 19
	v_writelane_b32 v74, s1, 20
	s_cselect_b32 s1, 12, 18
	s_add_u32 s86, s12, s1
	s_addc_u32 s87, s13, 0
	s_add_i32 s1, s0, -1
	s_bfe_u32 s2, s72, 0x30006
	s_and_b32 s1, s1, 0xffff
	s_cmp_gt_u32 s1, 6
	v_writelane_b32 v74, s3, 21
	s_cselect_b64 s[4:5], -1, 0
	v_writelane_b32 v74, s4, 22
	s_and_b32 s33, s0, 0x3f8
	s_cmp_lg_u32 s2, 0
	v_writelane_b32 v74, s5, 23
	v_writelane_b32 v74, s2, 24
	s_cselect_b64 s[0:1], -1, 0
	v_writelane_b32 v74, s0, 25
	v_mov_b64_e32 v[8:9], s[18:19]
	v_and_b32_e32 v2, 0x1e0, v2
	v_writelane_b32 v74, s1, 26
	s_add_u32 s0, s16, s76
	s_addc_u32 s1, s17, s77
	s_add_u32 s0, s8, s0
	s_addc_u32 s1, s9, s1
	v_writelane_b32 v74, s0, 27
	v_or_b32_e32 v58, 0xc00, v2
	s_lshl_b32 s4, s72, 3
	v_writelane_b32 v74, s1, 28
	s_lshl_b64 s[0:1], s[56:57], 3
	v_writelane_b32 v74, s0, 29
	v_cmp_eq_u32_e64 s[84:85], 0, v54
	v_mov_b32_e32 v5, v6
	v_writelane_b32 v74, s1, 30
	v_mad_u64_u32 v[26:27], s[0:1], s56, v10, v[8:9]
	v_mov_b32_e32 v2, v27
	v_mad_u64_u32 v[10:11], s[0:1], s57, v10, v[2:3]
	s_lshl_b64 s[0:1], s[56:57], 5
	v_mov_b32_e32 v27, v10
	v_writelane_b32 v74, s0, 31
	v_or_b32_e32 v10, 16, v12
	v_lshlrev_b64 v[6:7], 3, v[4:5]
	v_writelane_b32 v74, s1, 32
	v_mad_u64_u32 v[28:29], s[0:1], s56, v10, v[8:9]
	v_mov_b32_e32 v2, v29
	v_mad_u64_u32 v[10:11], s[0:1], s57, v10, v[2:3]
	v_mov_b32_e32 v29, v10
	v_or_b32_e32 v10, 8, v12
	v_mad_u64_u32 v[32:33], s[0:1], s56, v10, v[8:9]
	v_mov_b32_e32 v2, v33
	v_mad_u64_u32 v[8:9], s[0:1], s57, v10, v[2:3]
	s_add_u32 s0, s8, s76
	s_addc_u32 s1, s9, s77
	s_add_u32 s0, s0, s16
	s_addc_u32 s1, s1, s17
	v_writelane_b32 v74, s84, 33
	v_lshl_add_u64 v[18:19], s[0:1], 0, v[6:7]
	s_mul_i32 s0, s57, s72
	s_mul_hi_u32 s1, s56, s72
	v_writelane_b32 v74, s85, 34
	s_add_i32 s1, s1, s0
	s_mul_i32 s0, s56, s72
	v_writelane_b32 v74, s50, 35
	s_lshl_b64 s[74:75], s[0:1], 3
	s_mov_b32 s81, 0
	v_writelane_b32 v74, s51, 36
	v_writelane_b32 v74, s74, 37
	v_lshlrev_b32_e32 v55, 3, v0
	v_lshlrev_b64 v[4:5], 5, v[4:5]
	v_mov_b32_e32 v2, 0xc00
	v_writelane_b32 v74, s75, 38
	v_add_u32_e32 v56, 0xc00, v55
	v_lshl_add_u64 v[20:21], s[78:79], 0, v[6:7]
	v_lshlrev_b32_e32 v22, 2, v0
	v_mov_b32_e32 v23, v3
	s_mov_b32 s73, s81
	v_mov_b32_e32 v33, v8
	v_lshl_add_u64 v[34:35], s[18:19], 0, v[4:5]
	v_lshlrev_b32_e32 v59, 5, v0
	v_lshl_or_b32 v60, v54, 3, v2
	s_mov_b32 s5, 62
	v_mov_b64_e32 v[8:9], 0
	s_mov_b64 s[68:69], 0
	v_mov_b64_e32 v[38:39], s[14:15]
	v_mov_b64_e32 v[30:31], 0
	;; [unrolled: 1-line block ×4, first 2 shown]
	v_mov_b32_e32 v5, 0x3ff00000
	v_mov_b32_e32 v61, 0x4f800000
	;; [unrolled: 1-line block ×4, first 2 shown]
	s_mov_b32 s82, 0
	v_writelane_b32 v74, s86, 39
                                        ; implicit-def: $sgpr66_sgpr67
                                        ; implicit-def: $sgpr62_sgpr63
                                        ; implicit-def: $sgpr70_sgpr71
                                        ; implicit-def: $sgpr90_sgpr91
                                        ; implicit-def: $sgpr92_sgpr93
                                        ; implicit-def: $sgpr94_sgpr95
	s_nop 1
	v_writelane_b32 v74, s87, 40
	s_branch .LBB119_43
.LBB119_40:                             ;   in Loop: Header=BB119_43 Depth=1
	s_or_b64 exec, exec, s[10:11]
	s_and_b64 s[8:9], s[8:9], exec
	s_andn2_b64 s[24:25], s[24:25], exec
	s_andn2_b64 s[0:1], s[0:1], exec
	s_orn2_b64 s[16:17], s[6:7], exec
.LBB119_41:                             ;   in Loop: Header=BB119_43 Depth=1
	s_or_b64 exec, exec, s[2:3]
	s_andn2_b64 s[2:3], s[94:95], exec
	s_and_b64 s[6:7], s[8:9], exec
	s_or_b64 s[94:95], s[2:3], s[6:7]
	s_andn2_b64 s[2:3], s[92:93], exec
	s_and_b64 s[6:7], s[24:25], exec
	s_or_b64 s[92:93], s[2:3], s[6:7]
	;; [unrolled: 3-line block ×3, first 2 shown]
	s_orn2_b64 s[0:1], s[16:17], exec
.LBB119_42:                             ;   in Loop: Header=BB119_43 Depth=1
	s_or_b64 exec, exec, s[14:15]
	s_and_b64 s[0:1], exec, s[0:1]
	s_or_b64 s[68:69], s[0:1], s[68:69]
	s_andn2_b64 s[0:1], s[70:71], exec
	s_and_b64 s[2:3], s[94:95], exec
	s_or_b64 s[70:71], s[0:1], s[2:3]
	s_andn2_b64 s[0:1], s[62:63], exec
	s_and_b64 s[2:3], s[92:93], exec
	;; [unrolled: 3-line block ×3, first 2 shown]
	s_or_b64 s[66:67], s[0:1], s[2:3]
	v_mov_b64_e32 v[38:39], v[14:15]
	s_andn2_b64 exec, exec, s[68:69]
	s_cbranch_execz .LBB119_309
.LBB119_43:                             ; =>This Loop Header: Depth=1
                                        ;     Child Loop BB119_49 Depth 2
                                        ;     Child Loop BB119_62 Depth 2
	;; [unrolled: 1-line block ×16, first 2 shown]
	ds_read_b128 v[10:13], v3 offset:5120
	s_waitcnt lgkmcnt(0)
	v_readfirstlane_b32 s11, v11
	v_readfirstlane_b32 s10, v10
	s_cmp_lg_u64 s[10:11], 0
	s_cbranch_scc1 .LBB119_70
; %bb.44:                               ;   in Loop: Header=BB119_43 Depth=1
	v_readlane_b32 s0, v74, 16
	v_readlane_b32 s1, v74, 17
	s_and_b64 vcc, exec, s[0:1]
	s_cbranch_vccz .LBB119_57
; %bb.45:                               ;   in Loop: Header=BB119_43 Depth=1
	s_mov_b64 s[0:1], 0x181
	v_cmp_gt_u64_e32 vcc, s[0:1], v[12:13]
	s_mov_b64 s[6:7], 0
	s_mov_b64 s[0:1], 0
	s_cbranch_vccz .LBB119_58
; %bb.46:                               ;   in Loop: Header=BB119_43 Depth=1
	s_mov_b64 s[8:9], exec
	v_readlane_b32 s0, v74, 10
	v_readlane_b32 s1, v74, 11
	s_and_b64 s[0:1], s[8:9], s[0:1]
	s_mov_b64 exec, s[0:1]
	s_cbranch_execz .LBB119_171
; %bb.47:                               ;   in Loop: Header=BB119_43 Depth=1
	global_load_ushort v4, v3, s[86:87]
	global_load_dwordx2 v[6:7], v[20:21], off
	v_readlane_b32 s0, v74, 27
	v_readlane_b32 s1, v74, 28
	;; [unrolled: 1-line block ×4, first 2 shown]
	v_mov_b64_e32 v[10:11], s[0:1]
	s_mov_b64 s[10:11], 0
	s_waitcnt vmcnt(1)
	v_readfirstlane_b32 s0, v4
	s_and_b32 s0, 0xffff, s0
	s_nop 0
	v_add_u32_e32 v12, s0, v0
	s_mul_i32 s2, s15, s0
	s_mul_hi_u32 s3, s14, s0
	s_mul_i32 s12, s14, s0
	v_mad_u64_u32 v[10:11], s[0:1], s14, v12, v[10:11]
	v_and_b32_e32 v2, 0xffff, v4
	v_mov_b32_e32 v4, v11
	v_mad_u64_u32 v[12:13], s[0:1], s15, v12, v[4:5]
	s_add_i32 s13, s3, s2
	v_mov_b32_e32 v11, v12
	v_mov_b64_e32 v[12:13], v[0:1]
	s_branch .LBB119_49
.LBB119_48:                             ;   in Loop: Header=BB119_49 Depth=2
	s_or_b64 exec, exec, s[2:3]
	v_lshl_add_u64 v[10:11], v[10:11], 0, s[12:13]
	v_mov_b64_e32 v[6:7], v[14:15]
	s_andn2_b64 exec, exec, s[10:11]
	s_cbranch_execz .LBB119_171
.LBB119_49:                             ;   Parent Loop BB119_43 Depth=1
                                        ; =>  This Inner Loop Header: Depth=2
	v_lshl_add_u64 v[12:13], v[12:13], 0, v[2:3]
	v_cmp_gt_u64_e64 s[0:1], s[52:53], v[12:13]
	v_cmp_le_u64_e32 vcc, s[52:53], v[12:13]
	v_mov_b64_e32 v[14:15], 0
	s_and_saveexec_b64 s[2:3], s[0:1]
	s_cbranch_execz .LBB119_51
; %bb.50:                               ;   in Loop: Header=BB119_49 Depth=2
	global_load_dwordx2 v[14:15], v[10:11], off
.LBB119_51:                             ;   in Loop: Header=BB119_49 Depth=2
	s_or_b64 exec, exec, s[2:3]
	s_waitcnt vmcnt(0) lgkmcnt(0)
	v_ashrrev_i32_e32 v4, 31, v7
	v_or_b32_e32 v16, 0x80000000, v4
	v_xor_b32_e32 v16, v16, v7
	v_xor_b32_e32 v4, v4, v6
	v_cmp_o_f64_e64 s[0:1], v[6:7], v[6:7]
	s_nop 1
	v_cndmask_b32_e64 v16, -1, v16, s[0:1]
	v_cndmask_b32_e64 v4, -1, v4, s[0:1]
	v_and_b32_e32 v17, v16, v37
	v_and_b32_e32 v16, v4, v36
	v_cmp_eq_u64_e64 s[0:1], v[16:17], v[30:31]
	s_cmp_lg_u64 s[0:1], 0
	s_cselect_b64 s[2:3], -1, 0
	s_and_b64 s[2:3], s[84:85], s[2:3]
	v_mov_b32_e32 v4, 0
	s_and_saveexec_b64 s[14:15], s[2:3]
	s_cbranch_execz .LBB119_55
; %bb.52:                               ;   in Loop: Header=BB119_49 Depth=2
	s_mov_b64 s[18:19], exec
	v_mbcnt_lo_u32_b32 v4, s18, 0
	v_mbcnt_hi_u32_b32 v4, s19, v4
	s_bcnt1_i32_b64 s20, s[0:1]
	v_cmp_eq_u32_e64 s[2:3], 0, v4
                                        ; implicit-def: $vgpr16
	s_and_saveexec_b64 s[16:17], s[2:3]
; %bb.53:                               ;   in Loop: Header=BB119_49 Depth=2
	s_bcnt1_i32_b64 s2, s[18:19]
	s_mul_i32 s2, s20, s2
	v_mov_b32_e32 v16, s2
	ds_add_rtn_u32 v16, v3, v16 offset:5144
; %bb.54:                               ;   in Loop: Header=BB119_49 Depth=2
	s_or_b64 exec, exec, s[16:17]
	s_waitcnt lgkmcnt(0)
	v_readfirstlane_b32 s2, v16
	s_nop 1
	v_mov_b32_e32 v16, s2
	v_mad_u32_u24 v4, s20, v4, v16
.LBB119_55:                             ;   in Loop: Header=BB119_49 Depth=2
	s_or_b64 exec, exec, s[14:15]
	ds_bpermute_b32 v4, v57, v4
	s_and_b64 s[2:3], exec, vcc
	s_or_b64 s[10:11], s[2:3], s[10:11]
	s_and_saveexec_b64 s[2:3], s[0:1]
	s_cbranch_execz .LBB119_48
; %bb.56:                               ;   in Loop: Header=BB119_49 Depth=2
	v_and_b32_e32 v17, s0, v24
	v_and_b32_e32 v16, s1, v25
	v_bcnt_u32_b32 v17, v17, 0
	v_bcnt_u32_b32 v16, v16, v17
	v_lshlrev_b32_e32 v16, 3, v16
	s_waitcnt lgkmcnt(0)
	v_lshl_add_u32 v4, v4, 3, v16
	ds_write_b64 v4, v[6:7]
	s_branch .LBB119_48
.LBB119_57:                             ;   in Loop: Header=BB119_43 Depth=1
	s_mov_b64 s[6:7], -1
	s_mov_b64 s[0:1], 0
.LBB119_58:                             ;   in Loop: Header=BB119_43 Depth=1
	s_and_b64 vcc, exec, s[6:7]
	s_cbranch_vccz .LBB119_68
.LBB119_59:                             ;   in Loop: Header=BB119_43 Depth=1
	s_mov_b64 s[0:1], exec
	v_readlane_b32 s2, v74, 10
	v_readlane_b32 s3, v74, 11
	s_and_b64 s[2:3], s[0:1], s[2:3]
	s_mov_b64 exec, s[2:3]
	s_cbranch_execz .LBB119_65
; %bb.60:                               ;   in Loop: Header=BB119_43 Depth=1
	global_load_ushort v2, v3, s[86:87]
	global_load_dwordx2 v[6:7], v[20:21], off
	v_mov_b32_e32 v4, v0
	s_waitcnt vmcnt(1)
	v_readfirstlane_b32 s6, v2
	v_add_u32_sdwa v2, v2, v0 dst_sel:DWORD dst_unused:UNUSED_PAD src0_sel:WORD_0 src1_sel:DWORD
	v_cmp_gt_u64_e32 vcc, s[52:53], v[2:3]
	s_and_saveexec_b64 s[2:3], vcc
	s_cbranch_execz .LBB119_64
; %bb.61:                               ;   in Loop: Header=BB119_43 Depth=1
	s_and_b32 s80, s6, 0xffff
	v_readlane_b32 s6, v74, 27
	v_readlane_b32 s7, v74, 28
	;; [unrolled: 1-line block ×4, first 2 shown]
	v_mov_b64_e32 v[10:11], s[6:7]
	v_mad_u64_u32 v[10:11], s[6:7], s8, v2, v[10:11]
	v_mov_b32_e32 v4, v11
	v_mad_u64_u32 v[12:13], s[6:7], s9, v2, v[4:5]
	s_mul_i32 s6, s9, s80
	s_mul_hi_u32 s7, s8, s80
	v_mov_b32_e32 v11, v12
	s_add_i32 s7, s7, s6
	s_mul_i32 s6, s8, s80
	s_mov_b64 s[8:9], 0
	v_mov_b64_e32 v[14:15], v[2:3]
	v_mov_b64_e32 v[16:17], v[0:1]
.LBB119_62:                             ;   Parent Loop BB119_43 Depth=1
                                        ; =>  This Inner Loop Header: Depth=2
	global_load_dwordx2 v[12:13], v[10:11], off
	v_mov_b64_e32 v[40:41], v[14:15]
	v_lshl_add_u64 v[14:15], v[40:41], 0, s[80:81]
	v_lshlrev_b32_e32 v2, 3, v16
	v_cmp_le_u64_e32 vcc, s[52:53], v[14:15]
	v_lshl_add_u64 v[10:11], v[10:11], 0, s[6:7]
	s_waitcnt vmcnt(1)
	ds_write_b64 v2, v[6:7]
	v_mov_b64_e32 v[16:17], v[40:41]
	s_or_b64 s[8:9], vcc, s[8:9]
	s_waitcnt vmcnt(0)
	v_mov_b64_e32 v[6:7], v[12:13]
	s_andn2_b64 exec, exec, s[8:9]
	s_cbranch_execnz .LBB119_62
; %bb.63:                               ;   in Loop: Header=BB119_43 Depth=1
	s_or_b64 exec, exec, s[8:9]
	v_subrev_u32_e32 v4, s80, v14
	v_mov_b64_e32 v[6:7], v[12:13]
.LBB119_64:                             ;   in Loop: Header=BB119_43 Depth=1
	s_or_b64 exec, exec, s[2:3]
	v_lshlrev_b32_e32 v2, 3, v4
	s_waitcnt vmcnt(0)
	ds_write_b64 v2, v[6:7]
.LBB119_65:                             ;   in Loop: Header=BB119_43 Depth=1
	s_or_b64 exec, exec, s[0:1]
	s_waitcnt lgkmcnt(0)
	s_barrier
	s_mov_b64 s[0:1], exec
	v_readlane_b32 s2, v74, 12
	v_readlane_b32 s3, v74, 13
	s_and_b64 s[2:3], s[0:1], s[2:3]
	s_mov_b64 exec, s[2:3]
; %bb.66:                               ;   in Loop: Header=BB119_43 Depth=1
	ds_write_b64 v3, v[62:63] offset:5120
; %bb.67:                               ;   in Loop: Header=BB119_43 Depth=1
	s_or_b64 exec, exec, s[0:1]
	s_mov_b64 s[0:1], -1
	s_waitcnt lgkmcnt(0)
	s_barrier
.LBB119_68:                             ;   in Loop: Header=BB119_43 Depth=1
	s_mov_b64 s[10:11], 0
	s_and_b64 vcc, exec, s[0:1]
	s_cbranch_vccz .LBB119_70
; %bb.69:                               ;   in Loop: Header=BB119_43 Depth=1
	ds_read_b64 v[6:7], v3 offset:5120
	s_waitcnt lgkmcnt(0)
	v_readfirstlane_b32 s10, v6
.LBB119_70:                             ;   in Loop: Header=BB119_43 Depth=1
	s_cmp_lt_i32 s10, 1
	s_mov_b64 s[0:1], -1
                                        ; implicit-def: $vgpr10_vgpr11
                                        ; implicit-def: $vgpr14_vgpr15
	s_cbranch_scc1 .LBB119_80
; %bb.71:                               ;   in Loop: Header=BB119_43 Depth=1
	s_and_b64 vcc, exec, s[0:1]
	s_cbranch_vccnz .LBB119_94
.LBB119_72:                             ;   in Loop: Header=BB119_43 Depth=1
	s_lshl_b32 s2, s82, 6
	s_and_saveexec_b64 s[0:1], s[84:85]
	s_cbranch_execz .LBB119_74
.LBB119_73:                             ;   in Loop: Header=BB119_43 Depth=1
	v_lshl_add_u32 v2, s2, 3, v58
	ds_write_b128 v2, v[10:13]
	ds_write_b128 v2, v[14:17] offset:16
.LBB119_74:                             ;   in Loop: Header=BB119_43 Depth=1
	s_or_b64 exec, exec, s[0:1]
	s_waitcnt lgkmcnt(0)
	s_barrier
	s_and_saveexec_b64 s[0:1], s[50:51]
	s_cbranch_execz .LBB119_109
; %bb.75:                               ;   in Loop: Header=BB119_43 Depth=1
	v_readlane_b32 s6, v74, 18
	v_readlane_b32 s7, v74, 19
	s_andn2_b64 vcc, exec, s[6:7]
	v_mov_b64_e32 v[6:7], 0
	s_cbranch_vccnz .LBB119_108
; %bb.76:                               ;   in Loop: Header=BB119_43 Depth=1
	v_readlane_b32 s6, v74, 22
	v_readlane_b32 s7, v74, 23
	s_andn2_b64 vcc, exec, s[6:7]
	s_cbranch_vccnz .LBB119_104
; %bb.77:                               ;   in Loop: Header=BB119_43 Depth=1
	v_lshl_add_u32 v2, s82, 9, v60
	v_mov_b64_e32 v[6:7], 0
	s_mov_b32 s3, 0
.LBB119_78:                             ;   Parent Loop BB119_43 Depth=1
                                        ; =>  This Inner Loop Header: Depth=2
	ds_read2_b64 v[10:13], v2 offset1:4
	ds_read2_b64 v[14:17], v2 offset0:8 offset1:12
	ds_read2_b64 v[40:43], v2 offset0:16 offset1:20
	;; [unrolled: 1-line block ×3, first 2 shown]
	s_add_i32 s3, s3, 8
	s_waitcnt lgkmcnt(3)
	v_lshl_add_u64 v[6:7], v[10:11], 0, v[6:7]
	v_lshl_add_u64 v[6:7], v[12:13], 0, v[6:7]
	s_waitcnt lgkmcnt(2)
	v_lshl_add_u64 v[6:7], v[14:15], 0, v[6:7]
	v_lshl_add_u64 v[6:7], v[16:17], 0, v[6:7]
	;; [unrolled: 3-line block ×3, first 2 shown]
	s_waitcnt lgkmcnt(0)
	v_lshl_add_u64 v[6:7], v[44:45], 0, v[6:7]
	v_add_u32_e32 v2, 0x100, v2
	s_cmp_eq_u32 s33, s3
	v_lshl_add_u64 v[6:7], v[46:47], 0, v[6:7]
	s_cbranch_scc0 .LBB119_78
; %bb.79:                               ;   in Loop: Header=BB119_43 Depth=1
	s_mov_b32 s3, s33
	s_branch .LBB119_105
.LBB119_80:                             ;   in Loop: Header=BB119_43 Depth=1
	global_load_ushort v2, v3, s[86:87]
	s_mov_b32 s0, s81
	s_waitcnt vmcnt(0)
	v_readfirstlane_b32 s1, v2
	s_and_b32 s8, s1, 0xffff
	s_lshl_b32 s80, s8, 2
	s_mov_b32 s1, s53
	s_cmp_lg_u64 s[0:1], 0
	s_cbranch_scc0 .LBB119_103
; %bb.81:                               ;   in Loop: Header=BB119_43 Depth=1
	v_cvt_f32_u32_e32 v2, s80
	s_sub_u32 s2, 0, s80
	s_subb_u32 s3, 0, 0
	v_fmac_f32_e32 v2, 0, v61
	v_rcp_f32_e32 v2, v2
	s_nop 0
	v_mul_f32_e32 v2, 0x5f7ffffc, v2
	v_mul_f32_e32 v4, 0x2f800000, v2
	v_trunc_f32_e32 v4, v4
	v_fmac_f32_e32 v2, 0xcf800000, v4
	v_cvt_u32_f32_e32 v4, v4
	v_cvt_u32_f32_e32 v2, v2
	v_readfirstlane_b32 s6, v4
	v_readfirstlane_b32 s0, v2
	s_mul_i32 s1, s2, s6
	s_mul_hi_u32 s9, s2, s0
	s_mul_i32 s7, s3, s0
	s_add_i32 s1, s9, s1
	s_mul_i32 s11, s2, s0
	s_add_i32 s1, s1, s7
	s_mul_hi_u32 s9, s0, s11
	s_mul_i32 s12, s0, s1
	s_mul_hi_u32 s7, s0, s1
	s_add_u32 s9, s9, s12
	s_addc_u32 s7, 0, s7
	s_mul_hi_u32 s13, s6, s11
	s_mul_i32 s11, s6, s11
	s_add_u32 s9, s9, s11
	s_mul_hi_u32 s12, s6, s1
	s_addc_u32 s7, s7, s13
	s_addc_u32 s9, s12, 0
	s_mul_i32 s1, s6, s1
	s_add_u32 s1, s7, s1
	s_addc_u32 s7, 0, s9
	s_add_u32 s9, s0, s1
	s_cselect_b64 s[0:1], -1, 0
	s_cmp_lg_u64 s[0:1], 0
	s_addc_u32 s6, s6, s7
	s_mul_i32 s0, s2, s6
	s_mul_hi_u32 s1, s2, s9
	s_add_i32 s0, s1, s0
	s_mul_i32 s3, s3, s9
	s_add_i32 s0, s0, s3
	s_mul_i32 s2, s2, s9
	s_mul_hi_u32 s3, s6, s2
	s_mul_i32 s7, s6, s2
	s_mul_i32 s12, s9, s0
	s_mul_hi_u32 s2, s9, s2
	s_mul_hi_u32 s11, s9, s0
	s_add_u32 s2, s2, s12
	s_addc_u32 s11, 0, s11
	s_add_u32 s2, s2, s7
	s_mul_hi_u32 s1, s6, s0
	s_addc_u32 s2, s11, s3
	s_addc_u32 s1, s1, 0
	s_mul_i32 s0, s6, s0
	s_add_u32 s0, s2, s0
	s_addc_u32 s2, 0, s1
	s_add_u32 s3, s9, s0
	s_cselect_b64 s[0:1], -1, 0
	s_cmp_lg_u64 s[0:1], 0
	s_addc_u32 s0, s6, s2
	s_mul_i32 s2, s52, s0
	s_mul_hi_u32 s6, s52, s3
	s_mul_hi_u32 s1, s52, s0
	s_add_u32 s2, s6, s2
	s_addc_u32 s1, 0, s1
	s_mul_hi_u32 s7, s53, s3
	s_mul_i32 s3, s53, s3
	s_add_u32 s2, s2, s3
	s_mul_hi_u32 s6, s53, s0
	s_addc_u32 s1, s1, s7
	s_addc_u32 s2, s6, 0
	s_mul_i32 s0, s53, s0
	s_add_u32 s0, s1, s0
	s_addc_u32 s1, 0, s2
	s_mul_i32 s1, s80, s1
	s_mul_hi_u32 s2, s80, s0
	s_add_i32 s2, s2, s1
	s_mul_i32 s0, s80, s0
	s_sub_u32 s3, s52, s0
	s_cselect_b64 s[0:1], -1, 0
	s_cmp_lg_u64 s[0:1], 0
	s_subb_u32 s2, s53, s2
	s_sub_u32 s6, s3, s80
	s_cselect_b64 s[0:1], -1, 0
	s_cmp_lg_u64 s[0:1], 0
	s_subb_u32 s7, s2, 0
	;; [unrolled: 4-line block ×3, first 2 shown]
	s_cmp_ge_u32 s6, s80
	s_cselect_b32 s1, -1, 0
	s_cmp_eq_u32 s7, 0
	s_cselect_b32 s1, s1, -1
	s_cmp_lg_u32 s1, 0
	s_cselect_b32 s0, s0, s7
	s_cselect_b32 s6, s9, s6
	s_cmp_ge_u32 s3, s80
	s_cselect_b32 s1, -1, 0
	s_cmp_eq_u32 s2, 0
	s_cselect_b32 s1, s1, -1
	s_cmp_lg_u32 s1, 0
	s_cselect_b32 s1, s0, s2
	s_cselect_b32 s0, s6, s3
	s_cbranch_execnz .LBB119_83
.LBB119_82:                             ;   in Loop: Header=BB119_43 Depth=1
	v_cvt_f32_u32_e32 v2, s80
	s_sub_i32 s0, 0, s80
	v_rcp_iflag_f32_e32 v2, v2
	s_nop 0
	v_mul_f32_e32 v2, 0x4f7ffffe, v2
	v_cvt_u32_f32_e32 v2, v2
	s_nop 0
	v_readfirstlane_b32 s1, v2
	s_mul_i32 s0, s0, s1
	s_mul_hi_u32 s0, s1, s0
	s_add_i32 s1, s1, s0
	s_mul_hi_u32 s0, s52, s1
	s_mul_i32 s0, s0, s80
	s_sub_i32 s0, s52, s0
	s_sub_i32 s1, s0, s80
	s_cmp_ge_u32 s0, s80
	s_cselect_b32 s0, s1, s0
	s_sub_i32 s1, s0, s80
	s_cmp_ge_u32 s0, s80
	s_cselect_b32 s0, s1, s0
	s_mov_b32 s1, s81
.LBB119_83:                             ;   in Loop: Header=BB119_43 Depth=1
	s_sub_u32 s26, s52, s0
	s_subb_u32 s27, s53, s1
	s_mov_b32 s9, s81
	v_cmp_gt_u64_e32 vcc, s[26:27], v[22:23]
	v_mov_b64_e32 v[10:11], 0
	v_mov_b64_e32 v[12:13], 0
	;; [unrolled: 1-line block ×4, first 2 shown]
	s_and_saveexec_b64 s[96:97], vcc
	s_cbranch_execz .LBB119_87
; %bb.84:                               ;   in Loop: Header=BB119_43 Depth=1
	v_readlane_b32 s2, v74, 31
	v_readlane_b32 s3, v74, 32
	s_mul_i32 s0, s3, s8
	s_mul_hi_u32 s1, s2, s8
	s_mov_b32 s60, s82
	s_mov_b32 s74, s99
	s_add_i32 s85, s1, s0
	s_mul_i32 s84, s2, s8
	s_mov_b64 s[6:7], 0
	v_mov_b64_e32 v[6:7], v[34:35]
	v_mov_b64_e32 v[40:41], v[32:33]
	;; [unrolled: 1-line block ×4, first 2 shown]
	s_mov_b64 s[98:99], 0
	s_mov_b64 s[82:83], 0
	;; [unrolled: 1-line block ×4, first 2 shown]
	v_mov_b64_e32 v[46:47], v[22:23]
.LBB119_85:                             ;   Parent Loop BB119_43 Depth=1
                                        ; =>  This Inner Loop Header: Depth=2
	v_lshl_add_u64 v[16:17], v[6:7], 0, s[76:77]
	v_lshl_add_u64 v[48:49], v[40:41], 0, s[76:77]
	;; [unrolled: 1-line block ×4, first 2 shown]
	global_load_dwordx2 v[16:17], v[16:17], off
	s_nop 0
	global_load_dwordx2 v[48:49], v[48:49], off
	s_nop 0
	;; [unrolled: 2-line block ×3, first 2 shown]
	global_load_dwordx2 v[52:53], v[52:53], off
	v_mov_b32_e32 v11, v3
	v_mov_b32_e32 v13, v3
	;; [unrolled: 1-line block ×3, first 2 shown]
	v_lshl_add_u64 v[46:47], v[46:47], 0, s[80:81]
	v_cmp_le_u64_e32 vcc, s[26:27], v[46:47]
	v_lshl_add_u64 v[44:45], v[44:45], 0, s[84:85]
	v_lshl_add_u64 v[42:43], v[42:43], 0, s[84:85]
	v_lshl_add_u64 v[40:41], v[40:41], 0, s[84:85]
	v_lshl_add_u64 v[6:7], v[6:7], 0, s[84:85]
	s_waitcnt vmcnt(3)
	v_ashrrev_i32_e32 v2, 31, v17
	s_waitcnt vmcnt(2)
	v_ashrrev_i32_e32 v4, 31, v49
	v_xor_b32_e32 v14, v4, v48
	v_cmp_o_f64_e64 s[0:1], v[48:49], v[48:49]
	v_xor_b32_e32 v48, v2, v16
	v_or_b32_e32 v2, 0x80000000, v2
	s_waitcnt vmcnt(1)
	v_ashrrev_i32_e32 v10, 31, v51
	s_waitcnt vmcnt(0)
	v_ashrrev_i32_e32 v12, 31, v53
	v_cmp_o_f64_e64 s[14:15], v[16:17], v[16:17]
	v_or_b32_e32 v4, 0x80000000, v4
	v_xor_b32_e32 v2, v2, v17
	v_xor_b32_e32 v66, v10, v50
	v_cmp_o_f64_e64 s[2:3], v[50:51], v[50:51]
	v_xor_b32_e32 v67, v12, v52
	v_cmp_o_f64_e64 s[12:13], v[52:53], v[52:53]
	v_or_b32_e32 v10, 0x80000000, v10
	v_xor_b32_e32 v4, v4, v49
	v_cndmask_b32_e64 v16, -1, v48, s[14:15]
	v_cndmask_b32_e64 v17, -1, v2, s[14:15]
	v_or_b32_e32 v12, 0x80000000, v12
	v_xor_b32_e32 v10, v10, v51
	v_cndmask_b32_e64 v48, -1, v14, s[0:1]
	v_cndmask_b32_e64 v50, -1, v66, s[2:3]
	;; [unrolled: 1-line block ×4, first 2 shown]
	v_and_b32_e32 v66, v16, v36
	v_and_b32_e32 v67, v17, v37
	v_lshrrev_b64 v[16:17], s5, v[16:17]
	v_xor_b32_e32 v12, v12, v53
	v_cndmask_b32_e64 v51, -1, v10, s[2:3]
	v_and_b32_e32 v68, v48, v36
	v_and_b32_e32 v69, v49, v37
	v_lshrrev_b64 v[48:49], s5, v[48:49]
	v_and_b32_e32 v2, 3, v16
	v_cndmask_b32_e64 v53, -1, v12, s[12:13]
	v_and_b32_e32 v70, v50, v36
	v_and_b32_e32 v71, v51, v37
	v_lshrrev_b64 v[50:51], s5, v[50:51]
	v_cmp_eq_u64_e64 s[16:17], v[66:67], v[30:31]
	v_and_b32_e32 v10, 3, v48
	v_cmp_eq_u64_e64 s[2:3], 0, v[2:3]
	v_and_b32_e32 v72, v52, v36
	v_and_b32_e32 v73, v53, v37
	v_lshrrev_b64 v[52:53], s5, v[52:53]
	v_cmp_eq_u64_e64 s[14:15], v[68:69], v[30:31]
	v_and_b32_e32 v12, 3, v50
	v_cmp_eq_u64_e64 s[28:29], 0, v[10:11]
	s_and_b64 s[2:3], s[16:17], s[2:3]
	v_cmp_eq_u64_e64 s[12:13], v[70:71], v[30:31]
	v_and_b32_e32 v14, 3, v52
	v_cmp_eq_u64_e64 s[30:31], 0, v[12:13]
	v_cmp_eq_u64_e64 s[36:37], 1, v[2:3]
	;; [unrolled: 1-line block ×4, first 2 shown]
	v_cndmask_b32_e64 v2, 0, 1, s[2:3]
	s_and_b64 s[2:3], s[14:15], s[28:29]
	v_cmp_eq_u64_e64 s[0:1], v[72:73], v[30:31]
	v_cmp_eq_u64_e64 s[34:35], 0, v[14:15]
	v_cndmask_b32_e64 v4, 0, 1, s[2:3]
	s_and_b64 s[2:3], s[12:13], s[30:31]
	v_cmp_eq_u64_e64 s[38:39], 1, v[10:11]
	v_cmp_eq_u64_e64 s[46:47], 2, v[10:11]
	;; [unrolled: 1-line block ×3, first 2 shown]
	v_cndmask_b32_e64 v10, 0, 1, s[2:3]
	s_and_b64 s[2:3], s[0:1], s[34:35]
	v_cndmask_b32_e64 v11, 0, 1, s[2:3]
	v_cmp_ne_u32_e64 s[2:3], 0, v2
	v_cmp_ne_u32_e64 s[28:29], 0, v4
	;; [unrolled: 1-line block ×4, first 2 shown]
	s_bcnt1_i32_b64 s2, s[2:3]
	s_bcnt1_i32_b64 s3, s[28:29]
	;; [unrolled: 1-line block ×4, first 2 shown]
	s_add_u32 s2, s2, s86
	s_addc_u32 s29, 0, s87
	s_add_u32 s2, s2, s3
	s_addc_u32 s3, s29, 0
	s_add_u32 s2, s2, s11
	s_addc_u32 s3, s3, 0
	s_add_u32 s86, s2, s28
	s_addc_u32 s87, s3, 0
	s_and_b64 s[2:3], s[16:17], s[36:37]
	v_cmp_eq_u64_e64 s[40:41], 1, v[12:13]
	v_cndmask_b32_e64 v2, 0, 1, s[2:3]
	s_and_b64 s[2:3], s[14:15], s[38:39]
	v_cmp_eq_u64_e64 s[42:43], 1, v[14:15]
	v_cndmask_b32_e64 v4, 0, 1, s[2:3]
	s_and_b64 s[2:3], s[12:13], s[40:41]
	v_cmp_eq_u64_e64 s[48:49], 2, v[12:13]
	v_cmp_eq_u64_e64 s[20:21], 3, v[12:13]
	v_cndmask_b32_e64 v12, 0, 1, s[2:3]
	s_and_b64 s[2:3], s[0:1], s[42:43]
	v_cndmask_b32_e64 v13, 0, 1, s[2:3]
	v_cmp_ne_u32_e64 s[2:3], 0, v2
	v_cmp_ne_u32_e64 s[28:29], 0, v4
	;; [unrolled: 1-line block ×4, first 2 shown]
	s_bcnt1_i32_b64 s2, s[2:3]
	s_bcnt1_i32_b64 s3, s[28:29]
	;; [unrolled: 1-line block ×4, first 2 shown]
	s_add_u32 s2, s2, s88
	s_addc_u32 s29, 0, s89
	s_add_u32 s2, s2, s3
	s_addc_u32 s3, s29, 0
	;; [unrolled: 2-line block ×4, first 2 shown]
	s_and_b64 s[2:3], s[16:17], s[44:45]
	v_cndmask_b32_e64 v2, 0, 1, s[2:3]
	s_and_b64 s[2:3], s[14:15], s[46:47]
	v_cmp_eq_u64_e64 s[50:51], 2, v[14:15]
	v_cndmask_b32_e64 v4, 0, 1, s[2:3]
	s_and_b64 s[2:3], s[12:13], s[48:49]
	v_cmp_eq_u64_e64 s[18:19], 3, v[14:15]
	v_cndmask_b32_e64 v14, 0, 1, s[2:3]
	s_and_b64 s[2:3], s[0:1], s[50:51]
	v_cndmask_b32_e64 v15, 0, 1, s[2:3]
	v_cmp_ne_u32_e64 s[2:3], 0, v2
	v_cmp_ne_u32_e64 s[28:29], 0, v4
	;; [unrolled: 1-line block ×4, first 2 shown]
	s_bcnt1_i32_b64 s2, s[2:3]
	s_bcnt1_i32_b64 s3, s[28:29]
	;; [unrolled: 1-line block ×4, first 2 shown]
	s_add_u32 s2, s2, s82
	s_addc_u32 s29, 0, s83
	s_add_u32 s2, s2, s3
	s_addc_u32 s3, s29, 0
	;; [unrolled: 2-line block ×4, first 2 shown]
	s_and_b64 s[2:3], s[16:17], s[24:25]
	v_cndmask_b32_e64 v2, 0, 1, s[2:3]
	s_and_b64 s[2:3], s[14:15], s[22:23]
	v_cndmask_b32_e64 v4, 0, 1, s[2:3]
	s_and_b64 s[2:3], s[12:13], s[20:21]
	s_and_b64 s[0:1], s[0:1], s[18:19]
	v_cndmask_b32_e64 v16, 0, 1, s[2:3]
	v_cndmask_b32_e64 v17, 0, 1, s[0:1]
	v_cmp_ne_u32_e64 s[0:1], 0, v2
	v_cmp_ne_u32_e64 s[2:3], 0, v4
	;; [unrolled: 1-line block ×4, first 2 shown]
	s_bcnt1_i32_b64 s0, s[0:1]
	s_bcnt1_i32_b64 s1, s[2:3]
	;; [unrolled: 1-line block ×4, first 2 shown]
	s_add_u32 s0, s0, s98
	s_addc_u32 s11, 0, s99
	s_add_u32 s0, s0, s1
	s_addc_u32 s1, s11, 0
	;; [unrolled: 2-line block ×4, first 2 shown]
	v_mov_b64_e32 v[10:11], s[86:87]
	v_mov_b64_e32 v[12:13], s[88:89]
	;; [unrolled: 1-line block ×3, first 2 shown]
	s_or_b64 s[6:7], vcc, s[6:7]
	v_mov_b64_e32 v[16:17], s[98:99]
	s_andn2_b64 exec, exec, s[6:7]
	s_cbranch_execnz .LBB119_85
; %bb.86:                               ;   in Loop: Header=BB119_43 Depth=1
	s_or_b64 exec, exec, s[6:7]
	v_readlane_b32 s84, v74, 33
	v_readlane_b32 s50, v74, 35
	s_mov_b32 s99, s74
	v_readlane_b32 s74, v74, 37
	v_readlane_b32 s86, v74, 39
	;; [unrolled: 1-line block ×6, first 2 shown]
	s_mov_b32 s82, s60
.LBB119_87:                             ;   in Loop: Header=BB119_43 Depth=1
	s_or_b64 exec, exec, s[96:97]
	v_lshl_add_u64 v[6:7], s[26:27], 0, v[0:1]
	v_cmp_gt_u64_e32 vcc, s[52:53], v[6:7]
	s_and_saveexec_b64 s[2:3], vcc
	s_cbranch_execz .LBB119_93
; %bb.88:                               ;   in Loop: Header=BB119_43 Depth=1
	v_mul_lo_u32 v2, v7, s56
	v_mul_lo_u32 v4, v6, s57
	v_mad_u64_u32 v[40:41], s[0:1], v6, s56, 0
	v_add3_u32 v41, v41, v4, v2
	v_lshl_add_u64 v[40:41], v[40:41], 3, s[78:79]
	global_load_dwordx2 v[42:43], v[40:41], off
	s_mov_b64 s[6:7], 0
	s_branch .LBB119_90
.LBB119_89:                             ;   in Loop: Header=BB119_90 Depth=2
	s_or_b64 exec, exec, s[12:13]
	s_waitcnt vmcnt(0)
	v_ashrrev_i32_e32 v2, 31, v43
	v_or_b32_e32 v4, 0x80000000, v2
	s_and_b64 s[0:1], exec, vcc
	v_xor_b32_e32 v4, v4, v43
	v_xor_b32_e32 v2, v2, v42
	v_cmp_o_f64_e32 vcc, v[42:43], v[42:43]
	s_or_b64 s[6:7], s[0:1], s[6:7]
	s_nop 0
	v_cndmask_b32_e32 v43, -1, v4, vcc
	v_cndmask_b32_e32 v42, -1, v2, vcc
	v_and_b32_e32 v45, v43, v37
	v_and_b32_e32 v44, v42, v36
	v_lshrrev_b64 v[42:43], s5, v[42:43]
	v_and_b32_e32 v2, 3, v42
	v_cmp_eq_u64_e32 vcc, v[44:45], v[30:31]
	v_cmp_eq_u64_e64 s[0:1], 0, v[2:3]
	s_and_b64 s[0:1], vcc, s[0:1]
	v_mov_b64_e32 v[42:43], v[40:41]
	v_cndmask_b32_e64 v4, 0, 1, s[0:1]
	v_cmp_ne_u32_e64 s[0:1], 0, v4
	s_bcnt1_i32_b64 s80, s[0:1]
	v_cmp_eq_u64_e64 s[0:1], 1, v[2:3]
	s_and_b64 s[0:1], vcc, s[0:1]
	v_lshl_add_u64 v[10:11], s[80:81], 0, v[10:11]
	v_cndmask_b32_e64 v4, 0, 1, s[0:1]
	v_cmp_ne_u32_e64 s[0:1], 0, v4
	s_bcnt1_i32_b64 s80, s[0:1]
	v_cmp_eq_u64_e64 s[0:1], 2, v[2:3]
	s_and_b64 s[0:1], vcc, s[0:1]
	v_lshl_add_u64 v[12:13], s[80:81], 0, v[12:13]
	;; [unrolled: 6-line block ×3, first 2 shown]
	v_cndmask_b32_e64 v2, 0, 1, s[0:1]
	v_cmp_ne_u32_e32 vcc, 0, v2
	s_bcnt1_i32_b64 s80, vcc
	v_lshl_add_u64 v[16:17], s[80:81], 0, v[16:17]
	s_andn2_b64 exec, exec, s[6:7]
	s_cbranch_execz .LBB119_92
.LBB119_90:                             ;   Parent Loop BB119_43 Depth=1
                                        ; =>  This Inner Loop Header: Depth=2
	v_lshl_add_u64 v[6:7], v[6:7], 0, s[8:9]
	v_cmp_gt_u64_e64 s[0:1], s[52:53], v[6:7]
	v_cmp_le_u64_e32 vcc, s[52:53], v[6:7]
	v_mov_b64_e32 v[40:41], 0
	s_and_saveexec_b64 s[12:13], s[0:1]
	s_cbranch_execz .LBB119_89
; %bb.91:                               ;   in Loop: Header=BB119_90 Depth=2
	v_mul_lo_u32 v2, v7, s56
	v_mul_lo_u32 v4, v6, s57
	v_mad_u64_u32 v[40:41], s[0:1], v6, s56, 0
	v_add3_u32 v41, v41, v4, v2
	v_lshl_add_u64 v[40:41], v[40:41], 3, s[78:79]
	global_load_dwordx2 v[40:41], v[40:41], off
	s_branch .LBB119_89
.LBB119_92:                             ;   in Loop: Header=BB119_43 Depth=1
	s_or_b64 exec, exec, s[6:7]
.LBB119_93:                             ;   in Loop: Header=BB119_43 Depth=1
	s_or_b64 exec, exec, s[2:3]
	s_branch .LBB119_72
.LBB119_94:                             ;   in Loop: Header=BB119_43 Depth=1
	global_load_ushort v4, v3, s[86:87]
	v_mov_b64_e32 v[10:11], 0
	v_mov_b64_e32 v[12:13], 0
	;; [unrolled: 1-line block ×4, first 2 shown]
	s_waitcnt vmcnt(0)
	v_readfirstlane_b32 s0, v4
	s_and_b32 s98, 0xffff, s0
	s_lshl_b32 s80, s98, 2
	v_cvt_f32_u32_e32 v2, s80
	s_sub_i32 s0, 0, s80
	v_rcp_iflag_f32_e32 v2, v2
	s_nop 0
	v_mul_f32_e32 v2, 0x4f7ffffe, v2
	v_cvt_u32_f32_e32 v2, v2
	s_nop 0
	v_readfirstlane_b32 s1, v2
	s_mul_i32 s0, s0, s1
	s_mul_hi_u32 s0, s1, s0
	s_add_i32 s1, s1, s0
	s_mul_hi_u32 s0, s10, s1
	s_mul_i32 s1, s0, s80
	s_sub_i32 s1, s10, s1
	s_add_i32 s2, s0, 1
	s_sub_i32 s3, s1, s80
	s_cmp_ge_u32 s1, s80
	s_cselect_b32 s0, s2, s0
	s_cselect_b32 s1, s3, s1
	s_add_i32 s2, s0, 1
	s_cmp_ge_u32 s1, s80
	s_cselect_b32 s0, s2, s0
	s_mul_hi_u32 s9, s98, s0
	s_mul_i32 s8, s98, s0
	s_lshl_b64 s[26:27], s[8:9], 2
	v_cmp_gt_u64_e32 vcc, s[26:27], v[22:23]
	s_and_saveexec_b64 s[96:97], vcc
	s_cbranch_execz .LBB119_98
; %bb.95:                               ;   in Loop: Header=BB119_43 Depth=1
	s_mov_b32 s60, s82
	s_lshl_b32 s9, s98, 5
	s_mov_b64 s[6:7], 0
	v_mov_b32_e32 v46, v59
	s_mov_b64 s[82:83], 0
	s_mov_b64 s[84:85], 0
	;; [unrolled: 1-line block ×4, first 2 shown]
	v_mov_b64_e32 v[6:7], v[22:23]
.LBB119_96:                             ;   Parent Loop BB119_43 Depth=1
                                        ; =>  This Inner Loop Header: Depth=2
	ds_read_b128 v[14:17], v46
	ds_read_b128 v[10:13], v46 offset:16
	v_mov_b32_e32 v41, v3
	v_mov_b32_e32 v43, v3
	v_mov_b32_e32 v45, v3
	s_waitcnt lgkmcnt(1)
	v_ashrrev_i32_e32 v2, 31, v15
	v_ashrrev_i32_e32 v40, 31, v17
	s_waitcnt lgkmcnt(0)
	v_ashrrev_i32_e32 v42, 31, v11
	v_ashrrev_i32_e32 v44, 31, v13
	v_xor_b32_e32 v47, v40, v16
	v_cmp_o_f64_e64 s[0:1], v[16:17], v[16:17]
	v_xor_b32_e32 v16, v42, v10
	v_cmp_o_f64_e64 s[2:3], v[10:11], v[10:11]
	v_xor_b32_e32 v10, v2, v14
	v_or_b32_e32 v2, 0x80000000, v2
	v_xor_b32_e32 v48, v44, v12
	v_cmp_o_f64_e64 s[12:13], v[12:13], v[12:13]
	v_cmp_o_f64_e64 s[14:15], v[14:15], v[14:15]
	v_or_b32_e32 v12, 0x80000000, v40
	v_or_b32_e32 v14, 0x80000000, v42
	v_xor_b32_e32 v2, v2, v15
	v_or_b32_e32 v40, 0x80000000, v44
	v_xor_b32_e32 v15, v12, v17
	v_xor_b32_e32 v17, v14, v11
	v_cndmask_b32_e64 v10, -1, v10, s[14:15]
	v_cndmask_b32_e64 v11, -1, v2, s[14:15]
	v_xor_b32_e32 v40, v40, v13
	v_cndmask_b32_e64 v12, -1, v47, s[0:1]
	v_cndmask_b32_e64 v14, -1, v16, s[2:3]
	;; [unrolled: 1-line block ×4, first 2 shown]
	v_and_b32_e32 v48, v10, v36
	v_and_b32_e32 v49, v11, v37
	v_lshrrev_b64 v[10:11], s5, v[10:11]
	v_cndmask_b32_e64 v15, -1, v17, s[2:3]
	v_and_b32_e32 v50, v12, v36
	v_and_b32_e32 v51, v13, v37
	v_lshrrev_b64 v[12:13], s5, v[12:13]
	v_and_b32_e32 v2, 3, v10
	v_cndmask_b32_e64 v17, -1, v40, s[12:13]
	v_and_b32_e32 v52, v14, v36
	v_and_b32_e32 v53, v15, v37
	v_lshrrev_b64 v[14:15], s5, v[14:15]
	v_cmp_eq_u64_e64 s[16:17], v[48:49], v[30:31]
	v_and_b32_e32 v40, 3, v12
	v_cmp_eq_u64_e64 s[2:3], 0, v[2:3]
	v_and_b32_e32 v66, v16, v36
	v_and_b32_e32 v67, v17, v37
	v_lshrrev_b64 v[16:17], s5, v[16:17]
	v_cmp_eq_u64_e64 s[14:15], v[50:51], v[30:31]
	v_and_b32_e32 v42, 3, v14
	v_cmp_eq_u64_e64 s[28:29], 0, v[40:41]
	s_and_b64 s[2:3], s[16:17], s[2:3]
	v_cmp_eq_u64_e64 s[12:13], v[52:53], v[30:31]
	v_and_b32_e32 v44, 3, v16
	v_cmp_eq_u64_e64 s[30:31], 0, v[42:43]
	v_cmp_eq_u64_e64 s[36:37], 1, v[2:3]
	;; [unrolled: 1-line block ×4, first 2 shown]
	v_cndmask_b32_e64 v2, 0, 1, s[2:3]
	s_and_b64 s[2:3], s[14:15], s[28:29]
	v_cmp_eq_u64_e64 s[0:1], v[66:67], v[30:31]
	v_cmp_eq_u64_e64 s[34:35], 0, v[44:45]
	v_cndmask_b32_e64 v10, 0, 1, s[2:3]
	s_and_b64 s[2:3], s[12:13], s[30:31]
	v_cndmask_b32_e64 v11, 0, 1, s[2:3]
	s_and_b64 s[2:3], s[0:1], s[34:35]
	v_cndmask_b32_e64 v12, 0, 1, s[2:3]
	v_cmp_ne_u32_e64 s[2:3], 0, v2
	v_cmp_ne_u32_e64 s[28:29], 0, v10
	;; [unrolled: 1-line block ×4, first 2 shown]
	s_bcnt1_i32_b64 s2, s[2:3]
	s_bcnt1_i32_b64 s3, s[28:29]
	;; [unrolled: 1-line block ×4, first 2 shown]
	s_add_u32 s2, s2, s88
	s_addc_u32 s29, 0, s89
	s_add_u32 s2, s2, s3
	s_addc_u32 s3, s29, 0
	;; [unrolled: 2-line block ×3, first 2 shown]
	s_add_u32 s88, s2, s28
	v_cmp_eq_u64_e64 s[38:39], 1, v[40:41]
	s_addc_u32 s89, s3, 0
	s_and_b64 s[2:3], s[16:17], s[36:37]
	v_cmp_eq_u64_e64 s[40:41], 1, v[42:43]
	v_cndmask_b32_e64 v2, 0, 1, s[2:3]
	s_and_b64 s[2:3], s[14:15], s[38:39]
	v_cmp_eq_u64_e64 s[42:43], 1, v[44:45]
	v_cndmask_b32_e64 v12, 0, 1, s[2:3]
	s_and_b64 s[2:3], s[12:13], s[40:41]
	v_cndmask_b32_e64 v13, 0, 1, s[2:3]
	s_and_b64 s[2:3], s[0:1], s[42:43]
	v_cndmask_b32_e64 v14, 0, 1, s[2:3]
	v_cmp_ne_u32_e64 s[2:3], 0, v2
	v_cmp_ne_u32_e64 s[28:29], 0, v12
	;; [unrolled: 1-line block ×4, first 2 shown]
	s_bcnt1_i32_b64 s2, s[2:3]
	s_bcnt1_i32_b64 s3, s[28:29]
	;; [unrolled: 1-line block ×4, first 2 shown]
	s_add_u32 s2, s2, s86
	s_addc_u32 s29, 0, s87
	s_add_u32 s2, s2, s3
	s_addc_u32 s3, s29, 0
	;; [unrolled: 2-line block ×3, first 2 shown]
	s_add_u32 s86, s2, s28
	v_cmp_eq_u64_e64 s[46:47], 2, v[40:41]
	s_addc_u32 s87, s3, 0
	s_and_b64 s[2:3], s[16:17], s[44:45]
	v_cmp_eq_u64_e64 s[48:49], 2, v[42:43]
	v_cndmask_b32_e64 v2, 0, 1, s[2:3]
	s_and_b64 s[2:3], s[14:15], s[46:47]
	v_cmp_eq_u64_e64 s[50:51], 2, v[44:45]
	v_cndmask_b32_e64 v14, 0, 1, s[2:3]
	s_and_b64 s[2:3], s[12:13], s[48:49]
	v_cndmask_b32_e64 v15, 0, 1, s[2:3]
	s_and_b64 s[2:3], s[0:1], s[50:51]
	v_cndmask_b32_e64 v16, 0, 1, s[2:3]
	v_cmp_ne_u32_e64 s[2:3], 0, v2
	v_cmp_ne_u32_e64 s[28:29], 0, v14
	v_cmp_ne_u32_e64 s[30:31], 0, v15
	v_cmp_ne_u32_e64 s[34:35], 0, v16
	s_bcnt1_i32_b64 s2, s[2:3]
	s_bcnt1_i32_b64 s3, s[28:29]
	;; [unrolled: 1-line block ×4, first 2 shown]
	s_add_u32 s2, s2, s84
	s_addc_u32 s29, 0, s85
	s_add_u32 s2, s2, s3
	s_addc_u32 s3, s29, 0
	;; [unrolled: 2-line block ×3, first 2 shown]
	s_add_u32 s84, s2, s28
	v_cmp_eq_u64_e64 s[22:23], 3, v[40:41]
	s_addc_u32 s85, s3, 0
	s_and_b64 s[2:3], s[16:17], s[24:25]
	v_cmp_eq_u64_e64 s[20:21], 3, v[42:43]
	v_cmp_eq_u64_e64 s[18:19], 3, v[44:45]
	v_cndmask_b32_e64 v2, 0, 1, s[2:3]
	s_and_b64 s[2:3], s[14:15], s[22:23]
	v_cndmask_b32_e64 v16, 0, 1, s[2:3]
	s_and_b64 s[2:3], s[12:13], s[20:21]
	s_and_b64 s[0:1], s[0:1], s[18:19]
	v_cndmask_b32_e64 v17, 0, 1, s[2:3]
	v_cndmask_b32_e64 v40, 0, 1, s[0:1]
	v_cmp_ne_u32_e64 s[0:1], 0, v2
	v_cmp_ne_u32_e64 s[2:3], 0, v16
	;; [unrolled: 1-line block ×4, first 2 shown]
	s_bcnt1_i32_b64 s0, s[0:1]
	s_bcnt1_i32_b64 s1, s[2:3]
	;; [unrolled: 1-line block ×4, first 2 shown]
	s_add_u32 s0, s0, s82
	s_addc_u32 s11, 0, s83
	s_add_u32 s0, s0, s1
	s_addc_u32 s1, s11, 0
	s_add_u32 s0, s0, s2
	s_addc_u32 s1, s1, 0
	v_lshl_add_u64 v[6:7], v[6:7], 0, s[80:81]
	s_add_u32 s82, s0, s3
	v_cmp_le_u64_e32 vcc, s[26:27], v[6:7]
	s_addc_u32 s83, s1, 0
	v_add_u32_e32 v46, s9, v46
	v_mov_b64_e32 v[10:11], s[88:89]
	v_mov_b64_e32 v[12:13], s[86:87]
	;; [unrolled: 1-line block ×3, first 2 shown]
	s_or_b64 s[6:7], vcc, s[6:7]
	v_mov_b64_e32 v[16:17], s[82:83]
	s_andn2_b64 exec, exec, s[6:7]
	s_cbranch_execnz .LBB119_96
; %bb.97:                               ;   in Loop: Header=BB119_43 Depth=1
	s_or_b64 exec, exec, s[6:7]
	v_readlane_b32 s84, v74, 33
	v_readlane_b32 s50, v74, 35
	v_readlane_b32 s74, v74, 37
	v_readlane_b32 s86, v74, 39
	v_readlane_b32 s85, v74, 34
	v_readlane_b32 s51, v74, 36
	v_readlane_b32 s75, v74, 38
	v_readlane_b32 s87, v74, 40
	s_mov_b32 s82, s60
.LBB119_98:                             ;   in Loop: Header=BB119_43 Depth=1
	s_or_b64 exec, exec, s[96:97]
	s_and_b32 s6, s10, 0x7fffffff
	s_mov_b32 s7, s81
	v_lshl_add_u64 v[40:41], s[26:27], 0, v[0:1]
	v_and_b32_e32 v6, 0xffff, v4
	v_mov_b32_e32 v7, v3
	v_cmp_gt_u64_e32 vcc, s[6:7], v[40:41]
	s_and_saveexec_b64 s[10:11], vcc
	s_cbranch_execz .LBB119_102
; %bb.99:                               ;   in Loop: Header=BB119_43 Depth=1
	v_lshl_add_u32 v4, s8, 5, v55
	s_lshl_b32 s18, s98, 3
	s_mov_b64 s[8:9], 0
.LBB119_100:                            ;   Parent Loop BB119_43 Depth=1
                                        ; =>  This Inner Loop Header: Depth=2
	ds_read_b64 v[42:43], v4
	v_lshl_add_u64 v[40:41], v[40:41], 0, v[6:7]
	v_cmp_le_u64_e32 vcc, s[6:7], v[40:41]
	v_add_u32_e32 v4, s18, v4
	s_waitcnt lgkmcnt(0)
	v_ashrrev_i32_e32 v2, 31, v43
	v_or_b32_e32 v44, 0x80000000, v2
	v_xor_b32_e32 v2, v2, v42
	v_xor_b32_e32 v44, v44, v43
	v_cmp_o_f64_e64 s[0:1], v[42:43], v[42:43]
	s_nop 1
	v_cndmask_b32_e64 v43, -1, v44, s[0:1]
	v_cndmask_b32_e64 v42, -1, v2, s[0:1]
	v_and_b32_e32 v45, v43, v37
	v_and_b32_e32 v44, v42, v36
	v_lshrrev_b64 v[42:43], s5, v[42:43]
	v_and_b32_e32 v2, 3, v42
	v_cmp_eq_u64_e64 s[0:1], v[44:45], v[30:31]
	v_cmp_eq_u64_e64 s[2:3], 0, v[2:3]
	;; [unrolled: 1-line block ×3, first 2 shown]
	s_and_b64 s[2:3], s[0:1], s[2:3]
	v_cmp_eq_u64_e64 s[14:15], 2, v[2:3]
	v_cmp_eq_u64_e64 s[16:17], 3, v[2:3]
	v_cndmask_b32_e64 v2, 0, 1, s[2:3]
	s_and_b64 s[2:3], s[0:1], s[12:13]
	v_cndmask_b32_e64 v42, 0, 1, s[2:3]
	s_and_b64 s[2:3], s[0:1], s[14:15]
	s_and_b64 s[0:1], s[0:1], s[16:17]
	v_cndmask_b32_e64 v44, 0, 1, s[0:1]
	v_cmp_ne_u32_e64 s[0:1], 0, v2
	v_cndmask_b32_e64 v43, 0, 1, s[2:3]
	v_cmp_ne_u32_e64 s[2:3], 0, v42
	s_bcnt1_i32_b64 s80, s[0:1]
	v_cmp_ne_u32_e64 s[12:13], 0, v43
	v_lshl_add_u64 v[10:11], s[80:81], 0, v[10:11]
	s_bcnt1_i32_b64 s80, s[2:3]
	v_cmp_ne_u32_e64 s[14:15], 0, v44
	v_lshl_add_u64 v[12:13], s[80:81], 0, v[12:13]
	s_bcnt1_i32_b64 s80, s[12:13]
	v_lshl_add_u64 v[14:15], s[80:81], 0, v[14:15]
	s_bcnt1_i32_b64 s80, s[14:15]
	s_or_b64 s[8:9], vcc, s[8:9]
	v_lshl_add_u64 v[16:17], s[80:81], 0, v[16:17]
	s_andn2_b64 exec, exec, s[8:9]
	s_cbranch_execnz .LBB119_100
; %bb.101:                              ;   in Loop: Header=BB119_43 Depth=1
	s_or_b64 exec, exec, s[8:9]
.LBB119_102:                            ;   in Loop: Header=BB119_43 Depth=1
	s_or_b64 exec, exec, s[10:11]
	s_lshl_b32 s2, s82, 6
	s_and_saveexec_b64 s[0:1], s[84:85]
	s_cbranch_execnz .LBB119_73
	s_branch .LBB119_74
.LBB119_103:                            ;   in Loop: Header=BB119_43 Depth=1
                                        ; implicit-def: $sgpr0_sgpr1
	s_branch .LBB119_82
.LBB119_104:                            ;   in Loop: Header=BB119_43 Depth=1
	s_mov_b32 s3, 0
	v_mov_b64_e32 v[6:7], 0
.LBB119_105:                            ;   in Loop: Header=BB119_43 Depth=1
	v_readlane_b32 s6, v74, 25
	v_readlane_b32 s7, v74, 26
	s_andn2_b64 vcc, exec, s[6:7]
	s_cbranch_vccnz .LBB119_108
; %bb.106:                              ;   in Loop: Header=BB119_43 Depth=1
	s_lshl_b32 s6, s82, 9
	s_lshl_b32 s3, s3, 5
	s_add_i32 s6, s6, s3
	v_add_u32_e32 v2, s6, v60
	v_readlane_b32 s3, v74, 24
.LBB119_107:                            ;   Parent Loop BB119_43 Depth=1
                                        ; =>  This Inner Loop Header: Depth=2
	ds_read_b64 v[10:11], v2
	s_add_i32 s3, s3, -1
	v_add_u32_e32 v2, 32, v2
	s_cmp_lg_u32 s3, 0
	s_waitcnt lgkmcnt(0)
	v_lshl_add_u64 v[6:7], v[10:11], 0, v[6:7]
	s_cbranch_scc1 .LBB119_107
.LBB119_108:                            ;   in Loop: Header=BB119_43 Depth=1
	v_add_lshl_u32 v2, s2, v54, 3
	ds_write_b64 v2, v[6:7] offset:3072
.LBB119_109:                            ;   in Loop: Header=BB119_43 Depth=1
	s_or_b64 exec, exec, s[0:1]
	s_lshl_b32 s0, s2, 3
	v_mov_b32_e32 v2, s0
	s_waitcnt lgkmcnt(0)
	s_barrier
	ds_read_b128 v[14:17], v2 offset:3088
	ds_read_b128 v[10:13], v2 offset:3072
	s_lshl_b64 s[12:13], 3, s5
	v_cmp_eq_u64_e64 s[0:1], 1, v[38:39]
	s_not_b64 s[22:23], s[12:13]
	s_waitcnt lgkmcnt(1)
	v_readfirstlane_b32 s20, v14
	s_waitcnt lgkmcnt(0)
	v_cmp_eq_u64_e32 vcc, 1, v[10:11]
	v_readfirstlane_b32 s21, v15
	v_readfirstlane_b32 s2, v16
	;; [unrolled: 1-line block ×3, first 2 shown]
	s_and_b64 s[8:9], vcc, s[0:1]
	s_mov_b64 s[0:1], -1
	s_mov_b64 s[16:17], -1
                                        ; implicit-def: $sgpr14_sgpr15
                                        ; implicit-def: $sgpr6_sgpr7
	s_and_saveexec_b64 s[10:11], s[8:9]
	s_cbranch_execz .LBB119_143
; %bb.110:                              ;   in Loop: Header=BB119_43 Depth=1
	ds_read_b64 v[6:7], v3 offset:5120
	s_waitcnt lgkmcnt(0)
	s_barrier
	v_readfirstlane_b32 s18, v6
	v_readfirstlane_b32 s19, v7
	s_mov_b64 s[6:7], exec
	v_readlane_b32 s14, v74, 14
	v_readlane_b32 s15, v74, 15
	s_and_b64 s[14:15], s[6:7], s[14:15]
	s_mov_b64 exec, s[14:15]
; %bb.111:                              ;   in Loop: Header=BB119_43 Depth=1
	ds_write_b64 v56, v[64:65]
; %bb.112:                              ;   in Loop: Header=BB119_43 Depth=1
	s_or_b64 exec, exec, s[6:7]
	v_and_b32_e32 v31, s23, v31
	v_and_b32_e32 v30, s22, v30
	v_or_b32_e32 v37, s13, v37
	v_or_b32_e32 v36, s12, v36
	s_mov_b64 s[6:7], -1
	s_mov_b64 s[14:15], 0
	s_cmp_eq_u64 s[18:19], 0
	s_mov_b64 s[16:17], 0
	s_mov_b64 s[24:25], -1
	s_waitcnt lgkmcnt(0)
	s_barrier
                                        ; implicit-def: $vgpr8_vgpr9
	s_cbranch_scc1 .LBB119_127
; %bb.113:                              ;   in Loop: Header=BB119_43 Depth=1
	v_readlane_b32 s16, v74, 20
	s_add_u32 s28, s18, s16
	v_readlane_b32 s16, v74, 21
	s_addc_u32 s17, s19, s16
	s_mov_b32 s16, s81
	s_cmp_lg_u64 s[16:17], 0
	s_cbranch_scc0 .LBB119_170
; %bb.114:                              ;   in Loop: Header=BB119_43 Depth=1
	v_cvt_f32_u32_e32 v2, s72
	s_sub_u32 s16, 0, s72
	s_subb_u32 s26, 0, 0
	v_fmac_f32_e32 v2, 0, v61
	v_rcp_f32_e32 v2, v2
	s_nop 0
	v_mul_f32_e32 v2, 0x5f7ffffc, v2
	v_mul_f32_e32 v4, 0x2f800000, v2
	v_trunc_f32_e32 v4, v4
	v_fmac_f32_e32 v2, 0xcf800000, v4
	v_cvt_u32_f32_e32 v4, v4
	v_cvt_u32_f32_e32 v2, v2
	v_readfirstlane_b32 s27, v4
	v_readfirstlane_b32 s24, v2
	s_mul_i32 s25, s16, s27
	s_mul_hi_u32 s30, s16, s24
	s_mul_i32 s29, s26, s24
	s_add_i32 s25, s30, s25
	s_mul_i32 s31, s16, s24
	s_add_i32 s25, s25, s29
	s_mul_hi_u32 s30, s24, s31
	s_mul_i32 s34, s24, s25
	s_mul_hi_u32 s29, s24, s25
	s_add_u32 s30, s30, s34
	s_addc_u32 s29, 0, s29
	s_mul_hi_u32 s35, s27, s31
	s_mul_i32 s31, s27, s31
	s_add_u32 s30, s30, s31
	s_mul_hi_u32 s34, s27, s25
	s_addc_u32 s29, s29, s35
	s_addc_u32 s30, s34, 0
	s_mul_i32 s25, s27, s25
	s_add_u32 s25, s29, s25
	s_addc_u32 s29, 0, s30
	s_add_u32 s30, s24, s25
	s_cselect_b64 s[24:25], -1, 0
	s_cmp_lg_u64 s[24:25], 0
	s_addc_u32 s27, s27, s29
	s_mul_i32 s24, s16, s27
	s_mul_hi_u32 s25, s16, s30
	s_add_i32 s24, s25, s24
	s_mul_i32 s26, s26, s30
	s_add_i32 s24, s24, s26
	s_mul_i32 s16, s16, s30
	s_mul_hi_u32 s26, s27, s16
	s_mul_i32 s29, s27, s16
	s_mul_i32 s34, s30, s24
	s_mul_hi_u32 s16, s30, s16
	s_mul_hi_u32 s31, s30, s24
	s_add_u32 s16, s16, s34
	s_addc_u32 s31, 0, s31
	s_add_u32 s16, s16, s29
	s_mul_hi_u32 s25, s27, s24
	s_addc_u32 s16, s31, s26
	s_addc_u32 s25, s25, 0
	s_mul_i32 s24, s27, s24
	s_add_u32 s16, s16, s24
	s_addc_u32 s26, 0, s25
	s_add_u32 s16, s30, s16
	s_cselect_b64 s[24:25], -1, 0
	s_cmp_lg_u64 s[24:25], 0
	s_addc_u32 s24, s27, s26
	s_mul_i32 s26, s28, s24
	s_mul_hi_u32 s27, s28, s16
	s_mul_hi_u32 s25, s28, s24
	s_add_u32 s26, s27, s26
	s_addc_u32 s25, 0, s25
	s_mul_hi_u32 s29, s17, s16
	s_mul_i32 s16, s17, s16
	s_add_u32 s16, s26, s16
	s_mul_hi_u32 s27, s17, s24
	s_addc_u32 s16, s25, s29
	s_addc_u32 s25, s27, 0
	s_mul_i32 s24, s17, s24
	s_add_u32 s16, s16, s24
	s_addc_u32 s24, 0, s25
	s_mul_i32 s24, s72, s24
	s_mul_hi_u32 s25, s72, s16
	s_add_i32 s26, s25, s24
	s_mul_i32 s16, s72, s16
	s_sub_u32 s16, s28, s16
	s_cselect_b64 s[24:25], -1, 0
	s_cmp_lg_u64 s[24:25], 0
	s_subb_u32 s26, s17, s26
	s_sub_u32 s27, s16, s72
	s_cselect_b64 s[24:25], -1, 0
	s_cmp_lg_u64 s[24:25], 0
	s_subb_u32 s29, s26, 0
	;; [unrolled: 4-line block ×3, first 2 shown]
	s_cmp_ge_u32 s27, s72
	s_cselect_b32 s25, -1, 0
	s_cmp_eq_u32 s29, 0
	s_cselect_b32 s25, s25, -1
	s_cmp_lg_u32 s25, 0
	s_cselect_b32 s24, s24, s29
	s_cselect_b32 s27, s30, s27
	s_cmp_ge_u32 s16, s72
	s_cselect_b32 s25, -1, 0
	s_cmp_eq_u32 s26, 0
	s_cselect_b32 s25, s25, -1
	s_cmp_lg_u32 s25, 0
	s_cselect_b32 s25, s24, s26
	s_cselect_b32 s24, s27, s16
	s_cbranch_execnz .LBB119_116
.LBB119_115:                            ;   in Loop: Header=BB119_43 Depth=1
	v_cvt_f32_u32_e32 v2, s72
	s_sub_i32 s16, 0, s72
	v_rcp_iflag_f32_e32 v2, v2
	s_nop 0
	v_mul_f32_e32 v2, 0x4f7ffffe, v2
	v_cvt_u32_f32_e32 v2, v2
	s_nop 0
	v_readfirstlane_b32 s24, v2
	s_mul_i32 s16, s16, s24
	s_mul_hi_u32 s16, s24, s16
	s_add_i32 s24, s24, s16
	s_mul_hi_u32 s16, s28, s24
	s_mul_i32 s16, s16, s72
	s_sub_i32 s16, s28, s16
	s_sub_i32 s24, s16, s72
	s_cmp_ge_u32 s16, s72
	s_cselect_b32 s16, s24, s16
	s_sub_i32 s24, s16, s72
	s_cmp_ge_u32 s16, s72
	s_cselect_b32 s80, s24, s16
	s_mov_b64 s[24:25], s[80:81]
.LBB119_116:                            ;   in Loop: Header=BB119_43 Depth=1
	s_sub_u32 s28, s28, s24
	s_subb_u32 s29, s17, s25
	v_cmp_gt_u64_e32 vcc, s[28:29], v[0:1]
	s_mov_b64 s[24:25], 0
	s_mov_b64 s[16:17], 0
                                        ; implicit-def: $vgpr8_vgpr9
	s_and_saveexec_b64 s[26:27], vcc
	s_cbranch_execz .LBB119_126
; %bb.117:                              ;   in Loop: Header=BB119_43 Depth=1
	v_mov_b32_e32 v2, v55
	v_mov_b64_e32 v[14:15], v[0:1]
                                        ; implicit-def: $sgpr30_sgpr31
	s_branch .LBB119_121
.LBB119_118:                            ;   in Loop: Header=BB119_121 Depth=2
	s_or_b64 exec, exec, s[34:35]
	s_waitcnt lgkmcnt(0)
	s_barrier
	ds_read_b128 v[6:9], v3 offset:3072
	s_waitcnt lgkmcnt(0)
	s_barrier
	v_cmp_neq_f64_e32 vcc, 0, v[6:7]
	s_cbranch_vccnz .LBB119_124
; %bb.119:                              ;   in Loop: Header=BB119_121 Depth=2
	v_lshl_add_u64 v[14:15], v[14:15], 0, s[72:73]
	v_cmp_le_u64_e32 vcc, s[28:29], v[14:15]
	v_add_u32_e32 v2, s4, v2
	s_mov_b64 s[34:35], 0
	s_orn2_b64 s[36:37], vcc, exec
.LBB119_120:                            ;   in Loop: Header=BB119_121 Depth=2
	s_and_b64 s[36:37], exec, s[36:37]
	s_or_b64 s[16:17], s[36:37], s[16:17]
	s_andn2_b64 s[30:31], s[30:31], exec
	s_and_b64 s[34:35], s[34:35], exec
	s_or_b64 s[30:31], s[30:31], s[34:35]
	s_andn2_b64 exec, exec, s[16:17]
	s_cbranch_execz .LBB119_125
.LBB119_121:                            ;   Parent Loop BB119_43 Depth=1
                                        ; =>  This Inner Loop Header: Depth=2
	v_cmp_gt_u64_e32 vcc, s[18:19], v[14:15]
	s_and_saveexec_b64 s[34:35], vcc
	s_cbranch_execz .LBB119_118
; %bb.122:                              ;   in Loop: Header=BB119_121 Depth=2
	ds_read_b64 v[6:7], v2
	s_waitcnt lgkmcnt(0)
	v_ashrrev_i32_e32 v4, 31, v7
	v_or_b32_e32 v8, 0x80000000, v4
	v_xor_b32_e32 v4, v4, v6
	v_xor_b32_e32 v8, v8, v7
	v_cmp_o_f64_e32 vcc, v[6:7], v[6:7]
	s_nop 1
	v_cndmask_b32_e32 v4, -1, v4, vcc
	v_cndmask_b32_e32 v8, -1, v8, vcc
	v_and_b32_e32 v9, v8, v37
	v_and_b32_e32 v8, v4, v36
	v_cmp_eq_u64_e32 vcc, v[8:9], v[30:31]
	s_and_b64 exec, exec, vcc
	s_cbranch_execz .LBB119_118
; %bb.123:                              ;   in Loop: Header=BB119_121 Depth=2
	v_mov_b32_e32 v4, v3
	ds_write_b128 v3, v[4:7] offset:3072
	s_branch .LBB119_118
.LBB119_124:                            ;   in Loop: Header=BB119_121 Depth=2
	s_mov_b64 s[36:37], -1
                                        ; implicit-def: $vgpr14_vgpr15
                                        ; implicit-def: $vgpr2
	s_mov_b64 s[34:35], -1
	s_branch .LBB119_120
.LBB119_125:                            ;   in Loop: Header=BB119_43 Depth=1
	s_or_b64 exec, exec, s[16:17]
	s_and_b64 s[16:17], s[30:31], exec
.LBB119_126:                            ;   in Loop: Header=BB119_43 Depth=1
	s_or_b64 exec, exec, s[26:27]
.LBB119_127:                            ;   in Loop: Header=BB119_43 Depth=1
	s_and_b64 vcc, exec, s[24:25]
	s_cbranch_vccz .LBB119_142
; %bb.128:                              ;   in Loop: Header=BB119_43 Depth=1
	s_mov_b32 s60, s81
	s_cmp_lg_u64 s[60:61], 0
	s_cbranch_scc0 .LBB119_174
; %bb.129:                              ;   in Loop: Header=BB119_43 Depth=1
	v_cvt_f32_u32_e32 v2, s72
	s_sub_u32 s14, 0, s72
	s_subb_u32 s15, 0, 0
	v_fmac_f32_e32 v2, 0, v61
	v_rcp_f32_e32 v2, v2
	s_nop 0
	v_mul_f32_e32 v2, 0x5f7ffffc, v2
	v_mul_f32_e32 v4, 0x2f800000, v2
	v_trunc_f32_e32 v4, v4
	v_fmac_f32_e32 v2, 0xcf800000, v4
	v_cvt_u32_f32_e32 v4, v4
	v_cvt_u32_f32_e32 v2, v2
	v_readfirstlane_b32 s18, v4
	v_readfirstlane_b32 s6, v2
	s_mul_i32 s7, s14, s18
	s_mul_hi_u32 s24, s14, s6
	s_mul_i32 s19, s15, s6
	s_add_i32 s7, s24, s7
	s_mul_i32 s25, s14, s6
	s_add_i32 s7, s7, s19
	s_mul_hi_u32 s24, s6, s25
	s_mul_i32 s26, s6, s7
	s_mul_hi_u32 s19, s6, s7
	s_add_u32 s24, s24, s26
	s_addc_u32 s19, 0, s19
	s_mul_hi_u32 s27, s18, s25
	s_mul_i32 s25, s18, s25
	s_add_u32 s24, s24, s25
	s_mul_hi_u32 s26, s18, s7
	s_addc_u32 s19, s19, s27
	s_addc_u32 s24, s26, 0
	s_mul_i32 s7, s18, s7
	s_add_u32 s7, s19, s7
	s_addc_u32 s19, 0, s24
	s_add_u32 s24, s6, s7
	s_cselect_b64 s[6:7], -1, 0
	s_cmp_lg_u64 s[6:7], 0
	s_addc_u32 s18, s18, s19
	s_mul_i32 s6, s14, s18
	s_mul_hi_u32 s7, s14, s24
	s_add_i32 s6, s7, s6
	s_mul_i32 s15, s15, s24
	s_add_i32 s6, s6, s15
	s_mul_i32 s14, s14, s24
	s_mul_hi_u32 s15, s18, s14
	s_mul_i32 s19, s18, s14
	s_mul_i32 s26, s24, s6
	s_mul_hi_u32 s14, s24, s14
	s_mul_hi_u32 s25, s24, s6
	s_add_u32 s14, s14, s26
	s_addc_u32 s25, 0, s25
	s_add_u32 s14, s14, s19
	s_mul_hi_u32 s7, s18, s6
	s_addc_u32 s14, s25, s15
	s_addc_u32 s7, s7, 0
	s_mul_i32 s6, s18, s6
	s_add_u32 s6, s14, s6
	s_addc_u32 s14, 0, s7
	s_add_u32 s15, s24, s6
	s_cselect_b64 s[6:7], -1, 0
	s_cmp_lg_u64 s[6:7], 0
	s_addc_u32 s6, s18, s14
	s_mul_i32 s14, s99, s6
	s_mul_hi_u32 s18, s99, s15
	s_mul_hi_u32 s7, s99, s6
	s_add_u32 s14, s18, s14
	s_addc_u32 s7, 0, s7
	s_mul_hi_u32 s19, s61, s15
	s_mul_i32 s15, s61, s15
	s_add_u32 s14, s14, s15
	s_mul_hi_u32 s18, s61, s6
	s_addc_u32 s7, s7, s19
	s_addc_u32 s14, s18, 0
	s_mul_i32 s6, s61, s6
	s_add_u32 s6, s7, s6
	s_addc_u32 s7, 0, s14
	s_mul_i32 s7, s72, s7
	s_mul_hi_u32 s14, s72, s6
	s_add_i32 s14, s14, s7
	s_mul_i32 s6, s72, s6
	s_sub_u32 s15, s99, s6
	s_cselect_b64 s[6:7], -1, 0
	s_cmp_lg_u64 s[6:7], 0
	s_subb_u32 s14, s61, s14
	s_sub_u32 s18, s15, s72
	s_cselect_b64 s[6:7], -1, 0
	s_cmp_lg_u64 s[6:7], 0
	s_subb_u32 s19, s14, 0
	;; [unrolled: 4-line block ×3, first 2 shown]
	s_cmp_ge_u32 s18, s72
	s_cselect_b32 s7, -1, 0
	s_cmp_eq_u32 s19, 0
	s_cselect_b32 s7, s7, -1
	s_cmp_lg_u32 s7, 0
	s_cselect_b32 s6, s6, s19
	s_cselect_b32 s18, s24, s18
	s_cmp_ge_u32 s15, s72
	s_cselect_b32 s7, -1, 0
	s_cmp_eq_u32 s14, 0
	s_cselect_b32 s7, s7, -1
	s_cmp_lg_u32 s7, 0
	s_cselect_b32 s7, s6, s14
	s_cselect_b32 s6, s18, s15
	s_cbranch_execnz .LBB119_131
.LBB119_130:                            ;   in Loop: Header=BB119_43 Depth=1
	v_cvt_f32_u32_e32 v2, s72
	s_sub_i32 s6, 0, s72
	v_rcp_iflag_f32_e32 v2, v2
	s_nop 0
	v_mul_f32_e32 v2, 0x4f7ffffe, v2
	v_cvt_u32_f32_e32 v2, v2
	s_nop 0
	v_readfirstlane_b32 s7, v2
	s_mul_i32 s6, s6, s7
	s_mul_hi_u32 s6, s7, s6
	s_add_i32 s7, s7, s6
	s_mul_hi_u32 s6, s99, s7
	s_mul_i32 s6, s6, s72
	s_sub_i32 s6, s99, s6
	s_sub_i32 s7, s6, s72
	s_cmp_ge_u32 s6, s72
	s_cselect_b32 s6, s7, s6
	s_sub_i32 s7, s6, s72
	s_cmp_ge_u32 s6, s72
	s_cselect_b32 s80, s7, s6
	s_mov_b64 s[6:7], s[80:81]
.LBB119_131:                            ;   in Loop: Header=BB119_43 Depth=1
	s_sub_u32 s14, s99, s6
	s_subb_u32 s15, s61, s7
	v_cmp_gt_u64_e32 vcc, s[14:15], v[0:1]
                                        ; implicit-def: $vgpr8_vgpr9
	s_and_saveexec_b64 s[6:7], vcc
	s_cbranch_execz .LBB119_141
; %bb.132:                              ;   in Loop: Header=BB119_43 Depth=1
	s_mov_b64 s[24:25], 0
	v_mov_b64_e32 v[14:15], v[18:19]
	v_mov_b64_e32 v[16:17], v[0:1]
                                        ; implicit-def: $sgpr18_sgpr19
	s_branch .LBB119_136
.LBB119_133:                            ;   in Loop: Header=BB119_136 Depth=2
	s_or_b64 exec, exec, s[26:27]
	s_waitcnt lgkmcnt(0)
	s_barrier
	ds_read_b128 v[6:9], v3 offset:3072
	s_waitcnt lgkmcnt(0)
	s_barrier
	v_cmp_neq_f64_e32 vcc, 0, v[6:7]
	s_cbranch_vccnz .LBB119_139
; %bb.134:                              ;   in Loop: Header=BB119_136 Depth=2
	v_lshl_add_u64 v[16:17], v[16:17], 0, s[72:73]
	v_cmp_le_u64_e32 vcc, s[14:15], v[16:17]
	v_lshl_add_u64 v[14:15], v[14:15], 0, s[74:75]
	s_mov_b64 s[26:27], 0
	s_orn2_b64 s[28:29], vcc, exec
.LBB119_135:                            ;   in Loop: Header=BB119_136 Depth=2
	s_and_b64 s[28:29], exec, s[28:29]
	s_or_b64 s[24:25], s[28:29], s[24:25]
	s_andn2_b64 s[18:19], s[18:19], exec
	s_and_b64 s[26:27], s[26:27], exec
	s_or_b64 s[18:19], s[18:19], s[26:27]
	s_andn2_b64 exec, exec, s[24:25]
	s_cbranch_execz .LBB119_140
.LBB119_136:                            ;   Parent Loop BB119_43 Depth=1
                                        ; =>  This Inner Loop Header: Depth=2
	v_cmp_gt_u64_e32 vcc, s[52:53], v[16:17]
	s_and_saveexec_b64 s[26:27], vcc
	s_cbranch_execz .LBB119_133
; %bb.137:                              ;   in Loop: Header=BB119_136 Depth=2
	global_load_dwordx2 v[6:7], v[14:15], off
	s_waitcnt vmcnt(0)
	v_ashrrev_i32_e32 v2, 31, v7
	v_or_b32_e32 v4, 0x80000000, v2
	v_xor_b32_e32 v2, v2, v6
	v_xor_b32_e32 v4, v4, v7
	v_cmp_o_f64_e32 vcc, v[6:7], v[6:7]
	s_nop 1
	v_cndmask_b32_e32 v2, -1, v2, vcc
	v_cndmask_b32_e32 v4, -1, v4, vcc
	v_and_b32_e32 v9, v4, v37
	v_and_b32_e32 v8, v2, v36
	v_cmp_eq_u64_e32 vcc, v[8:9], v[30:31]
	s_and_b64 exec, exec, vcc
	s_cbranch_execz .LBB119_133
; %bb.138:                              ;   in Loop: Header=BB119_136 Depth=2
	v_mov_b32_e32 v4, v3
	ds_write_b128 v3, v[4:7] offset:3072
	s_branch .LBB119_133
.LBB119_139:                            ;   in Loop: Header=BB119_136 Depth=2
	s_mov_b64 s[28:29], -1
                                        ; implicit-def: $vgpr16_vgpr17
                                        ; implicit-def: $vgpr14_vgpr15
	s_mov_b64 s[26:27], -1
	s_branch .LBB119_135
.LBB119_140:                            ;   in Loop: Header=BB119_43 Depth=1
	s_or_b64 exec, exec, s[24:25]
	s_andn2_b64 s[14:15], s[16:17], exec
	s_and_b64 s[16:17], s[18:19], exec
	s_or_b64 s[16:17], s[14:15], s[16:17]
.LBB119_141:                            ;   in Loop: Header=BB119_43 Depth=1
	s_or_b64 exec, exec, s[6:7]
	s_mov_b64 s[6:7], 0
	s_mov_b64 s[14:15], -1
.LBB119_142:                            ;   in Loop: Header=BB119_43 Depth=1
	s_orn2_b64 s[16:17], s[16:17], exec
.LBB119_143:                            ;   in Loop: Header=BB119_43 Depth=1
	s_or_b64 exec, exec, s[10:11]
	s_andn2_b64 s[10:11], s[92:93], exec
	s_and_b64 s[14:15], s[14:15], exec
	s_or_b64 s[92:93], s[10:11], s[14:15]
	s_andn2_b64 s[10:11], s[90:91], exec
	s_and_b64 s[6:7], s[6:7], exec
	s_andn2_b64 s[94:95], s[94:95], exec
	s_or_b64 s[90:91], s[10:11], s[6:7]
                                        ; implicit-def: $vgpr14_vgpr15
	s_and_saveexec_b64 s[14:15], s[16:17]
	s_cbranch_execz .LBB119_42
; %bb.144:                              ;   in Loop: Header=BB119_43 Depth=1
	s_xor_b64 s[6:7], s[8:9], -1
	v_mov_b32_e32 v2, 1
	s_mov_b64 s[8:9], 0
	v_mov_b64_e32 v[14:15], 1
	s_and_saveexec_b64 s[0:1], s[6:7]
	s_cbranch_execz .LBB119_153
; %bb.145:                              ;   in Loop: Header=BB119_43 Depth=1
	v_cmp_le_u64_e32 vcc, v[38:39], v[10:11]
	s_and_saveexec_b64 s[6:7], vcc
	s_xor_b64 s[6:7], exec, s[6:7]
	s_cbranch_execz .LBB119_150
; %bb.146:                              ;   in Loop: Header=BB119_43 Depth=1
	ds_read_b64 v[6:7], v3 offset:5120
	v_and_b32_e32 v31, s23, v31
	v_and_b32_e32 v30, s22, v30
	v_or_b32_e32 v37, s13, v37
	v_or_b32_e32 v36, s12, v36
	s_waitcnt lgkmcnt(0)
	v_cmp_ne_u64_e32 vcc, 0, v[6:7]
	s_cbranch_vccnz .LBB119_150
; %bb.147:                              ;   in Loop: Header=BB119_43 Depth=1
	s_mov_b64 s[8:9], exec
	v_readlane_b32 s10, v74, 12
	v_readlane_b32 s11, v74, 13
	s_and_b64 s[10:11], s[8:9], s[10:11]
	s_mov_b64 exec, s[10:11]
; %bb.148:                              ;   in Loop: Header=BB119_43 Depth=1
	ds_write_b64 v3, v[10:11] offset:5128
; %bb.149:                              ;   in Loop: Header=BB119_43 Depth=1
	s_or_b64 exec, exec, s[8:9]
	s_waitcnt lgkmcnt(0)
	s_barrier
.LBB119_150:                            ;   in Loop: Header=BB119_43 Depth=1
	s_or_saveexec_b64 s[6:7], s[6:7]
	s_mov_b64 s[8:9], 0
	v_mov_b32_e32 v2, 8
	s_xor_b64 exec, exec, s[6:7]
; %bb.151:                              ;   in Loop: Header=BB119_43 Depth=1
	v_sub_co_u32_e32 v38, vcc, v38, v10
	s_mov_b64 s[8:9], exec
	s_nop 0
	v_subb_co_u32_e32 v39, vcc, v39, v11, vcc
	v_mov_b32_e32 v2, 0
; %bb.152:                              ;   in Loop: Header=BB119_43 Depth=1
	s_or_b64 exec, exec, s[6:7]
	s_and_b64 s[8:9], s[8:9], exec
	v_mov_b64_e32 v[14:15], v[38:39]
.LBB119_153:                            ;   in Loop: Header=BB119_43 Depth=1
	s_or_b64 exec, exec, s[0:1]
	s_mov_b64 s[16:17], -1
	s_mov_b64 s[6:7], -1
                                        ; implicit-def: $sgpr0_sgpr1
                                        ; implicit-def: $sgpr24_sgpr25
	s_and_saveexec_b64 s[10:11], s[8:9]
	s_xor_b64 s[18:19], exec, s[10:11]
	s_cbranch_execz .LBB119_304
; %bb.154:                              ;   in Loop: Header=BB119_43 Depth=1
	v_cmp_eq_u64_e32 vcc, 1, v[12:13]
	v_cmp_eq_u64_e64 s[0:1], 1, v[14:15]
	s_and_b64 s[8:9], vcc, s[0:1]
                                        ; implicit-def: $sgpr24_sgpr25
                                        ; implicit-def: $sgpr0_sgpr1
	s_and_saveexec_b64 s[10:11], s[8:9]
	s_cbranch_execz .LBB119_193
; %bb.155:                              ;   in Loop: Header=BB119_43 Depth=1
	ds_read_b64 v[6:7], v3 offset:5120
	s_waitcnt lgkmcnt(0)
	s_barrier
	v_readfirstlane_b32 s26, v6
	v_readfirstlane_b32 s27, v7
	s_mov_b64 s[0:1], exec
	v_readlane_b32 s6, v74, 14
	v_readlane_b32 s7, v74, 15
	s_and_b64 s[6:7], s[0:1], s[6:7]
	s_mov_b64 exec, s[6:7]
; %bb.156:                              ;   in Loop: Header=BB119_43 Depth=1
	ds_write_b64 v56, v[64:65]
; %bb.157:                              ;   in Loop: Header=BB119_43 Depth=1
	s_or_b64 exec, exec, s[0:1]
	s_lshl_b64 s[0:1], 1, s5
	v_and_b32_e32 v4, s23, v31
	v_and_b32_e32 v6, s22, v30
	v_or_b32_e32 v31, s1, v4
	v_or_b32_e32 v30, s0, v6
	;; [unrolled: 1-line block ×4, first 2 shown]
	s_mov_b64 s[0:1], -1
	s_mov_b64 s[24:25], 0
	s_cmp_eq_u64 s[26:27], 0
	s_mov_b64 s[6:7], 0
	s_mov_b64 s[28:29], -1
	s_waitcnt lgkmcnt(0)
	s_barrier
                                        ; implicit-def: $vgpr8_vgpr9
	s_cbranch_scc1 .LBB119_177
; %bb.158:                              ;   in Loop: Header=BB119_43 Depth=1
	v_readlane_b32 s6, v74, 20
	s_add_u32 s34, s26, s6
	v_readlane_b32 s6, v74, 21
	s_addc_u32 s7, s27, s6
	s_mov_b32 s6, s81
	s_cmp_lg_u64 s[6:7], 0
	s_cbranch_scc0 .LBB119_221
; %bb.159:                              ;   in Loop: Header=BB119_43 Depth=1
	v_cvt_f32_u32_e32 v4, s72
	s_sub_u32 s6, 0, s72
	s_subb_u32 s30, 0, 0
	v_fmac_f32_e32 v4, 0, v61
	v_rcp_f32_e32 v4, v4
	s_nop 0
	v_mul_f32_e32 v4, 0x5f7ffffc, v4
	v_mul_f32_e32 v6, 0x2f800000, v4
	v_trunc_f32_e32 v6, v6
	v_fmac_f32_e32 v4, 0xcf800000, v6
	v_cvt_u32_f32_e32 v6, v6
	v_cvt_u32_f32_e32 v4, v4
	v_readfirstlane_b32 s31, v6
	v_readfirstlane_b32 s28, v4
	s_mul_i32 s29, s6, s31
	s_mul_hi_u32 s36, s6, s28
	s_mul_i32 s35, s30, s28
	s_add_i32 s29, s36, s29
	s_mul_i32 s37, s6, s28
	s_add_i32 s29, s29, s35
	s_mul_hi_u32 s36, s28, s37
	s_mul_i32 s38, s28, s29
	s_mul_hi_u32 s35, s28, s29
	s_add_u32 s36, s36, s38
	s_addc_u32 s35, 0, s35
	s_mul_hi_u32 s39, s31, s37
	s_mul_i32 s37, s31, s37
	s_add_u32 s36, s36, s37
	s_mul_hi_u32 s38, s31, s29
	s_addc_u32 s35, s35, s39
	s_addc_u32 s36, s38, 0
	s_mul_i32 s29, s31, s29
	s_add_u32 s29, s35, s29
	s_addc_u32 s35, 0, s36
	s_add_u32 s36, s28, s29
	s_cselect_b64 s[28:29], -1, 0
	s_cmp_lg_u64 s[28:29], 0
	s_addc_u32 s31, s31, s35
	s_mul_i32 s28, s6, s31
	s_mul_hi_u32 s29, s6, s36
	s_add_i32 s28, s29, s28
	s_mul_i32 s30, s30, s36
	s_add_i32 s28, s28, s30
	s_mul_i32 s6, s6, s36
	s_mul_hi_u32 s30, s31, s6
	s_mul_i32 s35, s31, s6
	s_mul_i32 s38, s36, s28
	s_mul_hi_u32 s6, s36, s6
	s_mul_hi_u32 s37, s36, s28
	s_add_u32 s6, s6, s38
	s_addc_u32 s37, 0, s37
	s_add_u32 s6, s6, s35
	s_mul_hi_u32 s29, s31, s28
	s_addc_u32 s6, s37, s30
	s_addc_u32 s29, s29, 0
	s_mul_i32 s28, s31, s28
	s_add_u32 s6, s6, s28
	s_addc_u32 s30, 0, s29
	s_add_u32 s6, s36, s6
	s_cselect_b64 s[28:29], -1, 0
	s_cmp_lg_u64 s[28:29], 0
	s_addc_u32 s28, s31, s30
	s_mul_i32 s30, s34, s28
	s_mul_hi_u32 s31, s34, s6
	s_mul_hi_u32 s29, s34, s28
	s_add_u32 s30, s31, s30
	s_addc_u32 s29, 0, s29
	s_mul_hi_u32 s35, s7, s6
	s_mul_i32 s6, s7, s6
	s_add_u32 s6, s30, s6
	s_mul_hi_u32 s31, s7, s28
	s_addc_u32 s6, s29, s35
	s_addc_u32 s29, s31, 0
	s_mul_i32 s28, s7, s28
	s_add_u32 s6, s6, s28
	s_addc_u32 s28, 0, s29
	s_mul_i32 s28, s72, s28
	s_mul_hi_u32 s29, s72, s6
	s_add_i32 s30, s29, s28
	s_mul_i32 s6, s72, s6
	s_sub_u32 s6, s34, s6
	s_cselect_b64 s[28:29], -1, 0
	s_cmp_lg_u64 s[28:29], 0
	s_subb_u32 s30, s7, s30
	s_sub_u32 s31, s6, s72
	s_cselect_b64 s[28:29], -1, 0
	s_cmp_lg_u64 s[28:29], 0
	s_subb_u32 s35, s30, 0
	;; [unrolled: 4-line block ×3, first 2 shown]
	s_cmp_ge_u32 s31, s72
	s_cselect_b32 s29, -1, 0
	s_cmp_eq_u32 s35, 0
	s_cselect_b32 s29, s29, -1
	s_cmp_lg_u32 s29, 0
	s_cselect_b32 s28, s28, s35
	s_cselect_b32 s31, s36, s31
	s_cmp_ge_u32 s6, s72
	s_cselect_b32 s29, -1, 0
	s_cmp_eq_u32 s30, 0
	s_cselect_b32 s29, s29, -1
	s_cmp_lg_u32 s29, 0
	s_cselect_b32 s29, s28, s30
	s_cselect_b32 s28, s31, s6
	s_cbranch_execnz .LBB119_161
.LBB119_160:                            ;   in Loop: Header=BB119_43 Depth=1
	v_cvt_f32_u32_e32 v4, s72
	s_sub_i32 s6, 0, s72
	v_rcp_iflag_f32_e32 v4, v4
	s_nop 0
	v_mul_f32_e32 v4, 0x4f7ffffe, v4
	v_cvt_u32_f32_e32 v4, v4
	s_nop 0
	v_readfirstlane_b32 s28, v4
	s_mul_i32 s6, s6, s28
	s_mul_hi_u32 s6, s28, s6
	s_add_i32 s28, s28, s6
	s_mul_hi_u32 s6, s34, s28
	s_mul_i32 s6, s6, s72
	s_sub_i32 s6, s34, s6
	s_sub_i32 s28, s6, s72
	s_cmp_ge_u32 s6, s72
	s_cselect_b32 s6, s28, s6
	s_sub_i32 s28, s6, s72
	s_cmp_ge_u32 s6, s72
	s_cselect_b32 s80, s28, s6
	s_mov_b64 s[28:29], s[80:81]
.LBB119_161:                            ;   in Loop: Header=BB119_43 Depth=1
	s_sub_u32 s34, s34, s28
	s_subb_u32 s35, s7, s29
	v_cmp_gt_u64_e32 vcc, s[34:35], v[0:1]
	s_mov_b64 s[28:29], 0
	s_mov_b64 s[6:7], 0
                                        ; implicit-def: $vgpr8_vgpr9
	s_and_saveexec_b64 s[30:31], vcc
	s_cbranch_execz .LBB119_176
; %bb.162:                              ;   in Loop: Header=BB119_43 Depth=1
	v_mov_b32_e32 v16, v55
	v_mov_b64_e32 v[10:11], v[0:1]
                                        ; implicit-def: $sgpr36_sgpr37
	s_branch .LBB119_166
.LBB119_163:                            ;   in Loop: Header=BB119_166 Depth=2
	s_or_b64 exec, exec, s[38:39]
	s_waitcnt lgkmcnt(0)
	s_barrier
	ds_read_b128 v[6:9], v3 offset:3072
	s_waitcnt lgkmcnt(0)
	s_barrier
	v_cmp_neq_f64_e32 vcc, 0, v[6:7]
	s_cbranch_vccnz .LBB119_169
; %bb.164:                              ;   in Loop: Header=BB119_166 Depth=2
	v_lshl_add_u64 v[10:11], v[10:11], 0, s[72:73]
	v_cmp_le_u64_e32 vcc, s[34:35], v[10:11]
	v_add_u32_e32 v16, s4, v16
	s_mov_b64 s[38:39], 0
	s_orn2_b64 s[40:41], vcc, exec
.LBB119_165:                            ;   in Loop: Header=BB119_166 Depth=2
	s_and_b64 s[40:41], exec, s[40:41]
	s_or_b64 s[6:7], s[40:41], s[6:7]
	s_andn2_b64 s[36:37], s[36:37], exec
	s_and_b64 s[38:39], s[38:39], exec
	s_or_b64 s[36:37], s[36:37], s[38:39]
	s_andn2_b64 exec, exec, s[6:7]
	s_cbranch_execz .LBB119_175
.LBB119_166:                            ;   Parent Loop BB119_43 Depth=1
                                        ; =>  This Inner Loop Header: Depth=2
	v_cmp_gt_u64_e32 vcc, s[26:27], v[10:11]
	s_and_saveexec_b64 s[38:39], vcc
	s_cbranch_execz .LBB119_163
; %bb.167:                              ;   in Loop: Header=BB119_166 Depth=2
	ds_read_b64 v[6:7], v16
	s_waitcnt lgkmcnt(0)
	v_ashrrev_i32_e32 v4, 31, v7
	v_or_b32_e32 v8, 0x80000000, v4
	v_xor_b32_e32 v4, v4, v6
	v_xor_b32_e32 v8, v8, v7
	v_cmp_o_f64_e32 vcc, v[6:7], v[6:7]
	s_nop 1
	v_cndmask_b32_e32 v4, -1, v4, vcc
	v_cndmask_b32_e32 v8, -1, v8, vcc
	v_and_b32_e32 v9, v8, v37
	v_and_b32_e32 v8, v4, v36
	v_cmp_eq_u64_e32 vcc, v[8:9], v[30:31]
	s_and_b64 exec, exec, vcc
	s_cbranch_execz .LBB119_163
; %bb.168:                              ;   in Loop: Header=BB119_166 Depth=2
	v_mov_b32_e32 v4, v3
	ds_write_b128 v3, v[4:7] offset:3072
	s_branch .LBB119_163
.LBB119_169:                            ;   in Loop: Header=BB119_166 Depth=2
	s_mov_b64 s[40:41], -1
                                        ; implicit-def: $vgpr10_vgpr11
                                        ; implicit-def: $vgpr16
	s_mov_b64 s[38:39], -1
	s_branch .LBB119_165
.LBB119_170:                            ;   in Loop: Header=BB119_43 Depth=1
                                        ; implicit-def: $sgpr24_sgpr25
	s_branch .LBB119_115
.LBB119_171:                            ;   in Loop: Header=BB119_43 Depth=1
	s_or_b64 exec, exec, s[8:9]
	s_waitcnt lgkmcnt(0)
	s_barrier
	s_mov_b64 s[0:1], exec
	v_readlane_b32 s2, v74, 12
	v_readlane_b32 s3, v74, 13
	s_and_b64 s[2:3], s[0:1], s[2:3]
	s_mov_b64 exec, s[2:3]
	s_cbranch_execz .LBB119_173
; %bb.172:                              ;   in Loop: Header=BB119_43 Depth=1
	ds_read_b32 v6, v3 offset:5144
	s_waitcnt lgkmcnt(0)
	v_ashrrev_i32_e32 v7, 31, v6
	ds_write_b64 v3, v[6:7] offset:5120
.LBB119_173:                            ;   in Loop: Header=BB119_43 Depth=1
	s_or_b64 exec, exec, s[0:1]
	s_waitcnt lgkmcnt(0)
	s_barrier
	s_mov_b64 s[0:1], -1
	s_and_b64 vcc, exec, s[6:7]
	s_cbranch_vccnz .LBB119_59
	s_branch .LBB119_68
.LBB119_174:                            ;   in Loop: Header=BB119_43 Depth=1
                                        ; implicit-def: $sgpr6_sgpr7
	s_branch .LBB119_130
.LBB119_175:                            ;   in Loop: Header=BB119_43 Depth=1
	s_or_b64 exec, exec, s[6:7]
	s_and_b64 s[6:7], s[36:37], exec
.LBB119_176:                            ;   in Loop: Header=BB119_43 Depth=1
	s_or_b64 exec, exec, s[30:31]
.LBB119_177:                            ;   in Loop: Header=BB119_43 Depth=1
	s_and_b64 vcc, exec, s[28:29]
	s_cbranch_vccz .LBB119_192
; %bb.178:                              ;   in Loop: Header=BB119_43 Depth=1
	s_mov_b32 s60, s81
	s_cmp_lg_u64 s[60:61], 0
	s_cbranch_scc0 .LBB119_222
; %bb.179:                              ;   in Loop: Header=BB119_43 Depth=1
	v_cvt_f32_u32_e32 v4, s72
	s_sub_u32 s24, 0, s72
	s_subb_u32 s25, 0, 0
	v_fmac_f32_e32 v4, 0, v61
	v_rcp_f32_e32 v4, v4
	s_nop 0
	v_mul_f32_e32 v4, 0x5f7ffffc, v4
	v_mul_f32_e32 v6, 0x2f800000, v4
	v_trunc_f32_e32 v6, v6
	v_fmac_f32_e32 v4, 0xcf800000, v6
	v_cvt_u32_f32_e32 v6, v6
	v_cvt_u32_f32_e32 v4, v4
	v_readfirstlane_b32 s26, v6
	v_readfirstlane_b32 s0, v4
	s_mul_i32 s1, s24, s26
	s_mul_hi_u32 s28, s24, s0
	s_mul_i32 s27, s25, s0
	s_add_i32 s1, s28, s1
	s_mul_i32 s29, s24, s0
	s_add_i32 s1, s1, s27
	s_mul_hi_u32 s28, s0, s29
	s_mul_i32 s30, s0, s1
	s_mul_hi_u32 s27, s0, s1
	s_add_u32 s28, s28, s30
	s_addc_u32 s27, 0, s27
	s_mul_hi_u32 s31, s26, s29
	s_mul_i32 s29, s26, s29
	s_add_u32 s28, s28, s29
	s_mul_hi_u32 s30, s26, s1
	s_addc_u32 s27, s27, s31
	s_addc_u32 s28, s30, 0
	s_mul_i32 s1, s26, s1
	s_add_u32 s1, s27, s1
	s_addc_u32 s27, 0, s28
	s_add_u32 s28, s0, s1
	s_cselect_b64 s[0:1], -1, 0
	s_cmp_lg_u64 s[0:1], 0
	s_addc_u32 s26, s26, s27
	s_mul_i32 s0, s24, s26
	s_mul_hi_u32 s1, s24, s28
	s_add_i32 s0, s1, s0
	s_mul_i32 s25, s25, s28
	s_add_i32 s0, s0, s25
	s_mul_i32 s24, s24, s28
	s_mul_hi_u32 s25, s26, s24
	s_mul_i32 s27, s26, s24
	s_mul_i32 s30, s28, s0
	s_mul_hi_u32 s24, s28, s24
	s_mul_hi_u32 s29, s28, s0
	s_add_u32 s24, s24, s30
	s_addc_u32 s29, 0, s29
	s_add_u32 s24, s24, s27
	s_mul_hi_u32 s1, s26, s0
	s_addc_u32 s24, s29, s25
	s_addc_u32 s1, s1, 0
	s_mul_i32 s0, s26, s0
	s_add_u32 s0, s24, s0
	s_addc_u32 s24, 0, s1
	s_add_u32 s25, s28, s0
	s_cselect_b64 s[0:1], -1, 0
	s_cmp_lg_u64 s[0:1], 0
	s_addc_u32 s0, s26, s24
	s_mul_i32 s24, s99, s0
	s_mul_hi_u32 s26, s99, s25
	s_mul_hi_u32 s1, s99, s0
	s_add_u32 s24, s26, s24
	s_addc_u32 s1, 0, s1
	s_mul_hi_u32 s27, s61, s25
	s_mul_i32 s25, s61, s25
	s_add_u32 s24, s24, s25
	s_mul_hi_u32 s26, s61, s0
	s_addc_u32 s1, s1, s27
	s_addc_u32 s24, s26, 0
	s_mul_i32 s0, s61, s0
	s_add_u32 s0, s1, s0
	s_addc_u32 s1, 0, s24
	s_mul_i32 s1, s72, s1
	s_mul_hi_u32 s24, s72, s0
	s_add_i32 s24, s24, s1
	s_mul_i32 s0, s72, s0
	s_sub_u32 s25, s99, s0
	s_cselect_b64 s[0:1], -1, 0
	s_cmp_lg_u64 s[0:1], 0
	s_subb_u32 s24, s61, s24
	s_sub_u32 s26, s25, s72
	s_cselect_b64 s[0:1], -1, 0
	s_cmp_lg_u64 s[0:1], 0
	s_subb_u32 s27, s24, 0
	;; [unrolled: 4-line block ×3, first 2 shown]
	s_cmp_ge_u32 s26, s72
	s_cselect_b32 s1, -1, 0
	s_cmp_eq_u32 s27, 0
	s_cselect_b32 s1, s1, -1
	s_cmp_lg_u32 s1, 0
	s_cselect_b32 s0, s0, s27
	s_cselect_b32 s26, s28, s26
	s_cmp_ge_u32 s25, s72
	s_cselect_b32 s1, -1, 0
	s_cmp_eq_u32 s24, 0
	s_cselect_b32 s1, s1, -1
	s_cmp_lg_u32 s1, 0
	s_cselect_b32 s1, s0, s24
	s_cselect_b32 s0, s26, s25
	s_cbranch_execnz .LBB119_181
.LBB119_180:                            ;   in Loop: Header=BB119_43 Depth=1
	v_cvt_f32_u32_e32 v4, s72
	s_sub_i32 s0, 0, s72
	v_rcp_iflag_f32_e32 v4, v4
	s_nop 0
	v_mul_f32_e32 v4, 0x4f7ffffe, v4
	v_cvt_u32_f32_e32 v4, v4
	s_nop 0
	v_readfirstlane_b32 s1, v4
	s_mul_i32 s0, s0, s1
	s_mul_hi_u32 s0, s1, s0
	s_add_i32 s1, s1, s0
	s_mul_hi_u32 s0, s99, s1
	s_mul_i32 s0, s0, s72
	s_sub_i32 s0, s99, s0
	s_sub_i32 s1, s0, s72
	s_cmp_ge_u32 s0, s72
	s_cselect_b32 s0, s1, s0
	s_sub_i32 s1, s0, s72
	s_cmp_ge_u32 s0, s72
	s_cselect_b32 s80, s1, s0
	s_mov_b64 s[0:1], s[80:81]
.LBB119_181:                            ;   in Loop: Header=BB119_43 Depth=1
	s_sub_u32 s24, s99, s0
	s_subb_u32 s25, s61, s1
	v_cmp_gt_u64_e32 vcc, s[24:25], v[0:1]
                                        ; implicit-def: $vgpr8_vgpr9
	s_and_saveexec_b64 s[0:1], vcc
	s_cbranch_execz .LBB119_191
; %bb.182:                              ;   in Loop: Header=BB119_43 Depth=1
	s_mov_b64 s[26:27], 0
	v_mov_b64_e32 v[10:11], v[18:19]
	v_mov_b64_e32 v[16:17], v[0:1]
                                        ; implicit-def: $sgpr28_sgpr29
	s_branch .LBB119_186
.LBB119_183:                            ;   in Loop: Header=BB119_186 Depth=2
	s_or_b64 exec, exec, s[30:31]
	s_waitcnt lgkmcnt(0)
	s_barrier
	ds_read_b128 v[6:9], v3 offset:3072
	s_waitcnt lgkmcnt(0)
	s_barrier
	v_cmp_eq_f64_e32 vcc, 0, v[6:7]
	s_cbranch_vccz .LBB119_189
; %bb.184:                              ;   in Loop: Header=BB119_186 Depth=2
	v_lshl_add_u64 v[16:17], v[16:17], 0, s[72:73]
	v_cmp_le_u64_e32 vcc, s[24:25], v[16:17]
	v_lshl_add_u64 v[10:11], v[10:11], 0, s[74:75]
	s_mov_b64 s[30:31], 0
	s_orn2_b64 s[34:35], vcc, exec
.LBB119_185:                            ;   in Loop: Header=BB119_186 Depth=2
	s_and_b64 s[34:35], exec, s[34:35]
	s_or_b64 s[26:27], s[34:35], s[26:27]
	s_andn2_b64 s[28:29], s[28:29], exec
	s_and_b64 s[30:31], s[30:31], exec
	s_or_b64 s[28:29], s[28:29], s[30:31]
	s_andn2_b64 exec, exec, s[26:27]
	s_cbranch_execz .LBB119_190
.LBB119_186:                            ;   Parent Loop BB119_43 Depth=1
                                        ; =>  This Inner Loop Header: Depth=2
	v_cmp_gt_u64_e32 vcc, s[52:53], v[16:17]
	s_and_saveexec_b64 s[30:31], vcc
	s_cbranch_execz .LBB119_183
; %bb.187:                              ;   in Loop: Header=BB119_186 Depth=2
	global_load_dwordx2 v[6:7], v[10:11], off
	s_waitcnt vmcnt(0)
	v_ashrrev_i32_e32 v4, 31, v7
	v_or_b32_e32 v8, 0x80000000, v4
	v_xor_b32_e32 v4, v4, v6
	v_xor_b32_e32 v8, v8, v7
	v_cmp_o_f64_e32 vcc, v[6:7], v[6:7]
	s_nop 1
	v_cndmask_b32_e32 v4, -1, v4, vcc
	v_cndmask_b32_e32 v8, -1, v8, vcc
	v_and_b32_e32 v9, v8, v37
	v_and_b32_e32 v8, v4, v36
	v_cmp_eq_u64_e32 vcc, v[8:9], v[30:31]
	s_and_b64 exec, exec, vcc
	s_cbranch_execz .LBB119_183
; %bb.188:                              ;   in Loop: Header=BB119_186 Depth=2
	v_mov_b32_e32 v4, v3
	ds_write_b128 v3, v[4:7] offset:3072
	s_branch .LBB119_183
.LBB119_189:                            ;   in Loop: Header=BB119_186 Depth=2
	s_mov_b64 s[34:35], -1
                                        ; implicit-def: $vgpr16_vgpr17
                                        ; implicit-def: $vgpr10_vgpr11
	s_mov_b64 s[30:31], -1
	s_branch .LBB119_185
.LBB119_190:                            ;   in Loop: Header=BB119_43 Depth=1
	s_or_b64 exec, exec, s[26:27]
	s_andn2_b64 s[6:7], s[6:7], exec
	s_and_b64 s[24:25], s[28:29], exec
	s_or_b64 s[6:7], s[6:7], s[24:25]
.LBB119_191:                            ;   in Loop: Header=BB119_43 Depth=1
	s_or_b64 exec, exec, s[0:1]
	s_mov_b64 s[0:1], 0
	s_mov_b64 s[24:25], -1
.LBB119_192:                            ;   in Loop: Header=BB119_43 Depth=1
	s_orn2_b64 s[6:7], s[6:7], exec
.LBB119_193:                            ;   in Loop: Header=BB119_43 Depth=1
	s_or_b64 exec, exec, s[10:11]
	s_mov_b64 s[10:11], 0
	s_and_saveexec_b64 s[28:29], s[6:7]
	s_cbranch_execz .LBB119_303
; %bb.194:                              ;   in Loop: Header=BB119_43 Depth=1
	s_xor_b64 s[10:11], s[8:9], -1
	v_mov_b32_e32 v2, 1
	s_mov_b64 s[8:9], 0
	v_mov_b64_e32 v[10:11], 1
	s_and_saveexec_b64 s[6:7], s[10:11]
	s_cbranch_execz .LBB119_204
; %bb.195:                              ;   in Loop: Header=BB119_43 Depth=1
	v_cmp_le_u64_e32 vcc, v[14:15], v[12:13]
	s_and_saveexec_b64 s[8:9], vcc
	s_xor_b64 s[8:9], exec, s[8:9]
	s_cbranch_execz .LBB119_201
; %bb.196:                              ;   in Loop: Header=BB119_43 Depth=1
	ds_read_b64 v[6:7], v3 offset:5120
	s_lshl_b64 s[10:11], 1, s5
	v_and_b32_e32 v2, s23, v31
	v_and_b32_e32 v4, s22, v30
	v_or_b32_e32 v31, s11, v2
	s_waitcnt lgkmcnt(0)
	v_cmp_ne_u64_e32 vcc, 0, v[6:7]
	v_or_b32_e32 v30, s10, v4
	v_or_b32_e32 v37, s13, v37
	;; [unrolled: 1-line block ×3, first 2 shown]
	s_cbranch_vccnz .LBB119_200
; %bb.197:                              ;   in Loop: Header=BB119_43 Depth=1
	s_mov_b64 s[10:11], exec
	v_readlane_b32 s26, v74, 12
	v_readlane_b32 s27, v74, 13
	s_and_b64 s[26:27], s[10:11], s[26:27]
	s_mov_b64 exec, s[26:27]
; %bb.198:                              ;   in Loop: Header=BB119_43 Depth=1
	ds_write_b64 v3, v[12:13] offset:5128
; %bb.199:                              ;   in Loop: Header=BB119_43 Depth=1
	s_or_b64 exec, exec, s[10:11]
	s_waitcnt lgkmcnt(0)
	s_barrier
.LBB119_200:                            ;   in Loop: Header=BB119_43 Depth=1
                                        ; implicit-def: $vgpr10_vgpr11_vgpr12_vgpr13
.LBB119_201:                            ;   in Loop: Header=BB119_43 Depth=1
	s_or_saveexec_b64 s[8:9], s[8:9]
	s_mov_b64 s[10:11], 0
	v_mov_b32_e32 v2, 8
	s_xor_b64 exec, exec, s[8:9]
; %bb.202:                              ;   in Loop: Header=BB119_43 Depth=1
	v_sub_co_u32_e32 v14, vcc, v14, v12
	s_mov_b64 s[10:11], exec
	s_nop 0
	v_subb_co_u32_e32 v15, vcc, v15, v13, vcc
	v_mov_b32_e32 v2, 0
; %bb.203:                              ;   in Loop: Header=BB119_43 Depth=1
	s_or_b64 exec, exec, s[8:9]
	s_and_b64 s[8:9], s[10:11], exec
	v_mov_b64_e32 v[10:11], v[14:15]
.LBB119_204:                            ;   in Loop: Header=BB119_43 Depth=1
	s_or_b64 exec, exec, s[6:7]
	s_mov_b64 s[6:7], -1
                                        ; implicit-def: $sgpr10_sgpr11
                                        ; implicit-def: $sgpr34_sgpr35
	s_and_saveexec_b64 s[30:31], s[8:9]
	s_cbranch_execz .LBB119_302
; %bb.205:                              ;   in Loop: Header=BB119_43 Depth=1
	s_cmp_eq_u64 s[20:21], 1
	s_cselect_b64 s[6:7], -1, 0
	v_cmp_eq_u64_e32 vcc, 1, v[10:11]
	s_and_b64 s[8:9], s[6:7], vcc
	s_mov_b64 s[6:7], -1
                                        ; implicit-def: $sgpr34_sgpr35
                                        ; implicit-def: $sgpr10_sgpr11
	s_and_saveexec_b64 s[36:37], s[8:9]
	s_cbranch_execz .LBB119_241
; %bb.206:                              ;   in Loop: Header=BB119_43 Depth=1
	ds_read_b64 v[6:7], v3 offset:5120
	s_waitcnt lgkmcnt(0)
	s_barrier
	v_readfirstlane_b32 s26, v6
	v_readfirstlane_b32 s27, v7
	s_mov_b64 s[6:7], exec
	v_readlane_b32 s10, v74, 14
	v_readlane_b32 s11, v74, 15
	s_and_b64 s[10:11], s[6:7], s[10:11]
	s_mov_b64 exec, s[10:11]
; %bb.207:                              ;   in Loop: Header=BB119_43 Depth=1
	ds_write_b64 v56, v[64:65]
; %bb.208:                              ;   in Loop: Header=BB119_43 Depth=1
	s_or_b64 exec, exec, s[6:7]
	s_lshl_b64 s[6:7], 2, s5
	v_and_b32_e32 v4, s23, v31
	v_and_b32_e32 v6, s22, v30
	v_or_b32_e32 v31, s7, v4
	v_or_b32_e32 v30, s6, v6
	;; [unrolled: 1-line block ×4, first 2 shown]
	s_mov_b64 s[10:11], -1
	s_mov_b64 s[34:35], 0
	s_cmp_eq_u64 s[26:27], 0
	s_mov_b64 s[6:7], 0
	s_mov_b64 s[38:39], -1
	s_waitcnt lgkmcnt(0)
	s_barrier
                                        ; implicit-def: $vgpr8_vgpr9
	s_cbranch_scc1 .LBB119_225
; %bb.209:                              ;   in Loop: Header=BB119_43 Depth=1
	v_readlane_b32 s6, v74, 20
	s_add_u32 s42, s26, s6
	v_readlane_b32 s6, v74, 21
	s_addc_u32 s7, s27, s6
	s_mov_b32 s6, s81
	s_cmp_lg_u64 s[6:7], 0
	s_cbranch_scc0 .LBB119_268
; %bb.210:                              ;   in Loop: Header=BB119_43 Depth=1
	v_cvt_f32_u32_e32 v4, s72
	s_sub_u32 s6, 0, s72
	s_subb_u32 s40, 0, 0
	v_fmac_f32_e32 v4, 0, v61
	v_rcp_f32_e32 v4, v4
	s_nop 0
	v_mul_f32_e32 v4, 0x5f7ffffc, v4
	v_mul_f32_e32 v6, 0x2f800000, v4
	v_trunc_f32_e32 v6, v6
	v_fmac_f32_e32 v4, 0xcf800000, v6
	v_cvt_u32_f32_e32 v6, v6
	v_cvt_u32_f32_e32 v4, v4
	v_readfirstlane_b32 s41, v6
	v_readfirstlane_b32 s38, v4
	s_mul_i32 s39, s6, s41
	s_mul_hi_u32 s44, s6, s38
	s_mul_i32 s43, s40, s38
	s_add_i32 s39, s44, s39
	s_mul_i32 s45, s6, s38
	s_add_i32 s39, s39, s43
	s_mul_hi_u32 s44, s38, s45
	s_mul_i32 s46, s38, s39
	s_mul_hi_u32 s43, s38, s39
	s_add_u32 s44, s44, s46
	s_addc_u32 s43, 0, s43
	s_mul_hi_u32 s47, s41, s45
	s_mul_i32 s45, s41, s45
	s_add_u32 s44, s44, s45
	s_mul_hi_u32 s46, s41, s39
	s_addc_u32 s43, s43, s47
	s_addc_u32 s44, s46, 0
	s_mul_i32 s39, s41, s39
	s_add_u32 s39, s43, s39
	s_addc_u32 s43, 0, s44
	s_add_u32 s44, s38, s39
	s_cselect_b64 s[38:39], -1, 0
	s_cmp_lg_u64 s[38:39], 0
	s_addc_u32 s41, s41, s43
	s_mul_i32 s38, s6, s41
	s_mul_hi_u32 s39, s6, s44
	s_add_i32 s38, s39, s38
	s_mul_i32 s40, s40, s44
	s_add_i32 s38, s38, s40
	s_mul_i32 s6, s6, s44
	s_mul_hi_u32 s40, s41, s6
	s_mul_i32 s43, s41, s6
	s_mul_i32 s46, s44, s38
	s_mul_hi_u32 s6, s44, s6
	s_mul_hi_u32 s45, s44, s38
	s_add_u32 s6, s6, s46
	s_addc_u32 s45, 0, s45
	s_add_u32 s6, s6, s43
	s_mul_hi_u32 s39, s41, s38
	s_addc_u32 s6, s45, s40
	s_addc_u32 s39, s39, 0
	s_mul_i32 s38, s41, s38
	s_add_u32 s6, s6, s38
	s_addc_u32 s40, 0, s39
	s_add_u32 s6, s44, s6
	s_cselect_b64 s[38:39], -1, 0
	s_cmp_lg_u64 s[38:39], 0
	s_addc_u32 s38, s41, s40
	s_mul_i32 s40, s42, s38
	s_mul_hi_u32 s41, s42, s6
	s_mul_hi_u32 s39, s42, s38
	s_add_u32 s40, s41, s40
	s_addc_u32 s39, 0, s39
	s_mul_hi_u32 s43, s7, s6
	s_mul_i32 s6, s7, s6
	s_add_u32 s6, s40, s6
	s_mul_hi_u32 s41, s7, s38
	s_addc_u32 s6, s39, s43
	s_addc_u32 s39, s41, 0
	s_mul_i32 s38, s7, s38
	s_add_u32 s6, s6, s38
	s_addc_u32 s38, 0, s39
	s_mul_i32 s38, s72, s38
	s_mul_hi_u32 s39, s72, s6
	s_add_i32 s40, s39, s38
	s_mul_i32 s6, s72, s6
	s_sub_u32 s6, s42, s6
	s_cselect_b64 s[38:39], -1, 0
	s_cmp_lg_u64 s[38:39], 0
	s_subb_u32 s40, s7, s40
	s_sub_u32 s41, s6, s72
	s_cselect_b64 s[38:39], -1, 0
	s_cmp_lg_u64 s[38:39], 0
	s_subb_u32 s43, s40, 0
	;; [unrolled: 4-line block ×3, first 2 shown]
	s_cmp_ge_u32 s41, s72
	s_cselect_b32 s39, -1, 0
	s_cmp_eq_u32 s43, 0
	s_cselect_b32 s39, s39, -1
	s_cmp_lg_u32 s39, 0
	s_cselect_b32 s38, s38, s43
	s_cselect_b32 s41, s44, s41
	s_cmp_ge_u32 s6, s72
	s_cselect_b32 s39, -1, 0
	s_cmp_eq_u32 s40, 0
	s_cselect_b32 s39, s39, -1
	s_cmp_lg_u32 s39, 0
	s_cselect_b32 s39, s38, s40
	s_cselect_b32 s38, s41, s6
	s_cbranch_execnz .LBB119_212
.LBB119_211:                            ;   in Loop: Header=BB119_43 Depth=1
	v_cvt_f32_u32_e32 v4, s72
	s_sub_i32 s6, 0, s72
	v_rcp_iflag_f32_e32 v4, v4
	s_nop 0
	v_mul_f32_e32 v4, 0x4f7ffffe, v4
	v_cvt_u32_f32_e32 v4, v4
	s_nop 0
	v_readfirstlane_b32 s38, v4
	s_mul_i32 s6, s6, s38
	s_mul_hi_u32 s6, s38, s6
	s_add_i32 s38, s38, s6
	s_mul_hi_u32 s6, s42, s38
	s_mul_i32 s6, s6, s72
	s_sub_i32 s6, s42, s6
	s_sub_i32 s38, s6, s72
	s_cmp_ge_u32 s6, s72
	s_cselect_b32 s6, s38, s6
	s_sub_i32 s38, s6, s72
	s_cmp_ge_u32 s6, s72
	s_cselect_b32 s80, s38, s6
	s_mov_b64 s[38:39], s[80:81]
.LBB119_212:                            ;   in Loop: Header=BB119_43 Depth=1
	s_sub_u32 s42, s42, s38
	s_subb_u32 s43, s7, s39
	v_cmp_gt_u64_e32 vcc, s[42:43], v[0:1]
	s_mov_b64 s[38:39], 0
	s_mov_b64 s[6:7], 0
                                        ; implicit-def: $vgpr8_vgpr9
	s_and_saveexec_b64 s[40:41], vcc
	s_cbranch_execz .LBB119_224
; %bb.213:                              ;   in Loop: Header=BB119_43 Depth=1
	v_mov_b32_e32 v14, v55
	v_mov_b64_e32 v[12:13], v[0:1]
                                        ; implicit-def: $sgpr44_sgpr45
	s_branch .LBB119_217
.LBB119_214:                            ;   in Loop: Header=BB119_217 Depth=2
	s_or_b64 exec, exec, s[46:47]
	s_waitcnt lgkmcnt(0)
	s_barrier
	ds_read_b128 v[6:9], v3 offset:3072
	s_waitcnt lgkmcnt(0)
	s_barrier
	v_cmp_neq_f64_e32 vcc, 0, v[6:7]
	s_cbranch_vccnz .LBB119_220
; %bb.215:                              ;   in Loop: Header=BB119_217 Depth=2
	v_lshl_add_u64 v[12:13], v[12:13], 0, s[72:73]
	v_cmp_le_u64_e32 vcc, s[42:43], v[12:13]
	v_add_u32_e32 v14, s4, v14
	s_mov_b64 s[46:47], 0
	s_orn2_b64 s[48:49], vcc, exec
.LBB119_216:                            ;   in Loop: Header=BB119_217 Depth=2
	s_and_b64 s[48:49], exec, s[48:49]
	s_or_b64 s[6:7], s[48:49], s[6:7]
	s_andn2_b64 s[44:45], s[44:45], exec
	s_and_b64 s[46:47], s[46:47], exec
	s_or_b64 s[44:45], s[44:45], s[46:47]
	s_andn2_b64 exec, exec, s[6:7]
	s_cbranch_execz .LBB119_223
.LBB119_217:                            ;   Parent Loop BB119_43 Depth=1
                                        ; =>  This Inner Loop Header: Depth=2
	v_cmp_gt_u64_e32 vcc, s[26:27], v[12:13]
	s_and_saveexec_b64 s[46:47], vcc
	s_cbranch_execz .LBB119_214
; %bb.218:                              ;   in Loop: Header=BB119_217 Depth=2
	ds_read_b64 v[6:7], v14
	s_waitcnt lgkmcnt(0)
	v_ashrrev_i32_e32 v4, 31, v7
	v_or_b32_e32 v8, 0x80000000, v4
	v_xor_b32_e32 v4, v4, v6
	v_xor_b32_e32 v8, v8, v7
	v_cmp_o_f64_e32 vcc, v[6:7], v[6:7]
	s_nop 1
	v_cndmask_b32_e32 v4, -1, v4, vcc
	v_cndmask_b32_e32 v8, -1, v8, vcc
	v_and_b32_e32 v9, v8, v37
	v_and_b32_e32 v8, v4, v36
	v_cmp_eq_u64_e32 vcc, v[8:9], v[30:31]
	s_and_b64 exec, exec, vcc
	s_cbranch_execz .LBB119_214
; %bb.219:                              ;   in Loop: Header=BB119_217 Depth=2
	v_mov_b32_e32 v4, v3
	ds_write_b128 v3, v[4:7] offset:3072
	s_branch .LBB119_214
.LBB119_220:                            ;   in Loop: Header=BB119_217 Depth=2
	s_mov_b64 s[48:49], -1
                                        ; implicit-def: $vgpr12_vgpr13
                                        ; implicit-def: $vgpr14
	s_mov_b64 s[46:47], -1
	s_branch .LBB119_216
.LBB119_221:                            ;   in Loop: Header=BB119_43 Depth=1
                                        ; implicit-def: $sgpr28_sgpr29
	s_branch .LBB119_160
.LBB119_222:                            ;   in Loop: Header=BB119_43 Depth=1
                                        ; implicit-def: $sgpr0_sgpr1
	s_branch .LBB119_180
.LBB119_223:                            ;   in Loop: Header=BB119_43 Depth=1
	s_or_b64 exec, exec, s[6:7]
	s_and_b64 s[6:7], s[44:45], exec
.LBB119_224:                            ;   in Loop: Header=BB119_43 Depth=1
	s_or_b64 exec, exec, s[40:41]
.LBB119_225:                            ;   in Loop: Header=BB119_43 Depth=1
	s_and_b64 vcc, exec, s[38:39]
	s_cbranch_vccz .LBB119_240
; %bb.226:                              ;   in Loop: Header=BB119_43 Depth=1
	s_mov_b32 s60, s81
	s_cmp_lg_u64 s[60:61], 0
	s_cbranch_scc0 .LBB119_269
; %bb.227:                              ;   in Loop: Header=BB119_43 Depth=1
	v_cvt_f32_u32_e32 v4, s72
	s_sub_u32 s26, 0, s72
	s_subb_u32 s27, 0, 0
	v_fmac_f32_e32 v4, 0, v61
	v_rcp_f32_e32 v4, v4
	s_nop 0
	v_mul_f32_e32 v4, 0x5f7ffffc, v4
	v_mul_f32_e32 v6, 0x2f800000, v4
	v_trunc_f32_e32 v6, v6
	v_fmac_f32_e32 v4, 0xcf800000, v6
	v_cvt_u32_f32_e32 v6, v6
	v_cvt_u32_f32_e32 v4, v4
	v_readfirstlane_b32 s34, v6
	v_readfirstlane_b32 s10, v4
	s_mul_i32 s11, s26, s34
	s_mul_hi_u32 s38, s26, s10
	s_mul_i32 s35, s27, s10
	s_add_i32 s11, s38, s11
	s_mul_i32 s39, s26, s10
	s_add_i32 s11, s11, s35
	s_mul_hi_u32 s38, s10, s39
	s_mul_i32 s40, s10, s11
	s_mul_hi_u32 s35, s10, s11
	s_add_u32 s38, s38, s40
	s_addc_u32 s35, 0, s35
	s_mul_hi_u32 s41, s34, s39
	s_mul_i32 s39, s34, s39
	s_add_u32 s38, s38, s39
	s_mul_hi_u32 s40, s34, s11
	s_addc_u32 s35, s35, s41
	s_addc_u32 s38, s40, 0
	s_mul_i32 s11, s34, s11
	s_add_u32 s11, s35, s11
	s_addc_u32 s35, 0, s38
	s_add_u32 s38, s10, s11
	s_cselect_b64 s[10:11], -1, 0
	s_cmp_lg_u64 s[10:11], 0
	s_addc_u32 s34, s34, s35
	s_mul_i32 s10, s26, s34
	s_mul_hi_u32 s11, s26, s38
	s_add_i32 s10, s11, s10
	s_mul_i32 s27, s27, s38
	s_add_i32 s10, s10, s27
	s_mul_i32 s26, s26, s38
	s_mul_hi_u32 s27, s34, s26
	s_mul_i32 s35, s34, s26
	s_mul_i32 s40, s38, s10
	s_mul_hi_u32 s26, s38, s26
	s_mul_hi_u32 s39, s38, s10
	s_add_u32 s26, s26, s40
	s_addc_u32 s39, 0, s39
	s_add_u32 s26, s26, s35
	s_mul_hi_u32 s11, s34, s10
	s_addc_u32 s26, s39, s27
	s_addc_u32 s11, s11, 0
	s_mul_i32 s10, s34, s10
	s_add_u32 s10, s26, s10
	s_addc_u32 s26, 0, s11
	s_add_u32 s27, s38, s10
	s_cselect_b64 s[10:11], -1, 0
	s_cmp_lg_u64 s[10:11], 0
	s_addc_u32 s10, s34, s26
	s_mul_i32 s26, s99, s10
	s_mul_hi_u32 s34, s99, s27
	s_mul_hi_u32 s11, s99, s10
	s_add_u32 s26, s34, s26
	s_addc_u32 s11, 0, s11
	s_mul_hi_u32 s35, s61, s27
	s_mul_i32 s27, s61, s27
	s_add_u32 s26, s26, s27
	s_mul_hi_u32 s34, s61, s10
	s_addc_u32 s11, s11, s35
	s_addc_u32 s26, s34, 0
	s_mul_i32 s10, s61, s10
	s_add_u32 s10, s11, s10
	s_addc_u32 s11, 0, s26
	s_mul_i32 s11, s72, s11
	s_mul_hi_u32 s26, s72, s10
	s_add_i32 s26, s26, s11
	s_mul_i32 s10, s72, s10
	s_sub_u32 s27, s99, s10
	s_cselect_b64 s[10:11], -1, 0
	s_cmp_lg_u64 s[10:11], 0
	s_subb_u32 s26, s61, s26
	s_sub_u32 s34, s27, s72
	s_cselect_b64 s[10:11], -1, 0
	s_cmp_lg_u64 s[10:11], 0
	s_subb_u32 s35, s26, 0
	;; [unrolled: 4-line block ×3, first 2 shown]
	s_cmp_ge_u32 s34, s72
	s_cselect_b32 s11, -1, 0
	s_cmp_eq_u32 s35, 0
	s_cselect_b32 s11, s11, -1
	s_cmp_lg_u32 s11, 0
	s_cselect_b32 s10, s10, s35
	s_cselect_b32 s34, s38, s34
	s_cmp_ge_u32 s27, s72
	s_cselect_b32 s11, -1, 0
	s_cmp_eq_u32 s26, 0
	s_cselect_b32 s11, s11, -1
	s_cmp_lg_u32 s11, 0
	s_cselect_b32 s11, s10, s26
	s_cselect_b32 s10, s34, s27
	s_cbranch_execnz .LBB119_229
.LBB119_228:                            ;   in Loop: Header=BB119_43 Depth=1
	v_cvt_f32_u32_e32 v4, s72
	s_sub_i32 s10, 0, s72
	v_rcp_iflag_f32_e32 v4, v4
	s_nop 0
	v_mul_f32_e32 v4, 0x4f7ffffe, v4
	v_cvt_u32_f32_e32 v4, v4
	s_nop 0
	v_readfirstlane_b32 s11, v4
	s_mul_i32 s10, s10, s11
	s_mul_hi_u32 s10, s11, s10
	s_add_i32 s11, s11, s10
	s_mul_hi_u32 s10, s99, s11
	s_mul_i32 s10, s10, s72
	s_sub_i32 s10, s99, s10
	s_sub_i32 s11, s10, s72
	s_cmp_ge_u32 s10, s72
	s_cselect_b32 s10, s11, s10
	s_sub_i32 s11, s10, s72
	s_cmp_ge_u32 s10, s72
	s_cselect_b32 s80, s11, s10
	s_mov_b64 s[10:11], s[80:81]
.LBB119_229:                            ;   in Loop: Header=BB119_43 Depth=1
	s_sub_u32 s26, s99, s10
	s_subb_u32 s27, s61, s11
	v_cmp_gt_u64_e32 vcc, s[26:27], v[0:1]
                                        ; implicit-def: $vgpr8_vgpr9
	s_and_saveexec_b64 s[10:11], vcc
	s_cbranch_execz .LBB119_239
; %bb.230:                              ;   in Loop: Header=BB119_43 Depth=1
	s_mov_b64 s[34:35], 0
	v_mov_b64_e32 v[12:13], v[18:19]
	v_mov_b64_e32 v[14:15], v[0:1]
                                        ; implicit-def: $sgpr38_sgpr39
	s_branch .LBB119_234
.LBB119_231:                            ;   in Loop: Header=BB119_234 Depth=2
	s_or_b64 exec, exec, s[40:41]
	s_waitcnt lgkmcnt(0)
	s_barrier
	ds_read_b128 v[6:9], v3 offset:3072
	s_waitcnt lgkmcnt(0)
	s_barrier
	v_cmp_eq_f64_e32 vcc, 0, v[6:7]
	s_cbranch_vccz .LBB119_237
; %bb.232:                              ;   in Loop: Header=BB119_234 Depth=2
	v_lshl_add_u64 v[14:15], v[14:15], 0, s[72:73]
	v_cmp_le_u64_e32 vcc, s[26:27], v[14:15]
	v_lshl_add_u64 v[12:13], v[12:13], 0, s[74:75]
	s_mov_b64 s[40:41], 0
	s_orn2_b64 s[42:43], vcc, exec
.LBB119_233:                            ;   in Loop: Header=BB119_234 Depth=2
	s_and_b64 s[42:43], exec, s[42:43]
	s_or_b64 s[34:35], s[42:43], s[34:35]
	s_andn2_b64 s[38:39], s[38:39], exec
	s_and_b64 s[40:41], s[40:41], exec
	s_or_b64 s[38:39], s[38:39], s[40:41]
	s_andn2_b64 exec, exec, s[34:35]
	s_cbranch_execz .LBB119_238
.LBB119_234:                            ;   Parent Loop BB119_43 Depth=1
                                        ; =>  This Inner Loop Header: Depth=2
	v_cmp_gt_u64_e32 vcc, s[52:53], v[14:15]
	s_and_saveexec_b64 s[40:41], vcc
	s_cbranch_execz .LBB119_231
; %bb.235:                              ;   in Loop: Header=BB119_234 Depth=2
	global_load_dwordx2 v[6:7], v[12:13], off
	s_waitcnt vmcnt(0)
	v_ashrrev_i32_e32 v4, 31, v7
	v_or_b32_e32 v8, 0x80000000, v4
	v_xor_b32_e32 v4, v4, v6
	v_xor_b32_e32 v8, v8, v7
	v_cmp_o_f64_e32 vcc, v[6:7], v[6:7]
	s_nop 1
	v_cndmask_b32_e32 v4, -1, v4, vcc
	v_cndmask_b32_e32 v8, -1, v8, vcc
	v_and_b32_e32 v9, v8, v37
	v_and_b32_e32 v8, v4, v36
	v_cmp_eq_u64_e32 vcc, v[8:9], v[30:31]
	s_and_b64 exec, exec, vcc
	s_cbranch_execz .LBB119_231
; %bb.236:                              ;   in Loop: Header=BB119_234 Depth=2
	v_mov_b32_e32 v4, v3
	ds_write_b128 v3, v[4:7] offset:3072
	s_branch .LBB119_231
.LBB119_237:                            ;   in Loop: Header=BB119_234 Depth=2
	s_mov_b64 s[42:43], -1
                                        ; implicit-def: $vgpr14_vgpr15
                                        ; implicit-def: $vgpr12_vgpr13
	s_mov_b64 s[40:41], -1
	s_branch .LBB119_233
.LBB119_238:                            ;   in Loop: Header=BB119_43 Depth=1
	s_or_b64 exec, exec, s[34:35]
	s_andn2_b64 s[6:7], s[6:7], exec
	s_and_b64 s[26:27], s[38:39], exec
	s_or_b64 s[6:7], s[6:7], s[26:27]
.LBB119_239:                            ;   in Loop: Header=BB119_43 Depth=1
	s_or_b64 exec, exec, s[10:11]
	s_mov_b64 s[10:11], 0
	s_mov_b64 s[34:35], -1
.LBB119_240:                            ;   in Loop: Header=BB119_43 Depth=1
	s_orn2_b64 s[6:7], s[6:7], exec
.LBB119_241:                            ;   in Loop: Header=BB119_43 Depth=1
	s_or_b64 exec, exec, s[36:37]
	s_mov_b64 s[26:27], 0
	s_and_saveexec_b64 s[36:37], s[6:7]
	s_cbranch_execz .LBB119_301
; %bb.242:                              ;   in Loop: Header=BB119_43 Depth=1
	s_xor_b64 s[26:27], s[8:9], -1
	v_mov_b32_e32 v2, 1
	s_mov_b64 s[8:9], 0
	v_mov_b64_e32 v[12:13], 1
	s_and_saveexec_b64 s[6:7], s[26:27]
	s_cbranch_execz .LBB119_251
; %bb.243:                              ;   in Loop: Header=BB119_43 Depth=1
	v_cmp_ge_u64_e32 vcc, s[20:21], v[10:11]
	s_and_saveexec_b64 s[8:9], vcc
	s_xor_b64 s[8:9], exec, s[8:9]
	s_cbranch_execz .LBB119_248
; %bb.244:                              ;   in Loop: Header=BB119_43 Depth=1
	ds_read_b64 v[6:7], v3 offset:5120
	s_lshl_b64 s[26:27], 2, s5
	v_and_b32_e32 v2, s23, v31
	v_and_b32_e32 v4, s22, v30
	v_or_b32_e32 v31, s27, v2
	s_waitcnt lgkmcnt(0)
	v_cmp_ne_u64_e32 vcc, 0, v[6:7]
	v_or_b32_e32 v30, s26, v4
	v_or_b32_e32 v37, s13, v37
	;; [unrolled: 1-line block ×3, first 2 shown]
	s_cbranch_vccnz .LBB119_248
; %bb.245:                              ;   in Loop: Header=BB119_43 Depth=1
	s_mov_b64 s[22:23], exec
	v_readlane_b32 s26, v74, 12
	v_readlane_b32 s27, v74, 13
	s_and_b64 s[26:27], s[22:23], s[26:27]
	s_mov_b64 exec, s[26:27]
; %bb.246:                              ;   in Loop: Header=BB119_43 Depth=1
	v_mov_b64_e32 v[6:7], s[20:21]
	ds_write_b64 v3, v[6:7] offset:5128
; %bb.247:                              ;   in Loop: Header=BB119_43 Depth=1
	s_or_b64 exec, exec, s[22:23]
	s_waitcnt lgkmcnt(0)
	s_barrier
.LBB119_248:                            ;   in Loop: Header=BB119_43 Depth=1
	s_or_saveexec_b64 s[8:9], s[8:9]
	s_mov_b64 s[22:23], 0
	v_mov_b32_e32 v2, 8
	s_xor_b64 exec, exec, s[8:9]
; %bb.249:                              ;   in Loop: Header=BB119_43 Depth=1
	v_mov_b32_e32 v2, s21
	v_subrev_co_u32_e32 v10, vcc, s20, v10
	s_mov_b64 s[22:23], exec
	s_nop 0
	v_subb_co_u32_e32 v11, vcc, v11, v2, vcc
	v_mov_b32_e32 v2, 0
; %bb.250:                              ;   in Loop: Header=BB119_43 Depth=1
	s_or_b64 exec, exec, s[8:9]
	s_and_b64 s[8:9], s[22:23], exec
	v_mov_b64_e32 v[12:13], v[10:11]
.LBB119_251:                            ;   in Loop: Header=BB119_43 Depth=1
	s_or_b64 exec, exec, s[6:7]
	s_mov_b64 s[6:7], -1
                                        ; implicit-def: $sgpr40_sgpr41
                                        ; implicit-def: $sgpr38_sgpr39
	s_and_saveexec_b64 s[20:21], s[8:9]
	s_cbranch_execz .LBB119_300
; %bb.252:                              ;   in Loop: Header=BB119_43 Depth=1
	s_cmp_eq_u64 s[2:3], 1
	s_cselect_b64 s[6:7], -1, 0
	v_cmp_eq_u64_e32 vcc, 1, v[12:13]
	s_and_b64 s[8:9], s[6:7], vcc
	s_mov_b64 s[26:27], -1
                                        ; implicit-def: $sgpr40_sgpr41
                                        ; implicit-def: $sgpr38_sgpr39
	s_and_saveexec_b64 s[22:23], s[8:9]
	s_cbranch_execz .LBB119_288
; %bb.253:                              ;   in Loop: Header=BB119_43 Depth=1
	ds_read_b64 v[6:7], v3 offset:5120
	s_waitcnt lgkmcnt(0)
	s_barrier
	v_readfirstlane_b32 s26, v6
	v_readfirstlane_b32 s27, v7
	s_mov_b64 s[6:7], exec
	v_readlane_b32 s38, v74, 14
	v_readlane_b32 s39, v74, 15
	s_and_b64 s[38:39], s[6:7], s[38:39]
	s_mov_b64 exec, s[38:39]
; %bb.254:                              ;   in Loop: Header=BB119_43 Depth=1
	ds_write_b64 v56, v[64:65]
; %bb.255:                              ;   in Loop: Header=BB119_43 Depth=1
	s_or_b64 exec, exec, s[6:7]
	v_or_b32_e32 v31, s13, v31
	v_or_b32_e32 v30, s12, v30
	;; [unrolled: 1-line block ×4, first 2 shown]
	s_mov_b64 s[38:39], -1
	s_mov_b64 s[40:41], 0
	s_cmp_eq_u64 s[26:27], 0
	s_mov_b64 s[6:7], 0
	s_mov_b64 s[42:43], -1
	s_waitcnt lgkmcnt(0)
	s_barrier
                                        ; implicit-def: $vgpr8_vgpr9
	s_cbranch_scc1 .LBB119_272
; %bb.256:                              ;   in Loop: Header=BB119_43 Depth=1
	v_readlane_b32 s6, v74, 20
	s_add_u32 s46, s26, s6
	v_readlane_b32 s6, v74, 21
	s_addc_u32 s7, s27, s6
	s_mov_b32 s6, s81
	s_mov_b64 s[96:97], s[50:51]
	s_cmp_lg_u64 s[6:7], 0
	s_cbranch_scc0 .LBB119_307
; %bb.257:                              ;   in Loop: Header=BB119_43 Depth=1
	v_cvt_f32_u32_e32 v4, s72
	s_sub_u32 s6, 0, s72
	s_subb_u32 s44, 0, 0
	v_fmac_f32_e32 v4, 0, v61
	v_rcp_f32_e32 v4, v4
	s_nop 0
	v_mul_f32_e32 v4, 0x5f7ffffc, v4
	v_mul_f32_e32 v6, 0x2f800000, v4
	v_trunc_f32_e32 v6, v6
	v_fmac_f32_e32 v4, 0xcf800000, v6
	v_cvt_u32_f32_e32 v6, v6
	v_cvt_u32_f32_e32 v4, v4
	v_readfirstlane_b32 s45, v6
	v_readfirstlane_b32 s42, v4
	s_mul_i32 s43, s6, s45
	s_mul_hi_u32 s48, s6, s42
	s_mul_i32 s47, s44, s42
	s_add_i32 s43, s48, s43
	s_mul_i32 s49, s6, s42
	s_add_i32 s43, s43, s47
	s_mul_hi_u32 s48, s42, s49
	s_mul_i32 s50, s42, s43
	s_mul_hi_u32 s47, s42, s43
	s_add_u32 s48, s48, s50
	s_addc_u32 s47, 0, s47
	s_mul_hi_u32 s51, s45, s49
	s_mul_i32 s49, s45, s49
	s_add_u32 s48, s48, s49
	s_mul_hi_u32 s50, s45, s43
	s_addc_u32 s47, s47, s51
	s_addc_u32 s48, s50, 0
	s_mul_i32 s43, s45, s43
	s_add_u32 s43, s47, s43
	s_addc_u32 s47, 0, s48
	s_add_u32 s48, s42, s43
	s_cselect_b64 s[42:43], -1, 0
	s_cmp_lg_u64 s[42:43], 0
	s_addc_u32 s45, s45, s47
	s_mul_i32 s42, s6, s45
	s_mul_hi_u32 s43, s6, s48
	s_add_i32 s42, s43, s42
	s_mul_i32 s44, s44, s48
	s_add_i32 s42, s42, s44
	s_mul_i32 s6, s6, s48
	s_mul_hi_u32 s44, s45, s6
	s_mul_i32 s47, s45, s6
	s_mul_i32 s50, s48, s42
	s_mul_hi_u32 s6, s48, s6
	s_mul_hi_u32 s49, s48, s42
	s_add_u32 s6, s6, s50
	s_addc_u32 s49, 0, s49
	s_add_u32 s6, s6, s47
	s_mul_hi_u32 s43, s45, s42
	s_addc_u32 s6, s49, s44
	s_addc_u32 s43, s43, 0
	s_mul_i32 s42, s45, s42
	s_add_u32 s6, s6, s42
	s_addc_u32 s44, 0, s43
	s_add_u32 s6, s48, s6
	s_cselect_b64 s[42:43], -1, 0
	s_cmp_lg_u64 s[42:43], 0
	s_addc_u32 s42, s45, s44
	s_mul_i32 s44, s46, s42
	s_mul_hi_u32 s45, s46, s6
	s_mul_hi_u32 s43, s46, s42
	s_add_u32 s44, s45, s44
	s_addc_u32 s43, 0, s43
	s_mul_hi_u32 s47, s7, s6
	s_mul_i32 s6, s7, s6
	s_add_u32 s6, s44, s6
	s_mul_hi_u32 s45, s7, s42
	s_addc_u32 s6, s43, s47
	s_addc_u32 s43, s45, 0
	s_mul_i32 s42, s7, s42
	s_add_u32 s6, s6, s42
	s_addc_u32 s42, 0, s43
	s_mul_i32 s42, s72, s42
	s_mul_hi_u32 s43, s72, s6
	s_add_i32 s44, s43, s42
	s_mul_i32 s6, s72, s6
	s_sub_u32 s6, s46, s6
	s_cselect_b64 s[42:43], -1, 0
	s_cmp_lg_u64 s[42:43], 0
	s_subb_u32 s44, s7, s44
	s_sub_u32 s45, s6, s72
	s_cselect_b64 s[42:43], -1, 0
	s_cmp_lg_u64 s[42:43], 0
	s_subb_u32 s47, s44, 0
	s_sub_u32 s48, s45, s72
	s_cselect_b64 s[42:43], -1, 0
	s_cmp_lg_u64 s[42:43], 0
	s_subb_u32 s42, s47, 0
	s_cmp_ge_u32 s45, s72
	s_cselect_b32 s43, -1, 0
	s_cmp_eq_u32 s47, 0
	s_cselect_b32 s43, s43, -1
	s_cmp_lg_u32 s43, 0
	s_cselect_b32 s42, s42, s47
	s_cselect_b32 s45, s48, s45
	s_cmp_ge_u32 s6, s72
	s_cselect_b32 s43, -1, 0
	s_cmp_eq_u32 s44, 0
	s_cselect_b32 s43, s43, -1
	s_cmp_lg_u32 s43, 0
	s_cselect_b32 s43, s42, s44
	s_cselect_b32 s42, s45, s6
	s_cbranch_execnz .LBB119_259
.LBB119_258:                            ;   in Loop: Header=BB119_43 Depth=1
	v_cvt_f32_u32_e32 v4, s72
	s_sub_i32 s6, 0, s72
	v_rcp_iflag_f32_e32 v4, v4
	s_nop 0
	v_mul_f32_e32 v4, 0x4f7ffffe, v4
	v_cvt_u32_f32_e32 v4, v4
	s_nop 0
	v_readfirstlane_b32 s42, v4
	s_mul_i32 s6, s6, s42
	s_mul_hi_u32 s6, s42, s6
	s_add_i32 s42, s42, s6
	s_mul_hi_u32 s6, s46, s42
	s_mul_i32 s6, s6, s72
	s_sub_i32 s6, s46, s6
	s_sub_i32 s42, s6, s72
	s_cmp_ge_u32 s6, s72
	s_cselect_b32 s6, s42, s6
	s_sub_i32 s42, s6, s72
	s_cmp_ge_u32 s6, s72
	s_cselect_b32 s80, s42, s6
	s_mov_b64 s[42:43], s[80:81]
.LBB119_259:                            ;   in Loop: Header=BB119_43 Depth=1
	s_sub_u32 s46, s46, s42
	s_subb_u32 s47, s7, s43
	v_cmp_gt_u64_e32 vcc, s[46:47], v[0:1]
	s_mov_b64 s[42:43], 0
	s_mov_b64 s[6:7], 0
                                        ; implicit-def: $vgpr8_vgpr9
	s_and_saveexec_b64 s[44:45], vcc
	s_cbranch_execz .LBB119_271
; %bb.260:                              ;   in Loop: Header=BB119_43 Depth=1
	s_mov_b32 s60, s82
	v_mov_b32_e32 v14, v55
	v_mov_b64_e32 v[10:11], v[0:1]
                                        ; implicit-def: $sgpr48_sgpr49
	s_branch .LBB119_264
.LBB119_261:                            ;   in Loop: Header=BB119_264 Depth=2
	s_or_b64 exec, exec, s[50:51]
	s_waitcnt lgkmcnt(0)
	s_barrier
	ds_read_b128 v[6:9], v3 offset:3072
	s_waitcnt lgkmcnt(0)
	s_barrier
	v_cmp_neq_f64_e32 vcc, 0, v[6:7]
	s_cbranch_vccnz .LBB119_267
; %bb.262:                              ;   in Loop: Header=BB119_264 Depth=2
	v_lshl_add_u64 v[10:11], v[10:11], 0, s[72:73]
	v_cmp_le_u64_e32 vcc, s[46:47], v[10:11]
	v_add_u32_e32 v14, s4, v14
	s_mov_b64 s[50:51], 0
	s_orn2_b64 s[82:83], vcc, exec
.LBB119_263:                            ;   in Loop: Header=BB119_264 Depth=2
	s_and_b64 s[82:83], exec, s[82:83]
	s_or_b64 s[6:7], s[82:83], s[6:7]
	s_andn2_b64 s[48:49], s[48:49], exec
	s_and_b64 s[50:51], s[50:51], exec
	s_or_b64 s[48:49], s[48:49], s[50:51]
	s_andn2_b64 exec, exec, s[6:7]
	s_cbranch_execz .LBB119_270
.LBB119_264:                            ;   Parent Loop BB119_43 Depth=1
                                        ; =>  This Inner Loop Header: Depth=2
	v_cmp_gt_u64_e32 vcc, s[26:27], v[10:11]
	s_and_saveexec_b64 s[50:51], vcc
	s_cbranch_execz .LBB119_261
; %bb.265:                              ;   in Loop: Header=BB119_264 Depth=2
	ds_read_b64 v[6:7], v14
	s_waitcnt lgkmcnt(0)
	v_ashrrev_i32_e32 v4, 31, v7
	v_or_b32_e32 v8, 0x80000000, v4
	v_xor_b32_e32 v4, v4, v6
	v_xor_b32_e32 v8, v8, v7
	v_cmp_o_f64_e32 vcc, v[6:7], v[6:7]
	s_nop 1
	v_cndmask_b32_e32 v4, -1, v4, vcc
	v_cndmask_b32_e32 v8, -1, v8, vcc
	v_and_b32_e32 v9, v8, v37
	v_and_b32_e32 v8, v4, v36
	v_cmp_eq_u64_e32 vcc, v[8:9], v[30:31]
	s_and_b64 exec, exec, vcc
	s_cbranch_execz .LBB119_261
; %bb.266:                              ;   in Loop: Header=BB119_264 Depth=2
	v_mov_b32_e32 v4, v3
	ds_write_b128 v3, v[4:7] offset:3072
	s_branch .LBB119_261
.LBB119_267:                            ;   in Loop: Header=BB119_264 Depth=2
	s_mov_b64 s[82:83], -1
                                        ; implicit-def: $vgpr10_vgpr11
                                        ; implicit-def: $vgpr14
	s_mov_b64 s[50:51], -1
	s_branch .LBB119_263
.LBB119_268:                            ;   in Loop: Header=BB119_43 Depth=1
                                        ; implicit-def: $sgpr38_sgpr39
	s_branch .LBB119_211
.LBB119_269:                            ;   in Loop: Header=BB119_43 Depth=1
                                        ; implicit-def: $sgpr10_sgpr11
	s_branch .LBB119_228
.LBB119_270:                            ;   in Loop: Header=BB119_43 Depth=1
	s_or_b64 exec, exec, s[6:7]
	v_readlane_b32 s86, v74, 39
	s_and_b64 s[6:7], s[48:49], exec
	v_readlane_b32 s87, v74, 40
	s_mov_b32 s82, s60
.LBB119_271:                            ;   in Loop: Header=BB119_43 Depth=1
	s_or_b64 exec, exec, s[44:45]
	s_mov_b64 s[50:51], s[96:97]
.LBB119_272:                            ;   in Loop: Header=BB119_43 Depth=1
	s_and_b64 vcc, exec, s[42:43]
	s_cbranch_vccz .LBB119_287
; %bb.273:                              ;   in Loop: Header=BB119_43 Depth=1
	s_mov_b32 s60, s81
	s_cmp_lg_u64 s[60:61], 0
	s_cbranch_scc0 .LBB119_308
; %bb.274:                              ;   in Loop: Header=BB119_43 Depth=1
	v_cvt_f32_u32_e32 v4, s72
	s_sub_u32 s38, 0, s72
	s_subb_u32 s39, 0, 0
	v_fmac_f32_e32 v4, 0, v61
	v_rcp_f32_e32 v4, v4
	s_nop 0
	v_mul_f32_e32 v4, 0x5f7ffffc, v4
	v_mul_f32_e32 v6, 0x2f800000, v4
	v_trunc_f32_e32 v6, v6
	v_fmac_f32_e32 v4, 0xcf800000, v6
	v_cvt_u32_f32_e32 v6, v6
	v_cvt_u32_f32_e32 v4, v4
	v_readfirstlane_b32 s40, v6
	v_readfirstlane_b32 s26, v4
	s_mul_i32 s27, s38, s40
	s_mul_hi_u32 s42, s38, s26
	s_mul_i32 s41, s39, s26
	s_add_i32 s27, s42, s27
	s_mul_i32 s43, s38, s26
	s_add_i32 s27, s27, s41
	s_mul_hi_u32 s42, s26, s43
	s_mul_i32 s44, s26, s27
	s_mul_hi_u32 s41, s26, s27
	s_add_u32 s42, s42, s44
	s_addc_u32 s41, 0, s41
	s_mul_hi_u32 s45, s40, s43
	s_mul_i32 s43, s40, s43
	s_add_u32 s42, s42, s43
	s_mul_hi_u32 s44, s40, s27
	s_addc_u32 s41, s41, s45
	s_addc_u32 s42, s44, 0
	s_mul_i32 s27, s40, s27
	s_add_u32 s27, s41, s27
	s_addc_u32 s41, 0, s42
	s_add_u32 s42, s26, s27
	s_cselect_b64 s[26:27], -1, 0
	s_cmp_lg_u64 s[26:27], 0
	s_addc_u32 s40, s40, s41
	s_mul_i32 s26, s38, s40
	s_mul_hi_u32 s27, s38, s42
	s_add_i32 s26, s27, s26
	s_mul_i32 s39, s39, s42
	s_add_i32 s26, s26, s39
	s_mul_i32 s38, s38, s42
	s_mul_hi_u32 s39, s40, s38
	s_mul_i32 s41, s40, s38
	s_mul_i32 s44, s42, s26
	s_mul_hi_u32 s38, s42, s38
	s_mul_hi_u32 s43, s42, s26
	s_add_u32 s38, s38, s44
	s_addc_u32 s43, 0, s43
	s_add_u32 s38, s38, s41
	s_mul_hi_u32 s27, s40, s26
	s_addc_u32 s38, s43, s39
	s_addc_u32 s27, s27, 0
	s_mul_i32 s26, s40, s26
	s_add_u32 s26, s38, s26
	s_addc_u32 s38, 0, s27
	s_add_u32 s39, s42, s26
	s_cselect_b64 s[26:27], -1, 0
	s_cmp_lg_u64 s[26:27], 0
	s_addc_u32 s26, s40, s38
	s_mul_i32 s38, s99, s26
	s_mul_hi_u32 s40, s99, s39
	s_mul_hi_u32 s27, s99, s26
	s_add_u32 s38, s40, s38
	s_addc_u32 s27, 0, s27
	s_mul_hi_u32 s41, s61, s39
	s_mul_i32 s39, s61, s39
	s_add_u32 s38, s38, s39
	s_mul_hi_u32 s40, s61, s26
	s_addc_u32 s27, s27, s41
	s_addc_u32 s38, s40, 0
	s_mul_i32 s26, s61, s26
	s_add_u32 s26, s27, s26
	s_addc_u32 s27, 0, s38
	s_mul_i32 s27, s72, s27
	s_mul_hi_u32 s38, s72, s26
	s_add_i32 s38, s38, s27
	s_mul_i32 s26, s72, s26
	s_sub_u32 s39, s99, s26
	s_cselect_b64 s[26:27], -1, 0
	s_cmp_lg_u64 s[26:27], 0
	s_subb_u32 s38, s61, s38
	s_sub_u32 s40, s39, s72
	s_cselect_b64 s[26:27], -1, 0
	s_cmp_lg_u64 s[26:27], 0
	s_subb_u32 s41, s38, 0
	;; [unrolled: 4-line block ×3, first 2 shown]
	s_cmp_ge_u32 s40, s72
	s_cselect_b32 s27, -1, 0
	s_cmp_eq_u32 s41, 0
	s_cselect_b32 s27, s27, -1
	s_cmp_lg_u32 s27, 0
	s_cselect_b32 s26, s26, s41
	s_cselect_b32 s40, s42, s40
	s_cmp_ge_u32 s39, s72
	s_cselect_b32 s27, -1, 0
	s_cmp_eq_u32 s38, 0
	s_cselect_b32 s27, s27, -1
	s_cmp_lg_u32 s27, 0
	s_cselect_b32 s27, s26, s38
	s_cselect_b32 s26, s40, s39
	s_cbranch_execnz .LBB119_276
.LBB119_275:                            ;   in Loop: Header=BB119_43 Depth=1
	v_cvt_f32_u32_e32 v4, s72
	s_sub_i32 s26, 0, s72
	v_rcp_iflag_f32_e32 v4, v4
	s_nop 0
	v_mul_f32_e32 v4, 0x4f7ffffe, v4
	v_cvt_u32_f32_e32 v4, v4
	s_nop 0
	v_readfirstlane_b32 s27, v4
	s_mul_i32 s26, s26, s27
	s_mul_hi_u32 s26, s27, s26
	s_add_i32 s27, s27, s26
	s_mul_hi_u32 s26, s99, s27
	s_mul_i32 s26, s26, s72
	s_sub_i32 s26, s99, s26
	s_sub_i32 s27, s26, s72
	s_cmp_ge_u32 s26, s72
	s_cselect_b32 s26, s27, s26
	s_sub_i32 s27, s26, s72
	s_cmp_ge_u32 s26, s72
	s_cselect_b32 s80, s27, s26
	s_mov_b64 s[26:27], s[80:81]
.LBB119_276:                            ;   in Loop: Header=BB119_43 Depth=1
	s_sub_u32 s38, s99, s26
	s_subb_u32 s39, s61, s27
	v_cmp_gt_u64_e32 vcc, s[38:39], v[0:1]
                                        ; implicit-def: $vgpr8_vgpr9
	s_and_saveexec_b64 s[26:27], vcc
	s_cbranch_execz .LBB119_286
; %bb.277:                              ;   in Loop: Header=BB119_43 Depth=1
	s_mov_b64 s[40:41], 0
	v_mov_b64_e32 v[10:11], v[18:19]
	v_mov_b64_e32 v[14:15], v[0:1]
                                        ; implicit-def: $sgpr42_sgpr43
	s_branch .LBB119_281
.LBB119_278:                            ;   in Loop: Header=BB119_281 Depth=2
	s_or_b64 exec, exec, s[44:45]
	s_waitcnt lgkmcnt(0)
	s_barrier
	ds_read_b128 v[6:9], v3 offset:3072
	s_waitcnt lgkmcnt(0)
	s_barrier
	v_cmp_eq_f64_e32 vcc, 0, v[6:7]
	s_cbranch_vccz .LBB119_284
; %bb.279:                              ;   in Loop: Header=BB119_281 Depth=2
	v_lshl_add_u64 v[14:15], v[14:15], 0, s[72:73]
	v_cmp_le_u64_e32 vcc, s[38:39], v[14:15]
	v_lshl_add_u64 v[10:11], v[10:11], 0, s[74:75]
	s_mov_b64 s[44:45], 0
	s_orn2_b64 s[46:47], vcc, exec
.LBB119_280:                            ;   in Loop: Header=BB119_281 Depth=2
	s_and_b64 s[46:47], exec, s[46:47]
	s_or_b64 s[40:41], s[46:47], s[40:41]
	s_andn2_b64 s[42:43], s[42:43], exec
	s_and_b64 s[44:45], s[44:45], exec
	s_or_b64 s[42:43], s[42:43], s[44:45]
	s_andn2_b64 exec, exec, s[40:41]
	s_cbranch_execz .LBB119_285
.LBB119_281:                            ;   Parent Loop BB119_43 Depth=1
                                        ; =>  This Inner Loop Header: Depth=2
	v_cmp_gt_u64_e32 vcc, s[52:53], v[14:15]
	s_and_saveexec_b64 s[44:45], vcc
	s_cbranch_execz .LBB119_278
; %bb.282:                              ;   in Loop: Header=BB119_281 Depth=2
	global_load_dwordx2 v[6:7], v[10:11], off
	s_waitcnt vmcnt(0)
	v_ashrrev_i32_e32 v4, 31, v7
	v_or_b32_e32 v8, 0x80000000, v4
	v_xor_b32_e32 v4, v4, v6
	v_xor_b32_e32 v8, v8, v7
	v_cmp_o_f64_e32 vcc, v[6:7], v[6:7]
	s_nop 1
	v_cndmask_b32_e32 v4, -1, v4, vcc
	v_cndmask_b32_e32 v8, -1, v8, vcc
	v_and_b32_e32 v9, v8, v37
	v_and_b32_e32 v8, v4, v36
	v_cmp_eq_u64_e32 vcc, v[8:9], v[30:31]
	s_and_b64 exec, exec, vcc
	s_cbranch_execz .LBB119_278
; %bb.283:                              ;   in Loop: Header=BB119_281 Depth=2
	v_mov_b32_e32 v4, v3
	ds_write_b128 v3, v[4:7] offset:3072
	s_branch .LBB119_278
.LBB119_284:                            ;   in Loop: Header=BB119_281 Depth=2
	s_mov_b64 s[46:47], -1
                                        ; implicit-def: $vgpr14_vgpr15
                                        ; implicit-def: $vgpr10_vgpr11
	s_mov_b64 s[44:45], -1
	s_branch .LBB119_280
.LBB119_285:                            ;   in Loop: Header=BB119_43 Depth=1
	s_or_b64 exec, exec, s[40:41]
	s_andn2_b64 s[6:7], s[6:7], exec
	s_and_b64 s[38:39], s[42:43], exec
	s_or_b64 s[6:7], s[6:7], s[38:39]
.LBB119_286:                            ;   in Loop: Header=BB119_43 Depth=1
	s_or_b64 exec, exec, s[26:27]
	s_mov_b64 s[38:39], 0
	s_mov_b64 s[40:41], -1
.LBB119_287:                            ;   in Loop: Header=BB119_43 Depth=1
	s_orn2_b64 s[26:27], s[6:7], exec
.LBB119_288:                            ;   in Loop: Header=BB119_43 Depth=1
	s_or_b64 exec, exec, s[22:23]
	s_mov_b64 s[22:23], 0
	s_and_saveexec_b64 s[6:7], s[26:27]
	s_cbranch_execz .LBB119_299
; %bb.289:                              ;   in Loop: Header=BB119_43 Depth=1
	s_xor_b64 s[22:23], s[8:9], -1
	v_mov_b64_e32 v[6:7], 1
	v_mov_b32_e32 v2, 1
	s_and_saveexec_b64 s[8:9], s[22:23]
	s_cbranch_execz .LBB119_298
; %bb.290:                              ;   in Loop: Header=BB119_43 Depth=1
	v_cmp_ge_u64_e32 vcc, s[2:3], v[12:13]
	s_and_saveexec_b64 s[22:23], vcc
	s_xor_b64 s[22:23], exec, s[22:23]
	s_cbranch_execz .LBB119_295
; %bb.291:                              ;   in Loop: Header=BB119_43 Depth=1
	ds_read_b64 v[6:7], v3 offset:5120
	v_or_b32_e32 v31, s13, v31
	v_or_b32_e32 v30, s12, v30
	;; [unrolled: 1-line block ×4, first 2 shown]
	s_waitcnt lgkmcnt(0)
	v_cmp_ne_u64_e32 vcc, 0, v[6:7]
	s_cbranch_vccnz .LBB119_295
; %bb.292:                              ;   in Loop: Header=BB119_43 Depth=1
	s_mov_b64 s[12:13], exec
	v_readlane_b32 s26, v74, 12
	v_readlane_b32 s27, v74, 13
	s_and_b64 s[26:27], s[12:13], s[26:27]
	s_mov_b64 exec, s[26:27]
; %bb.293:                              ;   in Loop: Header=BB119_43 Depth=1
	v_mov_b64_e32 v[6:7], s[2:3]
	ds_write_b64 v3, v[6:7] offset:5128
; %bb.294:                              ;   in Loop: Header=BB119_43 Depth=1
	s_or_b64 exec, exec, s[12:13]
	s_waitcnt lgkmcnt(0)
	s_barrier
.LBB119_295:                            ;   in Loop: Header=BB119_43 Depth=1
	s_andn2_saveexec_b64 s[12:13], s[22:23]
; %bb.296:                              ;   in Loop: Header=BB119_43 Depth=1
	v_mov_b32_e32 v2, s3
	v_subrev_co_u32_e32 v12, vcc, s2, v12
	s_nop 1
	v_subb_co_u32_e32 v13, vcc, v13, v2, vcc
; %bb.297:                              ;   in Loop: Header=BB119_43 Depth=1
	s_or_b64 exec, exec, s[12:13]
	v_mov_b32_e32 v2, 8
	v_mov_b64_e32 v[6:7], v[12:13]
.LBB119_298:                            ;   in Loop: Header=BB119_43 Depth=1
	s_or_b64 exec, exec, s[8:9]
	s_mov_b64 s[22:23], exec
	v_mov_b64_e32 v[12:13], v[6:7]
.LBB119_299:                            ;   in Loop: Header=BB119_43 Depth=1
	s_or_b64 exec, exec, s[6:7]
	s_orn2_b64 s[6:7], s[22:23], exec
.LBB119_300:                            ;   in Loop: Header=BB119_43 Depth=1
	s_or_b64 exec, exec, s[20:21]
	s_andn2_b64 s[2:3], s[34:35], exec
	s_and_b64 s[8:9], s[40:41], exec
	s_or_b64 s[34:35], s[2:3], s[8:9]
	s_andn2_b64 s[2:3], s[10:11], exec
	s_and_b64 s[8:9], s[38:39], exec
	s_or_b64 s[10:11], s[2:3], s[8:9]
	s_and_b64 s[26:27], s[6:7], exec
	v_mov_b64_e32 v[10:11], v[12:13]
.LBB119_301:                            ;   in Loop: Header=BB119_43 Depth=1
	s_or_b64 exec, exec, s[36:37]
	s_orn2_b64 s[6:7], s[26:27], exec
.LBB119_302:                            ;   in Loop: Header=BB119_43 Depth=1
	s_or_b64 exec, exec, s[30:31]
	s_andn2_b64 s[2:3], s[24:25], exec
	s_and_b64 s[8:9], s[34:35], exec
	s_or_b64 s[24:25], s[2:3], s[8:9]
	s_andn2_b64 s[0:1], s[0:1], exec
	s_and_b64 s[2:3], s[10:11], exec
	s_or_b64 s[0:1], s[0:1], s[2:3]
	s_and_b64 s[10:11], s[6:7], exec
	v_mov_b64_e32 v[14:15], v[10:11]
.LBB119_303:                            ;   in Loop: Header=BB119_43 Depth=1
	s_or_b64 exec, exec, s[28:29]
	s_orn2_b64 s[6:7], s[10:11], exec
.LBB119_304:                            ;   in Loop: Header=BB119_43 Depth=1
	s_or_b64 exec, exec, s[18:19]
	s_mov_b64 s[8:9], 0
	s_and_saveexec_b64 s[2:3], s[6:7]
	s_xor_b64 s[2:3], exec, s[2:3]
	s_cbranch_execz .LBB119_41
; %bb.305:                              ;   in Loop: Header=BB119_43 Depth=1
	v_and_b32_e32 v2, 7, v2
	v_cmp_eq_u32_e32 vcc, 0, v2
	s_mov_b64 s[6:7], -1
	s_mov_b64 s[8:9], -1
	s_and_saveexec_b64 s[10:11], vcc
	s_cbranch_execz .LBB119_40
; %bb.306:                              ;   in Loop: Header=BB119_43 Depth=1
	s_xor_b32 s82, s82, 1
	s_add_i32 s12, s5, -2
	s_cmp_eq_u32 s5, 0
	s_cselect_b64 s[6:7], -1, 0
	s_xor_b64 s[8:9], exec, -1
	s_orn2_b64 s[6:7], s[6:7], exec
	s_mov_b32 s5, s12
	s_branch .LBB119_40
.LBB119_307:                            ;   in Loop: Header=BB119_43 Depth=1
                                        ; implicit-def: $sgpr42_sgpr43
	s_branch .LBB119_258
.LBB119_308:                            ;   in Loop: Header=BB119_43 Depth=1
                                        ; implicit-def: $sgpr26_sgpr27
	s_branch .LBB119_275
.LBB119_309:
	s_or_b64 exec, exec, s[68:69]
	s_xor_b64 s[4:5], s[62:63], -1
	s_xor_b64 s[2:3], s[66:67], -1
	;; [unrolled: 1-line block ×3, first 2 shown]
	s_mov_b64 s[0:1], 0
	s_and_saveexec_b64 s[8:9], s[2:3]
	s_xor_b64 s[2:3], exec, s[8:9]
	s_cbranch_execnz .LBB119_314
; %bb.310:
	s_andn2_saveexec_b64 s[2:3], s[2:3]
	s_cbranch_execnz .LBB119_327
.LBB119_311:
	s_or_b64 exec, exec, s[2:3]
	s_and_saveexec_b64 s[2:3], s[0:1]
.LBB119_312:
	; divergent unreachable
.LBB119_313:
	s_endpgm
.LBB119_314:
	s_and_saveexec_b64 s[0:1], s[4:5]
	s_xor_b64 s[4:5], exec, s[0:1]
	s_cbranch_execz .LBB119_325
; %bb.315:
	s_and_saveexec_b64 s[0:1], s[6:7]
	s_xor_b64 s[0:1], exec, s[0:1]
; %bb.316:
	v_lshrrev_b32_e32 v2, 31, v31
	v_mov_b32_e32 v3, 0
	v_lshl_add_u64 v[2:3], v[2:3], 0, -1
	v_or_b32_e32 v3, 0x80000000, v3
	v_xor_b32_e32 v9, v3, v31
	v_xor_b32_e32 v8, v2, v30
; %bb.317:
	s_or_b64 exec, exec, s[0:1]
	v_readlane_b32 s8, v74, 0
	v_readlane_b32 s6, v74, 2
	;; [unrolled: 1-line block ×4, first 2 shown]
	s_mul_i32 s0, s6, s9
	s_mul_hi_u32 s1, s6, s8
	s_add_i32 s0, s1, s0
	s_mul_i32 s1, s7, s8
	s_add_i32 s1, s0, s1
	s_mul_i32 s0, s6, s8
	s_lshl_b64 s[0:1], s[0:1], 3
	v_readlane_b32 s6, v74, 6
	v_readlane_b32 s7, v74, 7
	s_add_u32 s6, s6, s0
	s_addc_u32 s7, s7, s1
	s_lshl_b64 s[0:1], s[54:55], 3
	s_add_u32 s0, s6, s0
	s_addc_u32 s1, s7, s1
	v_mov_b32_e32 v2, 0
	global_store_dwordx2 v2, v[8:9], s[0:1]
	s_mov_b64 s[6:7], exec
	v_readlane_b32 s0, v74, 10
	v_readlane_b32 s1, v74, 11
	s_and_b64 s[0:1], s[6:7], s[0:1]
	s_mov_b64 exec, s[0:1]
	s_cbranch_execz .LBB119_324
; %bb.318:
	v_cmp_u_f64_e32 vcc, v[8:9], v[8:9]
	s_mov_b64 s[8:9], 0
	s_xor_b64 s[12:13], vcc, -1
                                        ; implicit-def: $sgpr10_sgpr11
                                        ; implicit-def: $sgpr16_sgpr17
                                        ; implicit-def: $sgpr14_sgpr15
	s_branch .LBB119_320
.LBB119_319:                            ;   in Loop: Header=BB119_320 Depth=1
	s_or_b64 exec, exec, s[0:1]
	s_and_b64 s[0:1], exec, s[16:17]
	s_or_b64 s[8:9], s[0:1], s[8:9]
	s_andn2_b64 s[0:1], s[10:11], exec
	s_and_b64 s[10:11], s[14:15], exec
	s_or_b64 s[10:11], s[0:1], s[10:11]
	s_andn2_b64 exec, exec, s[8:9]
	s_cbranch_execz .LBB119_322
.LBB119_320:                            ; =>This Inner Loop Header: Depth=1
	global_load_dwordx2 v[4:5], v[18:19], off
	v_mov_b64_e32 v[2:3], v[0:1]
	s_or_b64 s[14:15], s[14:15], exec
	s_or_b64 s[16:17], s[16:17], exec
                                        ; implicit-def: $vgpr0_vgpr1
	s_waitcnt vmcnt(0)
	v_cmp_o_f64_e64 s[0:1], v[4:5], v[4:5]
	v_cmp_neq_f64_e32 vcc, v[4:5], v[8:9]
	s_or_b64 s[0:1], s[0:1], s[12:13]
	s_and_b64 s[18:19], vcc, s[0:1]
	s_and_saveexec_b64 s[0:1], s[18:19]
	s_cbranch_execz .LBB119_319
; %bb.321:                              ;   in Loop: Header=BB119_320 Depth=1
	v_lshl_add_u64 v[0:1], v[2:3], 0, s[72:73]
	v_cmp_le_u64_e32 vcc, s[52:53], v[0:1]
	s_andn2_b64 s[16:17], s[16:17], exec
	s_and_b64 s[18:19], vcc, exec
	v_lshl_add_u64 v[18:19], v[18:19], 0, s[74:75]
	s_andn2_b64 s[14:15], s[14:15], exec
	s_or_b64 s[16:17], s[16:17], s[18:19]
	s_branch .LBB119_319
.LBB119_322:
	s_or_b64 exec, exec, s[8:9]
	s_and_saveexec_b64 s[0:1], s[10:11]
	s_xor_b64 s[0:1], exec, s[0:1]
	s_cbranch_execz .LBB119_324
; %bb.323:
	v_readlane_b32 s8, v74, 4
	v_readlane_b32 s9, v74, 5
	s_mul_i32 s0, s8, s65
	s_mul_hi_u32 s1, s8, s64
	s_add_i32 s0, s1, s0
	s_mul_i32 s1, s9, s64
	s_add_i32 s1, s0, s1
	s_mul_i32 s0, s8, s64
	s_lshl_b64 s[0:1], s[0:1], 3
	v_readlane_b32 s8, v74, 8
	v_readlane_b32 s9, v74, 9
	s_add_u32 s8, s8, s0
	s_addc_u32 s9, s9, s1
	s_lshl_b64 s[0:1], s[58:59], 3
	s_add_u32 s0, s8, s0
	s_addc_u32 s1, s9, s1
	v_mov_b32_e32 v0, 0
	global_store_dwordx2 v0, v[2:3], s[0:1]
.LBB119_324:
	s_or_b64 exec, exec, s[6:7]
.LBB119_325:
	s_or_saveexec_b64 s[0:1], s[4:5]
	s_mov_b64 s[4:5], 0
	s_xor_b64 exec, exec, s[0:1]
	s_cbranch_execnz .LBB119_328
.LBB119_326:
	s_or_b64 exec, exec, s[0:1]
	s_and_b64 s[0:1], s[4:5], exec
	s_andn2_saveexec_b64 s[2:3], s[2:3]
	s_cbranch_execz .LBB119_311
.LBB119_327:
	s_or_b64 s[0:1], s[0:1], exec
	s_trap 2
	s_or_b64 exec, exec, s[2:3]
	s_and_saveexec_b64 s[2:3], s[0:1]
	s_cbranch_execnz .LBB119_312
	s_branch .LBB119_313
.LBB119_328:
	s_mov_b64 s[4:5], exec
	s_trap 2
	s_branch .LBB119_326
	.section	.rodata,"a",@progbits
	.p2align	6, 0x0
	.amdhsa_kernel _ZN2at6native12_GLOBAL__N_112gatherMedianIdmLin1EEEvNS_4cuda6detail10TensorInfoIT_T0_EENS5_IlS7_EENS5_IKS6_S7_EES7_S7_S7_b
		.amdhsa_group_segment_fixed_size 5152
		.amdhsa_private_segment_fixed_size 0
		.amdhsa_kernarg_size 1536
		.amdhsa_user_sgpr_count 2
		.amdhsa_user_sgpr_dispatch_ptr 0
		.amdhsa_user_sgpr_queue_ptr 0
		.amdhsa_user_sgpr_kernarg_segment_ptr 1
		.amdhsa_user_sgpr_dispatch_id 0
		.amdhsa_user_sgpr_kernarg_preload_length 0
		.amdhsa_user_sgpr_kernarg_preload_offset 0
		.amdhsa_user_sgpr_private_segment_size 0
		.amdhsa_uses_dynamic_stack 0
		.amdhsa_enable_private_segment 0
		.amdhsa_system_sgpr_workgroup_id_x 1
		.amdhsa_system_sgpr_workgroup_id_y 1
		.amdhsa_system_sgpr_workgroup_id_z 1
		.amdhsa_system_sgpr_workgroup_info 0
		.amdhsa_system_vgpr_workitem_id 0
		.amdhsa_next_free_vgpr 75
		.amdhsa_next_free_sgpr 100
		.amdhsa_accum_offset 76
		.amdhsa_reserve_vcc 1
		.amdhsa_float_round_mode_32 0
		.amdhsa_float_round_mode_16_64 0
		.amdhsa_float_denorm_mode_32 3
		.amdhsa_float_denorm_mode_16_64 3
		.amdhsa_dx10_clamp 1
		.amdhsa_ieee_mode 1
		.amdhsa_fp16_overflow 0
		.amdhsa_tg_split 0
		.amdhsa_exception_fp_ieee_invalid_op 0
		.amdhsa_exception_fp_denorm_src 0
		.amdhsa_exception_fp_ieee_div_zero 0
		.amdhsa_exception_fp_ieee_overflow 0
		.amdhsa_exception_fp_ieee_underflow 0
		.amdhsa_exception_fp_ieee_inexact 0
		.amdhsa_exception_int_div_zero 0
	.end_amdhsa_kernel
	.section	.text._ZN2at6native12_GLOBAL__N_112gatherMedianIdmLin1EEEvNS_4cuda6detail10TensorInfoIT_T0_EENS5_IlS7_EENS5_IKS6_S7_EES7_S7_S7_b,"axG",@progbits,_ZN2at6native12_GLOBAL__N_112gatherMedianIdmLin1EEEvNS_4cuda6detail10TensorInfoIT_T0_EENS5_IlS7_EENS5_IKS6_S7_EES7_S7_S7_b,comdat
.Lfunc_end119:
	.size	_ZN2at6native12_GLOBAL__N_112gatherMedianIdmLin1EEEvNS_4cuda6detail10TensorInfoIT_T0_EENS5_IlS7_EENS5_IKS6_S7_EES7_S7_S7_b, .Lfunc_end119-_ZN2at6native12_GLOBAL__N_112gatherMedianIdmLin1EEEvNS_4cuda6detail10TensorInfoIT_T0_EENS5_IlS7_EENS5_IKS6_S7_EES7_S7_S7_b
                                        ; -- End function
	.set _ZN2at6native12_GLOBAL__N_112gatherMedianIdmLin1EEEvNS_4cuda6detail10TensorInfoIT_T0_EENS5_IlS7_EENS5_IKS6_S7_EES7_S7_S7_b.num_vgpr, 75
	.set _ZN2at6native12_GLOBAL__N_112gatherMedianIdmLin1EEEvNS_4cuda6detail10TensorInfoIT_T0_EENS5_IlS7_EENS5_IKS6_S7_EES7_S7_S7_b.num_agpr, 0
	.set _ZN2at6native12_GLOBAL__N_112gatherMedianIdmLin1EEEvNS_4cuda6detail10TensorInfoIT_T0_EENS5_IlS7_EENS5_IKS6_S7_EES7_S7_S7_b.numbered_sgpr, 100
	.set _ZN2at6native12_GLOBAL__N_112gatherMedianIdmLin1EEEvNS_4cuda6detail10TensorInfoIT_T0_EENS5_IlS7_EENS5_IKS6_S7_EES7_S7_S7_b.num_named_barrier, 0
	.set _ZN2at6native12_GLOBAL__N_112gatherMedianIdmLin1EEEvNS_4cuda6detail10TensorInfoIT_T0_EENS5_IlS7_EENS5_IKS6_S7_EES7_S7_S7_b.private_seg_size, 0
	.set _ZN2at6native12_GLOBAL__N_112gatherMedianIdmLin1EEEvNS_4cuda6detail10TensorInfoIT_T0_EENS5_IlS7_EENS5_IKS6_S7_EES7_S7_S7_b.uses_vcc, 1
	.set _ZN2at6native12_GLOBAL__N_112gatherMedianIdmLin1EEEvNS_4cuda6detail10TensorInfoIT_T0_EENS5_IlS7_EENS5_IKS6_S7_EES7_S7_S7_b.uses_flat_scratch, 0
	.set _ZN2at6native12_GLOBAL__N_112gatherMedianIdmLin1EEEvNS_4cuda6detail10TensorInfoIT_T0_EENS5_IlS7_EENS5_IKS6_S7_EES7_S7_S7_b.has_dyn_sized_stack, 0
	.set _ZN2at6native12_GLOBAL__N_112gatherMedianIdmLin1EEEvNS_4cuda6detail10TensorInfoIT_T0_EENS5_IlS7_EENS5_IKS6_S7_EES7_S7_S7_b.has_recursion, 0
	.set _ZN2at6native12_GLOBAL__N_112gatherMedianIdmLin1EEEvNS_4cuda6detail10TensorInfoIT_T0_EENS5_IlS7_EENS5_IKS6_S7_EES7_S7_S7_b.has_indirect_call, 0
	.section	.AMDGPU.csdata,"",@progbits
; Kernel info:
; codeLenInByte = 18356
; TotalNumSgprs: 106
; NumVgprs: 75
; NumAgprs: 0
; TotalNumVgprs: 75
; ScratchSize: 0
; MemoryBound: 0
; FloatMode: 240
; IeeeMode: 1
; LDSByteSize: 5152 bytes/workgroup (compile time only)
; SGPRBlocks: 13
; VGPRBlocks: 9
; NumSGPRsForWavesPerEU: 106
; NumVGPRsForWavesPerEU: 75
; AccumOffset: 76
; Occupancy: 6
; WaveLimiterHint : 1
; COMPUTE_PGM_RSRC2:SCRATCH_EN: 0
; COMPUTE_PGM_RSRC2:USER_SGPR: 2
; COMPUTE_PGM_RSRC2:TRAP_HANDLER: 0
; COMPUTE_PGM_RSRC2:TGID_X_EN: 1
; COMPUTE_PGM_RSRC2:TGID_Y_EN: 1
; COMPUTE_PGM_RSRC2:TGID_Z_EN: 1
; COMPUTE_PGM_RSRC2:TIDIG_COMP_CNT: 0
; COMPUTE_PGM_RSRC3_GFX90A:ACCUM_OFFSET: 18
; COMPUTE_PGM_RSRC3_GFX90A:TG_SPLIT: 0
	.section	.text._ZN2at6native12_GLOBAL__N_112gatherMedianIfjLi1EEEvNS_4cuda6detail10TensorInfoIT_T0_EENS5_IlS7_EENS5_IKS6_S7_EES7_S7_S7_b,"axG",@progbits,_ZN2at6native12_GLOBAL__N_112gatherMedianIfjLi1EEEvNS_4cuda6detail10TensorInfoIT_T0_EENS5_IlS7_EENS5_IKS6_S7_EES7_S7_S7_b,comdat
	.globl	_ZN2at6native12_GLOBAL__N_112gatherMedianIfjLi1EEEvNS_4cuda6detail10TensorInfoIT_T0_EENS5_IlS7_EENS5_IKS6_S7_EES7_S7_S7_b ; -- Begin function _ZN2at6native12_GLOBAL__N_112gatherMedianIfjLi1EEEvNS_4cuda6detail10TensorInfoIT_T0_EENS5_IlS7_EENS5_IKS6_S7_EES7_S7_S7_b
	.p2align	8
	.type	_ZN2at6native12_GLOBAL__N_112gatherMedianIfjLi1EEEvNS_4cuda6detail10TensorInfoIT_T0_EENS5_IlS7_EENS5_IKS6_S7_EES7_S7_S7_b,@function
_ZN2at6native12_GLOBAL__N_112gatherMedianIfjLi1EEEvNS_4cuda6detail10TensorInfoIT_T0_EENS5_IlS7_EENS5_IKS6_S7_EES7_S7_S7_b: ; @_ZN2at6native12_GLOBAL__N_112gatherMedianIfjLi1EEEvNS_4cuda6detail10TensorInfoIT_T0_EENS5_IlS7_EENS5_IKS6_S7_EES7_S7_S7_b
; %bb.0:
	s_load_dwordx2 s[10:11], s[0:1], 0x298
	s_load_dwordx4 s[64:67], s[0:1], 0x288
	s_add_u32 s8, s0, 0x298
	s_addc_u32 s9, s1, 0
	s_waitcnt lgkmcnt(0)
	s_mul_i32 s4, s11, s4
	s_add_i32 s3, s4, s3
	s_mul_i32 s3, s3, s10
	s_add_i32 s6, s3, s2
	s_cmp_ge_u32 s6, s65
	s_cbranch_scc1 .LBB120_272
; %bb.1:
	s_load_dword s3, s[0:1], 0x21c
	s_load_dwordx2 s[4:5], s[0:1], 0x1b0
	s_load_dwordx2 s[12:13], s[0:1], 0xd8
                                        ; implicit-def: $vgpr68 : SGPR spill to VGPR lane
	s_mov_b32 s7, 0
	v_mov_b32_e32 v2, 0
	s_waitcnt lgkmcnt(0)
	v_writelane_b32 v68, s12, 0
	s_nop 1
	v_writelane_b32 v68, s13, 1
	s_load_dwordx2 s[12:13], s[0:1], 0x0
	s_waitcnt lgkmcnt(0)
	v_writelane_b32 v68, s12, 2
	s_nop 1
	v_writelane_b32 v68, s13, 3
	v_writelane_b32 v68, s6, 4
	s_mul_i32 s6, s3, s6
	s_lshl_b64 s[6:7], s[6:7], 2
	s_add_u32 s70, s4, s6
	s_addc_u32 s71, s5, s7
	v_cmp_gt_u32_e64 s[6:7], s64, v0
	s_mov_b64 s[4:5], exec
	s_nop 0
	v_writelane_b32 v68, s6, 5
	s_nop 1
	v_writelane_b32 v68, s7, 6
	s_and_b64 s[6:7], s[4:5], s[6:7]
	s_mov_b64 exec, s[6:7]
	s_cbranch_execz .LBB120_5
; %bb.2:
	s_load_dword s3, s[8:9], 0xc
	v_mov_b32_e32 v5, 0
	v_mul_lo_u32 v4, v0, s66
	s_mov_b64 s[6:7], 0
	v_mov_b32_e32 v2, v5
	s_waitcnt lgkmcnt(0)
	s_and_b32 s3, s3, 0xffff
	s_mul_i32 s11, s66, s3
	v_mov_b32_e32 v1, v0
.LBB120_3:                              ; =>This Inner Loop Header: Depth=1
	v_lshl_add_u64 v[6:7], v[4:5], 2, s[70:71]
	global_load_dword v3, v[6:7], off
	v_add_u32_e32 v1, s3, v1
	v_cmp_le_u32_e32 vcc, s64, v1
	s_or_b64 s[6:7], vcc, s[6:7]
	v_add_u32_e32 v4, s11, v4
	s_waitcnt vmcnt(0)
	v_cmp_u_f32_e32 vcc, v3, v3
	s_nop 1
	v_addc_co_u32_e32 v2, vcc, 0, v2, vcc
	s_andn2_b64 exec, exec, s[6:7]
	s_cbranch_execnz .LBB120_3
; %bb.4:
	s_or_b64 exec, exec, s[6:7]
.LBB120_5:
	s_or_b64 exec, exec, s[4:5]
	s_load_dword s3, s[0:1], 0x144
	v_cmp_eq_u32_e64 s[24:25], 0, v0
                                        ; kill: killed $sgpr0 killed $sgpr1
	s_waitcnt lgkmcnt(0)
	v_writelane_b32 v68, s3, 7
	s_load_dword s3, s[0:1], 0x6c
	s_waitcnt lgkmcnt(0)
	v_writelane_b32 v68, s3, 8
	s_and_saveexec_b64 s[0:1], s[24:25]
; %bb.6:
	v_mov_b32_e32 v4, 0
	v_mov_b32_e32 v5, v4
	ds_write_b64 v4, v[4:5] offset:4096
; %bb.7:
	s_or_b64 exec, exec, s[0:1]
	v_cmp_ne_u32_e32 vcc, 0, v2
	s_waitcnt lgkmcnt(0)
	s_barrier
	s_and_saveexec_b64 s[0:1], vcc
	s_cbranch_execz .LBB120_12
; %bb.8:
	s_mov_b64 s[6:7], exec
	v_mov_b32_e32 v1, 0
	s_mov_b64 s[4:5], 0
.LBB120_9:                              ; =>This Inner Loop Header: Depth=1
	s_ff1_i32_b64 s3, s[6:7]
	v_readlane_b32 s12, v2, s3
	v_readlane_b32 s11, v1, s3
	s_add_u32 s4, s4, s12
	s_addc_u32 s5, s5, s11
	s_lshl_b64 s[12:13], 1, s3
	s_andn2_b64 s[6:7], s[6:7], s[12:13]
	s_cmp_lg_u64 s[6:7], 0
	s_cbranch_scc1 .LBB120_9
; %bb.10:
	v_mbcnt_lo_u32_b32 v1, exec_lo, 0
	v_mbcnt_hi_u32_b32 v1, exec_hi, v1
	v_cmp_eq_u32_e32 vcc, 0, v1
	s_and_saveexec_b64 s[6:7], vcc
	s_xor_b64 s[6:7], exec, s[6:7]
; %bb.11:
	v_mov_b32_e32 v1, 0
	v_mov_b64_e32 v[2:3], s[4:5]
	ds_add_u64 v1, v[2:3] offset:4096
.LBB120_12:
	s_or_b64 exec, exec, s[0:1]
	v_mov_b32_e32 v1, 0
	s_waitcnt lgkmcnt(0)
	s_barrier
	ds_read_b64 v[2:3], v1 offset:4096
	s_bitcmp1_b32 s67, 0
	s_cselect_b64 s[4:5], -1, 0
	s_mov_b32 s3, s64
	s_waitcnt lgkmcnt(0)
	v_readfirstlane_b32 s0, v2
	v_readfirstlane_b32 s1, v3
	s_nop 1
	v_cmp_lt_i64_e64 s[6:7], s[0:1], 1
	s_or_b64 s[4:5], s[4:5], s[6:7]
	s_andn2_b64 vcc, exec, s[4:5]
	s_cbranch_vccnz .LBB120_14
; %bb.13:
	s_not_b64 s[0:1], s[0:1]
	s_add_u32 s0, s0, s64
	s_addc_u32 s1, s1, 0
	s_lshr_b32 s3, s1, 31
	s_add_u32 s0, s0, s3
	s_addc_u32 s1, s1, 0
	s_lshr_b64 s[0:1], s[0:1], 1
	s_add_i32 s3, s0, 1
.LBB120_14:
	s_and_saveexec_b64 s[0:1], s[24:25]
	s_cbranch_execz .LBB120_16
; %bb.15:
	v_mov_b32_e32 v2, 0
	v_mov_b32_e32 v3, s64
	ds_write_b32 v2, v2 offset:4112
	ds_write_b64 v2, v[2:3] offset:4104
.LBB120_16:
	s_or_b64 exec, exec, s[0:1]
	s_waitcnt lgkmcnt(0)
	s_barrier
	s_load_dword s11, s[8:9], 0xc
	v_mbcnt_lo_u32_b32 v1, -1, 0
	v_mbcnt_hi_u32_b32 v20, -1, v1
	v_cmp_gt_u32_e32 vcc, 64, v0
	v_cmp_gt_i32_e64 s[0:1], 4, v20
	s_waitcnt lgkmcnt(0)
	s_and_b32 s67, s11, 0xffff
	s_add_i32 s86, s67, -1
	s_lshl_b32 s65, s67, 2
	s_and_b64 s[76:77], vcc, s[0:1]
	s_add_i32 s0, s86, s64
	s_cmpk_gt_u32 s64, 0x300
	s_cselect_b64 s[78:79], -1, 0
	s_cmp_gt_u32 s67, 63
	v_lshlrev_b64 v[2:3], v20, -1
	s_cselect_b64 s[80:81], -1, 0
	v_not_b32_e32 v12, v2
	v_lshrrev_b32_e32 v2, 2, v0
	s_cmp_lt_u32 s2, s10
	v_and_b32_e32 v2, 0xf0, v2
	s_cselect_b32 s1, 12, 18
	v_or_b32_e32 v22, 0xc00, v2
	s_add_u32 s8, s8, s1
	v_add_u32_e32 v2, 2, v0
	s_addc_u32 s9, s9, 0
	v_max_u32_e32 v2, s64, v2
	v_writelane_b32 v68, s8, 9
	v_xad_u32 v2, v0, -1, v2
	v_not_b32_e32 v1, v3
	v_writelane_b32 v68, s9, 10
	v_add_u32_e32 v3, -2, v2
	s_bfe_u32 s8, s11, 0xa0006
	v_cmp_lt_u32_e64 s[10:11], 29, v2
	v_lshrrev_b32_e32 v5, 1, v3
	v_add_u32_e32 v5, 1, v5
	v_writelane_b32 v68, s10, 11
	v_and_b32_e32 v16, 7, v5
	s_add_i32 s1, s8, -2
	v_writelane_b32 v68, s11, 12
	v_cmp_lt_u32_e64 s[10:11], 13, v3
	s_lshr_b32 s2, s1, 1
	v_and_b32_e32 v23, -2, v2
	v_writelane_b32 v68, s10, 13
	s_add_i32 s2, s2, 1
	s_cmpk_gt_u32 s67, 0x7f
	v_writelane_b32 v68, s11, 14
	v_cmp_ne_u32_e64 s[10:11], 0, v16
	v_lshlrev_b32_e32 v13, 2, v0
	v_mov_b32_e32 v9, 0
	v_writelane_b32 v68, s10, 15
	s_mov_b32 s14, 0
	v_mul_lo_u32 v6, s66, v0
	v_writelane_b32 v68, s11, 16
	v_cmp_ne_u32_e64 s[10:11], v2, v23
	v_cvt_f32_u32_e32 v2, s65
	v_mov_b32_e32 v7, v9
	v_writelane_b32 v68, s10, 17
	v_lshlrev_b32_e32 v4, 2, v20
	v_rcp_iflag_f32_e32 v2, v2
	v_writelane_b32 v68, s11, 18
	s_cselect_b64 s[10:11], -1, 0
	v_writelane_b32 v68, s10, 19
	s_and_b32 s9, s8, 0x3fe
	v_mul_f32_e32 v2, 0x4f7ffffe, v2
	v_writelane_b32 v68, s11, 20
	s_and_b32 s10, s2, 7
	s_cmp_gt_u32 s1, 13
	s_cselect_b64 s[12:13], -1, 0
	v_writelane_b32 v68, s12, 21
	s_and_b32 s1, s2, -8
	s_cmp_lg_u32 s10, 0
	v_writelane_b32 v68, s13, 22
	v_writelane_b32 v68, s1, 23
	v_cvt_u32_f32_e32 v2, v2
	v_writelane_b32 v68, s10, 24
	s_cselect_b64 s[10:11], -1, 0
	v_writelane_b32 v68, s10, 25
	s_cmp_lg_u32 s9, s8
	v_readfirstlane_b32 s2, v2
	v_writelane_b32 v68, s11, 26
	v_writelane_b32 v68, s8, 27
	v_cvt_f32_u32_e32 v2, s67
	v_writelane_b32 v68, s9, 28
	s_cselect_b64 s[8:9], -1, 0
	s_sub_i32 s1, 0, s65
	s_mul_i32 s1, s1, s2
	s_mul_hi_u32 s1, s2, s1
	s_add_i32 s91, s2, s1
	v_rcp_iflag_f32_e32 v2, v2
	s_mul_hi_u32 s1, s64, s91
	s_mul_i32 s1, s1, s65
	s_sub_i32 s1, s64, s1
	s_sub_i32 s2, s1, s65
	v_mul_f32_e32 v2, 0x4f7ffffe, v2
	s_cmp_ge_u32 s1, s65
	v_cvt_u32_f32_e32 v2, v2
	s_cselect_b32 s1, s2, s1
	s_sub_i32 s2, s1, s65
	v_writelane_b32 v68, s8, 29
	s_cmp_ge_u32 s1, s65
	s_cselect_b32 s1, s2, s1
	v_writelane_b32 v68, s9, 30
	s_sub_i32 s2, 0, s67
	v_readfirstlane_b32 s8, v2
	s_mul_i32 s2, s2, s8
	s_mul_hi_u32 s2, s8, s2
	s_add_i32 s90, s8, s2
	s_mul_hi_u32 s2, s0, s90
	s_mul_i32 s2, s2, s67
	s_sub_i32 s2, s0, s2
	s_sub_i32 s89, s64, s1
	;; [unrolled: 1-line block ×3, first 2 shown]
	s_cmp_ge_u32 s2, s67
	s_cselect_b32 s2, s8, s2
	s_sub_i32 s8, s2, s67
	s_cmp_ge_u32 s2, s67
	v_mul_lo_u32 v2, s66, v13
	s_cselect_b32 s2, s8, s2
	v_add_u32_e32 v28, s66, v2
	v_or_b32_e32 v2, 2, v13
	s_sub_i32 s82, s0, s2
	v_mul_lo_u32 v29, s66, v2
	v_or_b32_e32 v2, 3, v13
	s_add_i32 s0, s67, s64
	v_add_u32_e32 v26, s89, v0
	v_mul_lo_u32 v31, s66, v2
	v_add_u32_e32 v2, s0, v0
	v_mul_lo_u32 v8, v26, s66
	s_mul_i32 s33, s66, s67
	v_subrev_u32_e32 v2, s1, v2
	s_mov_b32 s15, 1
	v_cmp_eq_u32_e64 s[4:5], 0, v20
	v_cmp_gt_u32_e64 s[6:7], 2, v0
	v_add_u32_e32 v21, 0xc00, v13
	v_lshl_add_u64 v[10:11], v[6:7], 2, s[70:71]
	v_and_b32_e32 v7, 0x100, v4
	v_add_u32_e32 v24, v0, v23
	s_mov_b32 s88, s66
	v_and_b32_e32 v25, -8, v5
	v_cmp_gt_u32_e64 s[16:17], s89, v13
	v_cmp_gt_u32_e64 s[18:19], s64, v26
	v_lshl_add_u64 v[14:15], v[8:9], 2, s[70:71]
	v_cmp_gt_u32_e64 s[20:21], s82, v0
	v_lshlrev_b32_e32 v27, 3, v16
	s_lshl_b32 s83, s33, 2
	v_lshlrev_b32_e32 v32, 2, v6
	v_mul_lo_u32 v33, s66, v2
	v_lshlrev_b32_e32 v34, 4, v0
	s_lshl_b32 s87, s67, 4
	v_or_b32_e32 v35, 0xc00, v4
	s_mov_b64 s[92:93], 0
	v_mov_b32_e32 v37, 30
	v_mov_b32_e32 v40, s3
	;; [unrolled: 1-line block ×3, first 2 shown]
	v_mov_b32_e32 v16, 1.0
	v_bfrev_b32_e32 v36, 1
	v_mov_b32_e32 v38, 0xc00
	v_mov_b32_e32 v19, 0
	s_mov_b32 s84, s14
	v_mov_b32_e32 v30, 0
	v_mov_b32_e32 v39, 0
                                        ; implicit-def: $sgpr94_sgpr95
                                        ; implicit-def: $sgpr98_sgpr99
                                        ; implicit-def: $sgpr96_sgpr97
                                        ; implicit-def: $sgpr10_sgpr11
                                        ; implicit-def: $sgpr12_sgpr13
                                        ; implicit-def: $sgpr68_sgpr69
	s_branch .LBB120_20
.LBB120_17:                             ;   in Loop: Header=BB120_20 Depth=1
	s_or_b64 exec, exec, s[26:27]
	s_and_b64 s[14:15], s[14:15], exec
	s_andn2_b64 s[30:31], s[30:31], exec
	s_andn2_b64 s[28:29], s[28:29], exec
	s_orn2_b64 s[2:3], s[2:3], exec
.LBB120_18:                             ;   in Loop: Header=BB120_20 Depth=1
	s_or_b64 exec, exec, s[8:9]
	s_andn2_b64 s[8:9], s[68:69], exec
	s_and_b64 s[14:15], s[14:15], exec
	s_or_b64 s[68:69], s[8:9], s[14:15]
	s_andn2_b64 s[8:9], s[12:13], exec
	s_and_b64 s[12:13], s[30:31], exec
	s_or_b64 s[12:13], s[8:9], s[12:13]
	;; [unrolled: 3-line block ×3, first 2 shown]
	s_orn2_b64 s[2:3], s[2:3], exec
.LBB120_19:                             ;   in Loop: Header=BB120_20 Depth=1
	s_or_b64 exec, exec, s[0:1]
	s_and_b64 s[0:1], exec, s[2:3]
	s_or_b64 s[92:93], s[0:1], s[92:93]
	s_andn2_b64 s[0:1], s[96:97], exec
	s_and_b64 s[2:3], s[68:69], exec
	s_or_b64 s[96:97], s[0:1], s[2:3]
	s_andn2_b64 s[0:1], s[98:99], exec
	s_and_b64 s[2:3], s[12:13], exec
	;; [unrolled: 3-line block ×3, first 2 shown]
	s_or_b64 s[94:95], s[0:1], s[2:3]
	s_mov_b32 s84, s22
	v_mov_b32_e32 v40, v5
	s_andn2_b64 exec, exec, s[92:93]
	s_cbranch_execz .LBB120_268
.LBB120_20:                             ; =>This Loop Header: Depth=1
                                        ;     Child Loop BB120_26 Depth 2
                                        ;     Child Loop BB120_47 Depth 2
	;; [unrolled: 1-line block ×19, first 2 shown]
	ds_read_b64 v[2:3], v9 offset:4104
	s_waitcnt lgkmcnt(0)
	v_readfirstlane_b32 s85, v2
	s_cmp_lg_u32 s85, 0
	s_cbranch_scc1 .LBB120_66
; %bb.21:                               ;   in Loop: Header=BB120_20 Depth=1
	s_and_b64 vcc, exec, s[78:79]
	s_cbranch_vccz .LBB120_34
; %bb.22:                               ;   in Loop: Header=BB120_20 Depth=1
	s_movk_i32 s0, 0x301
	v_cmp_gt_u32_e32 vcc, s0, v3
	s_mov_b64 s[8:9], 0
	s_mov_b64 s[0:1], 0
	s_cbranch_vccz .LBB120_35
; %bb.23:                               ;   in Loop: Header=BB120_20 Depth=1
	s_mov_b64 s[14:15], exec
	v_readlane_b32 s0, v68, 5
	v_readlane_b32 s1, v68, 6
	s_and_b64 s[0:1], s[14:15], s[0:1]
	s_mov_b64 exec, s[0:1]
	s_cbranch_execz .LBB120_41
; %bb.24:                               ;   in Loop: Header=BB120_20 Depth=1
	v_readlane_b32 s0, v68, 9
	v_readlane_b32 s1, v68, 10
	s_nop 4
	global_load_ushort v2, v9, s[0:1]
	global_load_dword v4, v[10:11], off
	s_mov_b64 s[26:27], 0
	s_waitcnt vmcnt(1)
	v_add_u32_e32 v5, v0, v2
	v_mul_lo_u32 v3, s66, v2
	v_mul_lo_u32 v8, s66, v5
	v_mov_b32_e32 v5, v0
	s_branch .LBB120_26
.LBB120_25:                             ;   in Loop: Header=BB120_26 Depth=2
	s_or_b64 exec, exec, s[2:3]
	v_add_u32_e32 v8, v8, v3
	v_mov_b32_e32 v4, v17
	s_andn2_b64 exec, exec, s[26:27]
	s_cbranch_execz .LBB120_41
.LBB120_26:                             ;   Parent Loop BB120_20 Depth=1
                                        ; =>  This Inner Loop Header: Depth=2
	v_add_u32_e32 v5, v5, v2
	v_cmp_gt_u32_e64 s[0:1], s64, v5
	v_cmp_le_u32_e32 vcc, s64, v5
	s_waitcnt lgkmcnt(0)
	v_mov_b32_e32 v18, 0
	v_mov_b32_e32 v17, 0
	s_and_saveexec_b64 s[2:3], s[0:1]
	s_cbranch_execz .LBB120_28
; %bb.27:                               ;   in Loop: Header=BB120_26 Depth=2
	v_lshl_add_u64 v[44:45], v[8:9], 2, s[70:71]
	global_load_dword v17, v[44:45], off
.LBB120_28:                             ;   in Loop: Header=BB120_26 Depth=2
	s_or_b64 exec, exec, s[2:3]
	s_waitcnt vmcnt(0)
	v_cmp_lt_i32_e64 s[0:1], -1, v4
	s_nop 1
	v_cndmask_b32_e64 v41, -1, v36, s[0:1]
	v_xor_b32_e32 v41, v41, v4
	v_cmp_o_f32_e64 s[0:1], v4, v4
	s_nop 1
	v_cndmask_b32_e64 v41, -1, v41, s[0:1]
	v_and_b32_e32 v41, v41, v39
	v_cmp_eq_u32_e64 s[0:1], v41, v30
	s_cmp_lg_u64 s[0:1], 0
	s_cselect_b64 s[2:3], -1, 0
	s_and_b64 s[2:3], s[4:5], s[2:3]
	s_and_saveexec_b64 s[28:29], s[2:3]
	s_cbranch_execz .LBB120_32
; %bb.29:                               ;   in Loop: Header=BB120_26 Depth=2
	s_mov_b64 s[34:35], exec
	v_mbcnt_lo_u32_b32 v18, s34, 0
	v_mbcnt_hi_u32_b32 v18, s35, v18
	s_bcnt1_i32_b64 s22, s[0:1]
	v_cmp_eq_u32_e64 s[2:3], 0, v18
                                        ; implicit-def: $vgpr41
	s_and_saveexec_b64 s[30:31], s[2:3]
; %bb.30:                               ;   in Loop: Header=BB120_26 Depth=2
	s_bcnt1_i32_b64 s2, s[34:35]
	s_mul_i32 s2, s22, s2
	v_mov_b32_e32 v41, s2
	ds_add_rtn_u32 v41, v9, v41 offset:4112
; %bb.31:                               ;   in Loop: Header=BB120_26 Depth=2
	s_or_b64 exec, exec, s[30:31]
	s_waitcnt lgkmcnt(0)
	v_readfirstlane_b32 s2, v41
	s_nop 1
	v_mov_b32_e32 v41, s2
	v_mad_u32_u24 v18, s22, v18, v41
.LBB120_32:                             ;   in Loop: Header=BB120_26 Depth=2
	s_or_b64 exec, exec, s[28:29]
	ds_bpermute_b32 v18, v7, v18
	s_and_b64 s[2:3], exec, vcc
	s_or_b64 s[26:27], s[2:3], s[26:27]
	s_and_saveexec_b64 s[2:3], s[0:1]
	s_cbranch_execz .LBB120_25
; %bb.33:                               ;   in Loop: Header=BB120_26 Depth=2
	v_and_b32_e32 v43, s0, v12
	v_and_b32_e32 v41, s1, v1
	v_bcnt_u32_b32 v43, v43, 0
	v_bcnt_u32_b32 v41, v41, v43
	v_lshlrev_b32_e32 v41, 2, v41
	s_waitcnt lgkmcnt(0)
	v_lshl_add_u32 v18, v18, 2, v41
	ds_write_b32 v18, v4
	s_branch .LBB120_25
.LBB120_34:                             ;   in Loop: Header=BB120_20 Depth=1
	s_mov_b64 s[8:9], -1
	s_mov_b64 s[0:1], 0
.LBB120_35:                             ;   in Loop: Header=BB120_20 Depth=1
	s_and_b64 vcc, exec, s[8:9]
	s_cbranch_vccz .LBB120_64
.LBB120_36:                             ;   in Loop: Header=BB120_20 Depth=1
	s_mov_b64 s[2:3], exec
	v_readlane_b32 s0, v68, 5
	v_readlane_b32 s1, v68, 6
	s_and_b64 s[0:1], s[2:3], s[0:1]
	s_mov_b64 exec, s[0:1]
	s_cbranch_execz .LBB120_61
; %bb.37:                               ;   in Loop: Header=BB120_20 Depth=1
	v_readlane_b32 s0, v68, 9
	v_readlane_b32 s1, v68, 10
	s_nop 4
	global_load_ushort v2, v9, s[0:1]
	global_load_dword v17, v[10:11], off
	v_mov_b32_e32 v3, v0
	s_waitcnt vmcnt(1)
	v_readfirstlane_b32 s30, v2
	v_add_u32_e32 v2, v0, v2
	v_cmp_gt_u32_e32 vcc, s64, v2
	s_and_saveexec_b64 s[26:27], vcc
	s_cbranch_execz .LBB120_60
; %bb.38:                               ;   in Loop: Header=BB120_20 Depth=1
	s_mov_b64 s[0:1], 0
	s_mul_i32 s31, s66, s30
                                        ; implicit-def: $vgpr3
                                        ; implicit-def: $vgpr18
                                        ; implicit-def: $vgpr4
                                        ; implicit-def: $vgpr5
	s_mov_b64 s[8:9], exec
	v_readlane_b32 s14, v68, 11
	v_readlane_b32 s15, v68, 12
	s_and_b64 s[14:15], s[8:9], s[14:15]
	s_xor_b64 s[28:29], s[14:15], s[8:9]
	s_mov_b64 exec, s[14:15]
	s_cbranch_execnz .LBB120_44
; %bb.39:                               ;   in Loop: Header=BB120_20 Depth=1
	s_andn2_saveexec_b64 s[8:9], s[28:29]
	s_cbranch_execnz .LBB120_55
.LBB120_40:                             ;   in Loop: Header=BB120_20 Depth=1
	s_or_b64 exec, exec, s[8:9]
	s_and_saveexec_b64 s[8:9], s[0:1]
	s_cbranch_execnz .LBB120_56
	s_branch .LBB120_59
.LBB120_41:                             ;   in Loop: Header=BB120_20 Depth=1
	s_or_b64 exec, exec, s[14:15]
	s_waitcnt lgkmcnt(0)
	s_barrier
	s_and_saveexec_b64 s[0:1], s[24:25]
	s_cbranch_execz .LBB120_43
; %bb.42:                               ;   in Loop: Header=BB120_20 Depth=1
	ds_read_b32 v2, v9 offset:4112
	s_waitcnt lgkmcnt(0)
	ds_write_b32 v9, v2 offset:4104
.LBB120_43:                             ;   in Loop: Header=BB120_20 Depth=1
	s_or_b64 exec, exec, s[0:1]
	s_waitcnt lgkmcnt(0)
	s_barrier
	s_mov_b64 s[0:1], -1
	s_and_b64 vcc, exec, s[8:9]
	s_cbranch_vccnz .LBB120_36
	s_branch .LBB120_64
.LBB120_44:                             ;   in Loop: Header=BB120_20 Depth=1
	v_cvt_f32_u32_e32 v3, s30
	v_add_u32_e32 v4, s30, v2
	v_max_u32_e32 v4, s64, v4
	s_lshl_b32 s0, s30, 1
	v_rcp_iflag_f32_e32 v3, v3
	v_sub_u32_e32 v4, v4, v0
	v_cmp_ne_u32_e32 vcc, s0, v4
	s_sub_i32 s1, 0, s30
	v_mul_f32_e32 v3, 0x4f7ffffe, v3
	v_cvt_u32_f32_e32 v3, v3
	v_cndmask_b32_e64 v5, 0, 1, vcc
	v_or_b32_e32 v5, s0, v5
	v_sub_u32_e32 v4, v4, v5
	v_mul_lo_u32 v5, s1, v3
	v_mul_hi_u32 v5, v3, v5
	v_add_u32_e32 v3, v3, v5
	v_mul_hi_u32 v3, v4, v3
	v_mul_lo_u32 v5, v3, s30
	v_sub_u32_e32 v4, v4, v5
	v_add_u32_e32 v5, 1, v3
	v_cmp_le_u32_e64 s[0:1], s30, v4
	s_nop 1
	v_cndmask_b32_e64 v3, v3, v5, s[0:1]
	v_subrev_u32_e32 v5, s30, v4
	v_cndmask_b32_e64 v4, v4, v5, s[0:1]
	v_add_u32_e32 v5, 1, v3
	v_cmp_le_u32_e64 s[0:1], s30, v4
	v_mul_lo_u32 v4, s66, v2
	s_nop 0
	v_cndmask_b32_e64 v3, v3, v5, s[0:1]
	v_addc_co_u32_e32 v3, vcc, 0, v3, vcc
	s_abs_i32 s0, s31
	v_mul_hi_u32 v5, s0, v3
	v_mul_lo_u32 v3, s0, v3
	s_not_b32 s0, s31
	s_ashr_i32 s0, s0, 31
	s_cmp_eq_u32 s30, 1
	v_cmp_eq_u32_e32 vcc, 0, v5
	v_xor_b32_e32 v4, s0, v4
	s_cselect_b64 s[8:9], -1, 0
	v_cmp_le_u32_e64 s[0:1], v3, v4
	s_and_b64 s[8:9], vcc, s[8:9]
	s_and_b64 s[14:15], s[8:9], s[0:1]
	s_mov_b64 s[8:9], -1
	v_mov_b32_e32 v4, v0
                                        ; implicit-def: $vgpr3
	s_and_saveexec_b64 s[0:1], s[14:15]
	s_cbranch_execz .LBB120_54
; %bb.45:                               ;   in Loop: Header=BB120_20 Depth=1
	v_add_u32_e32 v3, 1, v2
	v_mov_b32_e32 v8, 0
	v_mov_b64_e32 v[4:5], v[2:3]
	s_mov_b64 s[8:9], exec
	v_readlane_b32 s14, v68, 13
	v_readlane_b32 s15, v68, 14
	s_and_b64 s[14:15], s[8:9], s[14:15]
	s_mov_b64 exec, s[14:15]
	s_cbranch_execz .LBB120_49
; %bb.46:                               ;   in Loop: Header=BB120_20 Depth=1
	s_mov_b32 s22, 0
	s_mov_b64 s[14:15], 0
	v_mov_b32_e32 v18, v25
	v_mov_b32_e32 v41, v13
	v_mov_b64_e32 v[4:5], v[2:3]
.LBB120_47:                             ;   Parent Loop BB120_20 Depth=1
                                        ; =>  This Inner Loop Header: Depth=2
	v_mul_lo_u32 v8, v4, s66
	v_lshl_add_u64 v[44:45], v[8:9], 2, s[70:71]
	global_load_dword v3, v[44:45], off
	v_add_u32_e32 v8, 2, v4
	v_mul_lo_u32 v44, v5, s88
	v_mov_b32_e32 v45, v9
	v_add_u32_e32 v43, 2, v5
	v_add_u32_e32 v62, 4, v4
	;; [unrolled: 1-line block ×4, first 2 shown]
	v_mul_lo_u32 v8, v8, s66
	v_mov_b32_e32 v47, v9
	v_add_u32_e32 v48, 4, v5
	v_add_u32_e32 v63, 6, v4
	;; [unrolled: 1-line block ×3, first 2 shown]
	v_mov_b32_e32 v53, v9
	v_mov_b32_e32 v55, v9
	v_add_u32_e32 v56, 12, v5
	v_lshl_add_u64 v[44:45], v[44:45], 2, s[70:71]
	v_mul_lo_u32 v46, v43, s88
	v_mul_lo_u32 v52, v52, s88
	;; [unrolled: 1-line block ×3, first 2 shown]
	v_lshl_add_u64 v[60:61], v[8:9], 2, s[70:71]
	v_mul_lo_u32 v8, v62, s66
	v_mov_b32_e32 v49, v9
	v_mov_b32_e32 v51, v9
	v_add_u32_e32 v64, 8, v4
	v_mov_b32_e32 v57, v9
	v_mul_lo_u32 v48, v48, s88
	v_mul_lo_u32 v50, v50, s88
	v_mul_lo_u32 v56, v56, s88
	v_lshl_add_u64 v[46:47], v[46:47], 2, s[70:71]
	v_lshl_add_u64 v[52:53], v[52:53], 2, s[70:71]
	;; [unrolled: 1-line block ×3, first 2 shown]
	global_load_dword v43, v[44:45], off
	v_lshl_add_u64 v[44:45], v[8:9], 2, s[70:71]
	v_mul_lo_u32 v8, v63, s66
	v_add_u32_e32 v65, 10, v4
	v_lshl_add_u64 v[48:49], v[48:49], 2, s[70:71]
	v_lshl_add_u64 v[50:51], v[50:51], 2, s[70:71]
	;; [unrolled: 1-line block ×3, first 2 shown]
	global_load_dword v60, v[60:61], off
	s_nop 0
	global_load_dword v61, v[46:47], off
	global_load_dword v62, v[48:49], off
	;; [unrolled: 1-line block ×3, first 2 shown]
	s_nop 0
	global_load_dword v52, v[52:53], off
	s_nop 0
	global_load_dword v53, v[54:55], off
	;; [unrolled: 2-line block ×3, first 2 shown]
	v_lshl_add_u64 v[46:47], v[8:9], 2, s[70:71]
	v_mul_lo_u32 v8, v64, s66
	v_add_u32_e32 v66, 12, v4
	global_load_dword v55, v[46:47], off
	global_load_dword v56, v[44:45], off
	v_lshl_add_u64 v[44:45], v[8:9], 2, s[70:71]
	v_mul_lo_u32 v8, v65, s66
	v_add_u32_e32 v67, 14, v4
	v_add_u32_e32 v58, 14, v5
	v_lshl_add_u64 v[46:47], v[8:9], 2, s[70:71]
	v_mul_lo_u32 v8, v66, s66
	v_mov_b32_e32 v59, v9
	v_mul_lo_u32 v58, v58, s88
	v_lshl_add_u64 v[48:49], v[8:9], 2, s[70:71]
	v_mul_lo_u32 v8, v67, s66
	v_lshl_add_u64 v[58:59], v[58:59], 2, s[70:71]
	v_lshl_add_u64 v[50:51], v[8:9], 2, s[70:71]
	global_load_dword v50, v[50:51], off
	v_add_u32_e32 v18, -8, v18
	s_add_i32 s22, s22, 16
	v_cmp_eq_u32_e32 vcc, 0, v18
	v_add_u32_e32 v5, 16, v5
	v_add_u32_e32 v4, 16, v4
	v_mov_b32_e32 v8, s22
	s_or_b64 s[14:15], vcc, s[14:15]
	s_waitcnt vmcnt(11)
	ds_write2_b32 v41, v17, v3 offset1:1
	global_load_dword v17, v[58:59], off
	global_load_dword v3, v[48:49], off
	s_nop 0
	global_load_dword v46, v[46:47], off
	s_nop 0
	global_load_dword v44, v[44:45], off
	s_waitcnt vmcnt(13)
	ds_write2_b32 v41, v43, v60 offset0:2 offset1:3
	s_waitcnt vmcnt(5)
	ds_write2_b32 v41, v61, v56 offset0:4 offset1:5
	ds_write2_b32 v41, v62, v55 offset0:6 offset1:7
	s_waitcnt vmcnt(4)
	ds_write2_b32 v41, v54, v50 offset0:14 offset1:15
	s_waitcnt vmcnt(0)
	ds_write2_b32 v41, v63, v44 offset0:8 offset1:9
	ds_write2_b32 v41, v52, v46 offset0:10 offset1:11
	;; [unrolled: 1-line block ×3, first 2 shown]
	v_add_u32_e32 v41, 64, v41
	s_andn2_b64 exec, exec, s[14:15]
	s_cbranch_execnz .LBB120_47
; %bb.48:                               ;   in Loop: Header=BB120_20 Depth=1
	s_or_b64 exec, exec, s[14:15]
.LBB120_49:                             ;   in Loop: Header=BB120_20 Depth=1
	s_or_b64 exec, exec, s[8:9]
	s_mov_b64 s[8:9], exec
	v_readlane_b32 s14, v68, 15
	v_readlane_b32 s15, v68, 16
	s_and_b64 s[14:15], s[8:9], s[14:15]
	s_mov_b64 exec, s[14:15]
	s_cbranch_execz .LBB120_53
; %bb.50:                               ;   in Loop: Header=BB120_20 Depth=1
	v_lshl_add_u32 v3, v8, 2, v13
	s_mov_b64 s[14:15], 0
	v_mov_b32_e32 v18, v27
.LBB120_51:                             ;   Parent Loop BB120_20 Depth=1
                                        ; =>  This Inner Loop Header: Depth=2
	v_mul_lo_u32 v8, v4, s66
	v_mul_lo_u32 v44, v5, s88
	v_mov_b32_e32 v45, v9
	v_lshl_add_u64 v[46:47], v[8:9], 2, s[70:71]
	v_lshl_add_u64 v[44:45], v[44:45], 2, s[70:71]
	global_load_dword v41, v[46:47], off
	global_load_dword v8, v[44:45], off
	v_add_u32_e32 v18, -8, v18
	v_cmp_eq_u32_e32 vcc, 0, v18
	v_add_u32_e32 v5, 2, v5
	v_add_u32_e32 v4, 2, v4
	s_or_b64 s[14:15], vcc, s[14:15]
	s_waitcnt vmcnt(1)
	ds_write2_b32 v3, v17, v41 offset1:1
	v_add_u32_e32 v3, 8, v3
	s_waitcnt vmcnt(0)
	v_mov_b32_e32 v17, v8
	s_andn2_b64 exec, exec, s[14:15]
	s_cbranch_execnz .LBB120_51
; %bb.52:                               ;   in Loop: Header=BB120_20 Depth=1
	s_or_b64 exec, exec, s[14:15]
	v_mov_b32_e32 v17, v8
.LBB120_53:                             ;   in Loop: Header=BB120_20 Depth=1
	s_or_b64 exec, exec, s[8:9]
	v_readlane_b32 s8, v68, 17
	v_add_u32_e32 v2, v2, v23
	v_readlane_b32 s9, v68, 18
	v_add_u32_e32 v3, -1, v2
	s_orn2_b64 s[8:9], s[8:9], exec
	v_mov_b32_e32 v4, v24
.LBB120_54:                             ;   in Loop: Header=BB120_20 Depth=1
	s_or_b64 exec, exec, s[0:1]
	v_mov_b32_e32 v5, s31
	s_and_b64 s[0:1], s[8:9], exec
	s_waitcnt vmcnt(0)
	v_mov_b32_e32 v18, v17
	s_andn2_saveexec_b64 s[8:9], s[28:29]
	s_cbranch_execz .LBB120_40
.LBB120_55:                             ;   in Loop: Header=BB120_20 Depth=1
	v_mov_b32_e32 v5, s31
	s_or_b64 s[0:1], s[0:1], exec
	s_waitcnt vmcnt(0)
	v_mov_b32_e32 v18, v17
	v_mov_b32_e32 v4, v0
	s_or_b64 exec, exec, s[8:9]
	s_and_saveexec_b64 s[8:9], s[0:1]
	s_cbranch_execz .LBB120_59
.LBB120_56:                             ;   in Loop: Header=BB120_20 Depth=1
	s_sub_i32 s14, 0, s30
	v_mul_lo_u32 v8, s66, v2
	s_mov_b64 s[0:1], 0
.LBB120_57:                             ;   Parent Loop BB120_20 Depth=1
                                        ; =>  This Inner Loop Header: Depth=2
	v_lshl_add_u64 v[44:45], v[8:9], 2, s[70:71]
	global_load_dword v17, v[44:45], off
	v_mov_b32_e32 v3, v2
	v_lshlrev_b32_e32 v2, 2, v4
	ds_write_b32 v2, v18
	v_add_u32_e32 v2, s30, v3
	v_cmp_le_u32_e32 vcc, s64, v2
	v_add_u32_e32 v8, v8, v5
	v_mov_b32_e32 v4, v3
	s_or_b64 s[0:1], vcc, s[0:1]
	s_waitcnt vmcnt(0)
	v_mov_b32_e32 v18, v17
	s_andn2_b64 exec, exec, s[0:1]
	s_cbranch_execnz .LBB120_57
; %bb.58:                               ;   in Loop: Header=BB120_20 Depth=1
	s_or_b64 exec, exec, s[0:1]
	v_add_u32_e32 v3, s14, v2
.LBB120_59:                             ;   in Loop: Header=BB120_20 Depth=1
	s_or_b64 exec, exec, s[8:9]
.LBB120_60:                             ;   in Loop: Header=BB120_20 Depth=1
	s_or_b64 exec, exec, s[26:27]
	v_lshlrev_b32_e32 v2, 2, v3
	s_waitcnt vmcnt(0)
	ds_write_b32 v2, v17
.LBB120_61:                             ;   in Loop: Header=BB120_20 Depth=1
	s_or_b64 exec, exec, s[2:3]
	s_waitcnt lgkmcnt(0)
	s_barrier
	s_and_saveexec_b64 s[0:1], s[24:25]
; %bb.62:                               ;   in Loop: Header=BB120_20 Depth=1
	ds_write_b32 v9, v42 offset:4104
; %bb.63:                               ;   in Loop: Header=BB120_20 Depth=1
	s_or_b64 exec, exec, s[0:1]
	s_mov_b64 s[0:1], -1
	s_waitcnt lgkmcnt(0)
	s_barrier
.LBB120_64:                             ;   in Loop: Header=BB120_20 Depth=1
	s_mov_b32 s85, 0
	s_and_b64 vcc, exec, s[0:1]
	s_cbranch_vccz .LBB120_66
; %bb.65:                               ;   in Loop: Header=BB120_20 Depth=1
	ds_read_b32 v2, v9 offset:4104
	s_waitcnt lgkmcnt(0)
	v_readfirstlane_b32 s85, v2
.LBB120_66:                             ;   in Loop: Header=BB120_20 Depth=1
	s_cmp_lt_i32 s85, 1
	s_mov_b64 s[0:1], -1
                                        ; implicit-def: $vgpr4_vgpr5
	s_cbranch_scc1 .LBB120_76
; %bb.67:                               ;   in Loop: Header=BB120_20 Depth=1
	s_and_b64 vcc, exec, s[0:1]
	s_cbranch_vccnz .LBB120_87
.LBB120_68:                             ;   in Loop: Header=BB120_20 Depth=1
	s_lshl_b32 s8, s84, 6
	s_and_saveexec_b64 s[0:1], s[4:5]
.LBB120_69:                             ;   in Loop: Header=BB120_20 Depth=1
	v_lshl_add_u32 v8, s8, 2, v22
	ds_write_b128 v8, v[2:5]
.LBB120_70:                             ;   in Loop: Header=BB120_20 Depth=1
	s_or_b64 exec, exec, s[0:1]
	s_waitcnt lgkmcnt(0)
	s_barrier
	s_and_saveexec_b64 s[0:1], s[76:77]
	s_cbranch_execz .LBB120_104
; %bb.71:                               ;   in Loop: Header=BB120_20 Depth=1
	v_add_u32_e32 v4, s8, v20
	s_andn2_b64 vcc, exec, s[80:81]
	v_mov_b32_e32 v2, 0
	s_cbranch_vccnz .LBB120_103
; %bb.72:                               ;   in Loop: Header=BB120_20 Depth=1
	v_readlane_b32 s2, v68, 19
	v_readlane_b32 s3, v68, 20
	s_andn2_b64 vcc, exec, s[2:3]
	s_cbranch_vccnz .LBB120_96
; %bb.73:                               ;   in Loop: Header=BB120_20 Depth=1
	v_readlane_b32 s2, v68, 21
	v_readlane_b32 s3, v68, 22
	s_andn2_b64 vcc, exec, s[2:3]
	v_lshl_add_u32 v5, v4, 2, v38
	s_cbranch_vccnz .LBB120_97
; %bb.74:                               ;   in Loop: Header=BB120_20 Depth=1
	s_mov_b32 s3, 1
	s_mov_b32 s2, 0
	v_mov_b32_e32 v2, 0
	v_mov_b32_e32 v3, 0
	v_readlane_b32 s9, v68, 23
.LBB120_75:                             ;   Parent Loop BB120_20 Depth=1
                                        ; =>  This Inner Loop Header: Depth=2
	v_lshl_add_u32 v8, s2, 4, v5
	v_lshl_add_u32 v17, s3, 4, v5
	ds_read2_b32 v[44:45], v8 offset1:8
	ds_read2_b32 v[46:47], v17 offset1:8
	ds_read2_b32 v[48:49], v8 offset0:16 offset1:24
	ds_read2_b32 v[50:51], v17 offset0:16 offset1:24
	;; [unrolled: 1-line block ×6, first 2 shown]
	s_waitcnt lgkmcnt(7)
	v_add3_u32 v2, v44, v2, v45
	s_waitcnt lgkmcnt(6)
	v_add3_u32 v3, v46, v3, v47
	;; [unrolled: 2-line block ×3, first 2 shown]
	v_add3_u32 v2, v48, v2, v49
	s_add_i32 s3, s3, 16
	s_add_i32 s2, s2, 16
	s_add_i32 s9, s9, -8
	s_waitcnt lgkmcnt(3)
	v_add3_u32 v2, v52, v2, v53
	s_waitcnt lgkmcnt(2)
	v_add3_u32 v3, v54, v3, v55
	s_cmp_lg_u32 s9, 0
	s_waitcnt lgkmcnt(0)
	v_add3_u32 v3, v58, v3, v59
	v_add3_u32 v2, v56, v2, v57
	s_cbranch_scc1 .LBB120_75
	s_branch .LBB120_98
.LBB120_76:                             ;   in Loop: Header=BB120_20 Depth=1
	v_mov_b32_e32 v8, v9
	v_mov_b64_e32 v[4:5], v[8:9]
	v_mov_b64_e32 v[2:3], v[8:9]
	s_and_saveexec_b64 s[52:53], s[16:17]
	s_cbranch_execz .LBB120_80
; %bb.77:                               ;   in Loop: Header=BB120_20 Depth=1
	s_mov_b32 s8, 0
	s_mov_b64 s[54:55], 0
	v_mov_b32_e32 v17, v13
	s_mov_b32 s58, 0
	s_mov_b32 s59, s8
	;; [unrolled: 1-line block ×4, first 2 shown]
.LBB120_78:                             ;   Parent Loop BB120_20 Depth=1
                                        ; =>  This Inner Loop Header: Depth=2
	v_add_u32_e32 v8, s8, v32
	v_lshl_add_u64 v[2:3], v[8:9], 2, s[70:71]
	v_add_u32_e32 v8, s8, v28
	global_load_dword v4, v[2:3], off
	v_lshl_add_u64 v[2:3], v[8:9], 2, s[70:71]
	v_add_u32_e32 v8, s8, v29
	global_load_dword v5, v[2:3], off
	;; [unrolled: 3-line block ×3, first 2 shown]
	v_lshl_add_u64 v[2:3], v[8:9], 2, s[70:71]
	global_load_dword v2, v[2:3], off
	v_add_u32_e32 v17, s65, v17
	v_cmp_le_u32_e32 vcc, s89, v17
	s_add_i32 s8, s8, s83
	s_waitcnt vmcnt(3)
	v_cmp_lt_i32_e64 s[0:1], -1, v4
	s_nop 1
	v_cndmask_b32_e64 v3, -1, v36, s[0:1]
	v_xor_b32_e32 v3, v3, v4
	s_waitcnt vmcnt(2)
	v_cmp_lt_i32_e64 s[0:1], -1, v5
	s_waitcnt vmcnt(0)
	v_cmp_o_f32_e64 s[34:35], v2, v2
	v_cndmask_b32_e64 v8, -1, v36, s[0:1]
	v_cmp_o_f32_e64 s[0:1], v4, v4
	v_xor_b32_e32 v4, v8, v5
	s_nop 0
	v_cndmask_b32_e64 v3, -1, v3, s[0:1]
	v_cmp_lt_i32_e64 s[0:1], -1, v18
	v_and_b32_e32 v41, v3, v39
	v_bfe_u32 v3, v3, v37, 2
	v_cndmask_b32_e64 v8, -1, v36, s[0:1]
	v_cmp_o_f32_e64 s[0:1], v5, v5
	v_xor_b32_e32 v5, v8, v18
	v_cmp_eq_u32_e64 s[2:3], 0, v3
	v_cndmask_b32_e64 v4, -1, v4, s[0:1]
	v_cmp_lt_i32_e64 s[0:1], -1, v2
	v_cmp_eq_u32_e64 s[26:27], 1, v3
	v_cmp_eq_u32_e64 s[28:29], 2, v3
	v_cndmask_b32_e64 v8, -1, v36, s[0:1]
	v_cmp_o_f32_e64 s[0:1], v18, v18
	v_xor_b32_e32 v8, v8, v2
	v_and_b32_e32 v18, v4, v39
	v_cndmask_b32_e64 v5, -1, v5, s[0:1]
	v_cmp_eq_u32_e64 s[0:1], v41, v30
	v_bfe_u32 v4, v4, v37, 2
	v_cndmask_b32_e64 v2, -1, v8, s[34:35]
	v_cmp_eq_u32_e64 s[34:35], v18, v30
	v_cmp_eq_u32_e64 s[36:37], 0, v4
	s_and_b64 s[2:3], s[0:1], s[2:3]
	v_cmp_eq_u32_e64 s[38:39], 1, v4
	v_cmp_eq_u32_e64 s[40:41], 2, v4
	;; [unrolled: 1-line block ×3, first 2 shown]
	v_cndmask_b32_e64 v4, 0, 1, s[2:3]
	s_and_b64 s[2:3], s[0:1], s[26:27]
	s_and_b64 s[14:15], s[34:35], s[36:37]
	v_cmp_eq_u32_e64 s[30:31], 3, v3
	v_and_b32_e32 v3, v5, v39
	v_bfe_u32 v5, v5, v37, 2
	v_cndmask_b32_e64 v8, 0, 1, s[2:3]
	s_and_b64 s[2:3], s[0:1], s[28:29]
	v_cmp_ne_u32_e64 s[44:45], 0, v4
	v_cndmask_b32_e64 v4, 0, 1, s[14:15]
	s_and_b64 s[14:15], s[34:35], s[38:39]
	v_cndmask_b32_e64 v18, 0, 1, s[2:3]
	s_and_b64 s[0:1], s[0:1], s[30:31]
	v_cmp_eq_u32_e64 s[2:3], 0, v5
	v_cmp_eq_u32_e64 s[26:27], 1, v5
	;; [unrolled: 1-line block ×4, first 2 shown]
	v_cndmask_b32_e64 v5, 0, 1, s[14:15]
	s_and_b64 s[14:15], s[34:35], s[40:41]
	v_cndmask_b32_e64 v41, 0, 1, s[0:1]
	v_cmp_eq_u32_e64 s[0:1], v3, v30
	v_cmp_ne_u32_e64 s[36:37], 0, v8
	v_cndmask_b32_e64 v8, 0, 1, s[14:15]
	s_and_b64 s[14:15], s[34:35], s[42:43]
	v_and_b32_e32 v3, v2, v39
	v_bfe_u32 v2, v2, v37, 2
	v_cmp_ne_u32_e64 s[38:39], 0, v18
	v_cndmask_b32_e64 v18, 0, 1, s[14:15]
	s_and_b64 s[14:15], s[0:1], s[26:27]
	v_cmp_eq_u32_e64 s[34:35], v3, v30
	v_cmp_eq_u32_e64 s[42:43], 0, v2
	s_and_b64 s[2:3], s[0:1], s[2:3]
	v_cndmask_b32_e64 v3, 0, 1, s[14:15]
	s_and_b64 s[14:15], s[0:1], s[28:29]
	v_cmp_eq_u32_e64 s[46:47], 1, v2
	v_cmp_eq_u32_e64 s[48:49], 2, v2
	;; [unrolled: 1-line block ×3, first 2 shown]
	s_bcnt1_i32_b64 s9, s[44:45]
	v_cmp_ne_u32_e64 s[44:45], 0, v4
	v_cndmask_b32_e64 v2, 0, 1, s[2:3]
	v_cndmask_b32_e64 v4, 0, 1, s[14:15]
	s_and_b64 s[0:1], s[0:1], s[30:31]
	s_and_b64 s[14:15], s[34:35], s[42:43]
	v_cmp_ne_u32_e64 s[2:3], 0, v5
	v_cndmask_b32_e64 v5, 0, 1, s[0:1]
	v_cmp_ne_u32_e64 s[0:1], 0, v2
	v_cndmask_b32_e64 v2, 0, 1, s[14:15]
	s_and_b64 s[14:15], s[34:35], s[46:47]
	v_cmp_ne_u32_e64 s[40:41], 0, v41
	v_cmp_ne_u32_e64 s[26:27], 0, v8
	s_bcnt1_i32_b64 s31, s[2:3]
	v_cmp_ne_u32_e64 s[2:3], 0, v3
	v_cndmask_b32_e64 v3, 0, 1, s[14:15]
	s_and_b64 s[14:15], s[34:35], s[48:49]
	s_bcnt1_i32_b64 s22, s[36:37]
	s_bcnt1_i32_b64 s23, s[38:39]
	;; [unrolled: 1-line block ×3, first 2 shown]
	v_cmp_ne_u32_e64 s[28:29], 0, v18
	s_bcnt1_i32_b64 s37, s[26:27]
	v_cmp_ne_u32_e64 s[26:27], 0, v4
	v_cndmask_b32_e64 v4, 0, 1, s[14:15]
	s_and_b64 s[14:15], s[34:35], s[50:51]
	s_bcnt1_i32_b64 s30, s[44:45]
	s_add_i32 s9, s58, s9
	s_add_i32 s22, s59, s22
	s_bcnt1_i32_b64 s38, s[28:29]
	v_cmp_ne_u32_e64 s[28:29], 0, v5
	v_cndmask_b32_e64 v5, 0, 1, s[14:15]
	s_add_i32 s14, s56, s23
	s_add_i32 s15, s57, s36
	s_bcnt1_i32_b64 s23, s[0:1]
	v_cmp_ne_u32_e64 s[0:1], 0, v2
	s_bcnt1_i32_b64 s34, s[2:3]
	v_cmp_ne_u32_e64 s[2:3], 0, v3
	s_add_i32 s22, s22, s31
	s_add_i32 s9, s9, s30
	s_bcnt1_i32_b64 s30, s[26:27]
	v_cmp_ne_u32_e64 s[26:27], 0, v4
	s_bcnt1_i32_b64 s31, s[28:29]
	v_cmp_ne_u32_e64 s[28:29], 0, v5
	s_add_i32 s15, s15, s38
	s_add_i32 s14, s14, s37
	s_bcnt1_i32_b64 s0, s[0:1]
	s_bcnt1_i32_b64 s1, s[2:3]
	s_add_i32 s2, s9, s23
	s_add_i32 s3, s22, s34
	s_bcnt1_i32_b64 s9, s[26:27]
	s_bcnt1_i32_b64 s22, s[28:29]
	s_add_i32 s14, s14, s30
	s_add_i32 s15, s15, s31
	s_add_i32 s59, s3, s1
	s_add_i32 s58, s2, s0
	s_add_i32 s57, s15, s22
	s_add_i32 s56, s14, s9
	s_or_b64 s[54:55], vcc, s[54:55]
	v_mov_b64_e32 v[2:3], s[58:59]
	v_mov_b64_e32 v[4:5], s[56:57]
	s_andn2_b64 exec, exec, s[54:55]
	s_cbranch_execnz .LBB120_78
; %bb.79:                               ;   in Loop: Header=BB120_20 Depth=1
	s_or_b64 exec, exec, s[54:55]
.LBB120_80:                             ;   in Loop: Header=BB120_20 Depth=1
	s_or_b64 exec, exec, s[52:53]
	s_and_saveexec_b64 s[2:3], s[18:19]
	s_cbranch_execz .LBB120_86
; %bb.81:                               ;   in Loop: Header=BB120_20 Depth=1
	global_load_dword v41, v[14:15], off
	s_mov_b64 s[8:9], 0
	v_mov_b32_e32 v8, v33
	v_mov_b32_e32 v17, v26
	s_branch .LBB120_83
.LBB120_82:                             ;   in Loop: Header=BB120_83 Depth=2
	s_or_b64 exec, exec, s[14:15]
	s_and_b64 s[0:1], exec, vcc
	s_waitcnt vmcnt(0)
	v_cmp_lt_i32_e32 vcc, -1, v41
	s_or_b64 s[8:9], s[0:1], s[8:9]
	v_add_u32_e32 v8, s33, v8
	v_cndmask_b32_e32 v43, -1, v36, vcc
	v_xor_b32_e32 v43, v43, v41
	v_cmp_o_f32_e32 vcc, v41, v41
	s_nop 1
	v_cndmask_b32_e32 v41, -1, v43, vcc
	v_and_b32_e32 v43, v41, v39
	v_bfe_u32 v41, v41, v37, 2
	v_cmp_eq_u32_e32 vcc, v43, v30
	v_cmp_eq_u32_e64 s[0:1], 0, v41
	s_and_b64 s[0:1], vcc, s[0:1]
	s_nop 0
	v_cndmask_b32_e64 v43, 0, 1, s[0:1]
	v_cmp_ne_u32_e64 s[0:1], 0, v43
	s_bcnt1_i32_b64 s14, s[0:1]
	v_cmp_eq_u32_e64 s[0:1], 1, v41
	s_and_b64 s[0:1], vcc, s[0:1]
	v_add_u32_e32 v2, s14, v2
	v_cndmask_b32_e64 v43, 0, 1, s[0:1]
	v_cmp_ne_u32_e64 s[0:1], 0, v43
	s_bcnt1_i32_b64 s0, s[0:1]
	s_nop 0
	v_add_u32_e32 v3, s0, v3
	v_cmp_eq_u32_e64 s[0:1], 2, v41
	s_and_b64 s[0:1], vcc, s[0:1]
	s_nop 0
	v_cndmask_b32_e64 v43, 0, 1, s[0:1]
	v_cmp_ne_u32_e64 s[0:1], 0, v43
	s_bcnt1_i32_b64 s14, s[0:1]
	v_cmp_eq_u32_e64 s[0:1], 3, v41
	s_and_b64 s[0:1], vcc, s[0:1]
	v_add_u32_e32 v4, s14, v4
	v_cndmask_b32_e64 v41, 0, 1, s[0:1]
	v_cmp_ne_u32_e32 vcc, 0, v41
	s_bcnt1_i32_b64 s0, vcc
	v_add_u32_e32 v5, s0, v5
	v_mov_b32_e32 v41, v18
	s_andn2_b64 exec, exec, s[8:9]
	s_cbranch_execz .LBB120_85
.LBB120_83:                             ;   Parent Loop BB120_20 Depth=1
                                        ; =>  This Inner Loop Header: Depth=2
	v_add_u32_e32 v17, s67, v17
	v_cmp_gt_u32_e64 s[0:1], s64, v17
	v_cmp_le_u32_e32 vcc, s64, v17
	v_mov_b32_e32 v18, 0
	s_and_saveexec_b64 s[14:15], s[0:1]
	s_cbranch_execz .LBB120_82
; %bb.84:                               ;   in Loop: Header=BB120_83 Depth=2
	v_lshl_add_u64 v[44:45], v[8:9], 2, s[70:71]
	global_load_dword v18, v[44:45], off
	s_branch .LBB120_82
.LBB120_85:                             ;   in Loop: Header=BB120_20 Depth=1
	s_or_b64 exec, exec, s[8:9]
.LBB120_86:                             ;   in Loop: Header=BB120_20 Depth=1
	s_or_b64 exec, exec, s[2:3]
	s_branch .LBB120_68
.LBB120_87:                             ;   in Loop: Header=BB120_20 Depth=1
	s_mul_hi_u32 s0, s85, s91
	s_mul_i32 s0, s0, s65
	s_sub_i32 s0, s85, s0
	s_sub_i32 s1, s0, s65
	s_cmp_ge_u32 s0, s65
	s_cselect_b32 s0, s1, s0
	s_sub_i32 s1, s0, s65
	s_cmp_ge_u32 s0, s65
	s_cselect_b32 s0, s1, s0
	s_sub_i32 s22, s85, s0
	v_mov_b32_e32 v8, v9
	v_cmp_gt_u32_e32 vcc, s22, v13
	v_mov_b64_e32 v[4:5], v[8:9]
	v_mov_b64_e32 v[2:3], v[8:9]
	s_and_saveexec_b64 s[14:15], vcc
	s_cbranch_execz .LBB120_91
; %bb.88:                               ;   in Loop: Header=BB120_20 Depth=1
	s_mov_b32 s8, 0
	s_mov_b64 s[72:73], 0
	v_mov_b32_e32 v8, v34
	v_mov_b32_e32 v17, v13
	s_mov_b32 s9, s8
	s_mov_b32 s74, s8
	;; [unrolled: 1-line block ×3, first 2 shown]
.LBB120_89:                             ;   Parent Loop BB120_20 Depth=1
                                        ; =>  This Inner Loop Header: Depth=2
	ds_read_b128 v[2:5], v8
	v_add_u32_e32 v17, s65, v17
	v_cmp_le_u32_e32 vcc, s22, v17
	v_add_u32_e32 v8, s87, v8
	s_waitcnt lgkmcnt(0)
	v_cmp_lt_i32_e64 s[0:1], -1, v3
	v_cmp_o_f32_e64 s[2:3], v4, v4
	s_nop 0
	v_cndmask_b32_e64 v18, -1, v36, s[0:1]
	v_cmp_lt_i32_e64 s[0:1], -1, v2
	v_cmp_o_f32_e64 s[26:27], v5, v5
	v_cmp_o_f32_e64 s[28:29], v3, v3
	v_cndmask_b32_e64 v41, -1, v36, s[0:1]
	v_cmp_lt_i32_e64 s[0:1], -1, v5
	v_xor_b32_e32 v41, v41, v2
	s_nop 0
	v_cndmask_b32_e64 v43, -1, v36, s[0:1]
	v_cmp_lt_i32_e64 s[0:1], -1, v4
	s_nop 1
	v_cndmask_b32_e64 v44, -1, v36, s[0:1]
	v_cmp_o_f32_e64 s[0:1], v2, v2
	v_xor_b32_e32 v2, v44, v4
	v_xor_b32_e32 v4, v43, v5
	;; [unrolled: 1-line block ×3, first 2 shown]
	v_cndmask_b32_e64 v3, -1, v5, s[28:29]
	v_cndmask_b32_e64 v5, -1, v41, s[0:1]
	v_and_b32_e32 v18, v5, v39
	v_lshrrev_b32_e32 v5, v37, v5
	v_cndmask_b32_e64 v2, -1, v2, s[2:3]
	v_and_b32_e32 v41, v3, v39
	v_lshrrev_b32_e32 v3, v37, v3
	v_and_b32_e32 v5, 3, v5
	v_and_b32_e32 v43, v2, v39
	v_lshrrev_b32_e32 v2, v37, v2
	v_cmp_eq_u32_e64 s[0:1], v18, v30
	v_and_b32_e32 v3, 3, v3
	v_cmp_eq_u32_e64 s[30:31], 0, v5
	v_cndmask_b32_e64 v4, -1, v4, s[26:27]
	v_cmp_eq_u32_e64 s[2:3], v41, v30
	v_and_b32_e32 v2, 3, v2
	v_cmp_eq_u32_e64 s[34:35], 0, v3
	s_and_b64 s[30:31], s[0:1], s[30:31]
	v_and_b32_e32 v44, v4, v39
	v_lshrrev_b32_e32 v4, v37, v4
	v_cmp_eq_u32_e64 s[36:37], 1, v5
	v_cmp_eq_u32_e64 s[48:49], 0, v2
	;; [unrolled: 1-line block ×5, first 2 shown]
	v_cndmask_b32_e64 v2, 0, 1, s[30:31]
	s_and_b64 s[30:31], s[2:3], s[34:35]
	v_and_b32_e32 v4, 3, v4
	v_cmp_eq_u32_e64 s[38:39], 1, v3
	v_cmp_eq_u32_e64 s[42:43], 2, v3
	;; [unrolled: 1-line block ×3, first 2 shown]
	v_cndmask_b32_e64 v3, 0, 1, s[30:31]
	s_and_b64 s[30:31], s[0:1], s[36:37]
	v_cmp_eq_u32_e64 s[40:41], 2, v5
	v_cmp_eq_u32_e64 s[50:51], 0, v4
	v_cmp_eq_u32_e64 s[54:55], 1, v4
	v_cmp_eq_u32_e64 s[58:59], 2, v4
	v_cmp_eq_u32_e64 s[60:61], 3, v4
	v_cndmask_b32_e64 v4, 0, 1, s[30:31]
	s_and_b64 s[30:31], s[2:3], s[38:39]
	v_cmp_eq_u32_e64 s[46:47], 3, v5
	v_cndmask_b32_e64 v5, 0, 1, s[30:31]
	s_and_b64 s[30:31], s[0:1], s[40:41]
	v_cmp_eq_u32_e64 s[26:27], v43, v30
	;; [unrolled: 3-line block ×3, first 2 shown]
	v_cndmask_b32_e64 v41, 0, 1, s[30:31]
	s_and_b64 s[30:31], s[26:27], s[48:49]
	v_cndmask_b32_e64 v43, 0, 1, s[30:31]
	s_and_b64 s[30:31], s[28:29], s[50:51]
	;; [unrolled: 2-line block ×3, first 2 shown]
	s_and_b64 s[0:1], s[0:1], s[46:47]
	v_cndmask_b32_e64 v45, 0, 1, s[30:31]
	s_and_b64 s[30:31], s[28:29], s[54:55]
	v_cndmask_b32_e64 v49, 0, 1, s[0:1]
	;; [unrolled: 2-line block ×7, first 2 shown]
	v_cndmask_b32_e64 v52, 0, 1, s[0:1]
	v_cmp_ne_u32_e64 s[0:1], 0, v2
	v_cmp_ne_u32_e64 s[2:3], 0, v3
	;; [unrolled: 1-line block ×9, first 2 shown]
	s_bcnt1_i32_b64 s0, s[0:1]
	s_bcnt1_i32_b64 s1, s[2:3]
	;; [unrolled: 1-line block ×6, first 2 shown]
	v_cmp_ne_u32_e64 s[40:41], 0, v45
	v_cmp_ne_u32_e64 s[44:45], 0, v47
	;; [unrolled: 1-line block ×3, first 2 shown]
	s_bcnt1_i32_b64 s3, s[28:29]
	s_bcnt1_i32_b64 s27, s[36:37]
	;; [unrolled: 1-line block ×3, first 2 shown]
	s_add_i32 s0, s8, s0
	s_add_i32 s2, s9, s2
	;; [unrolled: 1-line block ×4, first 2 shown]
	v_cmp_ne_u32_e64 s[38:39], 0, v44
	v_cmp_ne_u32_e64 s[42:43], 0, v46
	;; [unrolled: 1-line block ×4, first 2 shown]
	s_bcnt1_i32_b64 s29, s[40:41]
	s_bcnt1_i32_b64 s31, s[44:45]
	;; [unrolled: 1-line block ×3, first 2 shown]
	s_add_i32 s2, s2, s3
	s_add_i32 s0, s0, s1
	;; [unrolled: 1-line block ×4, first 2 shown]
	s_bcnt1_i32_b64 s28, s[38:39]
	s_bcnt1_i32_b64 s30, s[42:43]
	s_bcnt1_i32_b64 s34, s[46:47]
	s_bcnt1_i32_b64 s38, s[54:55]
	s_add_i32 s0, s0, s27
	s_add_i32 s2, s2, s29
	;; [unrolled: 1-line block ×8, first 2 shown]
	s_or_b64 s[72:73], vcc, s[72:73]
	v_mov_b64_e32 v[2:3], s[8:9]
	v_mov_b64_e32 v[4:5], s[74:75]
	s_andn2_b64 exec, exec, s[72:73]
	s_cbranch_execnz .LBB120_89
; %bb.90:                               ;   in Loop: Header=BB120_20 Depth=1
	s_or_b64 exec, exec, s[72:73]
.LBB120_91:                             ;   in Loop: Header=BB120_20 Depth=1
	s_or_b64 exec, exec, s[14:15]
	v_add_u32_e32 v8, s22, v0
	v_cmp_gt_u32_e32 vcc, s85, v8
	s_and_saveexec_b64 s[8:9], vcc
	s_cbranch_execz .LBB120_95
; %bb.92:                               ;   in Loop: Header=BB120_20 Depth=1
	v_lshlrev_b32_e32 v17, 2, v8
	s_mov_b64 s[14:15], 0
.LBB120_93:                             ;   Parent Loop BB120_20 Depth=1
                                        ; =>  This Inner Loop Header: Depth=2
	ds_read_b32 v18, v17
	v_add_u32_e32 v8, s67, v8
	v_cmp_le_u32_e32 vcc, s85, v8
	v_add_u32_e32 v17, s65, v17
	s_waitcnt lgkmcnt(0)
	v_cmp_lt_i32_e64 s[0:1], -1, v18
	s_nop 1
	v_cndmask_b32_e64 v41, -1, v36, s[0:1]
	v_xor_b32_e32 v41, v41, v18
	v_cmp_o_f32_e64 s[0:1], v18, v18
	s_nop 1
	v_cndmask_b32_e64 v18, -1, v41, s[0:1]
	v_and_b32_e32 v41, v18, v39
	v_bfe_u32 v18, v18, v37, 2
	v_cmp_eq_u32_e64 s[0:1], v41, v30
	v_cmp_eq_u32_e64 s[2:3], 0, v18
	;; [unrolled: 1-line block ×3, first 2 shown]
	s_and_b64 s[2:3], s[0:1], s[2:3]
	v_cmp_eq_u32_e64 s[28:29], 2, v18
	v_cmp_eq_u32_e64 s[30:31], 3, v18
	v_cndmask_b32_e64 v18, 0, 1, s[2:3]
	s_and_b64 s[2:3], s[0:1], s[26:27]
	v_cndmask_b32_e64 v41, 0, 1, s[2:3]
	s_and_b64 s[2:3], s[0:1], s[28:29]
	s_and_b64 s[0:1], s[0:1], s[30:31]
	v_cndmask_b32_e64 v43, 0, 1, s[2:3]
	v_cndmask_b32_e64 v44, 0, 1, s[0:1]
	v_cmp_ne_u32_e64 s[0:1], 0, v18
	v_cmp_ne_u32_e64 s[2:3], 0, v41
	;; [unrolled: 1-line block ×4, first 2 shown]
	s_bcnt1_i32_b64 s0, s[0:1]
	s_bcnt1_i32_b64 s1, s[2:3]
	;; [unrolled: 1-line block ×4, first 2 shown]
	v_add_u32_e32 v3, s1, v3
	v_add_u32_e32 v2, s0, v2
	;; [unrolled: 1-line block ×3, first 2 shown]
	s_or_b64 s[14:15], vcc, s[14:15]
	v_add_u32_e32 v4, s2, v4
	s_andn2_b64 exec, exec, s[14:15]
	s_cbranch_execnz .LBB120_93
; %bb.94:                               ;   in Loop: Header=BB120_20 Depth=1
	s_or_b64 exec, exec, s[14:15]
.LBB120_95:                             ;   in Loop: Header=BB120_20 Depth=1
	s_or_b64 exec, exec, s[8:9]
	s_lshl_b32 s8, s84, 6
	s_and_saveexec_b64 s[0:1], s[4:5]
	s_cbranch_execnz .LBB120_69
	s_branch .LBB120_70
.LBB120_96:                             ;   in Loop: Header=BB120_20 Depth=1
	v_mov_b32_e32 v2, 0
	s_mov_b32 s9, 0
	s_cbranch_execnz .LBB120_101
	s_branch .LBB120_103
.LBB120_97:                             ;   in Loop: Header=BB120_20 Depth=1
	v_mov_b32_e32 v8, v9
	s_mov_b32 s2, 0
	v_mov_b64_e32 v[2:3], v[8:9]
	s_mov_b32 s3, 1
.LBB120_98:                             ;   in Loop: Header=BB120_20 Depth=1
	v_readlane_b32 s14, v68, 25
	v_readlane_b32 s15, v68, 26
	s_andn2_b64 vcc, exec, s[14:15]
	v_readlane_b32 s9, v68, 24
	s_cbranch_vccnz .LBB120_100
.LBB120_99:                             ;   Parent Loop BB120_20 Depth=1
                                        ; =>  This Inner Loop Header: Depth=2
	v_lshl_add_u32 v8, s2, 4, v5
	v_lshl_add_u32 v17, s3, 4, v5
	ds_read_b32 v17, v17
	ds_read_b32 v8, v8
	s_add_i32 s3, s3, 2
	s_add_i32 s2, s2, 2
	s_add_i32 s9, s9, -1
	s_cmp_lg_u32 s9, 0
	s_waitcnt lgkmcnt(1)
	v_add_u32_e32 v3, v17, v3
	s_waitcnt lgkmcnt(0)
	v_add_u32_e32 v2, v8, v2
	s_cbranch_scc1 .LBB120_99
.LBB120_100:                            ;   in Loop: Header=BB120_20 Depth=1
	v_readlane_b32 s2, v68, 29
	v_add_u32_e32 v2, v2, v3
	v_readlane_b32 s9, v68, 28
	v_readlane_b32 s3, v68, 30
	s_and_b64 vcc, exec, s[2:3]
	s_cbranch_vccz .LBB120_103
.LBB120_101:                            ;   in Loop: Header=BB120_20 Depth=1
	s_lshl_b32 s2, s84, 8
	s_lshl_b32 s3, s9, 4
	s_add_i32 s2, s2, s3
	v_add_u32_e32 v3, s2, v35
	v_readlane_b32 s2, v68, 27
	s_sub_i32 s2, s2, s9
.LBB120_102:                            ;   Parent Loop BB120_20 Depth=1
                                        ; =>  This Inner Loop Header: Depth=2
	ds_read_b32 v5, v3
	s_add_i32 s2, s2, -1
	v_add_u32_e32 v3, 16, v3
	s_cmp_eq_u32 s2, 0
	s_waitcnt lgkmcnt(0)
	v_add_u32_e32 v2, v5, v2
	s_cbranch_scc0 .LBB120_102
.LBB120_103:                            ;   in Loop: Header=BB120_20 Depth=1
	v_lshlrev_b32_e32 v3, 2, v4
	ds_write_b32 v3, v2 offset:3072
.LBB120_104:                            ;   in Loop: Header=BB120_20 Depth=1
	s_or_b64 exec, exec, s[0:1]
	s_lshl_b32 s0, s8, 2
	v_mov_b32_e32 v2, s0
	s_waitcnt lgkmcnt(0)
	s_barrier
	ds_read_b128 v[2:5], v2 offset:3072
	v_cmp_eq_u32_e32 vcc, 1, v40
	s_mov_b64 s[2:3], -1
	s_mov_b64 s[28:29], -1
                                        ; implicit-def: $sgpr26_sgpr27
                                        ; implicit-def: $sgpr8_sgpr9
	s_waitcnt lgkmcnt(0)
	v_readfirstlane_b32 s42, v2
	s_cmp_eq_u32 s42, 1
	v_lshlrev_b32_e64 v2, v37, 3
	s_cselect_b64 s[0:1], -1, 0
	v_readfirstlane_b32 s46, v3
	v_readfirstlane_b32 s54, v4
	;; [unrolled: 1-line block ×3, first 2 shown]
	v_not_b32_e32 v4, v2
	s_and_b64 s[14:15], s[0:1], vcc
	s_and_saveexec_b64 s[0:1], s[14:15]
	s_cbranch_execz .LBB120_132
; %bb.105:                              ;   in Loop: Header=BB120_20 Depth=1
	ds_read_b32 v3, v9 offset:4104
	s_waitcnt lgkmcnt(0)
	s_barrier
	v_readfirstlane_b32 s22, v3
	s_and_saveexec_b64 s[8:9], s[6:7]
; %bb.106:                              ;   in Loop: Header=BB120_20 Depth=1
	ds_write_b32 v21, v9
; %bb.107:                              ;   in Loop: Header=BB120_20 Depth=1
	s_or_b64 exec, exec, s[8:9]
	v_and_b32_e32 v30, v30, v4
	v_or_b32_e32 v39, v39, v2
	s_mov_b64 s[8:9], -1
	s_mov_b64 s[26:27], 0
	s_cmp_eq_u32 s22, 0
	s_mov_b64 s[28:29], 0
	s_mov_b64 s[30:31], -1
	s_waitcnt lgkmcnt(0)
	s_barrier
                                        ; implicit-def: $vgpr19
	s_cbranch_scc1 .LBB120_119
; %bb.108:                              ;   in Loop: Header=BB120_20 Depth=1
	s_add_i32 s23, s22, s86
	s_mul_hi_u32 s28, s23, s90
	s_mul_i32 s28, s28, s67
	s_sub_i32 s28, s23, s28
	s_sub_i32 s29, s28, s67
	s_cmp_ge_u32 s28, s67
	s_cselect_b32 s28, s29, s28
	s_sub_i32 s29, s28, s67
	s_cmp_ge_u32 s28, s67
	s_cselect_b32 s28, s29, s28
	s_sub_i32 s23, s23, s28
	v_cmp_gt_u32_e32 vcc, s23, v0
	s_mov_b64 s[30:31], 0
	s_mov_b64 s[28:29], 0
                                        ; implicit-def: $vgpr19
	s_and_saveexec_b64 s[34:35], vcc
	s_cbranch_execz .LBB120_118
; %bb.109:                              ;   in Loop: Header=BB120_20 Depth=1
	v_mov_b32_e32 v3, v13
	v_mov_b32_e32 v5, v0
                                        ; implicit-def: $sgpr36_sgpr37
	s_branch .LBB120_113
.LBB120_110:                            ;   in Loop: Header=BB120_113 Depth=2
	s_or_b64 exec, exec, s[38:39]
	s_waitcnt lgkmcnt(0)
	s_barrier
	ds_read_b64 v[18:19], v9 offset:3072
	s_waitcnt lgkmcnt(0)
	s_barrier
	v_cmp_neq_f32_e32 vcc, 0, v18
	s_cbranch_vccnz .LBB120_116
; %bb.111:                              ;   in Loop: Header=BB120_113 Depth=2
	v_add_u32_e32 v5, s67, v5
	v_cmp_le_u32_e32 vcc, s23, v5
	v_add_u32_e32 v3, s65, v3
	s_mov_b64 s[38:39], 0
	s_orn2_b64 s[40:41], vcc, exec
.LBB120_112:                            ;   in Loop: Header=BB120_113 Depth=2
	s_and_b64 s[40:41], exec, s[40:41]
	s_or_b64 s[28:29], s[40:41], s[28:29]
	s_andn2_b64 s[36:37], s[36:37], exec
	s_and_b64 s[38:39], s[38:39], exec
	s_or_b64 s[36:37], s[36:37], s[38:39]
	s_andn2_b64 exec, exec, s[28:29]
	s_cbranch_execz .LBB120_117
.LBB120_113:                            ;   Parent Loop BB120_20 Depth=1
                                        ; =>  This Inner Loop Header: Depth=2
	v_cmp_gt_u32_e32 vcc, s22, v5
	s_and_saveexec_b64 s[38:39], vcc
	s_cbranch_execz .LBB120_110
; %bb.114:                              ;   in Loop: Header=BB120_113 Depth=2
	ds_read_b32 v17, v3
	s_waitcnt lgkmcnt(0)
	v_cmp_lt_i32_e32 vcc, -1, v17
	s_nop 1
	v_cndmask_b32_e32 v8, -1, v36, vcc
	v_xor_b32_e32 v8, v8, v17
	v_cmp_o_f32_e32 vcc, v17, v17
	s_nop 1
	v_cndmask_b32_e32 v8, -1, v8, vcc
	v_and_b32_e32 v8, v8, v39
	v_cmp_eq_u32_e32 vcc, v8, v30
	s_and_b64 exec, exec, vcc
	s_cbranch_execz .LBB120_110
; %bb.115:                              ;   in Loop: Header=BB120_113 Depth=2
	ds_write_b64 v9, v[16:17] offset:3072
	s_branch .LBB120_110
.LBB120_116:                            ;   in Loop: Header=BB120_113 Depth=2
	s_mov_b64 s[40:41], -1
                                        ; implicit-def: $vgpr5
                                        ; implicit-def: $vgpr3
	s_mov_b64 s[38:39], -1
	s_branch .LBB120_112
.LBB120_117:                            ;   in Loop: Header=BB120_20 Depth=1
	s_or_b64 exec, exec, s[28:29]
	s_and_b64 s[28:29], s[36:37], exec
.LBB120_118:                            ;   in Loop: Header=BB120_20 Depth=1
	s_or_b64 exec, exec, s[34:35]
.LBB120_119:                            ;   in Loop: Header=BB120_20 Depth=1
	s_and_b64 vcc, exec, s[30:31]
	s_cbranch_vccz .LBB120_131
; %bb.120:                              ;   in Loop: Header=BB120_20 Depth=1
                                        ; implicit-def: $vgpr19
	s_and_saveexec_b64 s[8:9], s[20:21]
	s_cbranch_execz .LBB120_130
; %bb.121:                              ;   in Loop: Header=BB120_20 Depth=1
	s_mov_b64 s[26:27], 0
	v_mov_b32_e32 v8, v6
	v_mov_b32_e32 v3, v0
                                        ; implicit-def: $sgpr30_sgpr31
	s_branch .LBB120_125
.LBB120_122:                            ;   in Loop: Header=BB120_125 Depth=2
	s_or_b64 exec, exec, s[34:35]
	s_waitcnt lgkmcnt(0)
	s_barrier
	ds_read_b64 v[18:19], v9 offset:3072
	s_waitcnt lgkmcnt(0)
	s_barrier
	v_cmp_neq_f32_e32 vcc, 0, v18
	s_cbranch_vccnz .LBB120_128
; %bb.123:                              ;   in Loop: Header=BB120_125 Depth=2
	v_add_u32_e32 v3, s67, v3
	v_cmp_le_u32_e32 vcc, s82, v3
	v_add_u32_e32 v8, s33, v8
	s_mov_b64 s[34:35], 0
	s_orn2_b64 s[36:37], vcc, exec
.LBB120_124:                            ;   in Loop: Header=BB120_125 Depth=2
	s_and_b64 s[22:23], exec, s[36:37]
	s_or_b64 s[26:27], s[22:23], s[26:27]
	s_andn2_b64 s[22:23], s[30:31], exec
	s_and_b64 s[30:31], s[34:35], exec
	s_or_b64 s[30:31], s[22:23], s[30:31]
	s_andn2_b64 exec, exec, s[26:27]
	s_cbranch_execz .LBB120_129
.LBB120_125:                            ;   Parent Loop BB120_20 Depth=1
                                        ; =>  This Inner Loop Header: Depth=2
	v_cmp_gt_u32_e32 vcc, s64, v3
	s_and_saveexec_b64 s[34:35], vcc
	s_cbranch_execz .LBB120_122
; %bb.126:                              ;   in Loop: Header=BB120_125 Depth=2
	v_lshl_add_u64 v[18:19], v[8:9], 2, s[70:71]
	global_load_dword v17, v[18:19], off
	s_waitcnt vmcnt(0)
	v_cmp_lt_i32_e32 vcc, -1, v17
	s_nop 1
	v_cndmask_b32_e32 v5, -1, v36, vcc
	v_xor_b32_e32 v5, v5, v17
	v_cmp_o_f32_e32 vcc, v17, v17
	s_nop 1
	v_cndmask_b32_e32 v5, -1, v5, vcc
	v_and_b32_e32 v5, v5, v39
	v_cmp_eq_u32_e32 vcc, v5, v30
	s_and_b64 exec, exec, vcc
	s_cbranch_execz .LBB120_122
; %bb.127:                              ;   in Loop: Header=BB120_125 Depth=2
	ds_write_b64 v9, v[16:17] offset:3072
	s_branch .LBB120_122
.LBB120_128:                            ;   in Loop: Header=BB120_125 Depth=2
	s_mov_b64 s[36:37], -1
                                        ; implicit-def: $vgpr3
	s_mov_b64 s[34:35], -1
	s_branch .LBB120_124
.LBB120_129:                            ;   in Loop: Header=BB120_20 Depth=1
	s_or_b64 exec, exec, s[26:27]
	s_andn2_b64 s[22:23], s[28:29], exec
	s_and_b64 s[26:27], s[30:31], exec
	s_or_b64 s[28:29], s[22:23], s[26:27]
.LBB120_130:                            ;   in Loop: Header=BB120_20 Depth=1
	s_or_b64 exec, exec, s[8:9]
	s_mov_b64 s[8:9], 0
	s_mov_b64 s[26:27], -1
.LBB120_131:                            ;   in Loop: Header=BB120_20 Depth=1
	s_orn2_b64 s[28:29], s[28:29], exec
.LBB120_132:                            ;   in Loop: Header=BB120_20 Depth=1
	s_or_b64 exec, exec, s[0:1]
	s_andn2_b64 s[0:1], s[12:13], exec
	s_and_b64 s[12:13], s[26:27], exec
	s_or_b64 s[12:13], s[0:1], s[12:13]
	s_andn2_b64 s[0:1], s[10:11], exec
	s_and_b64 s[8:9], s[8:9], exec
	v_readfirstlane_b32 s22, v0
	s_andn2_b64 s[68:69], s[68:69], exec
	s_or_b64 s[10:11], s[0:1], s[8:9]
                                        ; implicit-def: $vgpr5
	s_and_saveexec_b64 s[0:1], s[28:29]
	s_cbranch_execz .LBB120_19
; %bb.133:                              ;   in Loop: Header=BB120_20 Depth=1
	s_xor_b64 s[8:9], s[14:15], -1
	s_mov_b64 s[14:15], 0
	v_mov_b32_e32 v5, 1
	v_mov_b32_e32 v3, 1
	s_and_saveexec_b64 s[2:3], s[8:9]
	s_cbranch_execz .LBB120_142
; %bb.134:                              ;   in Loop: Header=BB120_20 Depth=1
	v_cmp_ge_u32_e32 vcc, s42, v40
	s_and_saveexec_b64 s[8:9], vcc
	s_xor_b64 s[8:9], exec, s[8:9]
	s_cbranch_execz .LBB120_139
; %bb.135:                              ;   in Loop: Header=BB120_20 Depth=1
	ds_read_b32 v3, v9 offset:4104
	v_and_b32_e32 v30, v30, v4
	v_or_b32_e32 v39, v39, v2
	s_waitcnt lgkmcnt(0)
	v_cmp_ne_u32_e32 vcc, 0, v3
	s_cbranch_vccnz .LBB120_139
; %bb.136:                              ;   in Loop: Header=BB120_20 Depth=1
	s_and_saveexec_b64 s[14:15], s[24:25]
; %bb.137:                              ;   in Loop: Header=BB120_20 Depth=1
	v_mov_b32_e32 v3, s42
	ds_write_b32 v9, v3 offset:4108
; %bb.138:                              ;   in Loop: Header=BB120_20 Depth=1
	s_or_b64 exec, exec, s[14:15]
	s_waitcnt lgkmcnt(0)
	s_barrier
.LBB120_139:                            ;   in Loop: Header=BB120_20 Depth=1
	s_or_saveexec_b64 s[8:9], s[8:9]
	s_mov_b64 s[14:15], 0
	v_mov_b32_e32 v3, 8
	s_xor_b64 exec, exec, s[8:9]
; %bb.140:                              ;   in Loop: Header=BB120_20 Depth=1
	s_mov_b64 s[14:15], exec
	v_subrev_u32_e32 v40, s42, v40
	v_mov_b32_e32 v3, 0
; %bb.141:                              ;   in Loop: Header=BB120_20 Depth=1
	s_or_b64 exec, exec, s[8:9]
	s_and_b64 s[14:15], s[14:15], exec
	v_mov_b32_e32 v5, v40
.LBB120_142:                            ;   in Loop: Header=BB120_20 Depth=1
	s_or_b64 exec, exec, s[2:3]
	s_mov_b64 s[2:3], -1
	s_mov_b64 s[8:9], -1
                                        ; implicit-def: $sgpr28_sgpr29
                                        ; implicit-def: $sgpr30_sgpr31
	s_and_saveexec_b64 s[22:23], s[14:15]
	s_xor_b64 s[26:27], exec, s[22:23]
	s_cbranch_execz .LBB120_265
; %bb.143:                              ;   in Loop: Header=BB120_20 Depth=1
	s_cmp_eq_u32 s46, 1
	s_cselect_b64 s[8:9], -1, 0
	v_cmp_eq_u32_e32 vcc, 1, v5
	s_and_b64 s[14:15], s[8:9], vcc
	s_mov_b64 s[36:37], -1
                                        ; implicit-def: $sgpr30_sgpr31
                                        ; implicit-def: $sgpr28_sgpr29
	s_and_saveexec_b64 s[8:9], s[14:15]
	s_cbranch_execz .LBB120_171
; %bb.144:                              ;   in Loop: Header=BB120_20 Depth=1
	ds_read_b32 v8, v9 offset:4104
	s_waitcnt lgkmcnt(0)
	s_barrier
	v_readfirstlane_b32 s22, v8
	s_and_saveexec_b64 s[28:29], s[6:7]
; %bb.145:                              ;   in Loop: Header=BB120_20 Depth=1
	ds_write_b32 v21, v9
; %bb.146:                              ;   in Loop: Header=BB120_20 Depth=1
	s_or_b64 exec, exec, s[28:29]
	v_and_b32_e32 v8, v30, v4
	v_lshl_or_b32 v30, 1, v37, v8
	v_or_b32_e32 v39, v39, v2
	s_mov_b64 s[28:29], -1
	s_mov_b64 s[30:31], 0
	s_cmp_eq_u32 s22, 0
	s_mov_b64 s[34:35], 0
	s_waitcnt lgkmcnt(0)
	s_barrier
                                        ; implicit-def: $vgpr19
	s_cbranch_scc1 .LBB120_158
; %bb.147:                              ;   in Loop: Header=BB120_20 Depth=1
	s_add_i32 s23, s22, s86
	s_mul_hi_u32 s34, s23, s90
	s_mul_i32 s34, s34, s67
	s_sub_i32 s34, s23, s34
	s_sub_i32 s35, s34, s67
	s_cmp_ge_u32 s34, s67
	s_cselect_b32 s34, s35, s34
	s_sub_i32 s35, s34, s67
	s_cmp_ge_u32 s34, s67
	s_cselect_b32 s34, s35, s34
	s_sub_i32 s23, s23, s34
	v_cmp_gt_u32_e32 vcc, s23, v0
	s_mov_b64 s[36:37], 0
	s_mov_b64 s[34:35], 0
                                        ; implicit-def: $vgpr19
	s_and_saveexec_b64 s[38:39], vcc
	s_cbranch_execz .LBB120_157
; %bb.148:                              ;   in Loop: Header=BB120_20 Depth=1
	v_mov_b32_e32 v8, v13
	v_mov_b32_e32 v40, v0
                                        ; implicit-def: $sgpr40_sgpr41
	s_branch .LBB120_152
.LBB120_149:                            ;   in Loop: Header=BB120_152 Depth=2
	s_or_b64 exec, exec, s[42:43]
	s_waitcnt lgkmcnt(0)
	s_barrier
	ds_read_b64 v[18:19], v9 offset:3072
	s_waitcnt lgkmcnt(0)
	s_barrier
	v_cmp_neq_f32_e32 vcc, 0, v18
	s_cbranch_vccnz .LBB120_155
; %bb.150:                              ;   in Loop: Header=BB120_152 Depth=2
	v_add_u32_e32 v40, s67, v40
	v_cmp_le_u32_e32 vcc, s23, v40
	v_add_u32_e32 v8, s65, v8
	s_mov_b64 s[42:43], 0
	s_orn2_b64 s[44:45], vcc, exec
.LBB120_151:                            ;   in Loop: Header=BB120_152 Depth=2
	s_and_b64 s[44:45], exec, s[44:45]
	s_or_b64 s[34:35], s[44:45], s[34:35]
	s_andn2_b64 s[40:41], s[40:41], exec
	s_and_b64 s[42:43], s[42:43], exec
	s_or_b64 s[40:41], s[40:41], s[42:43]
	s_andn2_b64 exec, exec, s[34:35]
	s_cbranch_execz .LBB120_156
.LBB120_152:                            ;   Parent Loop BB120_20 Depth=1
                                        ; =>  This Inner Loop Header: Depth=2
	v_cmp_gt_u32_e32 vcc, s22, v40
	s_and_saveexec_b64 s[42:43], vcc
	s_cbranch_execz .LBB120_149
; %bb.153:                              ;   in Loop: Header=BB120_152 Depth=2
	ds_read_b32 v17, v8
	s_waitcnt lgkmcnt(0)
	v_cmp_lt_i32_e32 vcc, -1, v17
	s_nop 1
	v_cndmask_b32_e32 v18, -1, v36, vcc
	v_xor_b32_e32 v18, v18, v17
	v_cmp_o_f32_e32 vcc, v17, v17
	s_nop 1
	v_cndmask_b32_e32 v18, -1, v18, vcc
	v_and_b32_e32 v18, v18, v39
	v_cmp_eq_u32_e32 vcc, v18, v30
	s_and_b64 exec, exec, vcc
	s_cbranch_execz .LBB120_149
; %bb.154:                              ;   in Loop: Header=BB120_152 Depth=2
	ds_write_b64 v9, v[16:17] offset:3072
	s_branch .LBB120_149
.LBB120_155:                            ;   in Loop: Header=BB120_152 Depth=2
	s_mov_b64 s[44:45], -1
                                        ; implicit-def: $vgpr40
                                        ; implicit-def: $vgpr8
	s_mov_b64 s[42:43], -1
	s_branch .LBB120_151
.LBB120_156:                            ;   in Loop: Header=BB120_20 Depth=1
	s_or_b64 exec, exec, s[34:35]
	s_and_b64 s[34:35], s[40:41], exec
.LBB120_157:                            ;   in Loop: Header=BB120_20 Depth=1
	s_or_b64 exec, exec, s[38:39]
.LBB120_158:                            ;   in Loop: Header=BB120_20 Depth=1
	s_and_b64 vcc, exec, s[36:37]
	s_cbranch_vccz .LBB120_170
; %bb.159:                              ;   in Loop: Header=BB120_20 Depth=1
                                        ; implicit-def: $vgpr19
	s_and_saveexec_b64 s[28:29], s[20:21]
	s_cbranch_execz .LBB120_169
; %bb.160:                              ;   in Loop: Header=BB120_20 Depth=1
	s_mov_b64 s[30:31], 0
	v_mov_b32_e32 v8, v6
	v_mov_b32_e32 v40, v0
                                        ; implicit-def: $sgpr36_sgpr37
	s_branch .LBB120_164
.LBB120_161:                            ;   in Loop: Header=BB120_164 Depth=2
	s_or_b64 exec, exec, s[38:39]
	s_waitcnt lgkmcnt(0)
	s_barrier
	ds_read_b64 v[18:19], v9 offset:3072
	s_waitcnt lgkmcnt(0)
	s_barrier
	v_cmp_eq_f32_e32 vcc, 0, v18
	s_cbranch_vccz .LBB120_167
; %bb.162:                              ;   in Loop: Header=BB120_164 Depth=2
	v_add_u32_e32 v40, s67, v40
	v_cmp_le_u32_e32 vcc, s82, v40
	v_add_u32_e32 v8, s33, v8
	s_mov_b64 s[38:39], 0
	s_orn2_b64 s[40:41], vcc, exec
.LBB120_163:                            ;   in Loop: Header=BB120_164 Depth=2
	s_and_b64 s[22:23], exec, s[40:41]
	s_or_b64 s[30:31], s[22:23], s[30:31]
	s_andn2_b64 s[22:23], s[36:37], exec
	s_and_b64 s[36:37], s[38:39], exec
	s_or_b64 s[36:37], s[22:23], s[36:37]
	s_andn2_b64 exec, exec, s[30:31]
	s_cbranch_execz .LBB120_168
.LBB120_164:                            ;   Parent Loop BB120_20 Depth=1
                                        ; =>  This Inner Loop Header: Depth=2
	v_cmp_gt_u32_e32 vcc, s64, v40
	s_and_saveexec_b64 s[38:39], vcc
	s_cbranch_execz .LBB120_161
; %bb.165:                              ;   in Loop: Header=BB120_164 Depth=2
	v_lshl_add_u64 v[18:19], v[8:9], 2, s[70:71]
	global_load_dword v17, v[18:19], off
	s_waitcnt vmcnt(0)
	v_cmp_lt_i32_e32 vcc, -1, v17
	s_nop 1
	v_cndmask_b32_e32 v18, -1, v36, vcc
	v_xor_b32_e32 v18, v18, v17
	v_cmp_o_f32_e32 vcc, v17, v17
	s_nop 1
	v_cndmask_b32_e32 v18, -1, v18, vcc
	v_and_b32_e32 v18, v18, v39
	v_cmp_eq_u32_e32 vcc, v18, v30
	s_and_b64 exec, exec, vcc
	s_cbranch_execz .LBB120_161
; %bb.166:                              ;   in Loop: Header=BB120_164 Depth=2
	ds_write_b64 v9, v[16:17] offset:3072
	s_branch .LBB120_161
.LBB120_167:                            ;   in Loop: Header=BB120_164 Depth=2
	s_mov_b64 s[40:41], -1
                                        ; implicit-def: $vgpr40
	s_mov_b64 s[38:39], -1
	s_branch .LBB120_163
.LBB120_168:                            ;   in Loop: Header=BB120_20 Depth=1
	s_or_b64 exec, exec, s[30:31]
	s_andn2_b64 s[22:23], s[34:35], exec
	s_and_b64 s[30:31], s[36:37], exec
	s_or_b64 s[34:35], s[22:23], s[30:31]
.LBB120_169:                            ;   in Loop: Header=BB120_20 Depth=1
	s_or_b64 exec, exec, s[28:29]
	s_mov_b64 s[28:29], 0
	s_mov_b64 s[30:31], -1
.LBB120_170:                            ;   in Loop: Header=BB120_20 Depth=1
	s_orn2_b64 s[36:37], s[34:35], exec
.LBB120_171:                            ;   in Loop: Header=BB120_20 Depth=1
	s_or_b64 exec, exec, s[8:9]
	s_mov_b64 s[8:9], 0
	s_and_saveexec_b64 s[34:35], s[36:37]
	s_cbranch_execz .LBB120_264
; %bb.172:                              ;   in Loop: Header=BB120_20 Depth=1
	s_xor_b64 s[22:23], s[14:15], -1
	s_mov_b64 s[14:15], 0
	v_mov_b32_e32 v40, 1
	v_mov_b32_e32 v3, 1
	s_and_saveexec_b64 s[8:9], s[22:23]
	s_cbranch_execz .LBB120_181
; %bb.173:                              ;   in Loop: Header=BB120_20 Depth=1
	v_cmp_ge_u32_e32 vcc, s46, v5
	s_and_saveexec_b64 s[14:15], vcc
	s_xor_b64 s[14:15], exec, s[14:15]
	s_cbranch_execz .LBB120_178
; %bb.174:                              ;   in Loop: Header=BB120_20 Depth=1
	ds_read_b32 v3, v9 offset:4104
	v_and_b32_e32 v8, v30, v4
	v_lshl_or_b32 v30, 1, v37, v8
	v_or_b32_e32 v39, v39, v2
	s_waitcnt lgkmcnt(0)
	v_cmp_ne_u32_e32 vcc, 0, v3
	s_cbranch_vccnz .LBB120_178
; %bb.175:                              ;   in Loop: Header=BB120_20 Depth=1
	s_and_saveexec_b64 s[36:37], s[24:25]
; %bb.176:                              ;   in Loop: Header=BB120_20 Depth=1
	v_mov_b32_e32 v3, s46
	ds_write_b32 v9, v3 offset:4108
; %bb.177:                              ;   in Loop: Header=BB120_20 Depth=1
	s_or_b64 exec, exec, s[36:37]
	s_waitcnt lgkmcnt(0)
	s_barrier
.LBB120_178:                            ;   in Loop: Header=BB120_20 Depth=1
	s_or_saveexec_b64 s[14:15], s[14:15]
	s_mov_b64 s[36:37], 0
	v_mov_b32_e32 v3, 8
	s_xor_b64 exec, exec, s[14:15]
; %bb.179:                              ;   in Loop: Header=BB120_20 Depth=1
	s_mov_b64 s[36:37], exec
	v_subrev_u32_e32 v5, s46, v5
	v_mov_b32_e32 v3, 0
; %bb.180:                              ;   in Loop: Header=BB120_20 Depth=1
	s_or_b64 exec, exec, s[14:15]
	s_and_b64 s[14:15], s[36:37], exec
	v_mov_b32_e32 v40, v5
.LBB120_181:                            ;   in Loop: Header=BB120_20 Depth=1
	s_or_b64 exec, exec, s[8:9]
	s_mov_b64 s[8:9], -1
                                        ; implicit-def: $sgpr38_sgpr39
                                        ; implicit-def: $sgpr40_sgpr41
	s_and_saveexec_b64 s[36:37], s[14:15]
	s_cbranch_execz .LBB120_263
; %bb.182:                              ;   in Loop: Header=BB120_20 Depth=1
	s_cmp_eq_u32 s54, 1
	s_cselect_b64 s[8:9], -1, 0
	v_cmp_eq_u32_e32 vcc, 1, v40
	s_and_b64 s[14:15], s[8:9], vcc
	s_mov_b64 s[44:45], -1
                                        ; implicit-def: $sgpr40_sgpr41
                                        ; implicit-def: $sgpr38_sgpr39
	s_and_saveexec_b64 s[8:9], s[14:15]
	s_cbranch_execz .LBB120_210
; %bb.183:                              ;   in Loop: Header=BB120_20 Depth=1
	ds_read_b32 v5, v9 offset:4104
	s_waitcnt lgkmcnt(0)
	s_barrier
	v_readfirstlane_b32 s22, v5
	s_and_saveexec_b64 s[38:39], s[6:7]
; %bb.184:                              ;   in Loop: Header=BB120_20 Depth=1
	ds_write_b32 v21, v9
; %bb.185:                              ;   in Loop: Header=BB120_20 Depth=1
	s_or_b64 exec, exec, s[38:39]
	v_and_b32_e32 v5, v30, v4
	v_lshl_or_b32 v30, 2, v37, v5
	v_or_b32_e32 v39, v39, v2
	s_mov_b64 s[38:39], -1
	s_mov_b64 s[40:41], 0
	s_cmp_eq_u32 s22, 0
	s_mov_b64 s[42:43], 0
	s_waitcnt lgkmcnt(0)
	s_barrier
                                        ; implicit-def: $vgpr19
	s_cbranch_scc1 .LBB120_197
; %bb.186:                              ;   in Loop: Header=BB120_20 Depth=1
	s_add_i32 s23, s22, s86
	s_mul_hi_u32 s42, s23, s90
	s_mul_i32 s42, s42, s67
	s_sub_i32 s42, s23, s42
	s_sub_i32 s43, s42, s67
	s_cmp_ge_u32 s42, s67
	s_cselect_b32 s42, s43, s42
	s_sub_i32 s43, s42, s67
	s_cmp_ge_u32 s42, s67
	s_cselect_b32 s42, s43, s42
	s_sub_i32 s23, s23, s42
	v_cmp_gt_u32_e32 vcc, s23, v0
	s_mov_b64 s[44:45], 0
	s_mov_b64 s[42:43], 0
                                        ; implicit-def: $vgpr19
	s_and_saveexec_b64 s[46:47], vcc
	s_cbranch_execz .LBB120_196
; %bb.187:                              ;   in Loop: Header=BB120_20 Depth=1
	v_mov_b32_e32 v5, v13
	v_mov_b32_e32 v8, v0
                                        ; implicit-def: $sgpr48_sgpr49
	s_branch .LBB120_191
.LBB120_188:                            ;   in Loop: Header=BB120_191 Depth=2
	s_or_b64 exec, exec, s[50:51]
	s_waitcnt lgkmcnt(0)
	s_barrier
	ds_read_b64 v[18:19], v9 offset:3072
	s_waitcnt lgkmcnt(0)
	s_barrier
	v_cmp_neq_f32_e32 vcc, 0, v18
	s_cbranch_vccnz .LBB120_194
; %bb.189:                              ;   in Loop: Header=BB120_191 Depth=2
	v_add_u32_e32 v8, s67, v8
	v_cmp_le_u32_e32 vcc, s23, v8
	v_add_u32_e32 v5, s65, v5
	s_mov_b64 s[50:51], 0
	s_orn2_b64 s[52:53], vcc, exec
.LBB120_190:                            ;   in Loop: Header=BB120_191 Depth=2
	s_and_b64 s[52:53], exec, s[52:53]
	s_or_b64 s[42:43], s[52:53], s[42:43]
	s_andn2_b64 s[48:49], s[48:49], exec
	s_and_b64 s[50:51], s[50:51], exec
	s_or_b64 s[48:49], s[48:49], s[50:51]
	s_andn2_b64 exec, exec, s[42:43]
	s_cbranch_execz .LBB120_195
.LBB120_191:                            ;   Parent Loop BB120_20 Depth=1
                                        ; =>  This Inner Loop Header: Depth=2
	v_cmp_gt_u32_e32 vcc, s22, v8
	s_and_saveexec_b64 s[50:51], vcc
	s_cbranch_execz .LBB120_188
; %bb.192:                              ;   in Loop: Header=BB120_191 Depth=2
	ds_read_b32 v17, v5
	s_waitcnt lgkmcnt(0)
	v_cmp_lt_i32_e32 vcc, -1, v17
	s_nop 1
	v_cndmask_b32_e32 v18, -1, v36, vcc
	v_xor_b32_e32 v18, v18, v17
	v_cmp_o_f32_e32 vcc, v17, v17
	s_nop 1
	v_cndmask_b32_e32 v18, -1, v18, vcc
	v_and_b32_e32 v18, v18, v39
	v_cmp_eq_u32_e32 vcc, v18, v30
	s_and_b64 exec, exec, vcc
	s_cbranch_execz .LBB120_188
; %bb.193:                              ;   in Loop: Header=BB120_191 Depth=2
	ds_write_b64 v9, v[16:17] offset:3072
	s_branch .LBB120_188
.LBB120_194:                            ;   in Loop: Header=BB120_191 Depth=2
	s_mov_b64 s[52:53], -1
                                        ; implicit-def: $vgpr8
                                        ; implicit-def: $vgpr5
	s_mov_b64 s[50:51], -1
	s_branch .LBB120_190
.LBB120_195:                            ;   in Loop: Header=BB120_20 Depth=1
	s_or_b64 exec, exec, s[42:43]
	s_and_b64 s[42:43], s[48:49], exec
.LBB120_196:                            ;   in Loop: Header=BB120_20 Depth=1
	s_or_b64 exec, exec, s[46:47]
.LBB120_197:                            ;   in Loop: Header=BB120_20 Depth=1
	s_and_b64 vcc, exec, s[44:45]
	s_cbranch_vccz .LBB120_209
; %bb.198:                              ;   in Loop: Header=BB120_20 Depth=1
                                        ; implicit-def: $vgpr19
	s_and_saveexec_b64 s[38:39], s[20:21]
	s_cbranch_execz .LBB120_208
; %bb.199:                              ;   in Loop: Header=BB120_20 Depth=1
	s_mov_b64 s[40:41], 0
	v_mov_b32_e32 v8, v6
	v_mov_b32_e32 v5, v0
                                        ; implicit-def: $sgpr44_sgpr45
	s_branch .LBB120_203
.LBB120_200:                            ;   in Loop: Header=BB120_203 Depth=2
	s_or_b64 exec, exec, s[46:47]
	s_waitcnt lgkmcnt(0)
	s_barrier
	ds_read_b64 v[18:19], v9 offset:3072
	s_waitcnt lgkmcnt(0)
	s_barrier
	v_cmp_eq_f32_e32 vcc, 0, v18
	s_cbranch_vccz .LBB120_206
; %bb.201:                              ;   in Loop: Header=BB120_203 Depth=2
	v_add_u32_e32 v5, s67, v5
	v_cmp_le_u32_e32 vcc, s82, v5
	v_add_u32_e32 v8, s33, v8
	s_mov_b64 s[46:47], 0
	s_orn2_b64 s[48:49], vcc, exec
.LBB120_202:                            ;   in Loop: Header=BB120_203 Depth=2
	s_and_b64 s[22:23], exec, s[48:49]
	s_or_b64 s[40:41], s[22:23], s[40:41]
	s_andn2_b64 s[22:23], s[44:45], exec
	s_and_b64 s[44:45], s[46:47], exec
	s_or_b64 s[44:45], s[22:23], s[44:45]
	s_andn2_b64 exec, exec, s[40:41]
	s_cbranch_execz .LBB120_207
.LBB120_203:                            ;   Parent Loop BB120_20 Depth=1
                                        ; =>  This Inner Loop Header: Depth=2
	v_cmp_gt_u32_e32 vcc, s64, v5
	s_and_saveexec_b64 s[46:47], vcc
	s_cbranch_execz .LBB120_200
; %bb.204:                              ;   in Loop: Header=BB120_203 Depth=2
	v_lshl_add_u64 v[18:19], v[8:9], 2, s[70:71]
	global_load_dword v17, v[18:19], off
	s_waitcnt vmcnt(0)
	v_cmp_lt_i32_e32 vcc, -1, v17
	s_nop 1
	v_cndmask_b32_e32 v18, -1, v36, vcc
	v_xor_b32_e32 v18, v18, v17
	v_cmp_o_f32_e32 vcc, v17, v17
	s_nop 1
	v_cndmask_b32_e32 v18, -1, v18, vcc
	v_and_b32_e32 v18, v18, v39
	v_cmp_eq_u32_e32 vcc, v18, v30
	s_and_b64 exec, exec, vcc
	s_cbranch_execz .LBB120_200
; %bb.205:                              ;   in Loop: Header=BB120_203 Depth=2
	ds_write_b64 v9, v[16:17] offset:3072
	s_branch .LBB120_200
.LBB120_206:                            ;   in Loop: Header=BB120_203 Depth=2
	s_mov_b64 s[48:49], -1
                                        ; implicit-def: $vgpr5
	s_mov_b64 s[46:47], -1
	s_branch .LBB120_202
.LBB120_207:                            ;   in Loop: Header=BB120_20 Depth=1
	s_or_b64 exec, exec, s[40:41]
	s_andn2_b64 s[22:23], s[42:43], exec
	s_and_b64 s[40:41], s[44:45], exec
	s_or_b64 s[42:43], s[22:23], s[40:41]
.LBB120_208:                            ;   in Loop: Header=BB120_20 Depth=1
	s_or_b64 exec, exec, s[38:39]
	s_mov_b64 s[38:39], 0
	s_mov_b64 s[40:41], -1
.LBB120_209:                            ;   in Loop: Header=BB120_20 Depth=1
	s_orn2_b64 s[44:45], s[42:43], exec
.LBB120_210:                            ;   in Loop: Header=BB120_20 Depth=1
	s_or_b64 exec, exec, s[8:9]
	s_mov_b64 s[8:9], 0
	s_and_saveexec_b64 s[42:43], s[44:45]
	s_cbranch_execz .LBB120_262
; %bb.211:                              ;   in Loop: Header=BB120_20 Depth=1
	s_xor_b64 s[14:15], s[14:15], -1
	s_mov_b64 s[48:49], 0
	v_mov_b32_e32 v5, 1
	v_mov_b32_e32 v3, 1
	s_and_saveexec_b64 s[8:9], s[14:15]
	s_cbranch_execz .LBB120_220
; %bb.212:                              ;   in Loop: Header=BB120_20 Depth=1
	v_cmp_ge_u32_e32 vcc, s54, v40
	s_and_saveexec_b64 s[14:15], vcc
	s_xor_b64 s[14:15], exec, s[14:15]
	s_cbranch_execz .LBB120_217
; %bb.213:                              ;   in Loop: Header=BB120_20 Depth=1
	ds_read_b32 v3, v9 offset:4104
	v_and_b32_e32 v4, v30, v4
	v_lshl_or_b32 v30, 2, v37, v4
	v_or_b32_e32 v39, v39, v2
	s_waitcnt lgkmcnt(0)
	v_cmp_ne_u32_e32 vcc, 0, v3
	s_cbranch_vccnz .LBB120_217
; %bb.214:                              ;   in Loop: Header=BB120_20 Depth=1
	s_and_saveexec_b64 s[44:45], s[24:25]
; %bb.215:                              ;   in Loop: Header=BB120_20 Depth=1
	v_mov_b32_e32 v3, s54
	ds_write_b32 v9, v3 offset:4108
; %bb.216:                              ;   in Loop: Header=BB120_20 Depth=1
	s_or_b64 exec, exec, s[44:45]
	s_waitcnt lgkmcnt(0)
	s_barrier
.LBB120_217:                            ;   in Loop: Header=BB120_20 Depth=1
	s_or_saveexec_b64 s[14:15], s[14:15]
	s_mov_b64 s[44:45], 0
	v_mov_b32_e32 v3, 8
	s_xor_b64 exec, exec, s[14:15]
; %bb.218:                              ;   in Loop: Header=BB120_20 Depth=1
	s_mov_b64 s[44:45], exec
	v_subrev_u32_e32 v40, s54, v40
	v_mov_b32_e32 v3, 0
; %bb.219:                              ;   in Loop: Header=BB120_20 Depth=1
	s_or_b64 exec, exec, s[14:15]
	s_and_b64 s[48:49], s[44:45], exec
	v_mov_b32_e32 v5, v40
.LBB120_220:                            ;   in Loop: Header=BB120_20 Depth=1
	s_or_b64 exec, exec, s[8:9]
	s_mov_b64 s[46:47], -1
                                        ; implicit-def: $sgpr8_sgpr9
                                        ; implicit-def: $sgpr14_sgpr15
	s_and_saveexec_b64 s[44:45], s[48:49]
	s_cbranch_execz .LBB120_261
; %bb.221:                              ;   in Loop: Header=BB120_20 Depth=1
	s_cmp_eq_u32 s62, 1
	s_cselect_b64 s[8:9], -1, 0
	v_cmp_eq_u32_e32 vcc, 1, v5
	s_and_b64 s[46:47], s[8:9], vcc
	s_mov_b64 s[50:51], -1
                                        ; implicit-def: $sgpr8_sgpr9
                                        ; implicit-def: $sgpr14_sgpr15
	s_and_saveexec_b64 s[48:49], s[46:47]
	s_cbranch_execz .LBB120_249
; %bb.222:                              ;   in Loop: Header=BB120_20 Depth=1
	ds_read_b32 v4, v9 offset:4104
	s_waitcnt lgkmcnt(0)
	s_barrier
	v_readfirstlane_b32 s22, v4
	s_and_saveexec_b64 s[8:9], s[6:7]
; %bb.223:                              ;   in Loop: Header=BB120_20 Depth=1
	ds_write_b32 v21, v9
; %bb.224:                              ;   in Loop: Header=BB120_20 Depth=1
	s_or_b64 exec, exec, s[8:9]
	v_or_b32_e32 v30, v30, v2
	v_or_b32_e32 v39, v39, v2
	s_mov_b64 s[14:15], -1
	s_mov_b64 s[8:9], 0
	s_cmp_eq_u32 s22, 0
	s_mov_b64 s[50:51], 0
	s_mov_b64 s[52:53], -1
	s_waitcnt lgkmcnt(0)
	s_barrier
                                        ; implicit-def: $vgpr19
	s_cbranch_scc1 .LBB120_236
; %bb.225:                              ;   in Loop: Header=BB120_20 Depth=1
	s_add_i32 s23, s22, s86
	s_mul_hi_u32 s50, s23, s90
	s_mul_i32 s50, s50, s67
	s_sub_i32 s50, s23, s50
	s_sub_i32 s51, s50, s67
	s_cmp_ge_u32 s50, s67
	s_cselect_b32 s50, s51, s50
	s_sub_i32 s51, s50, s67
	s_cmp_ge_u32 s50, s67
	s_cselect_b32 s50, s51, s50
	s_sub_i32 s23, s23, s50
	v_cmp_gt_u32_e32 vcc, s23, v0
	s_mov_b64 s[52:53], 0
	s_mov_b64 s[50:51], 0
                                        ; implicit-def: $vgpr19
	s_and_saveexec_b64 s[54:55], vcc
	s_cbranch_execz .LBB120_235
; %bb.226:                              ;   in Loop: Header=BB120_20 Depth=1
	v_mov_b32_e32 v4, v13
	v_mov_b32_e32 v8, v0
                                        ; implicit-def: $sgpr56_sgpr57
	s_branch .LBB120_230
.LBB120_227:                            ;   in Loop: Header=BB120_230 Depth=2
	s_or_b64 exec, exec, s[58:59]
	s_waitcnt lgkmcnt(0)
	s_barrier
	ds_read_b64 v[18:19], v9 offset:3072
	s_waitcnt lgkmcnt(0)
	s_barrier
	v_cmp_neq_f32_e32 vcc, 0, v18
	s_cbranch_vccnz .LBB120_233
; %bb.228:                              ;   in Loop: Header=BB120_230 Depth=2
	v_add_u32_e32 v8, s67, v8
	v_cmp_le_u32_e32 vcc, s23, v8
	v_add_u32_e32 v4, s65, v4
	s_mov_b64 s[58:59], 0
	s_orn2_b64 s[60:61], vcc, exec
.LBB120_229:                            ;   in Loop: Header=BB120_230 Depth=2
	s_and_b64 s[60:61], exec, s[60:61]
	s_or_b64 s[50:51], s[60:61], s[50:51]
	s_andn2_b64 s[56:57], s[56:57], exec
	s_and_b64 s[58:59], s[58:59], exec
	s_or_b64 s[56:57], s[56:57], s[58:59]
	s_andn2_b64 exec, exec, s[50:51]
	s_cbranch_execz .LBB120_234
.LBB120_230:                            ;   Parent Loop BB120_20 Depth=1
                                        ; =>  This Inner Loop Header: Depth=2
	v_cmp_gt_u32_e32 vcc, s22, v8
	s_and_saveexec_b64 s[58:59], vcc
	s_cbranch_execz .LBB120_227
; %bb.231:                              ;   in Loop: Header=BB120_230 Depth=2
	ds_read_b32 v17, v4
	s_waitcnt lgkmcnt(0)
	v_cmp_lt_i32_e32 vcc, -1, v17
	s_nop 1
	v_cndmask_b32_e32 v18, -1, v36, vcc
	v_xor_b32_e32 v18, v18, v17
	v_cmp_o_f32_e32 vcc, v17, v17
	s_nop 1
	v_cndmask_b32_e32 v18, -1, v18, vcc
	v_and_b32_e32 v18, v18, v39
	v_cmp_eq_u32_e32 vcc, v18, v30
	s_and_b64 exec, exec, vcc
	s_cbranch_execz .LBB120_227
; %bb.232:                              ;   in Loop: Header=BB120_230 Depth=2
	ds_write_b64 v9, v[16:17] offset:3072
	s_branch .LBB120_227
.LBB120_233:                            ;   in Loop: Header=BB120_230 Depth=2
	s_mov_b64 s[60:61], -1
                                        ; implicit-def: $vgpr8
                                        ; implicit-def: $vgpr4
	s_mov_b64 s[58:59], -1
	s_branch .LBB120_229
.LBB120_234:                            ;   in Loop: Header=BB120_20 Depth=1
	s_or_b64 exec, exec, s[50:51]
	s_and_b64 s[50:51], s[56:57], exec
.LBB120_235:                            ;   in Loop: Header=BB120_20 Depth=1
	s_or_b64 exec, exec, s[54:55]
.LBB120_236:                            ;   in Loop: Header=BB120_20 Depth=1
	s_and_b64 vcc, exec, s[52:53]
	s_cbranch_vccz .LBB120_248
; %bb.237:                              ;   in Loop: Header=BB120_20 Depth=1
                                        ; implicit-def: $vgpr19
	s_and_saveexec_b64 s[8:9], s[20:21]
	s_cbranch_execz .LBB120_247
; %bb.238:                              ;   in Loop: Header=BB120_20 Depth=1
	s_mov_b64 s[14:15], 0
	v_mov_b32_e32 v8, v6
	v_mov_b32_e32 v4, v0
                                        ; implicit-def: $sgpr52_sgpr53
	s_branch .LBB120_242
.LBB120_239:                            ;   in Loop: Header=BB120_242 Depth=2
	s_or_b64 exec, exec, s[54:55]
	s_waitcnt lgkmcnt(0)
	s_barrier
	ds_read_b64 v[18:19], v9 offset:3072
	s_waitcnt lgkmcnt(0)
	s_barrier
	v_cmp_eq_f32_e32 vcc, 0, v18
	s_cbranch_vccz .LBB120_245
; %bb.240:                              ;   in Loop: Header=BB120_242 Depth=2
	v_add_u32_e32 v4, s67, v4
	v_cmp_le_u32_e32 vcc, s82, v4
	v_add_u32_e32 v8, s33, v8
	s_mov_b64 s[54:55], 0
	s_orn2_b64 s[56:57], vcc, exec
.LBB120_241:                            ;   in Loop: Header=BB120_242 Depth=2
	s_and_b64 s[22:23], exec, s[56:57]
	s_or_b64 s[14:15], s[22:23], s[14:15]
	s_andn2_b64 s[22:23], s[52:53], exec
	s_and_b64 s[52:53], s[54:55], exec
	s_or_b64 s[52:53], s[22:23], s[52:53]
	s_andn2_b64 exec, exec, s[14:15]
	s_cbranch_execz .LBB120_246
.LBB120_242:                            ;   Parent Loop BB120_20 Depth=1
                                        ; =>  This Inner Loop Header: Depth=2
	v_cmp_gt_u32_e32 vcc, s64, v4
	s_and_saveexec_b64 s[54:55], vcc
	s_cbranch_execz .LBB120_239
; %bb.243:                              ;   in Loop: Header=BB120_242 Depth=2
	v_lshl_add_u64 v[18:19], v[8:9], 2, s[70:71]
	global_load_dword v17, v[18:19], off
	s_waitcnt vmcnt(0)
	v_cmp_lt_i32_e32 vcc, -1, v17
	s_nop 1
	v_cndmask_b32_e32 v18, -1, v36, vcc
	v_xor_b32_e32 v18, v18, v17
	v_cmp_o_f32_e32 vcc, v17, v17
	s_nop 1
	v_cndmask_b32_e32 v18, -1, v18, vcc
	v_and_b32_e32 v18, v18, v39
	v_cmp_eq_u32_e32 vcc, v18, v30
	s_and_b64 exec, exec, vcc
	s_cbranch_execz .LBB120_239
; %bb.244:                              ;   in Loop: Header=BB120_242 Depth=2
	ds_write_b64 v9, v[16:17] offset:3072
	s_branch .LBB120_239
.LBB120_245:                            ;   in Loop: Header=BB120_242 Depth=2
	s_mov_b64 s[56:57], -1
                                        ; implicit-def: $vgpr4
	s_mov_b64 s[54:55], -1
	s_branch .LBB120_241
.LBB120_246:                            ;   in Loop: Header=BB120_20 Depth=1
	s_or_b64 exec, exec, s[14:15]
	s_andn2_b64 s[14:15], s[50:51], exec
	s_and_b64 s[22:23], s[52:53], exec
	s_or_b64 s[50:51], s[14:15], s[22:23]
.LBB120_247:                            ;   in Loop: Header=BB120_20 Depth=1
	s_or_b64 exec, exec, s[8:9]
	s_mov_b64 s[14:15], 0
	s_mov_b64 s[8:9], -1
.LBB120_248:                            ;   in Loop: Header=BB120_20 Depth=1
	s_orn2_b64 s[50:51], s[50:51], exec
.LBB120_249:                            ;   in Loop: Header=BB120_20 Depth=1
	s_or_b64 exec, exec, s[48:49]
	s_mov_b64 s[52:53], 0
	s_and_saveexec_b64 s[48:49], s[50:51]
	s_cbranch_execz .LBB120_260
; %bb.250:                              ;   in Loop: Header=BB120_20 Depth=1
	s_xor_b64 s[22:23], s[46:47], -1
	v_mov_b32_e32 v3, 1
	v_mov_b32_e32 v4, 1
	s_and_saveexec_b64 s[46:47], s[22:23]
	s_cbranch_execz .LBB120_259
; %bb.251:                              ;   in Loop: Header=BB120_20 Depth=1
	v_cmp_ge_u32_e32 vcc, s62, v5
	s_and_saveexec_b64 s[22:23], vcc
	s_xor_b64 s[50:51], exec, s[22:23]
	s_cbranch_execz .LBB120_256
; %bb.252:                              ;   in Loop: Header=BB120_20 Depth=1
	ds_read_b32 v3, v9 offset:4104
	v_or_b32_e32 v30, v30, v2
	v_or_b32_e32 v39, v39, v2
	s_waitcnt lgkmcnt(0)
	v_cmp_ne_u32_e32 vcc, 0, v3
	s_cbranch_vccnz .LBB120_256
; %bb.253:                              ;   in Loop: Header=BB120_20 Depth=1
	s_and_saveexec_b64 s[52:53], s[24:25]
; %bb.254:                              ;   in Loop: Header=BB120_20 Depth=1
	v_mov_b32_e32 v2, s62
	ds_write_b32 v9, v2 offset:4108
; %bb.255:                              ;   in Loop: Header=BB120_20 Depth=1
	s_or_b64 exec, exec, s[52:53]
	s_waitcnt lgkmcnt(0)
	s_barrier
.LBB120_256:                            ;   in Loop: Header=BB120_20 Depth=1
	s_andn2_saveexec_b64 s[50:51], s[50:51]
; %bb.257:                              ;   in Loop: Header=BB120_20 Depth=1
	v_subrev_u32_e32 v5, s62, v5
; %bb.258:                              ;   in Loop: Header=BB120_20 Depth=1
	s_or_b64 exec, exec, s[50:51]
	v_mov_b32_e32 v3, 8
	v_mov_b32_e32 v4, v5
.LBB120_259:                            ;   in Loop: Header=BB120_20 Depth=1
	s_or_b64 exec, exec, s[46:47]
	s_mov_b64 s[52:53], exec
	v_mov_b32_e32 v5, v4
.LBB120_260:                            ;   in Loop: Header=BB120_20 Depth=1
	s_or_b64 exec, exec, s[48:49]
	s_orn2_b64 s[46:47], s[52:53], exec
.LBB120_261:                            ;   in Loop: Header=BB120_20 Depth=1
	s_or_b64 exec, exec, s[44:45]
	s_andn2_b64 s[22:23], s[40:41], exec
	s_and_b64 s[8:9], s[8:9], exec
	s_or_b64 s[40:41], s[22:23], s[8:9]
	s_andn2_b64 s[8:9], s[38:39], exec
	s_and_b64 s[14:15], s[14:15], exec
	s_or_b64 s[38:39], s[8:9], s[14:15]
	s_and_b64 s[8:9], s[46:47], exec
	v_mov_b32_e32 v40, v5
.LBB120_262:                            ;   in Loop: Header=BB120_20 Depth=1
	s_or_b64 exec, exec, s[42:43]
	s_orn2_b64 s[8:9], s[8:9], exec
.LBB120_263:                            ;   in Loop: Header=BB120_20 Depth=1
	s_or_b64 exec, exec, s[36:37]
	s_andn2_b64 s[14:15], s[30:31], exec
	s_and_b64 s[22:23], s[40:41], exec
	s_or_b64 s[30:31], s[14:15], s[22:23]
	s_andn2_b64 s[14:15], s[28:29], exec
	s_and_b64 s[22:23], s[38:39], exec
	s_or_b64 s[28:29], s[14:15], s[22:23]
	s_and_b64 s[8:9], s[8:9], exec
	v_mov_b32_e32 v5, v40
.LBB120_264:                            ;   in Loop: Header=BB120_20 Depth=1
	s_or_b64 exec, exec, s[34:35]
	s_orn2_b64 s[8:9], s[8:9], exec
.LBB120_265:                            ;   in Loop: Header=BB120_20 Depth=1
	s_or_b64 exec, exec, s[26:27]
	s_mov_b64 s[14:15], 0
                                        ; implicit-def: $sgpr22
	s_and_saveexec_b64 s[26:27], s[8:9]
	s_xor_b64 s[8:9], exec, s[26:27]
	s_cbranch_execz .LBB120_18
; %bb.266:                              ;   in Loop: Header=BB120_20 Depth=1
	v_and_b32_e32 v2, 7, v3
	v_cmp_eq_u32_e32 vcc, 0, v2
	s_mov_b64 s[2:3], -1
	s_mov_b64 s[14:15], -1
                                        ; implicit-def: $sgpr22
	s_and_saveexec_b64 s[26:27], vcc
	s_cbranch_execz .LBB120_17
; %bb.267:                              ;   in Loop: Header=BB120_20 Depth=1
	v_add_u32_e32 v2, -2, v37
	v_cmp_eq_u32_e32 vcc, 0, v37
	s_xor_b32 s22, s84, 1
	s_xor_b64 s[14:15], exec, -1
	s_orn2_b64 s[2:3], vcc, exec
	v_mov_b32_e32 v37, v2
	s_branch .LBB120_17
.LBB120_268:
	s_or_b64 exec, exec, s[92:93]
	s_xor_b64 s[4:5], s[98:99], -1
	s_xor_b64 s[2:3], s[94:95], -1
	;; [unrolled: 1-line block ×3, first 2 shown]
	s_mov_b64 s[0:1], 0
	s_and_saveexec_b64 s[8:9], s[2:3]
	s_xor_b64 s[2:3], exec, s[8:9]
	s_cbranch_execnz .LBB120_273
; %bb.269:
	s_andn2_saveexec_b64 s[2:3], s[2:3]
	s_cbranch_execnz .LBB120_286
.LBB120_270:
	s_or_b64 exec, exec, s[2:3]
	s_and_saveexec_b64 s[2:3], s[0:1]
.LBB120_271:
	; divergent unreachable
.LBB120_272:
	s_endpgm
.LBB120_273:
	s_and_saveexec_b64 s[0:1], s[4:5]
	s_xor_b64 s[4:5], exec, s[0:1]
	s_cbranch_execz .LBB120_284
; %bb.274:
	s_and_saveexec_b64 s[0:1], s[6:7]
	s_xor_b64 s[0:1], exec, s[0:1]
; %bb.275:
	v_bfrev_b32_e32 v1, 1
	v_cmp_lt_i32_e32 vcc, -1, v30
	s_nop 1
	v_cndmask_b32_e64 v1, v1, -1, vcc
	v_xor_b32_e32 v19, v1, v30
; %bb.276:
	s_or_b64 exec, exec, s[0:1]
	v_readlane_b32 s0, v68, 4
	v_readlane_b32 s1, v68, 8
	s_mul_i32 s0, s1, s0
	s_mov_b32 s1, 0
	s_lshl_b64 s[0:1], s[0:1], 2
	v_readlane_b32 s6, v68, 2
	v_readlane_b32 s7, v68, 3
	s_add_u32 s0, s6, s0
	s_addc_u32 s1, s7, s1
	v_mov_b32_e32 v7, 0
	global_store_dword v7, v19, s[0:1]
	s_mov_b64 s[6:7], exec
	v_readlane_b32 s0, v68, 5
	v_readlane_b32 s1, v68, 6
	s_and_b64 s[0:1], s[6:7], s[0:1]
	s_mov_b64 exec, s[0:1]
	s_cbranch_execz .LBB120_283
; %bb.277:
	v_cmp_u_f32_e32 vcc, v19, v19
	s_mov_b64 s[8:9], 0
	s_xor_b64 s[12:13], vcc, -1
                                        ; implicit-def: $sgpr10_sgpr11
                                        ; implicit-def: $sgpr16_sgpr17
                                        ; implicit-def: $sgpr14_sgpr15
	s_branch .LBB120_279
.LBB120_278:                            ;   in Loop: Header=BB120_279 Depth=1
	s_or_b64 exec, exec, s[0:1]
	s_and_b64 s[0:1], exec, s[16:17]
	s_or_b64 s[8:9], s[0:1], s[8:9]
	s_andn2_b64 s[0:1], s[10:11], exec
	s_and_b64 s[10:11], s[14:15], exec
	s_or_b64 s[10:11], s[0:1], s[10:11]
	s_andn2_b64 exec, exec, s[8:9]
	s_cbranch_execz .LBB120_281
.LBB120_279:                            ; =>This Inner Loop Header: Depth=1
	v_lshl_add_u64 v[2:3], v[6:7], 2, s[70:71]
	global_load_dword v1, v[2:3], off
	v_mov_b32_e32 v2, v0
	s_or_b64 s[14:15], s[14:15], exec
	s_or_b64 s[16:17], s[16:17], exec
                                        ; implicit-def: $vgpr0
	s_waitcnt vmcnt(0)
	v_cmp_o_f32_e64 s[0:1], v1, v1
	v_cmp_neq_f32_e32 vcc, v1, v19
	s_or_b64 s[0:1], s[0:1], s[12:13]
	s_and_b64 s[18:19], vcc, s[0:1]
	s_and_saveexec_b64 s[0:1], s[18:19]
	s_cbranch_execz .LBB120_278
; %bb.280:                              ;   in Loop: Header=BB120_279 Depth=1
	v_add_u32_e32 v0, s67, v2
	v_cmp_le_u32_e32 vcc, s64, v0
	s_andn2_b64 s[16:17], s[16:17], exec
	s_and_b64 s[18:19], vcc, exec
	v_add_u32_e32 v6, s33, v6
	s_andn2_b64 s[14:15], s[14:15], exec
	s_or_b64 s[16:17], s[16:17], s[18:19]
	s_branch .LBB120_278
.LBB120_281:
	s_or_b64 exec, exec, s[8:9]
	s_and_saveexec_b64 s[0:1], s[10:11]
	s_xor_b64 s[0:1], exec, s[0:1]
	s_cbranch_execz .LBB120_283
; %bb.282:
	v_readlane_b32 s0, v68, 4
	v_readlane_b32 s1, v68, 7
	s_mul_i32 s0, s1, s0
	s_mov_b32 s1, 0
	s_lshl_b64 s[0:1], s[0:1], 3
	v_readlane_b32 s8, v68, 0
	v_readlane_b32 s9, v68, 1
	s_add_u32 s0, s8, s0
	s_addc_u32 s1, s9, s1
	v_mov_b32_e32 v3, 0
	global_store_dwordx2 v3, v[2:3], s[0:1]
.LBB120_283:
	s_or_b64 exec, exec, s[6:7]
.LBB120_284:
	s_or_saveexec_b64 s[0:1], s[4:5]
	s_mov_b64 s[4:5], 0
	s_xor_b64 exec, exec, s[0:1]
	s_cbranch_execnz .LBB120_287
.LBB120_285:
	s_or_b64 exec, exec, s[0:1]
	s_and_b64 s[0:1], s[4:5], exec
	s_andn2_saveexec_b64 s[2:3], s[2:3]
	s_cbranch_execz .LBB120_270
.LBB120_286:
	s_or_b64 s[0:1], s[0:1], exec
	s_trap 2
	s_or_b64 exec, exec, s[2:3]
	s_and_saveexec_b64 s[2:3], s[0:1]
	s_cbranch_execnz .LBB120_271
	s_branch .LBB120_272
.LBB120_287:
	s_mov_b64 s[4:5], exec
	s_trap 2
	s_branch .LBB120_285
	.section	.rodata,"a",@progbits
	.p2align	6, 0x0
	.amdhsa_kernel _ZN2at6native12_GLOBAL__N_112gatherMedianIfjLi1EEEvNS_4cuda6detail10TensorInfoIT_T0_EENS5_IlS7_EENS5_IKS6_S7_EES7_S7_S7_b
		.amdhsa_group_segment_fixed_size 4120
		.amdhsa_private_segment_fixed_size 0
		.amdhsa_kernarg_size 920
		.amdhsa_user_sgpr_count 2
		.amdhsa_user_sgpr_dispatch_ptr 0
		.amdhsa_user_sgpr_queue_ptr 0
		.amdhsa_user_sgpr_kernarg_segment_ptr 1
		.amdhsa_user_sgpr_dispatch_id 0
		.amdhsa_user_sgpr_kernarg_preload_length 0
		.amdhsa_user_sgpr_kernarg_preload_offset 0
		.amdhsa_user_sgpr_private_segment_size 0
		.amdhsa_uses_dynamic_stack 0
		.amdhsa_enable_private_segment 0
		.amdhsa_system_sgpr_workgroup_id_x 1
		.amdhsa_system_sgpr_workgroup_id_y 1
		.amdhsa_system_sgpr_workgroup_id_z 1
		.amdhsa_system_sgpr_workgroup_info 0
		.amdhsa_system_vgpr_workitem_id 0
		.amdhsa_next_free_vgpr 69
		.amdhsa_next_free_sgpr 100
		.amdhsa_accum_offset 72
		.amdhsa_reserve_vcc 1
		.amdhsa_float_round_mode_32 0
		.amdhsa_float_round_mode_16_64 0
		.amdhsa_float_denorm_mode_32 3
		.amdhsa_float_denorm_mode_16_64 3
		.amdhsa_dx10_clamp 1
		.amdhsa_ieee_mode 1
		.amdhsa_fp16_overflow 0
		.amdhsa_tg_split 0
		.amdhsa_exception_fp_ieee_invalid_op 0
		.amdhsa_exception_fp_denorm_src 0
		.amdhsa_exception_fp_ieee_div_zero 0
		.amdhsa_exception_fp_ieee_overflow 0
		.amdhsa_exception_fp_ieee_underflow 0
		.amdhsa_exception_fp_ieee_inexact 0
		.amdhsa_exception_int_div_zero 0
	.end_amdhsa_kernel
	.section	.text._ZN2at6native12_GLOBAL__N_112gatherMedianIfjLi1EEEvNS_4cuda6detail10TensorInfoIT_T0_EENS5_IlS7_EENS5_IKS6_S7_EES7_S7_S7_b,"axG",@progbits,_ZN2at6native12_GLOBAL__N_112gatherMedianIfjLi1EEEvNS_4cuda6detail10TensorInfoIT_T0_EENS5_IlS7_EENS5_IKS6_S7_EES7_S7_S7_b,comdat
.Lfunc_end120:
	.size	_ZN2at6native12_GLOBAL__N_112gatherMedianIfjLi1EEEvNS_4cuda6detail10TensorInfoIT_T0_EENS5_IlS7_EENS5_IKS6_S7_EES7_S7_S7_b, .Lfunc_end120-_ZN2at6native12_GLOBAL__N_112gatherMedianIfjLi1EEEvNS_4cuda6detail10TensorInfoIT_T0_EENS5_IlS7_EENS5_IKS6_S7_EES7_S7_S7_b
                                        ; -- End function
	.set _ZN2at6native12_GLOBAL__N_112gatherMedianIfjLi1EEEvNS_4cuda6detail10TensorInfoIT_T0_EENS5_IlS7_EENS5_IKS6_S7_EES7_S7_S7_b.num_vgpr, 69
	.set _ZN2at6native12_GLOBAL__N_112gatherMedianIfjLi1EEEvNS_4cuda6detail10TensorInfoIT_T0_EENS5_IlS7_EENS5_IKS6_S7_EES7_S7_S7_b.num_agpr, 0
	.set _ZN2at6native12_GLOBAL__N_112gatherMedianIfjLi1EEEvNS_4cuda6detail10TensorInfoIT_T0_EENS5_IlS7_EENS5_IKS6_S7_EES7_S7_S7_b.numbered_sgpr, 100
	.set _ZN2at6native12_GLOBAL__N_112gatherMedianIfjLi1EEEvNS_4cuda6detail10TensorInfoIT_T0_EENS5_IlS7_EENS5_IKS6_S7_EES7_S7_S7_b.num_named_barrier, 0
	.set _ZN2at6native12_GLOBAL__N_112gatherMedianIfjLi1EEEvNS_4cuda6detail10TensorInfoIT_T0_EENS5_IlS7_EENS5_IKS6_S7_EES7_S7_S7_b.private_seg_size, 0
	.set _ZN2at6native12_GLOBAL__N_112gatherMedianIfjLi1EEEvNS_4cuda6detail10TensorInfoIT_T0_EENS5_IlS7_EENS5_IKS6_S7_EES7_S7_S7_b.uses_vcc, 1
	.set _ZN2at6native12_GLOBAL__N_112gatherMedianIfjLi1EEEvNS_4cuda6detail10TensorInfoIT_T0_EENS5_IlS7_EENS5_IKS6_S7_EES7_S7_S7_b.uses_flat_scratch, 0
	.set _ZN2at6native12_GLOBAL__N_112gatherMedianIfjLi1EEEvNS_4cuda6detail10TensorInfoIT_T0_EENS5_IlS7_EENS5_IKS6_S7_EES7_S7_S7_b.has_dyn_sized_stack, 0
	.set _ZN2at6native12_GLOBAL__N_112gatherMedianIfjLi1EEEvNS_4cuda6detail10TensorInfoIT_T0_EENS5_IlS7_EENS5_IKS6_S7_EES7_S7_S7_b.has_recursion, 0
	.set _ZN2at6native12_GLOBAL__N_112gatherMedianIfjLi1EEEvNS_4cuda6detail10TensorInfoIT_T0_EENS5_IlS7_EENS5_IKS6_S7_EES7_S7_S7_b.has_indirect_call, 0
	.section	.AMDGPU.csdata,"",@progbits
; Kernel info:
; codeLenInByte = 10804
; TotalNumSgprs: 106
; NumVgprs: 69
; NumAgprs: 0
; TotalNumVgprs: 69
; ScratchSize: 0
; MemoryBound: 0
; FloatMode: 240
; IeeeMode: 1
; LDSByteSize: 4120 bytes/workgroup (compile time only)
; SGPRBlocks: 13
; VGPRBlocks: 8
; NumSGPRsForWavesPerEU: 106
; NumVGPRsForWavesPerEU: 69
; AccumOffset: 72
; Occupancy: 7
; WaveLimiterHint : 1
; COMPUTE_PGM_RSRC2:SCRATCH_EN: 0
; COMPUTE_PGM_RSRC2:USER_SGPR: 2
; COMPUTE_PGM_RSRC2:TRAP_HANDLER: 0
; COMPUTE_PGM_RSRC2:TGID_X_EN: 1
; COMPUTE_PGM_RSRC2:TGID_Y_EN: 1
; COMPUTE_PGM_RSRC2:TGID_Z_EN: 1
; COMPUTE_PGM_RSRC2:TIDIG_COMP_CNT: 0
; COMPUTE_PGM_RSRC3_GFX90A:ACCUM_OFFSET: 17
; COMPUTE_PGM_RSRC3_GFX90A:TG_SPLIT: 0
	.section	.text._ZN2at6native12_GLOBAL__N_112gatherMedianIfjLi2EEEvNS_4cuda6detail10TensorInfoIT_T0_EENS5_IlS7_EENS5_IKS6_S7_EES7_S7_S7_b,"axG",@progbits,_ZN2at6native12_GLOBAL__N_112gatherMedianIfjLi2EEEvNS_4cuda6detail10TensorInfoIT_T0_EENS5_IlS7_EENS5_IKS6_S7_EES7_S7_S7_b,comdat
	.globl	_ZN2at6native12_GLOBAL__N_112gatherMedianIfjLi2EEEvNS_4cuda6detail10TensorInfoIT_T0_EENS5_IlS7_EENS5_IKS6_S7_EES7_S7_S7_b ; -- Begin function _ZN2at6native12_GLOBAL__N_112gatherMedianIfjLi2EEEvNS_4cuda6detail10TensorInfoIT_T0_EENS5_IlS7_EENS5_IKS6_S7_EES7_S7_S7_b
	.p2align	8
	.type	_ZN2at6native12_GLOBAL__N_112gatherMedianIfjLi2EEEvNS_4cuda6detail10TensorInfoIT_T0_EENS5_IlS7_EENS5_IKS6_S7_EES7_S7_S7_b,@function
_ZN2at6native12_GLOBAL__N_112gatherMedianIfjLi2EEEvNS_4cuda6detail10TensorInfoIT_T0_EENS5_IlS7_EENS5_IKS6_S7_EES7_S7_S7_b: ; @_ZN2at6native12_GLOBAL__N_112gatherMedianIfjLi2EEEvNS_4cuda6detail10TensorInfoIT_T0_EENS5_IlS7_EENS5_IKS6_S7_EES7_S7_S7_b
; %bb.0:
	s_load_dwordx2 s[10:11], s[0:1], 0x298
	s_load_dwordx4 s[64:67], s[0:1], 0x288
	s_add_u32 s8, s0, 0x298
	s_addc_u32 s9, s1, 0
	s_waitcnt lgkmcnt(0)
	s_mul_i32 s4, s11, s4
	s_add_i32 s3, s4, s3
	s_mul_i32 s3, s3, s10
	s_add_i32 s87, s3, s2
	s_cmp_ge_u32 s87, s65
	s_cbranch_scc1 .LBB121_272
; %bb.1:
	s_load_dword s12, s[0:1], 0xc
	s_load_dword s11, s[0:1], 0xe4
	;; [unrolled: 1-line block ×3, first 2 shown]
	s_load_dwordx2 s[4:5], s[0:1], 0x1b0
	s_load_dwordx2 s[6:7], s[0:1], 0x144
                                        ; implicit-def: $vgpr70 : SGPR spill to VGPR lane
                                        ; kill: killed $sgpr0 killed $sgpr1
	s_waitcnt lgkmcnt(0)
	v_cvt_f32_u32_e32 v3, s3
	v_cvt_f32_u32_e32 v1, s12
	v_writelane_b32 v70, s6, 0
	v_cvt_f32_u32_e32 v2, s11
	v_rcp_iflag_f32_e32 v1, v1
	v_writelane_b32 v70, s7, 1
	s_load_dwordx2 s[6:7], s[0:1], 0xd8
	v_rcp_iflag_f32_e32 v2, v2
	v_mul_f32_e32 v1, 0x4f7ffffe, v1
	v_cvt_u32_f32_e32 v1, v1
	s_waitcnt lgkmcnt(0)
	v_writelane_b32 v70, s6, 2
	v_mul_f32_e32 v2, 0x4f7ffffe, v2
	s_nop 0
	v_writelane_b32 v70, s7, 3
	s_load_dwordx2 s[6:7], s[0:1], 0x6c
	s_waitcnt lgkmcnt(0)
	v_writelane_b32 v70, s6, 4
	s_nop 1
	v_writelane_b32 v70, s7, 5
	s_load_dwordx2 s[6:7], s[0:1], 0x0
	s_waitcnt lgkmcnt(0)
	v_writelane_b32 v70, s6, 6
	s_nop 1
	v_writelane_b32 v70, s7, 7
	s_load_dwordx2 s[6:7], s[0:1], 0x21c
	s_sub_i32 s0, 0, s12
	v_readfirstlane_b32 s1, v1
	s_mul_i32 s0, s0, s1
	v_cvt_u32_f32_e32 v1, v2
	s_mul_hi_u32 s0, s1, s0
	v_rcp_iflag_f32_e32 v2, v3
	s_add_i32 s1, s1, s0
	v_writelane_b32 v70, s12, 8
	s_mul_hi_u32 s0, s87, s1
	v_writelane_b32 v70, s0, 9
	s_sub_i32 s0, 0, s11
	v_readfirstlane_b32 s1, v1
	s_mul_i32 s0, s0, s1
	v_mul_f32_e32 v1, 0x4f7ffffe, v2
	s_mul_hi_u32 s0, s1, s0
	v_cvt_u32_f32_e32 v1, v1
	s_add_i32 s1, s1, s0
	v_writelane_b32 v70, s11, 10
	s_mul_hi_u32 s0, s87, s1
	v_writelane_b32 v70, s0, 11
	s_sub_i32 s0, 0, s3
	v_mul_lo_u32 v2, s0, v1
	v_mul_hi_u32 v2, v1, v2
	v_add_u32_e32 v1, v1, v2
	v_mul_hi_u32 v1, s87, v1
	v_mul_lo_u32 v2, v1, s3
	v_sub_u32_e32 v2, s87, v2
	v_add_u32_e32 v3, 1, v1
	v_subrev_u32_e32 v4, s3, v2
	v_cmp_le_u32_e32 vcc, s3, v2
	v_cmp_gt_u32_e64 s[0:1], s64, v0
	s_nop 0
	v_cndmask_b32_e32 v1, v1, v3, vcc
	v_cndmask_b32_e32 v2, v2, v4, vcc
	v_add_u32_e32 v3, 1, v1
	v_cmp_le_u32_e32 vcc, s3, v2
	s_nop 1
	v_cndmask_b32_e32 v1, v1, v3, vcc
	v_mul_lo_u32 v2, v1, s3
	v_sub_u32_e32 v2, s87, v2
	s_waitcnt lgkmcnt(0)
	v_mul_lo_u32 v2, v2, s7
	v_mul_lo_u32 v1, v1, s6
	v_add_u32_e32 v2, v1, v2
	v_mov_b32_e32 v3, 0
	v_lshlrev_b64 v[4:5], 2, v[2:3]
	v_lshl_add_u64 v[6:7], s[4:5], 0, v[4:5]
	s_and_saveexec_b64 s[4:5], s[0:1]
	s_cbranch_execz .LBB121_5
; %bb.2:
	s_load_dword s3, s[8:9], 0xc
	v_mul_lo_u32 v2, v0, s66
	s_mov_b64 s[6:7], 0
	v_mov_b32_e32 v1, v3
	v_mov_b32_e32 v4, v0
	s_waitcnt lgkmcnt(0)
	s_and_b32 s3, s3, 0xffff
	s_mul_i32 s11, s66, s3
.LBB121_3:                              ; =>This Inner Loop Header: Depth=1
	v_lshl_add_u64 v[8:9], v[2:3], 2, v[6:7]
	global_load_dword v5, v[8:9], off
	v_add_u32_e32 v4, s3, v4
	v_cmp_le_u32_e32 vcc, s64, v4
	s_or_b64 s[6:7], vcc, s[6:7]
	v_add_u32_e32 v2, s11, v2
	s_waitcnt vmcnt(0)
	v_cmp_u_f32_e32 vcc, v5, v5
	s_nop 1
	v_addc_co_u32_e32 v1, vcc, 0, v1, vcc
	s_andn2_b64 exec, exec, s[6:7]
	s_cbranch_execnz .LBB121_3
; %bb.4:
	s_or_b64 exec, exec, s[6:7]
	v_mov_b32_e32 v3, v1
.LBB121_5:
	s_or_b64 exec, exec, s[4:5]
	v_cmp_eq_u32_e64 s[24:25], 0, v0
	s_and_saveexec_b64 s[4:5], s[24:25]
; %bb.6:
	v_mov_b32_e32 v4, 0
	v_mov_b32_e32 v5, v4
	ds_write_b64 v4, v[4:5] offset:4096
; %bb.7:
	s_or_b64 exec, exec, s[4:5]
	v_cmp_ne_u32_e32 vcc, 0, v3
	s_waitcnt lgkmcnt(0)
	s_barrier
	s_and_saveexec_b64 s[4:5], vcc
	s_cbranch_execz .LBB121_12
; %bb.8:
	s_mov_b64 s[12:13], exec
	v_mov_b32_e32 v1, 0
	v_mov_b32_e32 v2, v3
	s_mov_b64 s[6:7], 0
.LBB121_9:                              ; =>This Inner Loop Header: Depth=1
	s_ff1_i32_b64 s3, s[12:13]
	v_readlane_b32 s14, v2, s3
	v_readlane_b32 s11, v1, s3
	s_add_u32 s6, s6, s14
	s_addc_u32 s7, s7, s11
	s_lshl_b64 s[14:15], 1, s3
	s_andn2_b64 s[12:13], s[12:13], s[14:15]
	s_cmp_lg_u64 s[12:13], 0
	s_cbranch_scc1 .LBB121_9
; %bb.10:
	v_mbcnt_lo_u32_b32 v1, exec_lo, 0
	v_mbcnt_hi_u32_b32 v1, exec_hi, v1
	v_cmp_eq_u32_e32 vcc, 0, v1
	s_and_saveexec_b64 s[12:13], vcc
	s_xor_b64 s[12:13], exec, s[12:13]
; %bb.11:
	v_mov_b32_e32 v1, 0
	v_mov_b64_e32 v[2:3], s[6:7]
	ds_add_u64 v1, v[2:3] offset:4096
.LBB121_12:
	s_or_b64 exec, exec, s[4:5]
	v_mov_b32_e32 v1, 0
	s_waitcnt lgkmcnt(0)
	s_barrier
	ds_read_b64 v[2:3], v1 offset:4096
	s_bitcmp1_b32 s67, 0
	s_cselect_b64 s[6:7], -1, 0
	s_mov_b32 s3, s64
	s_waitcnt lgkmcnt(0)
	v_readfirstlane_b32 s4, v2
	v_readfirstlane_b32 s5, v3
	s_nop 1
	v_cmp_lt_i64_e64 s[12:13], s[4:5], 1
	s_or_b64 s[6:7], s[6:7], s[12:13]
	s_andn2_b64 vcc, exec, s[6:7]
	s_cbranch_vccnz .LBB121_14
; %bb.13:
	s_not_b64 s[4:5], s[4:5]
	s_add_u32 s3, s4, s64
	s_addc_u32 s5, s5, 0
	s_lshr_b32 s4, s5, 31
	s_add_u32 s4, s3, s4
	s_addc_u32 s5, s5, 0
	s_lshr_b64 s[4:5], s[4:5], 1
	s_add_i32 s3, s4, 1
.LBB121_14:
	s_and_saveexec_b64 s[4:5], s[24:25]
	s_cbranch_execz .LBB121_16
; %bb.15:
	v_mov_b32_e32 v2, 0
	v_mov_b32_e32 v3, s64
	ds_write_b32 v2, v2 offset:4112
	ds_write_b64 v2, v[2:3] offset:4104
.LBB121_16:
	s_or_b64 exec, exec, s[4:5]
	s_waitcnt lgkmcnt(0)
	s_barrier
	s_load_dword s11, s[8:9], 0xc
	v_mbcnt_lo_u32_b32 v1, -1, 0
	v_mbcnt_hi_u32_b32 v22, -1, v1
	v_cmp_gt_u32_e32 vcc, 64, v0
	v_cmp_gt_i32_e64 s[6:7], 4, v22
	s_waitcnt lgkmcnt(0)
	s_and_b32 s67, s11, 0xffff
	s_add_i32 s89, s67, -1
	s_lshl_b32 s88, s67, 2
	s_and_b64 s[78:79], vcc, s[6:7]
	s_add_i32 s12, s89, s64
	s_cmpk_gt_u32 s64, 0x300
	s_cselect_b64 s[80:81], -1, 0
	s_cmp_gt_u32 s67, 63
	v_lshlrev_b64 v[2:3], v22, -1
	s_cselect_b64 s[82:83], -1, 0
	v_not_b32_e32 v14, v2
	v_lshrrev_b32_e32 v2, 2, v0
	s_cmp_lt_u32 s2, s10
	v_and_b32_e32 v2, 0xf0, v2
	s_cselect_b32 s2, 12, 18
	v_or_b32_e32 v24, 0xc00, v2
	s_add_u32 s8, s8, s2
	v_add_u32_e32 v2, 2, v0
	s_addc_u32 s9, s9, 0
	v_max_u32_e32 v2, s64, v2
	v_writelane_b32 v70, s8, 12
	v_xad_u32 v2, v0, -1, v2
	v_not_b32_e32 v1, v3
	v_writelane_b32 v70, s9, 13
	v_add_u32_e32 v3, -2, v2
	v_cmp_lt_u32_e64 s[16:17], 29, v2
	v_lshrrev_b32_e32 v5, 1, v3
	v_add_u32_e32 v5, 1, v5
	v_writelane_b32 v70, s16, 14
	v_and_b32_e32 v18, 7, v5
	s_bfe_u32 s10, s11, 0xa0006
	v_writelane_b32 v70, s17, 15
	v_cmp_lt_u32_e64 s[16:17], 13, v3
	v_and_b32_e32 v25, -2, v2
	s_add_i32 s2, s10, -2
	v_writelane_b32 v70, s16, 16
	s_lshr_b32 s8, s2, 1
	s_add_i32 s8, s8, 1
	v_writelane_b32 v70, s17, 17
	v_cmp_ne_u32_e64 s[16:17], 0, v18
	s_cmpk_gt_u32 s67, 0x7f
	v_lshlrev_b32_e32 v15, 2, v0
	v_writelane_b32 v70, s16, 18
	v_mov_b32_e32 v11, 0
	s_mov_b32 s14, 0
	v_writelane_b32 v70, s17, 19
	v_cmp_ne_u32_e64 s[16:17], v2, v25
	v_cvt_f32_u32_e32 v2, s88
	v_mul_lo_u32 v8, s66, v0
	v_writelane_b32 v70, s16, 20
	v_mov_b32_e32 v9, v11
	v_rcp_iflag_f32_e32 v2, v2
	v_writelane_b32 v70, s17, 21
	s_cselect_b64 s[16:17], -1, 0
	s_and_b32 s11, s10, 0x3fe
	s_and_b32 s13, s8, 7
	v_writelane_b32 v70, s16, 22
	s_cmp_gt_u32 s2, 13
	v_mul_f32_e32 v2, 0x4f7ffffe, v2
	v_writelane_b32 v70, s17, 23
	s_cselect_b64 s[16:17], -1, 0
	v_writelane_b32 v70, s16, 24
	s_and_b32 s2, s8, -8
	s_cmp_lg_u32 s13, 0
	v_writelane_b32 v70, s17, 25
	v_writelane_b32 v70, s2, 26
	v_cvt_u32_f32_e32 v2, v2
	v_writelane_b32 v70, s13, 27
	s_cselect_b64 s[16:17], -1, 0
	v_writelane_b32 v70, s16, 28
	s_cmp_lg_u32 s11, s10
	v_readfirstlane_b32 s8, v2
	v_writelane_b32 v70, s17, 29
	v_writelane_b32 v70, s10, 30
	v_cvt_f32_u32_e32 v2, s67
	v_writelane_b32 v70, s11, 31
	s_cselect_b64 s[10:11], -1, 0
	s_sub_i32 s2, 0, s88
	s_mul_i32 s2, s2, s8
	s_mul_hi_u32 s2, s8, s2
	s_add_i32 s92, s8, s2
	v_rcp_iflag_f32_e32 v2, v2
	s_mul_hi_u32 s2, s64, s92
	s_mul_i32 s2, s2, s88
	s_sub_i32 s2, s64, s2
	s_sub_i32 s8, s2, s88
	v_mul_f32_e32 v2, 0x4f7ffffe, v2
	s_cmp_ge_u32 s2, s88
	v_cvt_u32_f32_e32 v2, v2
	s_cselect_b32 s2, s8, s2
	s_sub_i32 s8, s2, s88
	v_writelane_b32 v70, s10, 32
	s_cmp_ge_u32 s2, s88
	s_cselect_b32 s2, s8, s2
	v_writelane_b32 v70, s11, 33
	s_sub_i32 s8, 0, s67
	v_readfirstlane_b32 s10, v2
	s_mul_i32 s8, s8, s10
	s_mul_hi_u32 s8, s10, s8
	s_add_i32 s90, s10, s8
	s_mul_hi_u32 s8, s12, s90
	s_mul_i32 s8, s8, s67
	s_sub_i32 s8, s12, s8
	s_sub_i32 s93, s64, s2
	;; [unrolled: 1-line block ×3, first 2 shown]
	s_cmp_ge_u32 s8, s67
	s_cselect_b32 s8, s10, s8
	s_sub_i32 s10, s8, s67
	s_cmp_ge_u32 s8, s67
	v_mul_lo_u32 v2, s66, v15
	s_cselect_b32 s8, s10, s8
	v_add_u32_e32 v30, s66, v2
	v_or_b32_e32 v2, 2, v15
	s_sub_i32 s91, s12, s8
	v_mul_lo_u32 v31, s66, v2
	v_or_b32_e32 v2, 3, v15
	s_add_i32 s8, s67, s64
	v_add_u32_e32 v28, s93, v0
	v_mul_lo_u32 v33, s66, v2
	v_add_u32_e32 v2, s8, v0
	v_lshlrev_b32_e32 v4, 2, v22
	v_mul_lo_u32 v10, v28, s66
	s_mul_i32 s65, s66, s67
	v_subrev_u32_e32 v2, s2, v2
	s_mov_b32 s15, 1
	v_cmp_eq_u32_e64 s[4:5], 0, v22
	v_cmp_gt_u32_e64 s[6:7], 2, v0
	v_add_u32_e32 v23, 0xc00, v15
	v_lshl_add_u64 v[12:13], v[8:9], 2, v[6:7]
	v_and_b32_e32 v9, 0x100, v4
	v_add_u32_e32 v26, v0, v25
	s_mov_b32 s9, s66
	v_and_b32_e32 v27, -8, v5
	v_cmp_gt_u32_e64 s[16:17], s93, v15
	v_cmp_gt_u32_e64 s[18:19], s64, v28
	v_lshl_add_u64 v[16:17], v[10:11], 2, v[6:7]
	v_cmp_gt_u32_e64 s[20:21], s91, v0
	v_lshlrev_b32_e32 v29, 3, v18
	s_lshl_b32 s84, s65, 2
	v_lshlrev_b32_e32 v34, 2, v8
	v_mul_lo_u32 v35, s66, v2
	v_lshlrev_b32_e32 v36, 4, v0
	s_lshl_b32 s85, s67, 4
	v_or_b32_e32 v37, 0xc00, v4
	s_mov_b64 s[94:95], 0
	v_mov_b32_e32 v39, 30
	v_mov_b32_e32 v42, s3
	;; [unrolled: 1-line block ×3, first 2 shown]
	v_mov_b32_e32 v18, 1.0
	v_bfrev_b32_e32 v38, 1
	v_mov_b32_e32 v40, 0xc00
	v_mov_b32_e32 v21, 0
	s_mov_b32 s8, s14
	v_mov_b32_e32 v32, 0
	v_mov_b32_e32 v41, 0
                                        ; implicit-def: $sgpr96_sgpr97
                                        ; implicit-def: $sgpr68_sgpr69
                                        ; implicit-def: $sgpr98_sgpr99
                                        ; implicit-def: $sgpr10_sgpr11
                                        ; implicit-def: $sgpr12_sgpr13
                                        ; implicit-def: $sgpr70_sgpr71
	s_branch .LBB121_20
.LBB121_17:                             ;   in Loop: Header=BB121_20 Depth=1
	s_or_b64 exec, exec, s[34:35]
	s_and_b64 s[26:27], s[26:27], exec
	s_andn2_b64 s[30:31], s[30:31], exec
	s_andn2_b64 s[28:29], s[28:29], exec
	s_orn2_b64 s[22:23], s[22:23], exec
.LBB121_18:                             ;   in Loop: Header=BB121_20 Depth=1
	s_or_b64 exec, exec, s[14:15]
	s_andn2_b64 s[14:15], s[70:71], exec
	s_and_b64 s[26:27], s[26:27], exec
	s_or_b64 s[70:71], s[14:15], s[26:27]
	s_andn2_b64 s[12:13], s[12:13], exec
	s_and_b64 s[14:15], s[30:31], exec
	s_or_b64 s[12:13], s[12:13], s[14:15]
	;; [unrolled: 3-line block ×3, first 2 shown]
	s_orn2_b64 s[22:23], s[22:23], exec
.LBB121_19:                             ;   in Loop: Header=BB121_20 Depth=1
	s_or_b64 exec, exec, s[2:3]
	s_and_b64 s[2:3], exec, s[22:23]
	s_or_b64 s[94:95], s[2:3], s[94:95]
	s_andn2_b64 s[2:3], s[98:99], exec
	s_and_b64 s[14:15], s[70:71], exec
	s_or_b64 s[98:99], s[2:3], s[14:15]
	s_andn2_b64 s[2:3], s[68:69], exec
	s_and_b64 s[14:15], s[12:13], exec
	;; [unrolled: 3-line block ×3, first 2 shown]
	s_or_b64 s[96:97], s[2:3], s[14:15]
	s_mov_b32 s8, s36
	v_mov_b32_e32 v42, v5
	s_andn2_b64 exec, exec, s[94:95]
	s_cbranch_execz .LBB121_268
.LBB121_20:                             ; =>This Loop Header: Depth=1
                                        ;     Child Loop BB121_26 Depth 2
                                        ;     Child Loop BB121_47 Depth 2
	;; [unrolled: 1-line block ×19, first 2 shown]
	ds_read_b64 v[2:3], v11 offset:4104
	s_waitcnt lgkmcnt(0)
	v_readfirstlane_b32 s33, v2
	s_cmp_lg_u32 s33, 0
	s_cbranch_scc1 .LBB121_66
; %bb.21:                               ;   in Loop: Header=BB121_20 Depth=1
	s_and_b64 vcc, exec, s[80:81]
	s_cbranch_vccz .LBB121_34
; %bb.22:                               ;   in Loop: Header=BB121_20 Depth=1
	s_movk_i32 s2, 0x301
	v_cmp_gt_u32_e32 vcc, s2, v3
	s_mov_b64 s[14:15], 0
	s_mov_b64 s[2:3], 0
	s_cbranch_vccz .LBB121_35
; %bb.23:                               ;   in Loop: Header=BB121_20 Depth=1
	s_and_saveexec_b64 s[26:27], s[0:1]
	s_cbranch_execz .LBB121_41
; %bb.24:                               ;   in Loop: Header=BB121_20 Depth=1
	v_readlane_b32 s2, v70, 12
	v_readlane_b32 s3, v70, 13
	s_nop 4
	global_load_ushort v2, v11, s[2:3]
	global_load_dword v4, v[12:13], off
	s_mov_b64 s[28:29], 0
	s_waitcnt vmcnt(1)
	v_add_u32_e32 v5, v0, v2
	v_mul_lo_u32 v3, s66, v2
	v_mul_lo_u32 v10, s66, v5
	v_mov_b32_e32 v5, v0
	s_branch .LBB121_26
.LBB121_25:                             ;   in Loop: Header=BB121_26 Depth=2
	s_or_b64 exec, exec, s[2:3]
	v_add_u32_e32 v10, v10, v3
	v_mov_b32_e32 v4, v19
	s_andn2_b64 exec, exec, s[28:29]
	s_cbranch_execz .LBB121_41
.LBB121_26:                             ;   Parent Loop BB121_20 Depth=1
                                        ; =>  This Inner Loop Header: Depth=2
	v_add_u32_e32 v5, v5, v2
	v_cmp_gt_u32_e64 s[2:3], s64, v5
	v_cmp_le_u32_e32 vcc, s64, v5
	s_waitcnt lgkmcnt(0)
	v_mov_b32_e32 v20, 0
	v_mov_b32_e32 v19, 0
	s_and_saveexec_b64 s[22:23], s[2:3]
	s_cbranch_execz .LBB121_28
; %bb.27:                               ;   in Loop: Header=BB121_26 Depth=2
	v_lshl_add_u64 v[46:47], v[10:11], 2, v[6:7]
	global_load_dword v19, v[46:47], off
.LBB121_28:                             ;   in Loop: Header=BB121_26 Depth=2
	s_or_b64 exec, exec, s[22:23]
	s_waitcnt vmcnt(0)
	v_cmp_lt_i32_e64 s[2:3], -1, v4
	s_nop 1
	v_cndmask_b32_e64 v43, -1, v38, s[2:3]
	v_xor_b32_e32 v43, v43, v4
	v_cmp_o_f32_e64 s[2:3], v4, v4
	s_nop 1
	v_cndmask_b32_e64 v43, -1, v43, s[2:3]
	v_and_b32_e32 v43, v43, v41
	v_cmp_eq_u32_e64 s[22:23], v43, v32
	s_cmp_lg_u64 s[22:23], 0
	s_cselect_b64 s[2:3], -1, 0
	s_and_b64 s[2:3], s[4:5], s[2:3]
	s_and_saveexec_b64 s[30:31], s[2:3]
	s_cbranch_execz .LBB121_32
; %bb.29:                               ;   in Loop: Header=BB121_26 Depth=2
	s_mov_b64 s[36:37], exec
	v_mbcnt_lo_u32_b32 v20, s36, 0
	v_mbcnt_hi_u32_b32 v20, s37, v20
	s_bcnt1_i32_b64 s33, s[22:23]
	v_cmp_eq_u32_e64 s[2:3], 0, v20
                                        ; implicit-def: $vgpr43
	s_and_saveexec_b64 s[34:35], s[2:3]
; %bb.30:                               ;   in Loop: Header=BB121_26 Depth=2
	s_bcnt1_i32_b64 s2, s[36:37]
	s_mul_i32 s2, s33, s2
	v_mov_b32_e32 v43, s2
	ds_add_rtn_u32 v43, v11, v43 offset:4112
; %bb.31:                               ;   in Loop: Header=BB121_26 Depth=2
	s_or_b64 exec, exec, s[34:35]
	s_waitcnt lgkmcnt(0)
	v_readfirstlane_b32 s2, v43
	s_nop 1
	v_mov_b32_e32 v43, s2
	v_mad_u32_u24 v20, s33, v20, v43
.LBB121_32:                             ;   in Loop: Header=BB121_26 Depth=2
	s_or_b64 exec, exec, s[30:31]
	ds_bpermute_b32 v20, v9, v20
	s_and_b64 s[2:3], exec, vcc
	s_or_b64 s[28:29], s[2:3], s[28:29]
	s_and_saveexec_b64 s[2:3], s[22:23]
	s_cbranch_execz .LBB121_25
; %bb.33:                               ;   in Loop: Header=BB121_26 Depth=2
	v_and_b32_e32 v45, s22, v14
	v_and_b32_e32 v43, s23, v1
	v_bcnt_u32_b32 v45, v45, 0
	v_bcnt_u32_b32 v43, v43, v45
	v_lshlrev_b32_e32 v43, 2, v43
	s_waitcnt lgkmcnt(0)
	v_lshl_add_u32 v20, v20, 2, v43
	ds_write_b32 v20, v4
	s_branch .LBB121_25
.LBB121_34:                             ;   in Loop: Header=BB121_20 Depth=1
	s_mov_b64 s[14:15], -1
	s_mov_b64 s[2:3], 0
.LBB121_35:                             ;   in Loop: Header=BB121_20 Depth=1
	s_and_b64 vcc, exec, s[14:15]
	s_cbranch_vccz .LBB121_64
.LBB121_36:                             ;   in Loop: Header=BB121_20 Depth=1
	s_and_saveexec_b64 s[22:23], s[0:1]
	s_cbranch_execz .LBB121_61
; %bb.37:                               ;   in Loop: Header=BB121_20 Depth=1
	v_readlane_b32 s2, v70, 12
	v_readlane_b32 s3, v70, 13
	s_nop 4
	global_load_ushort v2, v11, s[2:3]
	global_load_dword v19, v[12:13], off
	v_mov_b32_e32 v3, v0
	s_waitcnt vmcnt(1)
	v_readfirstlane_b32 s33, v2
	v_add_u32_e32 v2, v0, v2
	v_cmp_gt_u32_e32 vcc, s64, v2
	s_and_saveexec_b64 s[26:27], vcc
	s_cbranch_execz .LBB121_60
; %bb.38:                               ;   in Loop: Header=BB121_20 Depth=1
	v_readlane_b32 s28, v70, 14
	s_mov_b64 s[2:3], 0
	s_mul_i32 s34, s66, s33
	v_readlane_b32 s29, v70, 15
                                        ; implicit-def: $vgpr3
                                        ; implicit-def: $vgpr20
                                        ; implicit-def: $vgpr4
                                        ; implicit-def: $vgpr5
	s_and_saveexec_b64 s[14:15], s[28:29]
	s_xor_b64 s[28:29], exec, s[14:15]
	s_cbranch_execnz .LBB121_44
; %bb.39:                               ;   in Loop: Header=BB121_20 Depth=1
	s_andn2_saveexec_b64 s[14:15], s[28:29]
	s_cbranch_execnz .LBB121_55
.LBB121_40:                             ;   in Loop: Header=BB121_20 Depth=1
	s_or_b64 exec, exec, s[14:15]
	s_and_saveexec_b64 s[14:15], s[2:3]
	s_cbranch_execnz .LBB121_56
	s_branch .LBB121_59
.LBB121_41:                             ;   in Loop: Header=BB121_20 Depth=1
	s_or_b64 exec, exec, s[26:27]
	s_waitcnt lgkmcnt(0)
	s_barrier
	s_and_saveexec_b64 s[2:3], s[24:25]
	s_cbranch_execz .LBB121_43
; %bb.42:                               ;   in Loop: Header=BB121_20 Depth=1
	ds_read_b32 v2, v11 offset:4112
	s_waitcnt lgkmcnt(0)
	ds_write_b32 v11, v2 offset:4104
.LBB121_43:                             ;   in Loop: Header=BB121_20 Depth=1
	s_or_b64 exec, exec, s[2:3]
	s_waitcnt lgkmcnt(0)
	s_barrier
	s_mov_b64 s[2:3], -1
	s_and_b64 vcc, exec, s[14:15]
	s_cbranch_vccnz .LBB121_36
	s_branch .LBB121_64
.LBB121_44:                             ;   in Loop: Header=BB121_20 Depth=1
	v_cvt_f32_u32_e32 v3, s33
	v_add_u32_e32 v4, s33, v2
	v_max_u32_e32 v4, s64, v4
	s_lshl_b32 s2, s33, 1
	v_rcp_iflag_f32_e32 v3, v3
	v_sub_u32_e32 v4, v4, v0
	v_cmp_ne_u32_e32 vcc, s2, v4
	s_sub_i32 s3, 0, s33
	v_mul_f32_e32 v3, 0x4f7ffffe, v3
	v_cvt_u32_f32_e32 v3, v3
	v_cndmask_b32_e64 v5, 0, 1, vcc
	v_or_b32_e32 v5, s2, v5
	v_sub_u32_e32 v4, v4, v5
	v_mul_lo_u32 v5, s3, v3
	v_mul_hi_u32 v5, v3, v5
	v_add_u32_e32 v3, v3, v5
	v_mul_hi_u32 v3, v4, v3
	v_mul_lo_u32 v5, v3, s33
	v_sub_u32_e32 v4, v4, v5
	v_add_u32_e32 v5, 1, v3
	v_cmp_le_u32_e64 s[2:3], s33, v4
	s_nop 1
	v_cndmask_b32_e64 v3, v3, v5, s[2:3]
	v_subrev_u32_e32 v5, s33, v4
	v_cndmask_b32_e64 v4, v4, v5, s[2:3]
	v_add_u32_e32 v5, 1, v3
	v_cmp_le_u32_e64 s[2:3], s33, v4
	v_mul_lo_u32 v4, s66, v2
	s_nop 0
	v_cndmask_b32_e64 v3, v3, v5, s[2:3]
	v_addc_co_u32_e32 v3, vcc, 0, v3, vcc
	s_abs_i32 s2, s34
	v_mul_hi_u32 v5, s2, v3
	v_mul_lo_u32 v3, s2, v3
	s_not_b32 s2, s34
	s_ashr_i32 s2, s2, 31
	s_cmp_eq_u32 s33, 1
	v_cmp_eq_u32_e32 vcc, 0, v5
	v_xor_b32_e32 v4, s2, v4
	s_cselect_b64 s[14:15], -1, 0
	v_cmp_le_u32_e64 s[2:3], v3, v4
	s_and_b64 s[14:15], vcc, s[14:15]
	s_and_b64 s[30:31], s[14:15], s[2:3]
	s_mov_b64 s[14:15], -1
	v_mov_b32_e32 v4, v0
                                        ; implicit-def: $vgpr3
	s_and_saveexec_b64 s[2:3], s[30:31]
	s_cbranch_execz .LBB121_54
; %bb.45:                               ;   in Loop: Header=BB121_20 Depth=1
	v_add_u32_e32 v3, 1, v2
	v_mov_b32_e32 v10, 0
	v_mov_b64_e32 v[4:5], v[2:3]
	s_mov_b64 s[14:15], exec
	v_readlane_b32 s30, v70, 16
	v_readlane_b32 s31, v70, 17
	s_and_b64 s[30:31], s[14:15], s[30:31]
	s_mov_b64 exec, s[30:31]
	s_cbranch_execz .LBB121_49
; %bb.46:                               ;   in Loop: Header=BB121_20 Depth=1
	s_mov_b32 s35, 0
	s_mov_b64 s[30:31], 0
	v_mov_b32_e32 v20, v27
	v_mov_b32_e32 v43, v15
	v_mov_b64_e32 v[4:5], v[2:3]
.LBB121_47:                             ;   Parent Loop BB121_20 Depth=1
                                        ; =>  This Inner Loop Header: Depth=2
	v_mul_lo_u32 v10, v4, s66
	v_lshl_add_u64 v[46:47], v[10:11], 2, v[6:7]
	global_load_dword v3, v[46:47], off
	v_add_u32_e32 v10, 2, v4
	v_mul_lo_u32 v46, v5, s9
	v_mov_b32_e32 v47, v11
	v_add_u32_e32 v45, 2, v5
	v_add_u32_e32 v64, 4, v4
	;; [unrolled: 1-line block ×4, first 2 shown]
	v_mul_lo_u32 v10, v10, s66
	v_mov_b32_e32 v49, v11
	v_add_u32_e32 v50, 4, v5
	v_add_u32_e32 v65, 6, v4
	;; [unrolled: 1-line block ×3, first 2 shown]
	v_mov_b32_e32 v55, v11
	v_mov_b32_e32 v57, v11
	v_add_u32_e32 v58, 12, v5
	v_lshl_add_u64 v[46:47], v[46:47], 2, v[6:7]
	v_mul_lo_u32 v48, v45, s9
	v_mul_lo_u32 v54, v54, s9
	;; [unrolled: 1-line block ×3, first 2 shown]
	v_lshl_add_u64 v[62:63], v[10:11], 2, v[6:7]
	v_mul_lo_u32 v10, v64, s66
	v_mov_b32_e32 v51, v11
	v_mov_b32_e32 v53, v11
	v_add_u32_e32 v66, 8, v4
	v_mov_b32_e32 v59, v11
	v_mul_lo_u32 v50, v50, s9
	v_mul_lo_u32 v52, v52, s9
	;; [unrolled: 1-line block ×3, first 2 shown]
	v_lshl_add_u64 v[48:49], v[48:49], 2, v[6:7]
	v_lshl_add_u64 v[54:55], v[54:55], 2, v[6:7]
	;; [unrolled: 1-line block ×3, first 2 shown]
	global_load_dword v45, v[46:47], off
	v_lshl_add_u64 v[46:47], v[10:11], 2, v[6:7]
	v_mul_lo_u32 v10, v65, s66
	v_add_u32_e32 v67, 10, v4
	v_lshl_add_u64 v[50:51], v[50:51], 2, v[6:7]
	v_lshl_add_u64 v[52:53], v[52:53], 2, v[6:7]
	;; [unrolled: 1-line block ×3, first 2 shown]
	global_load_dword v62, v[62:63], off
	s_nop 0
	global_load_dword v63, v[48:49], off
	global_load_dword v64, v[50:51], off
	;; [unrolled: 1-line block ×3, first 2 shown]
	s_nop 0
	global_load_dword v54, v[54:55], off
	s_nop 0
	global_load_dword v55, v[56:57], off
	;; [unrolled: 2-line block ×3, first 2 shown]
	v_lshl_add_u64 v[48:49], v[10:11], 2, v[6:7]
	v_mul_lo_u32 v10, v66, s66
	v_add_u32_e32 v68, 12, v4
	global_load_dword v57, v[48:49], off
	global_load_dword v58, v[46:47], off
	v_lshl_add_u64 v[46:47], v[10:11], 2, v[6:7]
	v_mul_lo_u32 v10, v67, s66
	v_add_u32_e32 v69, 14, v4
	v_add_u32_e32 v60, 14, v5
	v_lshl_add_u64 v[48:49], v[10:11], 2, v[6:7]
	v_mul_lo_u32 v10, v68, s66
	v_mov_b32_e32 v61, v11
	v_mul_lo_u32 v60, v60, s9
	v_lshl_add_u64 v[50:51], v[10:11], 2, v[6:7]
	v_mul_lo_u32 v10, v69, s66
	v_lshl_add_u64 v[60:61], v[60:61], 2, v[6:7]
	v_lshl_add_u64 v[52:53], v[10:11], 2, v[6:7]
	global_load_dword v52, v[52:53], off
	v_add_u32_e32 v20, -8, v20
	s_add_i32 s35, s35, 16
	v_cmp_eq_u32_e32 vcc, 0, v20
	v_add_u32_e32 v5, 16, v5
	v_add_u32_e32 v4, 16, v4
	v_mov_b32_e32 v10, s35
	s_or_b64 s[30:31], vcc, s[30:31]
	s_waitcnt vmcnt(11)
	ds_write2_b32 v43, v19, v3 offset1:1
	global_load_dword v19, v[60:61], off
	global_load_dword v3, v[50:51], off
	s_nop 0
	global_load_dword v48, v[48:49], off
	s_nop 0
	global_load_dword v46, v[46:47], off
	s_waitcnt vmcnt(13)
	ds_write2_b32 v43, v45, v62 offset0:2 offset1:3
	s_waitcnt vmcnt(5)
	ds_write2_b32 v43, v63, v58 offset0:4 offset1:5
	ds_write2_b32 v43, v64, v57 offset0:6 offset1:7
	s_waitcnt vmcnt(4)
	ds_write2_b32 v43, v56, v52 offset0:14 offset1:15
	s_waitcnt vmcnt(0)
	ds_write2_b32 v43, v65, v46 offset0:8 offset1:9
	ds_write2_b32 v43, v54, v48 offset0:10 offset1:11
	;; [unrolled: 1-line block ×3, first 2 shown]
	v_add_u32_e32 v43, 64, v43
	s_andn2_b64 exec, exec, s[30:31]
	s_cbranch_execnz .LBB121_47
; %bb.48:                               ;   in Loop: Header=BB121_20 Depth=1
	s_or_b64 exec, exec, s[30:31]
.LBB121_49:                             ;   in Loop: Header=BB121_20 Depth=1
	s_or_b64 exec, exec, s[14:15]
	s_mov_b64 s[14:15], exec
	v_readlane_b32 s30, v70, 18
	v_readlane_b32 s31, v70, 19
	s_and_b64 s[30:31], s[14:15], s[30:31]
	s_mov_b64 exec, s[30:31]
	s_cbranch_execz .LBB121_53
; %bb.50:                               ;   in Loop: Header=BB121_20 Depth=1
	v_lshl_add_u32 v3, v10, 2, v15
	s_mov_b64 s[30:31], 0
	v_mov_b32_e32 v20, v29
.LBB121_51:                             ;   Parent Loop BB121_20 Depth=1
                                        ; =>  This Inner Loop Header: Depth=2
	v_mul_lo_u32 v10, v4, s66
	v_mul_lo_u32 v46, v5, s9
	v_mov_b32_e32 v47, v11
	v_lshl_add_u64 v[48:49], v[10:11], 2, v[6:7]
	v_lshl_add_u64 v[46:47], v[46:47], 2, v[6:7]
	global_load_dword v43, v[48:49], off
	global_load_dword v10, v[46:47], off
	v_add_u32_e32 v20, -8, v20
	v_cmp_eq_u32_e32 vcc, 0, v20
	v_add_u32_e32 v5, 2, v5
	v_add_u32_e32 v4, 2, v4
	s_or_b64 s[30:31], vcc, s[30:31]
	s_waitcnt vmcnt(1)
	ds_write2_b32 v3, v19, v43 offset1:1
	v_add_u32_e32 v3, 8, v3
	s_waitcnt vmcnt(0)
	v_mov_b32_e32 v19, v10
	s_andn2_b64 exec, exec, s[30:31]
	s_cbranch_execnz .LBB121_51
; %bb.52:                               ;   in Loop: Header=BB121_20 Depth=1
	s_or_b64 exec, exec, s[30:31]
	v_mov_b32_e32 v19, v10
.LBB121_53:                             ;   in Loop: Header=BB121_20 Depth=1
	s_or_b64 exec, exec, s[14:15]
	v_readlane_b32 s14, v70, 20
	v_add_u32_e32 v2, v2, v25
	v_readlane_b32 s15, v70, 21
	v_add_u32_e32 v3, -1, v2
	s_orn2_b64 s[14:15], s[14:15], exec
	v_mov_b32_e32 v4, v26
.LBB121_54:                             ;   in Loop: Header=BB121_20 Depth=1
	s_or_b64 exec, exec, s[2:3]
	v_mov_b32_e32 v5, s34
	s_and_b64 s[2:3], s[14:15], exec
	s_waitcnt vmcnt(0)
	v_mov_b32_e32 v20, v19
	s_andn2_saveexec_b64 s[14:15], s[28:29]
	s_cbranch_execz .LBB121_40
.LBB121_55:                             ;   in Loop: Header=BB121_20 Depth=1
	v_mov_b32_e32 v5, s34
	s_or_b64 s[2:3], s[2:3], exec
	s_waitcnt vmcnt(0)
	v_mov_b32_e32 v20, v19
	v_mov_b32_e32 v4, v0
	s_or_b64 exec, exec, s[14:15]
	s_and_saveexec_b64 s[14:15], s[2:3]
	s_cbranch_execz .LBB121_59
.LBB121_56:                             ;   in Loop: Header=BB121_20 Depth=1
	s_sub_i32 s28, 0, s33
	v_mul_lo_u32 v10, s66, v2
	s_mov_b64 s[2:3], 0
.LBB121_57:                             ;   Parent Loop BB121_20 Depth=1
                                        ; =>  This Inner Loop Header: Depth=2
	v_lshl_add_u64 v[46:47], v[10:11], 2, v[6:7]
	global_load_dword v19, v[46:47], off
	v_mov_b32_e32 v3, v2
	v_lshlrev_b32_e32 v2, 2, v4
	ds_write_b32 v2, v20
	v_add_u32_e32 v2, s33, v3
	v_cmp_le_u32_e32 vcc, s64, v2
	v_add_u32_e32 v10, v10, v5
	v_mov_b32_e32 v4, v3
	s_or_b64 s[2:3], vcc, s[2:3]
	s_waitcnt vmcnt(0)
	v_mov_b32_e32 v20, v19
	s_andn2_b64 exec, exec, s[2:3]
	s_cbranch_execnz .LBB121_57
; %bb.58:                               ;   in Loop: Header=BB121_20 Depth=1
	s_or_b64 exec, exec, s[2:3]
	v_add_u32_e32 v3, s28, v2
.LBB121_59:                             ;   in Loop: Header=BB121_20 Depth=1
	s_or_b64 exec, exec, s[14:15]
.LBB121_60:                             ;   in Loop: Header=BB121_20 Depth=1
	s_or_b64 exec, exec, s[26:27]
	v_lshlrev_b32_e32 v2, 2, v3
	s_waitcnt vmcnt(0)
	ds_write_b32 v2, v19
.LBB121_61:                             ;   in Loop: Header=BB121_20 Depth=1
	s_or_b64 exec, exec, s[22:23]
	s_waitcnt lgkmcnt(0)
	s_barrier
	s_and_saveexec_b64 s[2:3], s[24:25]
; %bb.62:                               ;   in Loop: Header=BB121_20 Depth=1
	ds_write_b32 v11, v44 offset:4104
; %bb.63:                               ;   in Loop: Header=BB121_20 Depth=1
	s_or_b64 exec, exec, s[2:3]
	s_mov_b64 s[2:3], -1
	s_waitcnt lgkmcnt(0)
	s_barrier
.LBB121_64:                             ;   in Loop: Header=BB121_20 Depth=1
	s_mov_b32 s33, 0
	s_and_b64 vcc, exec, s[2:3]
	s_cbranch_vccz .LBB121_66
; %bb.65:                               ;   in Loop: Header=BB121_20 Depth=1
	ds_read_b32 v2, v11 offset:4104
	s_waitcnt lgkmcnt(0)
	v_readfirstlane_b32 s33, v2
.LBB121_66:                             ;   in Loop: Header=BB121_20 Depth=1
	s_cmp_lt_i32 s33, 1
	s_mov_b64 s[2:3], -1
                                        ; implicit-def: $vgpr4_vgpr5
	s_cbranch_scc1 .LBB121_76
; %bb.67:                               ;   in Loop: Header=BB121_20 Depth=1
	s_and_b64 vcc, exec, s[2:3]
	s_cbranch_vccnz .LBB121_87
.LBB121_68:                             ;   in Loop: Header=BB121_20 Depth=1
	s_lshl_b32 s22, s8, 6
	s_and_saveexec_b64 s[2:3], s[4:5]
.LBB121_69:                             ;   in Loop: Header=BB121_20 Depth=1
	v_lshl_add_u32 v10, s22, 2, v24
	ds_write_b128 v10, v[2:5]
.LBB121_70:                             ;   in Loop: Header=BB121_20 Depth=1
	s_or_b64 exec, exec, s[2:3]
	s_waitcnt lgkmcnt(0)
	s_barrier
	s_and_saveexec_b64 s[2:3], s[78:79]
	s_cbranch_execz .LBB121_104
; %bb.71:                               ;   in Loop: Header=BB121_20 Depth=1
	v_add_u32_e32 v4, s22, v22
	s_andn2_b64 vcc, exec, s[82:83]
	v_mov_b32_e32 v2, 0
	s_cbranch_vccnz .LBB121_103
; %bb.72:                               ;   in Loop: Header=BB121_20 Depth=1
	v_readlane_b32 s14, v70, 22
	v_readlane_b32 s15, v70, 23
	s_andn2_b64 vcc, exec, s[14:15]
	s_cbranch_vccnz .LBB121_96
; %bb.73:                               ;   in Loop: Header=BB121_20 Depth=1
	v_readlane_b32 s14, v70, 24
	v_readlane_b32 s15, v70, 25
	s_andn2_b64 vcc, exec, s[14:15]
	v_lshl_add_u32 v5, v4, 2, v40
	s_cbranch_vccnz .LBB121_97
; %bb.74:                               ;   in Loop: Header=BB121_20 Depth=1
	s_mov_b32 s15, 1
	s_mov_b32 s14, 0
	v_mov_b32_e32 v2, 0
	v_mov_b32_e32 v3, 0
	v_readlane_b32 s23, v70, 26
.LBB121_75:                             ;   Parent Loop BB121_20 Depth=1
                                        ; =>  This Inner Loop Header: Depth=2
	v_lshl_add_u32 v10, s14, 4, v5
	v_lshl_add_u32 v19, s15, 4, v5
	ds_read2_b32 v[46:47], v10 offset1:8
	ds_read2_b32 v[48:49], v19 offset1:8
	ds_read2_b32 v[50:51], v10 offset0:16 offset1:24
	ds_read2_b32 v[52:53], v19 offset0:16 offset1:24
	;; [unrolled: 1-line block ×6, first 2 shown]
	s_waitcnt lgkmcnt(7)
	v_add3_u32 v2, v46, v2, v47
	s_waitcnt lgkmcnt(6)
	v_add3_u32 v3, v48, v3, v49
	;; [unrolled: 2-line block ×3, first 2 shown]
	v_add3_u32 v2, v50, v2, v51
	s_add_i32 s15, s15, 16
	s_add_i32 s14, s14, 16
	s_add_i32 s23, s23, -8
	s_waitcnt lgkmcnt(3)
	v_add3_u32 v2, v54, v2, v55
	s_waitcnt lgkmcnt(2)
	v_add3_u32 v3, v56, v3, v57
	s_cmp_lg_u32 s23, 0
	s_waitcnt lgkmcnt(0)
	v_add3_u32 v3, v60, v3, v61
	v_add3_u32 v2, v58, v2, v59
	s_cbranch_scc1 .LBB121_75
	s_branch .LBB121_98
.LBB121_76:                             ;   in Loop: Header=BB121_20 Depth=1
	v_mov_b32_e32 v10, v11
	v_mov_b64_e32 v[4:5], v[10:11]
	v_mov_b64_e32 v[2:3], v[10:11]
	s_and_saveexec_b64 s[52:53], s[16:17]
	s_cbranch_execz .LBB121_80
; %bb.77:                               ;   in Loop: Header=BB121_20 Depth=1
	s_mov_b32 s14, 0
	s_mov_b64 s[54:55], 0
	v_mov_b32_e32 v19, v15
	s_mov_b32 s58, 0
	s_mov_b32 s59, s14
	;; [unrolled: 1-line block ×4, first 2 shown]
.LBB121_78:                             ;   Parent Loop BB121_20 Depth=1
                                        ; =>  This Inner Loop Header: Depth=2
	v_add_u32_e32 v10, s14, v34
	v_lshl_add_u64 v[2:3], v[10:11], 2, v[6:7]
	v_add_u32_e32 v10, s14, v30
	global_load_dword v4, v[2:3], off
	v_lshl_add_u64 v[2:3], v[10:11], 2, v[6:7]
	v_add_u32_e32 v10, s14, v31
	global_load_dword v5, v[2:3], off
	;; [unrolled: 3-line block ×3, first 2 shown]
	v_lshl_add_u64 v[2:3], v[10:11], 2, v[6:7]
	global_load_dword v2, v[2:3], off
	v_add_u32_e32 v19, s88, v19
	v_cmp_le_u32_e32 vcc, s93, v19
	s_add_i32 s14, s14, s84
	s_waitcnt vmcnt(3)
	v_cmp_lt_i32_e64 s[2:3], -1, v4
	s_nop 1
	v_cndmask_b32_e64 v3, -1, v38, s[2:3]
	v_xor_b32_e32 v3, v3, v4
	s_waitcnt vmcnt(2)
	v_cmp_lt_i32_e64 s[2:3], -1, v5
	s_waitcnt vmcnt(0)
	v_cmp_o_f32_e64 s[34:35], v2, v2
	v_cndmask_b32_e64 v10, -1, v38, s[2:3]
	v_cmp_o_f32_e64 s[2:3], v4, v4
	v_xor_b32_e32 v4, v10, v5
	s_nop 0
	v_cndmask_b32_e64 v3, -1, v3, s[2:3]
	v_cmp_lt_i32_e64 s[2:3], -1, v20
	v_and_b32_e32 v43, v3, v41
	v_bfe_u32 v3, v3, v39, 2
	v_cndmask_b32_e64 v10, -1, v38, s[2:3]
	v_cmp_o_f32_e64 s[2:3], v5, v5
	v_xor_b32_e32 v5, v10, v20
	v_cmp_eq_u32_e64 s[22:23], 0, v3
	v_cndmask_b32_e64 v4, -1, v4, s[2:3]
	v_cmp_lt_i32_e64 s[2:3], -1, v2
	v_cmp_eq_u32_e64 s[26:27], 1, v3
	v_cmp_eq_u32_e64 s[28:29], 2, v3
	v_cndmask_b32_e64 v10, -1, v38, s[2:3]
	v_cmp_o_f32_e64 s[2:3], v20, v20
	v_and_b32_e32 v20, v4, v41
	v_bfe_u32 v4, v4, v39, 2
	v_cndmask_b32_e64 v5, -1, v5, s[2:3]
	v_cmp_eq_u32_e64 s[2:3], v43, v32
	s_and_b64 s[22:23], s[2:3], s[22:23]
	v_xor_b32_e32 v10, v10, v2
	v_cmp_eq_u32_e64 s[30:31], 3, v3
	v_cmp_eq_u32_e64 s[36:37], 0, v4
	;; [unrolled: 1-line block ×5, first 2 shown]
	v_cndmask_b32_e64 v4, 0, 1, s[22:23]
	s_and_b64 s[22:23], s[2:3], s[26:27]
	v_cndmask_b32_e64 v2, -1, v10, s[34:35]
	v_cmp_eq_u32_e64 s[34:35], v20, v32
	v_and_b32_e32 v3, v5, v41
	v_bfe_u32 v5, v5, v39, 2
	v_cndmask_b32_e64 v10, 0, 1, s[22:23]
	s_and_b64 s[22:23], s[2:3], s[28:29]
	s_and_b64 s[2:3], s[2:3], s[30:31]
	v_cndmask_b32_e64 v20, 0, 1, s[22:23]
	v_cndmask_b32_e64 v43, 0, 1, s[2:3]
	v_cmp_eq_u32_e64 s[2:3], v3, v32
	v_and_b32_e32 v3, v2, v41
	v_bfe_u32 v2, v2, v39, 2
	v_cmp_eq_u32_e64 s[22:23], 0, v5
	s_and_b64 s[36:37], s[34:35], s[36:37]
	s_and_b64 s[38:39], s[34:35], s[38:39]
	s_and_b64 s[40:41], s[34:35], s[40:41]
	s_and_b64 s[34:35], s[34:35], s[42:43]
	v_cmp_eq_u32_e64 s[26:27], 1, v5
	v_cmp_eq_u32_e64 s[28:29], 2, v5
	;; [unrolled: 1-line block ×3, first 2 shown]
	v_cndmask_b32_e64 v5, 0, 1, s[38:39]
	v_cmp_ne_u32_e64 s[38:39], 0, v20
	v_cndmask_b32_e64 v20, 0, 1, s[34:35]
	v_cmp_eq_u32_e64 s[34:35], v3, v32
	v_cmp_eq_u32_e64 s[42:43], 0, v2
	s_and_b64 s[22:23], s[2:3], s[22:23]
	v_cmp_eq_u32_e64 s[46:47], 1, v2
	v_cmp_eq_u32_e64 s[48:49], 2, v2
	v_cmp_eq_u32_e64 s[50:51], 3, v2
	v_cndmask_b32_e64 v2, 0, 1, s[22:23]
	s_and_b64 s[26:27], s[2:3], s[26:27]
	s_and_b64 s[28:29], s[2:3], s[28:29]
	;; [unrolled: 1-line block ×4, first 2 shown]
	v_cmp_ne_u32_e64 s[44:45], 0, v4
	v_cndmask_b32_e64 v4, 0, 1, s[36:37]
	v_cmp_ne_u32_e64 s[36:37], 0, v10
	v_cndmask_b32_e64 v10, 0, 1, s[40:41]
	v_cmp_ne_u32_e64 s[40:41], 0, v43
	v_cmp_ne_u32_e64 s[22:23], 0, v5
	v_cndmask_b32_e64 v3, 0, 1, s[26:27]
	v_cndmask_b32_e64 v5, 0, 1, s[2:3]
	v_cmp_ne_u32_e64 s[2:3], 0, v2
	v_cndmask_b32_e64 v2, 0, 1, s[30:31]
	s_and_b64 s[30:31], s[34:35], s[46:47]
	s_bcnt1_i32_b64 s15, s[44:45]
	v_cmp_ne_u32_e64 s[44:45], 0, v4
	s_bcnt1_i32_b64 s36, s[36:37]
	s_bcnt1_i32_b64 s37, s[38:39]
	v_cmp_ne_u32_e64 s[26:27], 0, v10
	v_cndmask_b32_e64 v4, 0, 1, s[28:29]
	s_bcnt1_i32_b64 s38, s[40:41]
	s_bcnt1_i32_b64 s40, s[22:23]
	v_cmp_ne_u32_e64 s[22:23], 0, v3
	v_cndmask_b32_e64 v3, 0, 1, s[30:31]
	s_and_b64 s[30:31], s[34:35], s[48:49]
	v_cmp_ne_u32_e64 s[28:29], 0, v20
	s_bcnt1_i32_b64 s41, s[26:27]
	v_cmp_ne_u32_e64 s[26:27], 0, v4
	v_cndmask_b32_e64 v4, 0, 1, s[30:31]
	s_and_b64 s[30:31], s[34:35], s[50:51]
	s_bcnt1_i32_b64 s39, s[44:45]
	s_add_i32 s15, s58, s15
	s_add_i32 s36, s59, s36
	s_bcnt1_i32_b64 s42, s[28:29]
	v_cmp_ne_u32_e64 s[28:29], 0, v5
	v_cndmask_b32_e64 v5, 0, 1, s[30:31]
	s_add_i32 s30, s56, s37
	s_add_i32 s31, s57, s38
	s_bcnt1_i32_b64 s34, s[2:3]
	v_cmp_ne_u32_e64 s[2:3], 0, v2
	s_bcnt1_i32_b64 s35, s[22:23]
	v_cmp_ne_u32_e64 s[22:23], 0, v3
	s_add_i32 s36, s36, s40
	s_add_i32 s15, s15, s39
	s_bcnt1_i32_b64 s37, s[26:27]
	v_cmp_ne_u32_e64 s[26:27], 0, v4
	s_bcnt1_i32_b64 s38, s[28:29]
	v_cmp_ne_u32_e64 s[28:29], 0, v5
	s_add_i32 s31, s31, s42
	s_add_i32 s30, s30, s41
	s_bcnt1_i32_b64 s2, s[2:3]
	s_bcnt1_i32_b64 s3, s[22:23]
	s_add_i32 s15, s15, s34
	s_add_i32 s22, s36, s35
	s_bcnt1_i32_b64 s23, s[26:27]
	s_bcnt1_i32_b64 s26, s[28:29]
	s_add_i32 s27, s30, s37
	s_add_i32 s28, s31, s38
	;; [unrolled: 1-line block ×6, first 2 shown]
	s_or_b64 s[54:55], vcc, s[54:55]
	v_mov_b64_e32 v[2:3], s[58:59]
	v_mov_b64_e32 v[4:5], s[56:57]
	s_andn2_b64 exec, exec, s[54:55]
	s_cbranch_execnz .LBB121_78
; %bb.79:                               ;   in Loop: Header=BB121_20 Depth=1
	s_or_b64 exec, exec, s[54:55]
.LBB121_80:                             ;   in Loop: Header=BB121_20 Depth=1
	s_or_b64 exec, exec, s[52:53]
	s_and_saveexec_b64 s[14:15], s[18:19]
	s_cbranch_execz .LBB121_86
; %bb.81:                               ;   in Loop: Header=BB121_20 Depth=1
	global_load_dword v43, v[16:17], off
	s_mov_b64 s[22:23], 0
	v_mov_b32_e32 v10, v35
	v_mov_b32_e32 v19, v28
	s_branch .LBB121_83
.LBB121_82:                             ;   in Loop: Header=BB121_83 Depth=2
	s_or_b64 exec, exec, s[26:27]
	s_and_b64 s[2:3], exec, vcc
	s_waitcnt vmcnt(0)
	v_cmp_lt_i32_e32 vcc, -1, v43
	s_or_b64 s[22:23], s[2:3], s[22:23]
	v_add_u32_e32 v10, s65, v10
	v_cndmask_b32_e32 v45, -1, v38, vcc
	v_xor_b32_e32 v45, v45, v43
	v_cmp_o_f32_e32 vcc, v43, v43
	s_nop 1
	v_cndmask_b32_e32 v43, -1, v45, vcc
	v_and_b32_e32 v45, v43, v41
	v_bfe_u32 v43, v43, v39, 2
	v_cmp_eq_u32_e32 vcc, v45, v32
	v_cmp_eq_u32_e64 s[2:3], 0, v43
	s_and_b64 s[2:3], vcc, s[2:3]
	s_nop 0
	v_cndmask_b32_e64 v45, 0, 1, s[2:3]
	v_cmp_ne_u32_e64 s[2:3], 0, v45
	s_bcnt1_i32_b64 s26, s[2:3]
	v_cmp_eq_u32_e64 s[2:3], 1, v43
	s_and_b64 s[2:3], vcc, s[2:3]
	v_add_u32_e32 v2, s26, v2
	v_cndmask_b32_e64 v45, 0, 1, s[2:3]
	v_cmp_ne_u32_e64 s[2:3], 0, v45
	s_bcnt1_i32_b64 s2, s[2:3]
	s_nop 0
	v_add_u32_e32 v3, s2, v3
	v_cmp_eq_u32_e64 s[2:3], 2, v43
	s_and_b64 s[2:3], vcc, s[2:3]
	s_nop 0
	v_cndmask_b32_e64 v45, 0, 1, s[2:3]
	v_cmp_ne_u32_e64 s[2:3], 0, v45
	s_bcnt1_i32_b64 s26, s[2:3]
	v_cmp_eq_u32_e64 s[2:3], 3, v43
	s_and_b64 s[2:3], vcc, s[2:3]
	v_add_u32_e32 v4, s26, v4
	v_cndmask_b32_e64 v43, 0, 1, s[2:3]
	v_cmp_ne_u32_e32 vcc, 0, v43
	s_bcnt1_i32_b64 s2, vcc
	v_add_u32_e32 v5, s2, v5
	v_mov_b32_e32 v43, v20
	s_andn2_b64 exec, exec, s[22:23]
	s_cbranch_execz .LBB121_85
.LBB121_83:                             ;   Parent Loop BB121_20 Depth=1
                                        ; =>  This Inner Loop Header: Depth=2
	v_add_u32_e32 v19, s67, v19
	v_cmp_gt_u32_e64 s[2:3], s64, v19
	v_cmp_le_u32_e32 vcc, s64, v19
	v_mov_b32_e32 v20, 0
	s_and_saveexec_b64 s[26:27], s[2:3]
	s_cbranch_execz .LBB121_82
; %bb.84:                               ;   in Loop: Header=BB121_83 Depth=2
	v_lshl_add_u64 v[46:47], v[10:11], 2, v[6:7]
	global_load_dword v20, v[46:47], off
	s_branch .LBB121_82
.LBB121_85:                             ;   in Loop: Header=BB121_20 Depth=1
	s_or_b64 exec, exec, s[22:23]
.LBB121_86:                             ;   in Loop: Header=BB121_20 Depth=1
	s_or_b64 exec, exec, s[14:15]
	s_branch .LBB121_68
.LBB121_87:                             ;   in Loop: Header=BB121_20 Depth=1
	s_mul_hi_u32 s2, s33, s92
	s_mul_i32 s2, s2, s88
	s_sub_i32 s2, s33, s2
	s_sub_i32 s3, s2, s88
	s_cmp_ge_u32 s2, s88
	s_cselect_b32 s2, s3, s2
	s_sub_i32 s3, s2, s88
	s_cmp_ge_u32 s2, s88
	s_cselect_b32 s2, s3, s2
	s_sub_i32 s86, s33, s2
	v_mov_b32_e32 v10, v11
	v_cmp_gt_u32_e32 vcc, s86, v15
	v_mov_b64_e32 v[4:5], v[10:11]
	v_mov_b64_e32 v[2:3], v[10:11]
	s_and_saveexec_b64 s[14:15], vcc
	s_cbranch_execz .LBB121_91
; %bb.88:                               ;   in Loop: Header=BB121_20 Depth=1
	s_mov_b32 s76, 0
	s_mov_b64 s[72:73], 0
	v_mov_b32_e32 v10, v36
	v_mov_b32_e32 v19, v15
	s_mov_b32 s77, s76
	s_mov_b32 s74, s76
	;; [unrolled: 1-line block ×3, first 2 shown]
.LBB121_89:                             ;   Parent Loop BB121_20 Depth=1
                                        ; =>  This Inner Loop Header: Depth=2
	ds_read_b128 v[2:5], v10
	v_add_u32_e32 v19, s88, v19
	v_cmp_le_u32_e32 vcc, s86, v19
	v_add_u32_e32 v10, s85, v10
	s_waitcnt lgkmcnt(0)
	v_cmp_lt_i32_e64 s[2:3], -1, v3
	v_cmp_o_f32_e64 s[22:23], v4, v4
	s_nop 0
	v_cndmask_b32_e64 v20, -1, v38, s[2:3]
	v_cmp_lt_i32_e64 s[2:3], -1, v2
	v_cmp_o_f32_e64 s[26:27], v5, v5
	v_cmp_o_f32_e64 s[28:29], v3, v3
	v_cndmask_b32_e64 v43, -1, v38, s[2:3]
	v_cmp_lt_i32_e64 s[2:3], -1, v5
	v_xor_b32_e32 v43, v43, v2
	s_nop 0
	v_cndmask_b32_e64 v45, -1, v38, s[2:3]
	v_cmp_lt_i32_e64 s[2:3], -1, v4
	s_nop 1
	v_cndmask_b32_e64 v46, -1, v38, s[2:3]
	v_cmp_o_f32_e64 s[2:3], v2, v2
	v_xor_b32_e32 v2, v46, v4
	v_xor_b32_e32 v4, v45, v5
	;; [unrolled: 1-line block ×3, first 2 shown]
	v_cndmask_b32_e64 v3, -1, v5, s[28:29]
	v_cndmask_b32_e64 v5, -1, v43, s[2:3]
	v_and_b32_e32 v20, v5, v41
	v_lshrrev_b32_e32 v5, v39, v5
	v_cndmask_b32_e64 v2, -1, v2, s[22:23]
	v_and_b32_e32 v43, v3, v41
	v_lshrrev_b32_e32 v3, v39, v3
	v_and_b32_e32 v5, 3, v5
	v_and_b32_e32 v45, v2, v41
	v_lshrrev_b32_e32 v2, v39, v2
	v_cmp_eq_u32_e64 s[2:3], v20, v32
	v_and_b32_e32 v3, 3, v3
	v_cmp_eq_u32_e64 s[30:31], 0, v5
	v_cndmask_b32_e64 v4, -1, v4, s[26:27]
	v_cmp_eq_u32_e64 s[22:23], v43, v32
	v_and_b32_e32 v2, 3, v2
	v_cmp_eq_u32_e64 s[34:35], 0, v3
	s_and_b64 s[30:31], s[2:3], s[30:31]
	v_and_b32_e32 v46, v4, v41
	v_lshrrev_b32_e32 v4, v39, v4
	v_cmp_eq_u32_e64 s[36:37], 1, v5
	v_cmp_eq_u32_e64 s[48:49], 0, v2
	;; [unrolled: 1-line block ×5, first 2 shown]
	v_cndmask_b32_e64 v2, 0, 1, s[30:31]
	s_and_b64 s[30:31], s[22:23], s[34:35]
	v_and_b32_e32 v4, 3, v4
	v_cmp_eq_u32_e64 s[38:39], 1, v3
	v_cmp_eq_u32_e64 s[42:43], 2, v3
	v_cmp_eq_u32_e64 s[44:45], 3, v3
	v_cndmask_b32_e64 v3, 0, 1, s[30:31]
	s_and_b64 s[30:31], s[2:3], s[36:37]
	v_cmp_eq_u32_e64 s[40:41], 2, v5
	v_cmp_eq_u32_e64 s[50:51], 0, v4
	;; [unrolled: 1-line block ×5, first 2 shown]
	v_cndmask_b32_e64 v4, 0, 1, s[30:31]
	s_and_b64 s[30:31], s[22:23], s[38:39]
	v_cmp_eq_u32_e64 s[46:47], 3, v5
	v_cndmask_b32_e64 v5, 0, 1, s[30:31]
	s_and_b64 s[30:31], s[2:3], s[40:41]
	v_cmp_eq_u32_e64 s[26:27], v45, v32
	;; [unrolled: 3-line block ×3, first 2 shown]
	v_cndmask_b32_e64 v43, 0, 1, s[30:31]
	s_and_b64 s[30:31], s[26:27], s[48:49]
	v_cndmask_b32_e64 v45, 0, 1, s[30:31]
	s_and_b64 s[30:31], s[28:29], s[50:51]
	;; [unrolled: 2-line block ×3, first 2 shown]
	s_and_b64 s[2:3], s[2:3], s[46:47]
	v_cndmask_b32_e64 v47, 0, 1, s[30:31]
	s_and_b64 s[30:31], s[28:29], s[54:55]
	v_cndmask_b32_e64 v51, 0, 1, s[2:3]
	;; [unrolled: 2-line block ×7, first 2 shown]
	v_cndmask_b32_e64 v54, 0, 1, s[2:3]
	v_cmp_ne_u32_e64 s[2:3], 0, v2
	v_cmp_ne_u32_e64 s[22:23], 0, v3
	v_cmp_ne_u32_e64 s[26:27], 0, v4
	v_cmp_ne_u32_e64 s[28:29], 0, v5
	v_cmp_ne_u32_e64 s[30:31], 0, v20
	v_cmp_ne_u32_e64 s[36:37], 0, v45
	v_cmp_ne_u32_e64 s[48:49], 0, v51
	v_cmp_ne_u32_e64 s[34:35], 0, v43
	v_cmp_ne_u32_e64 s[50:51], 0, v52
	s_bcnt1_i32_b64 s2, s[2:3]
	s_bcnt1_i32_b64 s3, s[22:23]
	;; [unrolled: 1-line block ×7, first 2 shown]
	v_cmp_ne_u32_e64 s[38:39], 0, v46
	v_cmp_ne_u32_e64 s[40:41], 0, v47
	;; [unrolled: 1-line block ×4, first 2 shown]
	s_bcnt1_i32_b64 s27, s[34:35]
	s_bcnt1_i32_b64 s37, s[50:51]
	s_add_i32 s2, s76, s2
	s_add_i32 s22, s77, s22
	;; [unrolled: 1-line block ×4, first 2 shown]
	v_cmp_ne_u32_e64 s[42:43], 0, v48
	v_cmp_ne_u32_e64 s[46:47], 0, v50
	;; [unrolled: 1-line block ×3, first 2 shown]
	s_bcnt1_i32_b64 s29, s[38:39]
	s_bcnt1_i32_b64 s30, s[40:41]
	;; [unrolled: 1-line block ×4, first 2 shown]
	s_add_i32 s22, s22, s23
	s_add_i32 s2, s2, s3
	;; [unrolled: 1-line block ×4, first 2 shown]
	s_bcnt1_i32_b64 s31, s[42:43]
	s_bcnt1_i32_b64 s35, s[46:47]
	;; [unrolled: 1-line block ×3, first 2 shown]
	s_add_i32 s2, s2, s28
	s_add_i32 s22, s22, s30
	;; [unrolled: 1-line block ×8, first 2 shown]
	s_or_b64 s[72:73], vcc, s[72:73]
	v_mov_b64_e32 v[2:3], s[76:77]
	v_mov_b64_e32 v[4:5], s[74:75]
	s_andn2_b64 exec, exec, s[72:73]
	s_cbranch_execnz .LBB121_89
; %bb.90:                               ;   in Loop: Header=BB121_20 Depth=1
	s_or_b64 exec, exec, s[72:73]
.LBB121_91:                             ;   in Loop: Header=BB121_20 Depth=1
	s_or_b64 exec, exec, s[14:15]
	v_add_u32_e32 v10, s86, v0
	v_cmp_gt_u32_e32 vcc, s33, v10
	s_and_saveexec_b64 s[14:15], vcc
	s_cbranch_execz .LBB121_95
; %bb.92:                               ;   in Loop: Header=BB121_20 Depth=1
	v_lshlrev_b32_e32 v19, 2, v10
	s_mov_b64 s[34:35], 0
.LBB121_93:                             ;   Parent Loop BB121_20 Depth=1
                                        ; =>  This Inner Loop Header: Depth=2
	ds_read_b32 v20, v19
	v_add_u32_e32 v10, s67, v10
	v_cmp_le_u32_e32 vcc, s33, v10
	v_add_u32_e32 v19, s88, v19
	s_waitcnt lgkmcnt(0)
	v_cmp_lt_i32_e64 s[2:3], -1, v20
	s_nop 1
	v_cndmask_b32_e64 v43, -1, v38, s[2:3]
	v_xor_b32_e32 v43, v43, v20
	v_cmp_o_f32_e64 s[2:3], v20, v20
	s_nop 1
	v_cndmask_b32_e64 v20, -1, v43, s[2:3]
	v_and_b32_e32 v43, v20, v41
	v_bfe_u32 v20, v20, v39, 2
	v_cmp_eq_u32_e64 s[2:3], v43, v32
	v_cmp_eq_u32_e64 s[22:23], 0, v20
	;; [unrolled: 1-line block ×3, first 2 shown]
	s_and_b64 s[22:23], s[2:3], s[22:23]
	v_cmp_eq_u32_e64 s[28:29], 2, v20
	v_cmp_eq_u32_e64 s[30:31], 3, v20
	v_cndmask_b32_e64 v20, 0, 1, s[22:23]
	s_and_b64 s[22:23], s[2:3], s[26:27]
	v_cndmask_b32_e64 v43, 0, 1, s[22:23]
	s_and_b64 s[22:23], s[2:3], s[28:29]
	s_and_b64 s[2:3], s[2:3], s[30:31]
	v_cndmask_b32_e64 v45, 0, 1, s[22:23]
	v_cndmask_b32_e64 v46, 0, 1, s[2:3]
	v_cmp_ne_u32_e64 s[2:3], 0, v20
	v_cmp_ne_u32_e64 s[22:23], 0, v43
	;; [unrolled: 1-line block ×4, first 2 shown]
	s_bcnt1_i32_b64 s2, s[2:3]
	s_bcnt1_i32_b64 s3, s[22:23]
	;; [unrolled: 1-line block ×4, first 2 shown]
	v_add_u32_e32 v3, s3, v3
	v_add_u32_e32 v2, s2, v2
	;; [unrolled: 1-line block ×3, first 2 shown]
	s_or_b64 s[34:35], vcc, s[34:35]
	v_add_u32_e32 v4, s22, v4
	s_andn2_b64 exec, exec, s[34:35]
	s_cbranch_execnz .LBB121_93
; %bb.94:                               ;   in Loop: Header=BB121_20 Depth=1
	s_or_b64 exec, exec, s[34:35]
.LBB121_95:                             ;   in Loop: Header=BB121_20 Depth=1
	s_or_b64 exec, exec, s[14:15]
	s_lshl_b32 s22, s8, 6
	s_and_saveexec_b64 s[2:3], s[4:5]
	s_cbranch_execnz .LBB121_69
	s_branch .LBB121_70
.LBB121_96:                             ;   in Loop: Header=BB121_20 Depth=1
	v_mov_b32_e32 v2, 0
	s_mov_b32 s23, 0
	s_cbranch_execnz .LBB121_101
	s_branch .LBB121_103
.LBB121_97:                             ;   in Loop: Header=BB121_20 Depth=1
	v_mov_b32_e32 v10, v11
	s_mov_b32 s14, 0
	v_mov_b64_e32 v[2:3], v[10:11]
	s_mov_b32 s15, 1
.LBB121_98:                             ;   in Loop: Header=BB121_20 Depth=1
	v_readlane_b32 s26, v70, 28
	v_readlane_b32 s27, v70, 29
	s_andn2_b64 vcc, exec, s[26:27]
	v_readlane_b32 s23, v70, 27
	s_cbranch_vccnz .LBB121_100
.LBB121_99:                             ;   Parent Loop BB121_20 Depth=1
                                        ; =>  This Inner Loop Header: Depth=2
	v_lshl_add_u32 v10, s14, 4, v5
	v_lshl_add_u32 v19, s15, 4, v5
	ds_read_b32 v19, v19
	ds_read_b32 v10, v10
	s_add_i32 s15, s15, 2
	s_add_i32 s14, s14, 2
	s_add_i32 s23, s23, -1
	s_cmp_lg_u32 s23, 0
	s_waitcnt lgkmcnt(1)
	v_add_u32_e32 v3, v19, v3
	s_waitcnt lgkmcnt(0)
	v_add_u32_e32 v2, v10, v2
	s_cbranch_scc1 .LBB121_99
.LBB121_100:                            ;   in Loop: Header=BB121_20 Depth=1
	v_readlane_b32 s14, v70, 32
	v_add_u32_e32 v2, v2, v3
	v_readlane_b32 s23, v70, 31
	v_readlane_b32 s15, v70, 33
	s_and_b64 vcc, exec, s[14:15]
	s_cbranch_vccz .LBB121_103
.LBB121_101:                            ;   in Loop: Header=BB121_20 Depth=1
	s_lshl_b32 s14, s8, 8
	s_lshl_b32 s15, s23, 4
	s_add_i32 s14, s14, s15
	v_add_u32_e32 v3, s14, v37
	v_readlane_b32 s14, v70, 30
	s_sub_i32 s14, s14, s23
.LBB121_102:                            ;   Parent Loop BB121_20 Depth=1
                                        ; =>  This Inner Loop Header: Depth=2
	ds_read_b32 v5, v3
	s_add_i32 s14, s14, -1
	v_add_u32_e32 v3, 16, v3
	s_cmp_eq_u32 s14, 0
	s_waitcnt lgkmcnt(0)
	v_add_u32_e32 v2, v5, v2
	s_cbranch_scc0 .LBB121_102
.LBB121_103:                            ;   in Loop: Header=BB121_20 Depth=1
	v_lshlrev_b32_e32 v3, 2, v4
	ds_write_b32 v3, v2 offset:3072
.LBB121_104:                            ;   in Loop: Header=BB121_20 Depth=1
	s_or_b64 exec, exec, s[2:3]
	s_lshl_b32 s2, s22, 2
	v_mov_b32_e32 v2, s2
	s_waitcnt lgkmcnt(0)
	s_barrier
	ds_read_b128 v[2:5], v2 offset:3072
	v_cmp_eq_u32_e32 vcc, 1, v42
	s_mov_b64 s[22:23], -1
	s_mov_b64 s[30:31], -1
                                        ; implicit-def: $sgpr28_sgpr29
                                        ; implicit-def: $sgpr26_sgpr27
	s_waitcnt lgkmcnt(0)
	v_readfirstlane_b32 s44, v2
	s_cmp_eq_u32 s44, 1
	v_lshlrev_b32_e64 v2, v39, 3
	s_cselect_b64 s[2:3], -1, 0
	v_readfirstlane_b32 s33, v3
	v_readfirstlane_b32 s56, v4
	;; [unrolled: 1-line block ×3, first 2 shown]
	v_not_b32_e32 v4, v2
	s_and_b64 s[14:15], s[2:3], vcc
	s_and_saveexec_b64 s[2:3], s[14:15]
	s_cbranch_execz .LBB121_132
; %bb.105:                              ;   in Loop: Header=BB121_20 Depth=1
	ds_read_b32 v3, v11 offset:4104
	s_waitcnt lgkmcnt(0)
	s_barrier
	v_readfirstlane_b32 s45, v3
	s_and_saveexec_b64 s[26:27], s[6:7]
; %bb.106:                              ;   in Loop: Header=BB121_20 Depth=1
	ds_write_b32 v23, v11
; %bb.107:                              ;   in Loop: Header=BB121_20 Depth=1
	s_or_b64 exec, exec, s[26:27]
	v_and_b32_e32 v32, v32, v4
	v_or_b32_e32 v41, v41, v2
	s_mov_b64 s[26:27], -1
	s_mov_b64 s[28:29], 0
	s_cmp_eq_u32 s45, 0
	s_mov_b64 s[30:31], 0
	s_mov_b64 s[34:35], -1
	s_waitcnt lgkmcnt(0)
	s_barrier
                                        ; implicit-def: $vgpr21
	s_cbranch_scc1 .LBB121_119
; %bb.108:                              ;   in Loop: Header=BB121_20 Depth=1
	s_add_i32 s30, s45, s89
	s_mul_hi_u32 s31, s30, s90
	s_mul_i32 s31, s31, s67
	s_sub_i32 s31, s30, s31
	s_sub_i32 s34, s31, s67
	s_cmp_ge_u32 s31, s67
	s_cselect_b32 s31, s34, s31
	s_sub_i32 s34, s31, s67
	s_cmp_ge_u32 s31, s67
	s_cselect_b32 s31, s34, s31
	s_sub_i32 s46, s30, s31
	v_cmp_gt_u32_e32 vcc, s46, v0
	s_mov_b64 s[34:35], 0
	s_mov_b64 s[30:31], 0
                                        ; implicit-def: $vgpr21
	s_and_saveexec_b64 s[36:37], vcc
	s_cbranch_execz .LBB121_118
; %bb.109:                              ;   in Loop: Header=BB121_20 Depth=1
	v_mov_b32_e32 v3, v15
	v_mov_b32_e32 v5, v0
                                        ; implicit-def: $sgpr38_sgpr39
	s_branch .LBB121_113
.LBB121_110:                            ;   in Loop: Header=BB121_113 Depth=2
	s_or_b64 exec, exec, s[40:41]
	s_waitcnt lgkmcnt(0)
	s_barrier
	ds_read_b64 v[20:21], v11 offset:3072
	s_waitcnt lgkmcnt(0)
	s_barrier
	v_cmp_neq_f32_e32 vcc, 0, v20
	s_cbranch_vccnz .LBB121_116
; %bb.111:                              ;   in Loop: Header=BB121_113 Depth=2
	v_add_u32_e32 v5, s67, v5
	v_cmp_le_u32_e32 vcc, s46, v5
	v_add_u32_e32 v3, s88, v3
	s_mov_b64 s[40:41], 0
	s_orn2_b64 s[42:43], vcc, exec
.LBB121_112:                            ;   in Loop: Header=BB121_113 Depth=2
	s_and_b64 s[42:43], exec, s[42:43]
	s_or_b64 s[30:31], s[42:43], s[30:31]
	s_andn2_b64 s[38:39], s[38:39], exec
	s_and_b64 s[40:41], s[40:41], exec
	s_or_b64 s[38:39], s[38:39], s[40:41]
	s_andn2_b64 exec, exec, s[30:31]
	s_cbranch_execz .LBB121_117
.LBB121_113:                            ;   Parent Loop BB121_20 Depth=1
                                        ; =>  This Inner Loop Header: Depth=2
	v_cmp_gt_u32_e32 vcc, s45, v5
	s_and_saveexec_b64 s[40:41], vcc
	s_cbranch_execz .LBB121_110
; %bb.114:                              ;   in Loop: Header=BB121_113 Depth=2
	ds_read_b32 v19, v3
	s_waitcnt lgkmcnt(0)
	v_cmp_lt_i32_e32 vcc, -1, v19
	s_nop 1
	v_cndmask_b32_e32 v10, -1, v38, vcc
	v_xor_b32_e32 v10, v10, v19
	v_cmp_o_f32_e32 vcc, v19, v19
	s_nop 1
	v_cndmask_b32_e32 v10, -1, v10, vcc
	v_and_b32_e32 v10, v10, v41
	v_cmp_eq_u32_e32 vcc, v10, v32
	s_and_b64 exec, exec, vcc
	s_cbranch_execz .LBB121_110
; %bb.115:                              ;   in Loop: Header=BB121_113 Depth=2
	ds_write_b64 v11, v[18:19] offset:3072
	s_branch .LBB121_110
.LBB121_116:                            ;   in Loop: Header=BB121_113 Depth=2
	s_mov_b64 s[42:43], -1
                                        ; implicit-def: $vgpr5
                                        ; implicit-def: $vgpr3
	s_mov_b64 s[40:41], -1
	s_branch .LBB121_112
.LBB121_117:                            ;   in Loop: Header=BB121_20 Depth=1
	s_or_b64 exec, exec, s[30:31]
	s_and_b64 s[30:31], s[38:39], exec
.LBB121_118:                            ;   in Loop: Header=BB121_20 Depth=1
	s_or_b64 exec, exec, s[36:37]
.LBB121_119:                            ;   in Loop: Header=BB121_20 Depth=1
	s_and_b64 vcc, exec, s[34:35]
	s_cbranch_vccz .LBB121_131
; %bb.120:                              ;   in Loop: Header=BB121_20 Depth=1
                                        ; implicit-def: $vgpr21
	s_and_saveexec_b64 s[26:27], s[20:21]
	s_cbranch_execz .LBB121_130
; %bb.121:                              ;   in Loop: Header=BB121_20 Depth=1
	s_mov_b64 s[28:29], 0
	v_mov_b32_e32 v10, v8
	v_mov_b32_e32 v3, v0
                                        ; implicit-def: $sgpr34_sgpr35
	s_branch .LBB121_125
.LBB121_122:                            ;   in Loop: Header=BB121_125 Depth=2
	s_or_b64 exec, exec, s[36:37]
	s_waitcnt lgkmcnt(0)
	s_barrier
	ds_read_b64 v[20:21], v11 offset:3072
	s_waitcnt lgkmcnt(0)
	s_barrier
	v_cmp_neq_f32_e32 vcc, 0, v20
	s_cbranch_vccnz .LBB121_128
; %bb.123:                              ;   in Loop: Header=BB121_125 Depth=2
	v_add_u32_e32 v3, s67, v3
	v_cmp_le_u32_e32 vcc, s91, v3
	v_add_u32_e32 v10, s65, v10
	s_mov_b64 s[36:37], 0
	s_orn2_b64 s[38:39], vcc, exec
.LBB121_124:                            ;   in Loop: Header=BB121_125 Depth=2
	s_and_b64 s[38:39], exec, s[38:39]
	s_or_b64 s[28:29], s[38:39], s[28:29]
	s_andn2_b64 s[34:35], s[34:35], exec
	s_and_b64 s[36:37], s[36:37], exec
	s_or_b64 s[34:35], s[34:35], s[36:37]
	s_andn2_b64 exec, exec, s[28:29]
	s_cbranch_execz .LBB121_129
.LBB121_125:                            ;   Parent Loop BB121_20 Depth=1
                                        ; =>  This Inner Loop Header: Depth=2
	v_cmp_gt_u32_e32 vcc, s64, v3
	s_and_saveexec_b64 s[36:37], vcc
	s_cbranch_execz .LBB121_122
; %bb.126:                              ;   in Loop: Header=BB121_125 Depth=2
	v_lshl_add_u64 v[20:21], v[10:11], 2, v[6:7]
	global_load_dword v19, v[20:21], off
	s_waitcnt vmcnt(0)
	v_cmp_lt_i32_e32 vcc, -1, v19
	s_nop 1
	v_cndmask_b32_e32 v5, -1, v38, vcc
	v_xor_b32_e32 v5, v5, v19
	v_cmp_o_f32_e32 vcc, v19, v19
	s_nop 1
	v_cndmask_b32_e32 v5, -1, v5, vcc
	v_and_b32_e32 v5, v5, v41
	v_cmp_eq_u32_e32 vcc, v5, v32
	s_and_b64 exec, exec, vcc
	s_cbranch_execz .LBB121_122
; %bb.127:                              ;   in Loop: Header=BB121_125 Depth=2
	ds_write_b64 v11, v[18:19] offset:3072
	s_branch .LBB121_122
.LBB121_128:                            ;   in Loop: Header=BB121_125 Depth=2
	s_mov_b64 s[38:39], -1
                                        ; implicit-def: $vgpr3
	s_mov_b64 s[36:37], -1
	s_branch .LBB121_124
.LBB121_129:                            ;   in Loop: Header=BB121_20 Depth=1
	s_or_b64 exec, exec, s[28:29]
	s_andn2_b64 s[28:29], s[30:31], exec
	s_and_b64 s[30:31], s[34:35], exec
	s_or_b64 s[30:31], s[28:29], s[30:31]
.LBB121_130:                            ;   in Loop: Header=BB121_20 Depth=1
	s_or_b64 exec, exec, s[26:27]
	s_mov_b64 s[26:27], 0
	s_mov_b64 s[28:29], -1
.LBB121_131:                            ;   in Loop: Header=BB121_20 Depth=1
	s_orn2_b64 s[30:31], s[30:31], exec
.LBB121_132:                            ;   in Loop: Header=BB121_20 Depth=1
	s_or_b64 exec, exec, s[2:3]
	s_andn2_b64 s[2:3], s[12:13], exec
	s_and_b64 s[12:13], s[28:29], exec
	s_or_b64 s[12:13], s[2:3], s[12:13]
	s_andn2_b64 s[2:3], s[10:11], exec
	s_and_b64 s[10:11], s[26:27], exec
	v_readfirstlane_b32 s36, v0
	s_andn2_b64 s[70:71], s[70:71], exec
	s_or_b64 s[10:11], s[2:3], s[10:11]
                                        ; implicit-def: $vgpr5
	s_and_saveexec_b64 s[2:3], s[30:31]
	s_cbranch_execz .LBB121_19
; %bb.133:                              ;   in Loop: Header=BB121_20 Depth=1
	s_xor_b64 s[22:23], s[14:15], -1
	s_mov_b64 s[26:27], 0
	v_mov_b32_e32 v5, 1
	v_mov_b32_e32 v3, 1
	s_and_saveexec_b64 s[14:15], s[22:23]
	s_cbranch_execz .LBB121_142
; %bb.134:                              ;   in Loop: Header=BB121_20 Depth=1
	v_cmp_ge_u32_e32 vcc, s44, v42
	s_and_saveexec_b64 s[22:23], vcc
	s_xor_b64 s[22:23], exec, s[22:23]
	s_cbranch_execz .LBB121_139
; %bb.135:                              ;   in Loop: Header=BB121_20 Depth=1
	ds_read_b32 v3, v11 offset:4104
	v_and_b32_e32 v32, v32, v4
	v_or_b32_e32 v41, v41, v2
	s_waitcnt lgkmcnt(0)
	v_cmp_ne_u32_e32 vcc, 0, v3
	s_cbranch_vccnz .LBB121_139
; %bb.136:                              ;   in Loop: Header=BB121_20 Depth=1
	s_and_saveexec_b64 s[26:27], s[24:25]
; %bb.137:                              ;   in Loop: Header=BB121_20 Depth=1
	v_mov_b32_e32 v3, s44
	ds_write_b32 v11, v3 offset:4108
; %bb.138:                              ;   in Loop: Header=BB121_20 Depth=1
	s_or_b64 exec, exec, s[26:27]
	s_waitcnt lgkmcnt(0)
	s_barrier
.LBB121_139:                            ;   in Loop: Header=BB121_20 Depth=1
	s_or_saveexec_b64 s[22:23], s[22:23]
	s_mov_b64 s[26:27], 0
	v_mov_b32_e32 v3, 8
	s_xor_b64 exec, exec, s[22:23]
; %bb.140:                              ;   in Loop: Header=BB121_20 Depth=1
	s_mov_b64 s[26:27], exec
	v_subrev_u32_e32 v42, s44, v42
	v_mov_b32_e32 v3, 0
; %bb.141:                              ;   in Loop: Header=BB121_20 Depth=1
	s_or_b64 exec, exec, s[22:23]
	s_and_b64 s[26:27], s[26:27], exec
	v_mov_b32_e32 v5, v42
.LBB121_142:                            ;   in Loop: Header=BB121_20 Depth=1
	s_or_b64 exec, exec, s[14:15]
	s_mov_b64 s[22:23], -1
	s_mov_b64 s[14:15], -1
                                        ; implicit-def: $sgpr28_sgpr29
                                        ; implicit-def: $sgpr30_sgpr31
	s_and_saveexec_b64 s[34:35], s[26:27]
	s_xor_b64 s[26:27], exec, s[34:35]
	s_cbranch_execz .LBB121_265
; %bb.143:                              ;   in Loop: Header=BB121_20 Depth=1
	s_cmp_eq_u32 s33, 1
	s_cselect_b64 s[14:15], -1, 0
	v_cmp_eq_u32_e32 vcc, 1, v5
	s_and_b64 s[14:15], s[14:15], vcc
	s_mov_b64 s[36:37], -1
                                        ; implicit-def: $sgpr30_sgpr31
                                        ; implicit-def: $sgpr28_sgpr29
	s_and_saveexec_b64 s[34:35], s[14:15]
	s_cbranch_execz .LBB121_171
; %bb.144:                              ;   in Loop: Header=BB121_20 Depth=1
	ds_read_b32 v10, v11 offset:4104
	s_waitcnt lgkmcnt(0)
	s_barrier
	v_readfirstlane_b32 s48, v10
	s_and_saveexec_b64 s[28:29], s[6:7]
; %bb.145:                              ;   in Loop: Header=BB121_20 Depth=1
	ds_write_b32 v23, v11
; %bb.146:                              ;   in Loop: Header=BB121_20 Depth=1
	s_or_b64 exec, exec, s[28:29]
	v_and_b32_e32 v10, v32, v4
	v_lshl_or_b32 v32, 1, v39, v10
	v_or_b32_e32 v41, v41, v2
	s_mov_b64 s[28:29], -1
	s_mov_b64 s[30:31], 0
	s_cmp_eq_u32 s48, 0
	s_mov_b64 s[36:37], 0
	s_mov_b64 s[38:39], -1
	s_waitcnt lgkmcnt(0)
	s_barrier
                                        ; implicit-def: $vgpr21
	s_cbranch_scc1 .LBB121_158
; %bb.147:                              ;   in Loop: Header=BB121_20 Depth=1
	s_add_i32 s36, s48, s89
	s_mul_hi_u32 s37, s36, s90
	s_mul_i32 s37, s37, s67
	s_sub_i32 s37, s36, s37
	s_sub_i32 s38, s37, s67
	s_cmp_ge_u32 s37, s67
	s_cselect_b32 s37, s38, s37
	s_sub_i32 s38, s37, s67
	s_cmp_ge_u32 s37, s67
	s_cselect_b32 s37, s38, s37
	s_sub_i32 s49, s36, s37
	v_cmp_gt_u32_e32 vcc, s49, v0
	s_mov_b64 s[38:39], 0
	s_mov_b64 s[36:37], 0
                                        ; implicit-def: $vgpr21
	s_and_saveexec_b64 s[40:41], vcc
	s_cbranch_execz .LBB121_157
; %bb.148:                              ;   in Loop: Header=BB121_20 Depth=1
	v_mov_b32_e32 v10, v15
	v_mov_b32_e32 v42, v0
                                        ; implicit-def: $sgpr42_sgpr43
	s_branch .LBB121_152
.LBB121_149:                            ;   in Loop: Header=BB121_152 Depth=2
	s_or_b64 exec, exec, s[44:45]
	s_waitcnt lgkmcnt(0)
	s_barrier
	ds_read_b64 v[20:21], v11 offset:3072
	s_waitcnt lgkmcnt(0)
	s_barrier
	v_cmp_neq_f32_e32 vcc, 0, v20
	s_cbranch_vccnz .LBB121_155
; %bb.150:                              ;   in Loop: Header=BB121_152 Depth=2
	v_add_u32_e32 v42, s67, v42
	v_cmp_le_u32_e32 vcc, s49, v42
	v_add_u32_e32 v10, s88, v10
	s_mov_b64 s[44:45], 0
	s_orn2_b64 s[46:47], vcc, exec
.LBB121_151:                            ;   in Loop: Header=BB121_152 Depth=2
	s_and_b64 s[46:47], exec, s[46:47]
	s_or_b64 s[36:37], s[46:47], s[36:37]
	s_andn2_b64 s[42:43], s[42:43], exec
	s_and_b64 s[44:45], s[44:45], exec
	s_or_b64 s[42:43], s[42:43], s[44:45]
	s_andn2_b64 exec, exec, s[36:37]
	s_cbranch_execz .LBB121_156
.LBB121_152:                            ;   Parent Loop BB121_20 Depth=1
                                        ; =>  This Inner Loop Header: Depth=2
	v_cmp_gt_u32_e32 vcc, s48, v42
	s_and_saveexec_b64 s[44:45], vcc
	s_cbranch_execz .LBB121_149
; %bb.153:                              ;   in Loop: Header=BB121_152 Depth=2
	ds_read_b32 v19, v10
	s_waitcnt lgkmcnt(0)
	v_cmp_lt_i32_e32 vcc, -1, v19
	s_nop 1
	v_cndmask_b32_e32 v20, -1, v38, vcc
	v_xor_b32_e32 v20, v20, v19
	v_cmp_o_f32_e32 vcc, v19, v19
	s_nop 1
	v_cndmask_b32_e32 v20, -1, v20, vcc
	v_and_b32_e32 v20, v20, v41
	v_cmp_eq_u32_e32 vcc, v20, v32
	s_and_b64 exec, exec, vcc
	s_cbranch_execz .LBB121_149
; %bb.154:                              ;   in Loop: Header=BB121_152 Depth=2
	ds_write_b64 v11, v[18:19] offset:3072
	s_branch .LBB121_149
.LBB121_155:                            ;   in Loop: Header=BB121_152 Depth=2
	s_mov_b64 s[46:47], -1
                                        ; implicit-def: $vgpr42
                                        ; implicit-def: $vgpr10
	s_mov_b64 s[44:45], -1
	s_branch .LBB121_151
.LBB121_156:                            ;   in Loop: Header=BB121_20 Depth=1
	s_or_b64 exec, exec, s[36:37]
	s_and_b64 s[36:37], s[42:43], exec
.LBB121_157:                            ;   in Loop: Header=BB121_20 Depth=1
	s_or_b64 exec, exec, s[40:41]
.LBB121_158:                            ;   in Loop: Header=BB121_20 Depth=1
	s_and_b64 vcc, exec, s[38:39]
	s_cbranch_vccz .LBB121_170
; %bb.159:                              ;   in Loop: Header=BB121_20 Depth=1
                                        ; implicit-def: $vgpr21
	s_and_saveexec_b64 s[28:29], s[20:21]
	s_cbranch_execz .LBB121_169
; %bb.160:                              ;   in Loop: Header=BB121_20 Depth=1
	s_mov_b64 s[30:31], 0
	v_mov_b32_e32 v10, v8
	v_mov_b32_e32 v42, v0
                                        ; implicit-def: $sgpr38_sgpr39
	s_branch .LBB121_164
.LBB121_161:                            ;   in Loop: Header=BB121_164 Depth=2
	s_or_b64 exec, exec, s[40:41]
	s_waitcnt lgkmcnt(0)
	s_barrier
	ds_read_b64 v[20:21], v11 offset:3072
	s_waitcnt lgkmcnt(0)
	s_barrier
	v_cmp_eq_f32_e32 vcc, 0, v20
	s_cbranch_vccz .LBB121_167
; %bb.162:                              ;   in Loop: Header=BB121_164 Depth=2
	v_add_u32_e32 v42, s67, v42
	v_cmp_le_u32_e32 vcc, s91, v42
	v_add_u32_e32 v10, s65, v10
	s_mov_b64 s[40:41], 0
	s_orn2_b64 s[42:43], vcc, exec
.LBB121_163:                            ;   in Loop: Header=BB121_164 Depth=2
	s_and_b64 s[42:43], exec, s[42:43]
	s_or_b64 s[30:31], s[42:43], s[30:31]
	s_andn2_b64 s[38:39], s[38:39], exec
	s_and_b64 s[40:41], s[40:41], exec
	s_or_b64 s[38:39], s[38:39], s[40:41]
	s_andn2_b64 exec, exec, s[30:31]
	s_cbranch_execz .LBB121_168
.LBB121_164:                            ;   Parent Loop BB121_20 Depth=1
                                        ; =>  This Inner Loop Header: Depth=2
	v_cmp_gt_u32_e32 vcc, s64, v42
	s_and_saveexec_b64 s[40:41], vcc
	s_cbranch_execz .LBB121_161
; %bb.165:                              ;   in Loop: Header=BB121_164 Depth=2
	v_lshl_add_u64 v[20:21], v[10:11], 2, v[6:7]
	global_load_dword v19, v[20:21], off
	s_waitcnt vmcnt(0)
	v_cmp_lt_i32_e32 vcc, -1, v19
	s_nop 1
	v_cndmask_b32_e32 v20, -1, v38, vcc
	v_xor_b32_e32 v20, v20, v19
	v_cmp_o_f32_e32 vcc, v19, v19
	s_nop 1
	v_cndmask_b32_e32 v20, -1, v20, vcc
	v_and_b32_e32 v20, v20, v41
	v_cmp_eq_u32_e32 vcc, v20, v32
	s_and_b64 exec, exec, vcc
	s_cbranch_execz .LBB121_161
; %bb.166:                              ;   in Loop: Header=BB121_164 Depth=2
	ds_write_b64 v11, v[18:19] offset:3072
	s_branch .LBB121_161
.LBB121_167:                            ;   in Loop: Header=BB121_164 Depth=2
	s_mov_b64 s[42:43], -1
                                        ; implicit-def: $vgpr42
	s_mov_b64 s[40:41], -1
	s_branch .LBB121_163
.LBB121_168:                            ;   in Loop: Header=BB121_20 Depth=1
	s_or_b64 exec, exec, s[30:31]
	s_andn2_b64 s[30:31], s[36:37], exec
	s_and_b64 s[36:37], s[38:39], exec
	s_or_b64 s[36:37], s[30:31], s[36:37]
.LBB121_169:                            ;   in Loop: Header=BB121_20 Depth=1
	s_or_b64 exec, exec, s[28:29]
	s_mov_b64 s[28:29], 0
	s_mov_b64 s[30:31], -1
.LBB121_170:                            ;   in Loop: Header=BB121_20 Depth=1
	s_orn2_b64 s[36:37], s[36:37], exec
.LBB121_171:                            ;   in Loop: Header=BB121_20 Depth=1
	s_or_b64 exec, exec, s[34:35]
	s_mov_b64 s[38:39], 0
	s_and_saveexec_b64 s[34:35], s[36:37]
	s_cbranch_execz .LBB121_264
; %bb.172:                              ;   in Loop: Header=BB121_20 Depth=1
	s_xor_b64 s[36:37], s[14:15], -1
	s_mov_b64 s[42:43], 0
	v_mov_b32_e32 v42, 1
	v_mov_b32_e32 v3, 1
	s_and_saveexec_b64 s[14:15], s[36:37]
	s_cbranch_execz .LBB121_181
; %bb.173:                              ;   in Loop: Header=BB121_20 Depth=1
	v_cmp_ge_u32_e32 vcc, s33, v5
	s_and_saveexec_b64 s[36:37], vcc
	s_xor_b64 s[36:37], exec, s[36:37]
	s_cbranch_execz .LBB121_178
; %bb.174:                              ;   in Loop: Header=BB121_20 Depth=1
	ds_read_b32 v3, v11 offset:4104
	v_and_b32_e32 v10, v32, v4
	v_lshl_or_b32 v32, 1, v39, v10
	v_or_b32_e32 v41, v41, v2
	s_waitcnt lgkmcnt(0)
	v_cmp_ne_u32_e32 vcc, 0, v3
	s_cbranch_vccnz .LBB121_178
; %bb.175:                              ;   in Loop: Header=BB121_20 Depth=1
	s_and_saveexec_b64 s[38:39], s[24:25]
; %bb.176:                              ;   in Loop: Header=BB121_20 Depth=1
	v_mov_b32_e32 v3, s33
	ds_write_b32 v11, v3 offset:4108
; %bb.177:                              ;   in Loop: Header=BB121_20 Depth=1
	s_or_b64 exec, exec, s[38:39]
	s_waitcnt lgkmcnt(0)
	s_barrier
.LBB121_178:                            ;   in Loop: Header=BB121_20 Depth=1
	s_or_saveexec_b64 s[36:37], s[36:37]
	s_mov_b64 s[38:39], 0
	v_mov_b32_e32 v3, 8
	s_xor_b64 exec, exec, s[36:37]
; %bb.179:                              ;   in Loop: Header=BB121_20 Depth=1
	s_mov_b64 s[38:39], exec
	v_subrev_u32_e32 v5, s33, v5
	v_mov_b32_e32 v3, 0
; %bb.180:                              ;   in Loop: Header=BB121_20 Depth=1
	s_or_b64 exec, exec, s[36:37]
	s_and_b64 s[42:43], s[38:39], exec
	v_mov_b32_e32 v42, v5
.LBB121_181:                            ;   in Loop: Header=BB121_20 Depth=1
	s_or_b64 exec, exec, s[14:15]
	s_mov_b64 s[14:15], -1
                                        ; implicit-def: $sgpr38_sgpr39
                                        ; implicit-def: $sgpr40_sgpr41
	s_and_saveexec_b64 s[36:37], s[42:43]
	s_cbranch_execz .LBB121_263
; %bb.182:                              ;   in Loop: Header=BB121_20 Depth=1
	s_cmp_eq_u32 s56, 1
	s_cselect_b64 s[14:15], -1, 0
	v_cmp_eq_u32_e32 vcc, 1, v42
	s_and_b64 s[14:15], s[14:15], vcc
	s_mov_b64 s[44:45], -1
                                        ; implicit-def: $sgpr40_sgpr41
                                        ; implicit-def: $sgpr38_sgpr39
	s_and_saveexec_b64 s[42:43], s[14:15]
	s_cbranch_execz .LBB121_210
; %bb.183:                              ;   in Loop: Header=BB121_20 Depth=1
	ds_read_b32 v5, v11 offset:4104
	s_waitcnt lgkmcnt(0)
	s_barrier
	v_readfirstlane_b32 s33, v5
	s_and_saveexec_b64 s[38:39], s[6:7]
; %bb.184:                              ;   in Loop: Header=BB121_20 Depth=1
	ds_write_b32 v23, v11
; %bb.185:                              ;   in Loop: Header=BB121_20 Depth=1
	s_or_b64 exec, exec, s[38:39]
	v_and_b32_e32 v5, v32, v4
	v_lshl_or_b32 v32, 2, v39, v5
	v_or_b32_e32 v41, v41, v2
	s_mov_b64 s[38:39], -1
	s_mov_b64 s[40:41], 0
	s_cmp_eq_u32 s33, 0
	s_mov_b64 s[44:45], 0
	s_mov_b64 s[46:47], -1
	s_waitcnt lgkmcnt(0)
	s_barrier
                                        ; implicit-def: $vgpr21
	s_cbranch_scc1 .LBB121_197
; %bb.186:                              ;   in Loop: Header=BB121_20 Depth=1
	s_add_i32 s44, s33, s89
	s_mul_hi_u32 s45, s44, s90
	s_mul_i32 s45, s45, s67
	s_sub_i32 s45, s44, s45
	s_sub_i32 s46, s45, s67
	s_cmp_ge_u32 s45, s67
	s_cselect_b32 s45, s46, s45
	s_sub_i32 s46, s45, s67
	s_cmp_ge_u32 s45, s67
	s_cselect_b32 s45, s46, s45
	s_sub_i32 s57, s44, s45
	v_cmp_gt_u32_e32 vcc, s57, v0
	s_mov_b64 s[46:47], 0
	s_mov_b64 s[44:45], 0
                                        ; implicit-def: $vgpr21
	s_and_saveexec_b64 s[48:49], vcc
	s_cbranch_execz .LBB121_196
; %bb.187:                              ;   in Loop: Header=BB121_20 Depth=1
	v_mov_b32_e32 v5, v15
	v_mov_b32_e32 v10, v0
                                        ; implicit-def: $sgpr50_sgpr51
	s_branch .LBB121_191
.LBB121_188:                            ;   in Loop: Header=BB121_191 Depth=2
	s_or_b64 exec, exec, s[52:53]
	s_waitcnt lgkmcnt(0)
	s_barrier
	ds_read_b64 v[20:21], v11 offset:3072
	s_waitcnt lgkmcnt(0)
	s_barrier
	v_cmp_neq_f32_e32 vcc, 0, v20
	s_cbranch_vccnz .LBB121_194
; %bb.189:                              ;   in Loop: Header=BB121_191 Depth=2
	v_add_u32_e32 v10, s67, v10
	v_cmp_le_u32_e32 vcc, s57, v10
	v_add_u32_e32 v5, s88, v5
	s_mov_b64 s[52:53], 0
	s_orn2_b64 s[54:55], vcc, exec
.LBB121_190:                            ;   in Loop: Header=BB121_191 Depth=2
	s_and_b64 s[54:55], exec, s[54:55]
	s_or_b64 s[44:45], s[54:55], s[44:45]
	s_andn2_b64 s[50:51], s[50:51], exec
	s_and_b64 s[52:53], s[52:53], exec
	s_or_b64 s[50:51], s[50:51], s[52:53]
	s_andn2_b64 exec, exec, s[44:45]
	s_cbranch_execz .LBB121_195
.LBB121_191:                            ;   Parent Loop BB121_20 Depth=1
                                        ; =>  This Inner Loop Header: Depth=2
	v_cmp_gt_u32_e32 vcc, s33, v10
	s_and_saveexec_b64 s[52:53], vcc
	s_cbranch_execz .LBB121_188
; %bb.192:                              ;   in Loop: Header=BB121_191 Depth=2
	ds_read_b32 v19, v5
	s_waitcnt lgkmcnt(0)
	v_cmp_lt_i32_e32 vcc, -1, v19
	s_nop 1
	v_cndmask_b32_e32 v20, -1, v38, vcc
	v_xor_b32_e32 v20, v20, v19
	v_cmp_o_f32_e32 vcc, v19, v19
	s_nop 1
	v_cndmask_b32_e32 v20, -1, v20, vcc
	v_and_b32_e32 v20, v20, v41
	v_cmp_eq_u32_e32 vcc, v20, v32
	s_and_b64 exec, exec, vcc
	s_cbranch_execz .LBB121_188
; %bb.193:                              ;   in Loop: Header=BB121_191 Depth=2
	ds_write_b64 v11, v[18:19] offset:3072
	s_branch .LBB121_188
.LBB121_194:                            ;   in Loop: Header=BB121_191 Depth=2
	s_mov_b64 s[54:55], -1
                                        ; implicit-def: $vgpr10
                                        ; implicit-def: $vgpr5
	s_mov_b64 s[52:53], -1
	s_branch .LBB121_190
.LBB121_195:                            ;   in Loop: Header=BB121_20 Depth=1
	s_or_b64 exec, exec, s[44:45]
	s_and_b64 s[44:45], s[50:51], exec
.LBB121_196:                            ;   in Loop: Header=BB121_20 Depth=1
	s_or_b64 exec, exec, s[48:49]
.LBB121_197:                            ;   in Loop: Header=BB121_20 Depth=1
	s_and_b64 vcc, exec, s[46:47]
	s_cbranch_vccz .LBB121_209
; %bb.198:                              ;   in Loop: Header=BB121_20 Depth=1
                                        ; implicit-def: $vgpr21
	s_and_saveexec_b64 s[38:39], s[20:21]
	s_cbranch_execz .LBB121_208
; %bb.199:                              ;   in Loop: Header=BB121_20 Depth=1
	s_mov_b64 s[40:41], 0
	v_mov_b32_e32 v10, v8
	v_mov_b32_e32 v5, v0
                                        ; implicit-def: $sgpr46_sgpr47
	s_branch .LBB121_203
.LBB121_200:                            ;   in Loop: Header=BB121_203 Depth=2
	s_or_b64 exec, exec, s[48:49]
	s_waitcnt lgkmcnt(0)
	s_barrier
	ds_read_b64 v[20:21], v11 offset:3072
	s_waitcnt lgkmcnt(0)
	s_barrier
	v_cmp_eq_f32_e32 vcc, 0, v20
	s_cbranch_vccz .LBB121_206
; %bb.201:                              ;   in Loop: Header=BB121_203 Depth=2
	v_add_u32_e32 v5, s67, v5
	v_cmp_le_u32_e32 vcc, s91, v5
	v_add_u32_e32 v10, s65, v10
	s_mov_b64 s[48:49], 0
	s_orn2_b64 s[50:51], vcc, exec
.LBB121_202:                            ;   in Loop: Header=BB121_203 Depth=2
	s_and_b64 s[50:51], exec, s[50:51]
	s_or_b64 s[40:41], s[50:51], s[40:41]
	s_andn2_b64 s[46:47], s[46:47], exec
	s_and_b64 s[48:49], s[48:49], exec
	s_or_b64 s[46:47], s[46:47], s[48:49]
	s_andn2_b64 exec, exec, s[40:41]
	s_cbranch_execz .LBB121_207
.LBB121_203:                            ;   Parent Loop BB121_20 Depth=1
                                        ; =>  This Inner Loop Header: Depth=2
	v_cmp_gt_u32_e32 vcc, s64, v5
	s_and_saveexec_b64 s[48:49], vcc
	s_cbranch_execz .LBB121_200
; %bb.204:                              ;   in Loop: Header=BB121_203 Depth=2
	v_lshl_add_u64 v[20:21], v[10:11], 2, v[6:7]
	global_load_dword v19, v[20:21], off
	s_waitcnt vmcnt(0)
	v_cmp_lt_i32_e32 vcc, -1, v19
	s_nop 1
	v_cndmask_b32_e32 v20, -1, v38, vcc
	v_xor_b32_e32 v20, v20, v19
	v_cmp_o_f32_e32 vcc, v19, v19
	s_nop 1
	v_cndmask_b32_e32 v20, -1, v20, vcc
	v_and_b32_e32 v20, v20, v41
	v_cmp_eq_u32_e32 vcc, v20, v32
	s_and_b64 exec, exec, vcc
	s_cbranch_execz .LBB121_200
; %bb.205:                              ;   in Loop: Header=BB121_203 Depth=2
	ds_write_b64 v11, v[18:19] offset:3072
	s_branch .LBB121_200
.LBB121_206:                            ;   in Loop: Header=BB121_203 Depth=2
	s_mov_b64 s[50:51], -1
                                        ; implicit-def: $vgpr5
	s_mov_b64 s[48:49], -1
	s_branch .LBB121_202
.LBB121_207:                            ;   in Loop: Header=BB121_20 Depth=1
	s_or_b64 exec, exec, s[40:41]
	s_andn2_b64 s[40:41], s[44:45], exec
	s_and_b64 s[44:45], s[46:47], exec
	s_or_b64 s[44:45], s[40:41], s[44:45]
.LBB121_208:                            ;   in Loop: Header=BB121_20 Depth=1
	s_or_b64 exec, exec, s[38:39]
	s_mov_b64 s[38:39], 0
	s_mov_b64 s[40:41], -1
.LBB121_209:                            ;   in Loop: Header=BB121_20 Depth=1
	s_orn2_b64 s[44:45], s[44:45], exec
.LBB121_210:                            ;   in Loop: Header=BB121_20 Depth=1
	s_or_b64 exec, exec, s[42:43]
	s_mov_b64 s[46:47], 0
	s_and_saveexec_b64 s[42:43], s[44:45]
	s_cbranch_execz .LBB121_262
; %bb.211:                              ;   in Loop: Header=BB121_20 Depth=1
	s_xor_b64 s[44:45], s[14:15], -1
	s_mov_b64 s[50:51], 0
	v_mov_b32_e32 v5, 1
	v_mov_b32_e32 v3, 1
	s_and_saveexec_b64 s[14:15], s[44:45]
	s_cbranch_execz .LBB121_220
; %bb.212:                              ;   in Loop: Header=BB121_20 Depth=1
	v_cmp_ge_u32_e32 vcc, s56, v42
	s_and_saveexec_b64 s[44:45], vcc
	s_xor_b64 s[44:45], exec, s[44:45]
	s_cbranch_execz .LBB121_217
; %bb.213:                              ;   in Loop: Header=BB121_20 Depth=1
	ds_read_b32 v3, v11 offset:4104
	v_and_b32_e32 v4, v32, v4
	v_lshl_or_b32 v32, 2, v39, v4
	v_or_b32_e32 v41, v41, v2
	s_waitcnt lgkmcnt(0)
	v_cmp_ne_u32_e32 vcc, 0, v3
	s_cbranch_vccnz .LBB121_217
; %bb.214:                              ;   in Loop: Header=BB121_20 Depth=1
	s_and_saveexec_b64 s[46:47], s[24:25]
; %bb.215:                              ;   in Loop: Header=BB121_20 Depth=1
	v_mov_b32_e32 v3, s56
	ds_write_b32 v11, v3 offset:4108
; %bb.216:                              ;   in Loop: Header=BB121_20 Depth=1
	s_or_b64 exec, exec, s[46:47]
	s_waitcnt lgkmcnt(0)
	s_barrier
.LBB121_217:                            ;   in Loop: Header=BB121_20 Depth=1
	s_or_saveexec_b64 s[44:45], s[44:45]
	s_mov_b64 s[46:47], 0
	v_mov_b32_e32 v3, 8
	s_xor_b64 exec, exec, s[44:45]
; %bb.218:                              ;   in Loop: Header=BB121_20 Depth=1
	s_mov_b64 s[46:47], exec
	v_subrev_u32_e32 v42, s56, v42
	v_mov_b32_e32 v3, 0
; %bb.219:                              ;   in Loop: Header=BB121_20 Depth=1
	s_or_b64 exec, exec, s[44:45]
	s_and_b64 s[50:51], s[46:47], exec
	v_mov_b32_e32 v5, v42
.LBB121_220:                            ;   in Loop: Header=BB121_20 Depth=1
	s_or_b64 exec, exec, s[14:15]
	s_mov_b64 s[48:49], -1
                                        ; implicit-def: $sgpr46_sgpr47
                                        ; implicit-def: $sgpr14_sgpr15
	s_and_saveexec_b64 s[44:45], s[50:51]
	s_cbranch_execz .LBB121_261
; %bb.221:                              ;   in Loop: Header=BB121_20 Depth=1
	s_cmp_eq_u32 s72, 1
	s_cselect_b64 s[14:15], -1, 0
	v_cmp_eq_u32_e32 vcc, 1, v5
	s_and_b64 s[48:49], s[14:15], vcc
	s_mov_b64 s[52:53], -1
                                        ; implicit-def: $sgpr46_sgpr47
                                        ; implicit-def: $sgpr14_sgpr15
	s_and_saveexec_b64 s[50:51], s[48:49]
	s_cbranch_execz .LBB121_249
; %bb.222:                              ;   in Loop: Header=BB121_20 Depth=1
	ds_read_b32 v4, v11 offset:4104
	s_waitcnt lgkmcnt(0)
	s_barrier
	v_readfirstlane_b32 s33, v4
	s_and_saveexec_b64 s[14:15], s[6:7]
; %bb.223:                              ;   in Loop: Header=BB121_20 Depth=1
	ds_write_b32 v23, v11
; %bb.224:                              ;   in Loop: Header=BB121_20 Depth=1
	s_or_b64 exec, exec, s[14:15]
	v_or_b32_e32 v32, v32, v2
	v_or_b32_e32 v41, v41, v2
	s_mov_b64 s[14:15], -1
	s_mov_b64 s[46:47], 0
	s_cmp_eq_u32 s33, 0
	s_mov_b64 s[52:53], 0
	s_mov_b64 s[54:55], -1
	s_waitcnt lgkmcnt(0)
	s_barrier
                                        ; implicit-def: $vgpr21
	s_cbranch_scc1 .LBB121_236
; %bb.225:                              ;   in Loop: Header=BB121_20 Depth=1
	s_add_i32 s52, s33, s89
	s_mul_hi_u32 s53, s52, s90
	s_mul_i32 s53, s53, s67
	s_sub_i32 s53, s52, s53
	s_sub_i32 s54, s53, s67
	s_cmp_ge_u32 s53, s67
	s_cselect_b32 s53, s54, s53
	s_sub_i32 s54, s53, s67
	s_cmp_ge_u32 s53, s67
	s_cselect_b32 s53, s54, s53
	s_sub_i32 s73, s52, s53
	v_cmp_gt_u32_e32 vcc, s73, v0
	s_mov_b64 s[54:55], 0
	s_mov_b64 s[52:53], 0
                                        ; implicit-def: $vgpr21
	s_and_saveexec_b64 s[56:57], vcc
	s_cbranch_execz .LBB121_235
; %bb.226:                              ;   in Loop: Header=BB121_20 Depth=1
	v_mov_b32_e32 v4, v15
	v_mov_b32_e32 v10, v0
                                        ; implicit-def: $sgpr58_sgpr59
	s_branch .LBB121_230
.LBB121_227:                            ;   in Loop: Header=BB121_230 Depth=2
	s_or_b64 exec, exec, s[60:61]
	s_waitcnt lgkmcnt(0)
	s_barrier
	ds_read_b64 v[20:21], v11 offset:3072
	s_waitcnt lgkmcnt(0)
	s_barrier
	v_cmp_neq_f32_e32 vcc, 0, v20
	s_cbranch_vccnz .LBB121_233
; %bb.228:                              ;   in Loop: Header=BB121_230 Depth=2
	v_add_u32_e32 v10, s67, v10
	v_cmp_le_u32_e32 vcc, s73, v10
	v_add_u32_e32 v4, s88, v4
	s_mov_b64 s[60:61], 0
	s_orn2_b64 s[62:63], vcc, exec
.LBB121_229:                            ;   in Loop: Header=BB121_230 Depth=2
	s_and_b64 s[62:63], exec, s[62:63]
	s_or_b64 s[52:53], s[62:63], s[52:53]
	s_andn2_b64 s[58:59], s[58:59], exec
	s_and_b64 s[60:61], s[60:61], exec
	s_or_b64 s[58:59], s[58:59], s[60:61]
	s_andn2_b64 exec, exec, s[52:53]
	s_cbranch_execz .LBB121_234
.LBB121_230:                            ;   Parent Loop BB121_20 Depth=1
                                        ; =>  This Inner Loop Header: Depth=2
	v_cmp_gt_u32_e32 vcc, s33, v10
	s_and_saveexec_b64 s[60:61], vcc
	s_cbranch_execz .LBB121_227
; %bb.231:                              ;   in Loop: Header=BB121_230 Depth=2
	ds_read_b32 v19, v4
	s_waitcnt lgkmcnt(0)
	v_cmp_lt_i32_e32 vcc, -1, v19
	s_nop 1
	v_cndmask_b32_e32 v20, -1, v38, vcc
	v_xor_b32_e32 v20, v20, v19
	v_cmp_o_f32_e32 vcc, v19, v19
	s_nop 1
	v_cndmask_b32_e32 v20, -1, v20, vcc
	v_and_b32_e32 v20, v20, v41
	v_cmp_eq_u32_e32 vcc, v20, v32
	s_and_b64 exec, exec, vcc
	s_cbranch_execz .LBB121_227
; %bb.232:                              ;   in Loop: Header=BB121_230 Depth=2
	ds_write_b64 v11, v[18:19] offset:3072
	s_branch .LBB121_227
.LBB121_233:                            ;   in Loop: Header=BB121_230 Depth=2
	s_mov_b64 s[62:63], -1
                                        ; implicit-def: $vgpr10
                                        ; implicit-def: $vgpr4
	s_mov_b64 s[60:61], -1
	s_branch .LBB121_229
.LBB121_234:                            ;   in Loop: Header=BB121_20 Depth=1
	s_or_b64 exec, exec, s[52:53]
	s_and_b64 s[52:53], s[58:59], exec
.LBB121_235:                            ;   in Loop: Header=BB121_20 Depth=1
	s_or_b64 exec, exec, s[56:57]
.LBB121_236:                            ;   in Loop: Header=BB121_20 Depth=1
	s_and_b64 vcc, exec, s[54:55]
	s_cbranch_vccz .LBB121_248
; %bb.237:                              ;   in Loop: Header=BB121_20 Depth=1
                                        ; implicit-def: $vgpr21
	s_and_saveexec_b64 s[14:15], s[20:21]
	s_cbranch_execz .LBB121_247
; %bb.238:                              ;   in Loop: Header=BB121_20 Depth=1
	s_mov_b64 s[46:47], 0
	v_mov_b32_e32 v10, v8
	v_mov_b32_e32 v4, v0
                                        ; implicit-def: $sgpr54_sgpr55
	s_branch .LBB121_242
.LBB121_239:                            ;   in Loop: Header=BB121_242 Depth=2
	s_or_b64 exec, exec, s[56:57]
	s_waitcnt lgkmcnt(0)
	s_barrier
	ds_read_b64 v[20:21], v11 offset:3072
	s_waitcnt lgkmcnt(0)
	s_barrier
	v_cmp_eq_f32_e32 vcc, 0, v20
	s_cbranch_vccz .LBB121_245
; %bb.240:                              ;   in Loop: Header=BB121_242 Depth=2
	v_add_u32_e32 v4, s67, v4
	v_cmp_le_u32_e32 vcc, s91, v4
	v_add_u32_e32 v10, s65, v10
	s_mov_b64 s[56:57], 0
	s_orn2_b64 s[58:59], vcc, exec
.LBB121_241:                            ;   in Loop: Header=BB121_242 Depth=2
	s_and_b64 s[58:59], exec, s[58:59]
	s_or_b64 s[46:47], s[58:59], s[46:47]
	s_andn2_b64 s[54:55], s[54:55], exec
	s_and_b64 s[56:57], s[56:57], exec
	s_or_b64 s[54:55], s[54:55], s[56:57]
	s_andn2_b64 exec, exec, s[46:47]
	s_cbranch_execz .LBB121_246
.LBB121_242:                            ;   Parent Loop BB121_20 Depth=1
                                        ; =>  This Inner Loop Header: Depth=2
	v_cmp_gt_u32_e32 vcc, s64, v4
	s_and_saveexec_b64 s[56:57], vcc
	s_cbranch_execz .LBB121_239
; %bb.243:                              ;   in Loop: Header=BB121_242 Depth=2
	v_lshl_add_u64 v[20:21], v[10:11], 2, v[6:7]
	global_load_dword v19, v[20:21], off
	s_waitcnt vmcnt(0)
	v_cmp_lt_i32_e32 vcc, -1, v19
	s_nop 1
	v_cndmask_b32_e32 v20, -1, v38, vcc
	v_xor_b32_e32 v20, v20, v19
	v_cmp_o_f32_e32 vcc, v19, v19
	s_nop 1
	v_cndmask_b32_e32 v20, -1, v20, vcc
	v_and_b32_e32 v20, v20, v41
	v_cmp_eq_u32_e32 vcc, v20, v32
	s_and_b64 exec, exec, vcc
	s_cbranch_execz .LBB121_239
; %bb.244:                              ;   in Loop: Header=BB121_242 Depth=2
	ds_write_b64 v11, v[18:19] offset:3072
	s_branch .LBB121_239
.LBB121_245:                            ;   in Loop: Header=BB121_242 Depth=2
	s_mov_b64 s[58:59], -1
                                        ; implicit-def: $vgpr4
	s_mov_b64 s[56:57], -1
	s_branch .LBB121_241
.LBB121_246:                            ;   in Loop: Header=BB121_20 Depth=1
	s_or_b64 exec, exec, s[46:47]
	s_andn2_b64 s[46:47], s[52:53], exec
	s_and_b64 s[52:53], s[54:55], exec
	s_or_b64 s[52:53], s[46:47], s[52:53]
.LBB121_247:                            ;   in Loop: Header=BB121_20 Depth=1
	s_or_b64 exec, exec, s[14:15]
	s_mov_b64 s[14:15], 0
	s_mov_b64 s[46:47], -1
.LBB121_248:                            ;   in Loop: Header=BB121_20 Depth=1
	s_orn2_b64 s[52:53], s[52:53], exec
.LBB121_249:                            ;   in Loop: Header=BB121_20 Depth=1
	s_or_b64 exec, exec, s[50:51]
	s_mov_b64 s[54:55], 0
	s_and_saveexec_b64 s[50:51], s[52:53]
	s_cbranch_execz .LBB121_260
; %bb.250:                              ;   in Loop: Header=BB121_20 Depth=1
	s_xor_b64 s[52:53], s[48:49], -1
	v_mov_b32_e32 v3, 1
	v_mov_b32_e32 v4, 1
	s_and_saveexec_b64 s[48:49], s[52:53]
	s_cbranch_execz .LBB121_259
; %bb.251:                              ;   in Loop: Header=BB121_20 Depth=1
	v_cmp_ge_u32_e32 vcc, s72, v5
	s_and_saveexec_b64 s[52:53], vcc
	s_xor_b64 s[52:53], exec, s[52:53]
	s_cbranch_execz .LBB121_256
; %bb.252:                              ;   in Loop: Header=BB121_20 Depth=1
	ds_read_b32 v3, v11 offset:4104
	v_or_b32_e32 v32, v32, v2
	v_or_b32_e32 v41, v41, v2
	s_waitcnt lgkmcnt(0)
	v_cmp_ne_u32_e32 vcc, 0, v3
	s_cbranch_vccnz .LBB121_256
; %bb.253:                              ;   in Loop: Header=BB121_20 Depth=1
	s_and_saveexec_b64 s[54:55], s[24:25]
; %bb.254:                              ;   in Loop: Header=BB121_20 Depth=1
	v_mov_b32_e32 v2, s72
	ds_write_b32 v11, v2 offset:4108
; %bb.255:                              ;   in Loop: Header=BB121_20 Depth=1
	s_or_b64 exec, exec, s[54:55]
	s_waitcnt lgkmcnt(0)
	s_barrier
.LBB121_256:                            ;   in Loop: Header=BB121_20 Depth=1
	s_andn2_saveexec_b64 s[52:53], s[52:53]
; %bb.257:                              ;   in Loop: Header=BB121_20 Depth=1
	v_subrev_u32_e32 v5, s72, v5
; %bb.258:                              ;   in Loop: Header=BB121_20 Depth=1
	s_or_b64 exec, exec, s[52:53]
	v_mov_b32_e32 v3, 8
	v_mov_b32_e32 v4, v5
.LBB121_259:                            ;   in Loop: Header=BB121_20 Depth=1
	s_or_b64 exec, exec, s[48:49]
	s_mov_b64 s[54:55], exec
	v_mov_b32_e32 v5, v4
.LBB121_260:                            ;   in Loop: Header=BB121_20 Depth=1
	s_or_b64 exec, exec, s[50:51]
	s_orn2_b64 s[48:49], s[54:55], exec
.LBB121_261:                            ;   in Loop: Header=BB121_20 Depth=1
	s_or_b64 exec, exec, s[44:45]
	s_andn2_b64 s[40:41], s[40:41], exec
	s_and_b64 s[44:45], s[46:47], exec
	s_andn2_b64 s[38:39], s[38:39], exec
	s_and_b64 s[14:15], s[14:15], exec
	s_or_b64 s[40:41], s[40:41], s[44:45]
	s_or_b64 s[38:39], s[38:39], s[14:15]
	s_and_b64 s[46:47], s[48:49], exec
	v_mov_b32_e32 v42, v5
.LBB121_262:                            ;   in Loop: Header=BB121_20 Depth=1
	s_or_b64 exec, exec, s[42:43]
	s_orn2_b64 s[14:15], s[46:47], exec
.LBB121_263:                            ;   in Loop: Header=BB121_20 Depth=1
	s_or_b64 exec, exec, s[36:37]
	s_andn2_b64 s[30:31], s[30:31], exec
	s_and_b64 s[36:37], s[40:41], exec
	s_or_b64 s[30:31], s[30:31], s[36:37]
	s_andn2_b64 s[28:29], s[28:29], exec
	s_and_b64 s[36:37], s[38:39], exec
	s_or_b64 s[28:29], s[28:29], s[36:37]
	s_and_b64 s[38:39], s[14:15], exec
	v_mov_b32_e32 v5, v42
.LBB121_264:                            ;   in Loop: Header=BB121_20 Depth=1
	s_or_b64 exec, exec, s[34:35]
	s_orn2_b64 s[14:15], s[38:39], exec
.LBB121_265:                            ;   in Loop: Header=BB121_20 Depth=1
	s_or_b64 exec, exec, s[26:27]
	s_mov_b64 s[26:27], 0
                                        ; implicit-def: $sgpr36
	s_and_saveexec_b64 s[34:35], s[14:15]
	s_xor_b64 s[14:15], exec, s[34:35]
	s_cbranch_execz .LBB121_18
; %bb.266:                              ;   in Loop: Header=BB121_20 Depth=1
	v_and_b32_e32 v2, 7, v3
	v_cmp_eq_u32_e32 vcc, 0, v2
	s_mov_b64 s[22:23], -1
	s_mov_b64 s[26:27], -1
                                        ; implicit-def: $sgpr36
	s_and_saveexec_b64 s[34:35], vcc
	s_cbranch_execz .LBB121_17
; %bb.267:                              ;   in Loop: Header=BB121_20 Depth=1
	v_add_u32_e32 v2, -2, v39
	v_cmp_eq_u32_e32 vcc, 0, v39
	s_xor_b32 s36, s8, 1
	s_xor_b64 s[26:27], exec, -1
	s_orn2_b64 s[22:23], vcc, exec
	v_mov_b32_e32 v39, v2
	s_branch .LBB121_17
.LBB121_268:
	s_or_b64 exec, exec, s[94:95]
	s_xor_b64 s[8:9], s[68:69], -1
	s_xor_b64 s[2:3], s[96:97], -1
	;; [unrolled: 1-line block ×3, first 2 shown]
	s_mov_b64 s[4:5], 0
	s_and_saveexec_b64 s[10:11], s[2:3]
	s_xor_b64 s[2:3], exec, s[10:11]
	s_cbranch_execnz .LBB121_273
; %bb.269:
	s_andn2_saveexec_b64 s[0:1], s[2:3]
	s_cbranch_execnz .LBB121_286
.LBB121_270:
	s_or_b64 exec, exec, s[0:1]
	s_and_saveexec_b64 s[0:1], s[4:5]
.LBB121_271:
	; divergent unreachable
.LBB121_272:
	s_endpgm
.LBB121_273:
	s_and_saveexec_b64 s[4:5], s[8:9]
	s_xor_b64 s[4:5], exec, s[4:5]
	s_cbranch_execz .LBB121_284
; %bb.274:
	s_and_saveexec_b64 s[8:9], s[6:7]
	s_xor_b64 s[6:7], exec, s[8:9]
; %bb.275:
	v_bfrev_b32_e32 v1, 1
	v_cmp_lt_i32_e32 vcc, -1, v32
	s_nop 1
	v_cndmask_b32_e64 v1, v1, -1, vcc
	v_xor_b32_e32 v21, v1, v32
; %bb.276:
	s_or_b64 exec, exec, s[6:7]
	v_readlane_b32 s9, v70, 8
	v_readlane_b32 s10, v70, 9
	s_mul_i32 s6, s10, s9
	s_sub_i32 s6, s87, s6
	s_add_i32 s7, s10, 1
	s_sub_i32 s8, s6, s9
	s_cmp_ge_u32 s6, s9
	s_cselect_b32 s7, s7, s10
	s_cselect_b32 s6, s8, s6
	s_add_i32 s8, s7, 1
	s_cmp_ge_u32 s6, s9
	s_cselect_b32 s6, s8, s7
	s_mul_i32 s7, s6, s9
	v_readlane_b32 s8, v70, 4
	s_sub_i32 s7, s87, s7
	v_readlane_b32 s9, v70, 5
	s_mul_i32 s7, s7, s9
	s_mul_i32 s6, s6, s8
	s_add_i32 s6, s6, s7
	s_mov_b32 s7, 0
	s_lshl_b64 s[6:7], s[6:7], 2
	v_readlane_b32 s8, v70, 6
	v_readlane_b32 s9, v70, 7
	s_add_u32 s6, s8, s6
	s_addc_u32 s7, s9, s7
	v_mov_b32_e32 v9, 0
	global_store_dword v9, v21, s[6:7]
	s_and_saveexec_b64 s[6:7], s[0:1]
	s_cbranch_execz .LBB121_283
; %bb.277:
	v_cmp_u_f32_e32 vcc, v21, v21
	s_mov_b64 s[8:9], 0
	s_xor_b64 s[12:13], vcc, -1
                                        ; implicit-def: $sgpr10_sgpr11
                                        ; implicit-def: $sgpr16_sgpr17
                                        ; implicit-def: $sgpr14_sgpr15
	s_branch .LBB121_279
.LBB121_278:                            ;   in Loop: Header=BB121_279 Depth=1
	s_or_b64 exec, exec, s[0:1]
	s_and_b64 s[0:1], exec, s[16:17]
	s_or_b64 s[8:9], s[0:1], s[8:9]
	s_andn2_b64 s[0:1], s[10:11], exec
	s_and_b64 s[10:11], s[14:15], exec
	s_or_b64 s[10:11], s[0:1], s[10:11]
	s_andn2_b64 exec, exec, s[8:9]
	s_cbranch_execz .LBB121_281
.LBB121_279:                            ; =>This Inner Loop Header: Depth=1
	v_lshl_add_u64 v[2:3], v[8:9], 2, v[6:7]
	global_load_dword v1, v[2:3], off
	v_mov_b32_e32 v2, v0
	s_or_b64 s[14:15], s[14:15], exec
	s_or_b64 s[16:17], s[16:17], exec
                                        ; implicit-def: $vgpr0
	s_waitcnt vmcnt(0)
	v_cmp_o_f32_e64 s[0:1], v1, v1
	v_cmp_neq_f32_e32 vcc, v1, v21
	s_or_b64 s[0:1], s[0:1], s[12:13]
	s_and_b64 s[18:19], vcc, s[0:1]
	s_and_saveexec_b64 s[0:1], s[18:19]
	s_cbranch_execz .LBB121_278
; %bb.280:                              ;   in Loop: Header=BB121_279 Depth=1
	v_add_u32_e32 v0, s67, v2
	v_cmp_le_u32_e32 vcc, s64, v0
	s_andn2_b64 s[16:17], s[16:17], exec
	s_and_b64 s[18:19], vcc, exec
	v_add_u32_e32 v8, s65, v8
	s_andn2_b64 s[14:15], s[14:15], exec
	s_or_b64 s[16:17], s[16:17], s[18:19]
	s_branch .LBB121_278
.LBB121_281:
	s_or_b64 exec, exec, s[8:9]
	s_and_saveexec_b64 s[0:1], s[10:11]
	s_xor_b64 s[0:1], exec, s[0:1]
	s_cbranch_execz .LBB121_283
; %bb.282:
	v_readlane_b32 s9, v70, 10
	v_readlane_b32 s10, v70, 11
	s_mul_i32 s0, s10, s9
	s_sub_i32 s0, s87, s0
	s_add_i32 s1, s10, 1
	s_sub_i32 s8, s0, s9
	s_cmp_ge_u32 s0, s9
	s_cselect_b32 s1, s1, s10
	s_cselect_b32 s0, s8, s0
	s_add_i32 s8, s1, 1
	s_cmp_ge_u32 s0, s9
	s_cselect_b32 s0, s8, s1
	s_mul_i32 s1, s0, s9
	v_readlane_b32 s8, v70, 0
	s_sub_i32 s1, s87, s1
	v_readlane_b32 s9, v70, 1
	s_mul_i32 s1, s1, s9
	s_mul_i32 s0, s0, s8
	s_add_i32 s0, s0, s1
	s_mov_b32 s1, 0
	s_lshl_b64 s[0:1], s[0:1], 3
	v_readlane_b32 s8, v70, 2
	v_readlane_b32 s9, v70, 3
	s_add_u32 s0, s8, s0
	s_addc_u32 s1, s9, s1
	v_mov_b32_e32 v3, 0
	global_store_dwordx2 v3, v[2:3], s[0:1]
.LBB121_283:
	s_or_b64 exec, exec, s[6:7]
.LBB121_284:
	s_or_saveexec_b64 s[0:1], s[4:5]
	s_mov_b64 s[4:5], 0
	s_xor_b64 exec, exec, s[0:1]
	s_cbranch_execnz .LBB121_287
.LBB121_285:
	s_or_b64 exec, exec, s[0:1]
	s_and_b64 s[4:5], s[4:5], exec
	s_andn2_saveexec_b64 s[0:1], s[2:3]
	s_cbranch_execz .LBB121_270
.LBB121_286:
	s_or_b64 s[4:5], s[4:5], exec
	s_trap 2
	s_or_b64 exec, exec, s[0:1]
	s_and_saveexec_b64 s[0:1], s[4:5]
	s_cbranch_execnz .LBB121_271
	s_branch .LBB121_272
.LBB121_287:
	s_mov_b64 s[4:5], exec
	s_trap 2
	s_branch .LBB121_285
	.section	.rodata,"a",@progbits
	.p2align	6, 0x0
	.amdhsa_kernel _ZN2at6native12_GLOBAL__N_112gatherMedianIfjLi2EEEvNS_4cuda6detail10TensorInfoIT_T0_EENS5_IlS7_EENS5_IKS6_S7_EES7_S7_S7_b
		.amdhsa_group_segment_fixed_size 4120
		.amdhsa_private_segment_fixed_size 0
		.amdhsa_kernarg_size 920
		.amdhsa_user_sgpr_count 2
		.amdhsa_user_sgpr_dispatch_ptr 0
		.amdhsa_user_sgpr_queue_ptr 0
		.amdhsa_user_sgpr_kernarg_segment_ptr 1
		.amdhsa_user_sgpr_dispatch_id 0
		.amdhsa_user_sgpr_kernarg_preload_length 0
		.amdhsa_user_sgpr_kernarg_preload_offset 0
		.amdhsa_user_sgpr_private_segment_size 0
		.amdhsa_uses_dynamic_stack 0
		.amdhsa_enable_private_segment 0
		.amdhsa_system_sgpr_workgroup_id_x 1
		.amdhsa_system_sgpr_workgroup_id_y 1
		.amdhsa_system_sgpr_workgroup_id_z 1
		.amdhsa_system_sgpr_workgroup_info 0
		.amdhsa_system_vgpr_workitem_id 0
		.amdhsa_next_free_vgpr 71
		.amdhsa_next_free_sgpr 100
		.amdhsa_accum_offset 72
		.amdhsa_reserve_vcc 1
		.amdhsa_float_round_mode_32 0
		.amdhsa_float_round_mode_16_64 0
		.amdhsa_float_denorm_mode_32 3
		.amdhsa_float_denorm_mode_16_64 3
		.amdhsa_dx10_clamp 1
		.amdhsa_ieee_mode 1
		.amdhsa_fp16_overflow 0
		.amdhsa_tg_split 0
		.amdhsa_exception_fp_ieee_invalid_op 0
		.amdhsa_exception_fp_denorm_src 0
		.amdhsa_exception_fp_ieee_div_zero 0
		.amdhsa_exception_fp_ieee_overflow 0
		.amdhsa_exception_fp_ieee_underflow 0
		.amdhsa_exception_fp_ieee_inexact 0
		.amdhsa_exception_int_div_zero 0
	.end_amdhsa_kernel
	.section	.text._ZN2at6native12_GLOBAL__N_112gatherMedianIfjLi2EEEvNS_4cuda6detail10TensorInfoIT_T0_EENS5_IlS7_EENS5_IKS6_S7_EES7_S7_S7_b,"axG",@progbits,_ZN2at6native12_GLOBAL__N_112gatherMedianIfjLi2EEEvNS_4cuda6detail10TensorInfoIT_T0_EENS5_IlS7_EENS5_IKS6_S7_EES7_S7_S7_b,comdat
.Lfunc_end121:
	.size	_ZN2at6native12_GLOBAL__N_112gatherMedianIfjLi2EEEvNS_4cuda6detail10TensorInfoIT_T0_EENS5_IlS7_EENS5_IKS6_S7_EES7_S7_S7_b, .Lfunc_end121-_ZN2at6native12_GLOBAL__N_112gatherMedianIfjLi2EEEvNS_4cuda6detail10TensorInfoIT_T0_EENS5_IlS7_EENS5_IKS6_S7_EES7_S7_S7_b
                                        ; -- End function
	.set _ZN2at6native12_GLOBAL__N_112gatherMedianIfjLi2EEEvNS_4cuda6detail10TensorInfoIT_T0_EENS5_IlS7_EENS5_IKS6_S7_EES7_S7_S7_b.num_vgpr, 71
	.set _ZN2at6native12_GLOBAL__N_112gatherMedianIfjLi2EEEvNS_4cuda6detail10TensorInfoIT_T0_EENS5_IlS7_EENS5_IKS6_S7_EES7_S7_S7_b.num_agpr, 0
	.set _ZN2at6native12_GLOBAL__N_112gatherMedianIfjLi2EEEvNS_4cuda6detail10TensorInfoIT_T0_EENS5_IlS7_EENS5_IKS6_S7_EES7_S7_S7_b.numbered_sgpr, 100
	.set _ZN2at6native12_GLOBAL__N_112gatherMedianIfjLi2EEEvNS_4cuda6detail10TensorInfoIT_T0_EENS5_IlS7_EENS5_IKS6_S7_EES7_S7_S7_b.num_named_barrier, 0
	.set _ZN2at6native12_GLOBAL__N_112gatherMedianIfjLi2EEEvNS_4cuda6detail10TensorInfoIT_T0_EENS5_IlS7_EENS5_IKS6_S7_EES7_S7_S7_b.private_seg_size, 0
	.set _ZN2at6native12_GLOBAL__N_112gatherMedianIfjLi2EEEvNS_4cuda6detail10TensorInfoIT_T0_EENS5_IlS7_EENS5_IKS6_S7_EES7_S7_S7_b.uses_vcc, 1
	.set _ZN2at6native12_GLOBAL__N_112gatherMedianIfjLi2EEEvNS_4cuda6detail10TensorInfoIT_T0_EENS5_IlS7_EENS5_IKS6_S7_EES7_S7_S7_b.uses_flat_scratch, 0
	.set _ZN2at6native12_GLOBAL__N_112gatherMedianIfjLi2EEEvNS_4cuda6detail10TensorInfoIT_T0_EENS5_IlS7_EENS5_IKS6_S7_EES7_S7_S7_b.has_dyn_sized_stack, 0
	.set _ZN2at6native12_GLOBAL__N_112gatherMedianIfjLi2EEEvNS_4cuda6detail10TensorInfoIT_T0_EENS5_IlS7_EENS5_IKS6_S7_EES7_S7_S7_b.has_recursion, 0
	.set _ZN2at6native12_GLOBAL__N_112gatherMedianIfjLi2EEEvNS_4cuda6detail10TensorInfoIT_T0_EENS5_IlS7_EENS5_IKS6_S7_EES7_S7_S7_b.has_indirect_call, 0
	.section	.AMDGPU.csdata,"",@progbits
; Kernel info:
; codeLenInByte = 11140
; TotalNumSgprs: 106
; NumVgprs: 71
; NumAgprs: 0
; TotalNumVgprs: 71
; ScratchSize: 0
; MemoryBound: 0
; FloatMode: 240
; IeeeMode: 1
; LDSByteSize: 4120 bytes/workgroup (compile time only)
; SGPRBlocks: 13
; VGPRBlocks: 8
; NumSGPRsForWavesPerEU: 106
; NumVGPRsForWavesPerEU: 71
; AccumOffset: 72
; Occupancy: 7
; WaveLimiterHint : 1
; COMPUTE_PGM_RSRC2:SCRATCH_EN: 0
; COMPUTE_PGM_RSRC2:USER_SGPR: 2
; COMPUTE_PGM_RSRC2:TRAP_HANDLER: 0
; COMPUTE_PGM_RSRC2:TGID_X_EN: 1
; COMPUTE_PGM_RSRC2:TGID_Y_EN: 1
; COMPUTE_PGM_RSRC2:TGID_Z_EN: 1
; COMPUTE_PGM_RSRC2:TIDIG_COMP_CNT: 0
; COMPUTE_PGM_RSRC3_GFX90A:ACCUM_OFFSET: 17
; COMPUTE_PGM_RSRC3_GFX90A:TG_SPLIT: 0
	.section	.text._ZN2at6native12_GLOBAL__N_112gatherMedianIfjLi3EEEvNS_4cuda6detail10TensorInfoIT_T0_EENS5_IlS7_EENS5_IKS6_S7_EES7_S7_S7_b,"axG",@progbits,_ZN2at6native12_GLOBAL__N_112gatherMedianIfjLi3EEEvNS_4cuda6detail10TensorInfoIT_T0_EENS5_IlS7_EENS5_IKS6_S7_EES7_S7_S7_b,comdat
	.globl	_ZN2at6native12_GLOBAL__N_112gatherMedianIfjLi3EEEvNS_4cuda6detail10TensorInfoIT_T0_EENS5_IlS7_EENS5_IKS6_S7_EES7_S7_S7_b ; -- Begin function _ZN2at6native12_GLOBAL__N_112gatherMedianIfjLi3EEEvNS_4cuda6detail10TensorInfoIT_T0_EENS5_IlS7_EENS5_IKS6_S7_EES7_S7_S7_b
	.p2align	8
	.type	_ZN2at6native12_GLOBAL__N_112gatherMedianIfjLi3EEEvNS_4cuda6detail10TensorInfoIT_T0_EENS5_IlS7_EENS5_IKS6_S7_EES7_S7_S7_b,@function
_ZN2at6native12_GLOBAL__N_112gatherMedianIfjLi3EEEvNS_4cuda6detail10TensorInfoIT_T0_EENS5_IlS7_EENS5_IKS6_S7_EES7_S7_S7_b: ; @_ZN2at6native12_GLOBAL__N_112gatherMedianIfjLi3EEEvNS_4cuda6detail10TensorInfoIT_T0_EENS5_IlS7_EENS5_IKS6_S7_EES7_S7_S7_b
; %bb.0:
	s_load_dwordx2 s[10:11], s[0:1], 0x298
	s_load_dwordx4 s[64:67], s[0:1], 0x288
	s_add_u32 s8, s0, 0x298
	s_addc_u32 s9, s1, 0
	s_waitcnt lgkmcnt(0)
	s_mul_i32 s4, s11, s4
	s_add_i32 s3, s4, s3
	s_mul_i32 s33, s3, s10
	s_add_i32 s33, s33, s2
	s_cmp_ge_u32 s33, s65
	s_cbranch_scc1 .LBB122_272
; %bb.1:
	s_load_dwordx2 s[20:21], s[0:1], 0xc
	s_load_dwordx2 s[4:5], s[0:1], 0x0
	s_load_dwordx4 s[16:19], s[0:1], 0x144
                                        ; implicit-def: $vgpr70 : SGPR spill to VGPR lane
                                        ; kill: killed $sgpr0 killed $sgpr1
	s_load_dwordx4 s[24:27], s[0:1], 0x6c
	s_waitcnt lgkmcnt(0)
	v_cvt_f32_u32_e32 v1, s21
	v_writelane_b32 v70, s4, 0
	v_cvt_f32_u32_e32 v2, s20
	v_rcp_iflag_f32_e32 v1, v1
	v_writelane_b32 v70, s5, 1
	v_writelane_b32 v70, s16, 2
	v_rcp_iflag_f32_e32 v2, v2
	v_mul_f32_e32 v1, 0x4f7ffffe, v1
	v_writelane_b32 v70, s17, 3
	v_cvt_u32_f32_e32 v1, v1
	v_writelane_b32 v70, s18, 4
	v_writelane_b32 v70, s19, 5
	s_load_dwordx2 s[16:17], s[0:1], 0xe4
	s_load_dwordx4 s[4:7], s[0:1], 0x21c
	s_load_dwordx2 s[14:15], s[0:1], 0x1bc
	s_load_dwordx2 s[12:13], s[0:1], 0x1b0
	;; [unrolled: 1-line block ×3, first 2 shown]
	s_sub_i32 s0, 0, s21
	v_readfirstlane_b32 s1, v1
	s_mul_i32 s0, s0, s1
	s_mul_hi_u32 s0, s1, s0
	s_add_i32 s1, s1, s0
	v_mul_f32_e32 v1, 0x4f7ffffe, v2
	s_waitcnt lgkmcnt(0)
	v_cvt_f32_u32_e32 v2, s17
	s_mul_hi_u32 s0, s33, s1
	s_mul_i32 s1, s0, s21
	v_writelane_b32 v70, s18, 6
	s_sub_i32 s1, s33, s1
	s_add_i32 s3, s0, 1
	v_writelane_b32 v70, s19, 7
	s_sub_i32 s7, s1, s21
	v_cvt_u32_f32_e32 v1, v1
	v_rcp_iflag_f32_e32 v2, v2
	v_writelane_b32 v70, s24, 8
	s_cmp_ge_u32 s1, s21
	s_cselect_b32 s0, s3, s0
	v_writelane_b32 v70, s25, 9
	v_writelane_b32 v70, s26, 10
	s_cselect_b32 s1, s7, s1
	s_add_i32 s3, s0, 1
	v_writelane_b32 v70, s27, 11
	s_cmp_ge_u32 s1, s21
	v_readfirstlane_b32 s1, v1
	v_mul_f32_e32 v1, 0x4f7ffffe, v2
	s_cselect_b32 s3, s3, s0
	v_writelane_b32 v70, s20, 12
	s_sub_i32 s0, 0, s20
	v_cvt_u32_f32_e32 v1, v1
	s_mul_i32 s0, s0, s1
	s_mul_hi_u32 s0, s1, s0
	v_writelane_b32 v70, s21, 13
	s_add_i32 s1, s1, s0
	v_writelane_b32 v70, s3, 14
	s_mul_hi_u32 s0, s3, s1
	v_readfirstlane_b32 s1, v1
	v_cvt_f32_u32_e32 v1, s16
	v_writelane_b32 v70, s0, 15
	s_sub_i32 s0, 0, s17
	s_mul_i32 s0, s0, s1
	s_mul_hi_u32 s0, s1, s0
	s_add_i32 s1, s1, s0
	v_rcp_iflag_f32_e32 v1, v1
	s_mul_hi_u32 s0, s33, s1
	s_mul_i32 s1, s0, s17
	v_cvt_f32_u32_e32 v2, s15
	s_sub_i32 s1, s33, s1
	s_add_i32 s3, s0, 1
	s_sub_i32 s7, s1, s17
	v_mul_f32_e32 v1, 0x4f7ffffe, v1
	s_cmp_ge_u32 s1, s17
	v_cvt_u32_f32_e32 v1, v1
	s_cselect_b32 s0, s3, s0
	v_rcp_iflag_f32_e32 v2, v2
	s_cselect_b32 s1, s7, s1
	s_add_i32 s3, s0, 1
	s_cmp_ge_u32 s1, s17
	s_cselect_b32 s3, s3, s0
	v_writelane_b32 v70, s16, 16
	s_sub_i32 s0, 0, s16
	v_readfirstlane_b32 s1, v1
	s_mul_i32 s0, s0, s1
	v_mul_f32_e32 v1, 0x4f7ffffe, v2
	s_mul_hi_u32 s0, s1, s0
	v_cvt_u32_f32_e32 v1, v1
	v_writelane_b32 v70, s17, 17
	s_add_i32 s1, s1, s0
	v_writelane_b32 v70, s3, 18
	s_mul_hi_u32 s0, s3, s1
	v_writelane_b32 v70, s0, 19
	s_sub_i32 s0, 0, s15
	v_mul_lo_u32 v2, s0, v1
	v_mul_hi_u32 v2, v1, v2
	v_add_u32_e32 v1, v1, v2
	v_mul_hi_u32 v1, s33, v1
	v_cvt_f32_u32_e32 v5, s14
	v_mul_lo_u32 v2, v1, s15
	v_sub_u32_e32 v2, s33, v2
	v_subrev_u32_e32 v4, s15, v2
	v_cmp_le_u32_e32 vcc, s15, v2
	v_add_u32_e32 v3, 1, v1
	s_sub_i32 s0, 0, s14
	v_cndmask_b32_e32 v2, v2, v4, vcc
	v_rcp_iflag_f32_e32 v4, v5
	v_cndmask_b32_e32 v1, v1, v3, vcc
	v_add_u32_e32 v3, 1, v1
	v_cmp_le_u32_e32 vcc, s15, v2
	s_nop 1
	v_cndmask_b32_e32 v1, v1, v3, vcc
	v_mul_f32_e32 v3, 0x4f7ffffe, v4
	v_cvt_u32_f32_e32 v3, v3
	v_mul_lo_u32 v2, v1, s15
	v_sub_u32_e32 v2, s33, v2
	v_mul_lo_u32 v2, v2, s6
	v_mul_lo_u32 v4, s0, v3
	v_mul_hi_u32 v4, v3, v4
	v_add_u32_e32 v3, v3, v4
	v_mul_hi_u32 v3, v1, v3
	v_mul_lo_u32 v4, v3, s14
	v_sub_u32_e32 v4, v1, v4
	v_add_u32_e32 v5, 1, v3
	v_subrev_u32_e32 v6, s14, v4
	v_cmp_le_u32_e32 vcc, s14, v4
	v_cmp_gt_u32_e64 s[0:1], s64, v0
	s_nop 0
	v_cndmask_b32_e32 v3, v3, v5, vcc
	v_cndmask_b32_e32 v4, v4, v6, vcc
	v_add_u32_e32 v5, 1, v3
	v_cmp_le_u32_e32 vcc, s14, v4
	s_nop 1
	v_cndmask_b32_e32 v3, v3, v5, vcc
	v_mul_lo_u32 v4, v3, s14
	v_sub_u32_e32 v1, v1, v4
	v_mul_lo_u32 v1, v1, s5
	v_add_u32_e32 v1, v1, v2
	v_mul_lo_u32 v2, v3, s4
	v_add_u32_e32 v2, v1, v2
	v_mov_b32_e32 v3, 0
	v_lshlrev_b64 v[4:5], 2, v[2:3]
	v_lshl_add_u64 v[6:7], s[12:13], 0, v[4:5]
	s_and_saveexec_b64 s[4:5], s[0:1]
	s_cbranch_execz .LBB122_5
; %bb.2:
	s_load_dword s3, s[8:9], 0xc
	v_mul_lo_u32 v2, v0, s66
	s_mov_b64 s[6:7], 0
	v_mov_b32_e32 v1, v3
	v_mov_b32_e32 v4, v0
	s_waitcnt lgkmcnt(0)
	s_and_b32 s3, s3, 0xffff
	s_mul_i32 s11, s66, s3
.LBB122_3:                              ; =>This Inner Loop Header: Depth=1
	v_lshl_add_u64 v[8:9], v[2:3], 2, v[6:7]
	global_load_dword v5, v[8:9], off
	v_add_u32_e32 v4, s3, v4
	v_cmp_le_u32_e32 vcc, s64, v4
	s_or_b64 s[6:7], vcc, s[6:7]
	v_add_u32_e32 v2, s11, v2
	s_waitcnt vmcnt(0)
	v_cmp_u_f32_e32 vcc, v5, v5
	s_nop 1
	v_addc_co_u32_e32 v1, vcc, 0, v1, vcc
	s_andn2_b64 exec, exec, s[6:7]
	s_cbranch_execnz .LBB122_3
; %bb.4:
	s_or_b64 exec, exec, s[6:7]
	v_mov_b32_e32 v3, v1
.LBB122_5:
	s_or_b64 exec, exec, s[4:5]
	v_cmp_eq_u32_e64 s[24:25], 0, v0
	s_and_saveexec_b64 s[4:5], s[24:25]
; %bb.6:
	v_mov_b32_e32 v4, 0
	v_mov_b32_e32 v5, v4
	ds_write_b64 v4, v[4:5] offset:4096
; %bb.7:
	s_or_b64 exec, exec, s[4:5]
	v_cmp_ne_u32_e32 vcc, 0, v3
	s_waitcnt lgkmcnt(0)
	s_barrier
	s_and_saveexec_b64 s[4:5], vcc
	s_cbranch_execz .LBB122_12
; %bb.8:
	s_mov_b64 s[12:13], exec
	v_mov_b32_e32 v1, 0
	v_mov_b32_e32 v2, v3
	s_mov_b64 s[6:7], 0
.LBB122_9:                              ; =>This Inner Loop Header: Depth=1
	s_ff1_i32_b64 s3, s[12:13]
	v_readlane_b32 s14, v2, s3
	v_readlane_b32 s11, v1, s3
	s_add_u32 s6, s6, s14
	s_addc_u32 s7, s7, s11
	s_lshl_b64 s[14:15], 1, s3
	s_andn2_b64 s[12:13], s[12:13], s[14:15]
	s_cmp_lg_u64 s[12:13], 0
	s_cbranch_scc1 .LBB122_9
; %bb.10:
	v_mbcnt_lo_u32_b32 v1, exec_lo, 0
	v_mbcnt_hi_u32_b32 v1, exec_hi, v1
	v_cmp_eq_u32_e32 vcc, 0, v1
	s_and_saveexec_b64 s[12:13], vcc
	s_xor_b64 s[12:13], exec, s[12:13]
; %bb.11:
	v_mov_b32_e32 v1, 0
	v_mov_b64_e32 v[2:3], s[6:7]
	ds_add_u64 v1, v[2:3] offset:4096
.LBB122_12:
	s_or_b64 exec, exec, s[4:5]
	v_mov_b32_e32 v1, 0
	s_waitcnt lgkmcnt(0)
	s_barrier
	ds_read_b64 v[2:3], v1 offset:4096
	s_bitcmp1_b32 s67, 0
	s_cselect_b64 s[6:7], -1, 0
	s_mov_b32 s3, s64
	s_waitcnt lgkmcnt(0)
	v_readfirstlane_b32 s4, v2
	v_readfirstlane_b32 s5, v3
	s_nop 1
	v_cmp_lt_i64_e64 s[12:13], s[4:5], 1
	s_or_b64 s[6:7], s[6:7], s[12:13]
	s_andn2_b64 vcc, exec, s[6:7]
	s_cbranch_vccnz .LBB122_14
; %bb.13:
	s_not_b64 s[4:5], s[4:5]
	s_add_u32 s3, s4, s64
	s_addc_u32 s5, s5, 0
	s_lshr_b32 s4, s5, 31
	s_add_u32 s4, s3, s4
	s_addc_u32 s5, s5, 0
	s_lshr_b64 s[4:5], s[4:5], 1
	s_add_i32 s3, s4, 1
.LBB122_14:
	s_and_saveexec_b64 s[4:5], s[24:25]
	s_cbranch_execz .LBB122_16
; %bb.15:
	v_mov_b32_e32 v2, 0
	v_mov_b32_e32 v3, s64
	ds_write_b32 v2, v2 offset:4112
	ds_write_b64 v2, v[2:3] offset:4104
.LBB122_16:
	s_or_b64 exec, exec, s[4:5]
	s_waitcnt lgkmcnt(0)
	s_barrier
	s_load_dword s11, s[8:9], 0xc
	v_mbcnt_lo_u32_b32 v1, -1, 0
	v_mbcnt_hi_u32_b32 v22, -1, v1
	v_cmp_gt_u32_e32 vcc, 64, v0
	v_cmp_gt_i32_e64 s[6:7], 4, v22
	s_waitcnt lgkmcnt(0)
	s_and_b32 s67, s11, 0xffff
	s_add_i32 s99, s67, -1
	s_lshl_b32 s98, s67, 2
	s_and_b64 s[86:87], vcc, s[6:7]
	s_add_i32 s12, s99, s64
	s_cmpk_gt_u32 s64, 0x300
	s_cselect_b64 s[88:89], -1, 0
	s_cmp_gt_u32 s67, 63
	v_lshlrev_b64 v[2:3], v22, -1
	s_cselect_b64 s[90:91], -1, 0
	v_not_b32_e32 v14, v2
	v_lshrrev_b32_e32 v2, 2, v0
	s_cmp_lt_u32 s2, s10
	v_and_b32_e32 v2, 0xf0, v2
	s_cselect_b32 s2, 12, 18
	v_or_b32_e32 v24, 0xc00, v2
	s_add_u32 s8, s8, s2
	v_add_u32_e32 v2, 2, v0
	s_addc_u32 s9, s9, 0
	v_max_u32_e32 v2, s64, v2
	v_writelane_b32 v70, s8, 20
	v_xad_u32 v2, v0, -1, v2
	v_not_b32_e32 v1, v3
	v_writelane_b32 v70, s9, 21
	v_add_u32_e32 v3, -2, v2
	s_bfe_u32 s9, s11, 0xa0006
	v_cmp_lt_u32_e64 s[10:11], 29, v2
	v_lshrrev_b32_e32 v5, 1, v3
	v_add_u32_e32 v5, 1, v5
	v_writelane_b32 v70, s10, 22
	v_and_b32_e32 v18, 7, v5
	s_add_i32 s2, s9, -2
	v_writelane_b32 v70, s11, 23
	v_cmp_lt_u32_e64 s[10:11], 13, v3
	s_lshr_b32 s8, s2, 1
	v_and_b32_e32 v25, -2, v2
	v_writelane_b32 v70, s10, 24
	s_add_i32 s8, s8, 1
	s_cmpk_gt_u32 s67, 0x7f
	v_writelane_b32 v70, s11, 25
	v_cmp_ne_u32_e64 s[10:11], 0, v18
	v_lshlrev_b32_e32 v15, 2, v0
	v_mov_b32_e32 v11, 0
	v_writelane_b32 v70, s10, 26
	s_mov_b32 s22, 0
	v_mul_lo_u32 v8, s66, v0
	v_writelane_b32 v70, s11, 27
	v_cmp_ne_u32_e64 s[10:11], v2, v25
	v_cvt_f32_u32_e32 v2, s98
	v_mov_b32_e32 v9, v11
	v_writelane_b32 v70, s10, 28
	v_lshlrev_b32_e32 v4, 2, v22
	v_rcp_iflag_f32_e32 v2, v2
	v_writelane_b32 v70, s11, 29
	s_cselect_b64 s[10:11], -1, 0
	v_writelane_b32 v70, s10, 30
	v_mul_f32_e32 v2, 0x4f7ffffe, v2
	v_cvt_u32_f32_e32 v2, v2
	v_writelane_b32 v70, s11, 31
	s_and_b32 s10, s9, 0x3fe
	s_and_b32 s11, s8, 7
	s_cmp_gt_u32 s2, 13
	s_cselect_b64 s[14:15], -1, 0
	v_writelane_b32 v70, s14, 32
	s_and_b32 s2, s8, -8
	s_cmp_lg_u32 s11, 0
	v_writelane_b32 v70, s15, 33
	v_writelane_b32 v70, s2, 34
	;; [unrolled: 1-line block ×3, first 2 shown]
	s_cselect_b64 s[14:15], -1, 0
	v_writelane_b32 v70, s14, 36
	s_cmp_lg_u32 s10, s9
	s_mul_i32 s65, s66, s67
	v_writelane_b32 v70, s15, 37
	v_writelane_b32 v70, s9, 38
	;; [unrolled: 1-line block ×3, first 2 shown]
	s_cselect_b64 s[8:9], -1, 0
	v_writelane_b32 v70, s8, 40
	s_sub_i32 s2, 0, s98
	s_mov_b32 s23, 1
	v_writelane_b32 v70, s9, 41
	v_readfirstlane_b32 s8, v2
	v_cvt_f32_u32_e32 v2, s67
	s_mul_i32 s2, s2, s8
	s_mul_hi_u32 s2, s8, s2
	s_add_i32 s92, s8, s2
	v_rcp_iflag_f32_e32 v2, v2
	s_mul_hi_u32 s2, s64, s92
	s_mul_i32 s2, s2, s98
	s_sub_i32 s2, s64, s2
	s_sub_i32 s8, s2, s98
	v_mul_f32_e32 v2, 0x4f7ffffe, v2
	s_cmp_ge_u32 s2, s98
	v_cvt_u32_f32_e32 v2, v2
	s_cselect_b32 s2, s8, s2
	s_sub_i32 s8, s2, s98
	s_cmp_ge_u32 s2, s98
	s_cselect_b32 s2, s8, s2
	s_sub_i32 s8, 0, s67
	v_readfirstlane_b32 s9, v2
	s_mul_i32 s8, s8, s9
	s_mul_hi_u32 s8, s9, s8
	s_add_i32 s78, s9, s8
	s_mul_hi_u32 s8, s12, s78
	s_mul_i32 s8, s8, s67
	s_sub_i32 s8, s12, s8
	s_sub_i32 s93, s64, s2
	;; [unrolled: 1-line block ×3, first 2 shown]
	s_cmp_ge_u32 s8, s67
	s_cselect_b32 s8, s9, s8
	s_sub_i32 s9, s8, s67
	s_cmp_ge_u32 s8, s67
	v_mul_lo_u32 v2, s66, v15
	s_cselect_b32 s8, s9, s8
	v_add_u32_e32 v30, s66, v2
	v_or_b32_e32 v2, 2, v15
	s_sub_i32 s76, s12, s8
	v_mul_lo_u32 v31, s66, v2
	v_or_b32_e32 v2, 3, v15
	s_add_i32 s8, s67, s64
	v_add_u32_e32 v28, s93, v0
	v_mul_lo_u32 v33, s66, v2
	v_add_u32_e32 v2, s8, v0
	v_mul_lo_u32 v10, v28, s66
	v_subrev_u32_e32 v2, s2, v2
	v_cmp_eq_u32_e64 s[4:5], 0, v22
	v_cmp_gt_u32_e64 s[6:7], 2, v0
	v_add_u32_e32 v23, 0xc00, v15
	v_lshl_add_u64 v[12:13], v[8:9], 2, v[6:7]
	v_and_b32_e32 v9, 0x100, v4
	v_add_u32_e32 v26, v0, v25
	s_mov_b32 s79, s66
	v_and_b32_e32 v27, -8, v5
	v_cmp_gt_u32_e64 s[16:17], s93, v15
	v_cmp_gt_u32_e64 s[18:19], s64, v28
	v_lshl_add_u64 v[16:17], v[10:11], 2, v[6:7]
	v_cmp_gt_u32_e64 s[20:21], s76, v0
	v_lshlrev_b32_e32 v29, 3, v18
	s_lshl_b32 s77, s65, 2
	v_lshlrev_b32_e32 v34, 2, v8
	v_mul_lo_u32 v35, s66, v2
	v_lshlrev_b32_e32 v36, 4, v0
	s_lshl_b32 s94, s67, 4
	v_or_b32_e32 v37, 0xc00, v4
	s_mov_b64 s[68:69], 0
	v_mov_b32_e32 v39, 30
	v_mov_b32_e32 v42, s3
	;; [unrolled: 1-line block ×3, first 2 shown]
	v_mov_b32_e32 v18, 1.0
	v_bfrev_b32_e32 v38, 1
	v_mov_b32_e32 v40, 0xc00
	v_mov_b32_e32 v21, 0
	s_mov_b32 s95, s22
	v_mov_b32_e32 v32, 0
	v_mov_b32_e32 v41, 0
                                        ; implicit-def: $sgpr70_sgpr71
                                        ; implicit-def: $sgpr10_sgpr11
                                        ; implicit-def: $sgpr80_sgpr81
                                        ; implicit-def: $sgpr14_sgpr15
                                        ; implicit-def: $sgpr72_sgpr73
                                        ; implicit-def: $sgpr12_sgpr13
	s_branch .LBB122_20
.LBB122_17:                             ;   in Loop: Header=BB122_20 Depth=1
	s_or_b64 exec, exec, s[34:35]
	s_and_b64 s[26:27], s[26:27], exec
	s_andn2_b64 s[30:31], s[30:31], exec
	s_andn2_b64 s[28:29], s[28:29], exec
	s_orn2_b64 s[22:23], s[22:23], exec
.LBB122_18:                             ;   in Loop: Header=BB122_20 Depth=1
	s_or_b64 exec, exec, s[8:9]
	s_andn2_b64 s[8:9], s[12:13], exec
	s_and_b64 s[12:13], s[26:27], exec
	s_or_b64 s[12:13], s[8:9], s[12:13]
	s_andn2_b64 s[8:9], s[72:73], exec
	s_and_b64 s[26:27], s[30:31], exec
	s_or_b64 s[72:73], s[8:9], s[26:27]
	;; [unrolled: 3-line block ×3, first 2 shown]
	s_orn2_b64 s[22:23], s[22:23], exec
.LBB122_19:                             ;   in Loop: Header=BB122_20 Depth=1
	s_or_b64 exec, exec, s[2:3]
	s_and_b64 s[2:3], exec, s[22:23]
	s_or_b64 s[68:69], s[2:3], s[68:69]
	s_andn2_b64 s[2:3], s[80:81], exec
	s_and_b64 s[8:9], s[12:13], exec
	s_or_b64 s[80:81], s[2:3], s[8:9]
	s_andn2_b64 s[2:3], s[10:11], exec
	s_and_b64 s[8:9], s[72:73], exec
	;; [unrolled: 3-line block ×3, first 2 shown]
	s_or_b64 s[70:71], s[2:3], s[8:9]
	s_mov_b32 s95, s36
	v_mov_b32_e32 v42, v5
	s_andn2_b64 exec, exec, s[68:69]
	s_cbranch_execz .LBB122_268
.LBB122_20:                             ; =>This Loop Header: Depth=1
                                        ;     Child Loop BB122_26 Depth 2
                                        ;     Child Loop BB122_47 Depth 2
	;; [unrolled: 1-line block ×19, first 2 shown]
	ds_read_b64 v[2:3], v11 offset:4104
	s_waitcnt lgkmcnt(0)
	v_readfirstlane_b32 s82, v2
	s_cmp_lg_u32 s82, 0
	s_cbranch_scc1 .LBB122_66
; %bb.21:                               ;   in Loop: Header=BB122_20 Depth=1
	s_and_b64 vcc, exec, s[88:89]
	s_cbranch_vccz .LBB122_34
; %bb.22:                               ;   in Loop: Header=BB122_20 Depth=1
	s_movk_i32 s2, 0x301
	v_cmp_gt_u32_e32 vcc, s2, v3
	s_mov_b64 s[8:9], 0
	s_mov_b64 s[2:3], 0
	s_cbranch_vccz .LBB122_35
; %bb.23:                               ;   in Loop: Header=BB122_20 Depth=1
	s_and_saveexec_b64 s[26:27], s[0:1]
	s_cbranch_execz .LBB122_41
; %bb.24:                               ;   in Loop: Header=BB122_20 Depth=1
	v_readlane_b32 s2, v70, 20
	v_readlane_b32 s3, v70, 21
	s_nop 4
	global_load_ushort v2, v11, s[2:3]
	global_load_dword v4, v[12:13], off
	s_mov_b64 s[28:29], 0
	s_waitcnt vmcnt(1)
	v_add_u32_e32 v5, v0, v2
	v_mul_lo_u32 v3, s66, v2
	v_mul_lo_u32 v10, s66, v5
	v_mov_b32_e32 v5, v0
	s_branch .LBB122_26
.LBB122_25:                             ;   in Loop: Header=BB122_26 Depth=2
	s_or_b64 exec, exec, s[2:3]
	v_add_u32_e32 v10, v10, v3
	v_mov_b32_e32 v4, v19
	s_andn2_b64 exec, exec, s[28:29]
	s_cbranch_execz .LBB122_41
.LBB122_26:                             ;   Parent Loop BB122_20 Depth=1
                                        ; =>  This Inner Loop Header: Depth=2
	v_add_u32_e32 v5, v5, v2
	v_cmp_gt_u32_e64 s[2:3], s64, v5
	v_cmp_le_u32_e32 vcc, s64, v5
	s_waitcnt lgkmcnt(0)
	v_mov_b32_e32 v20, 0
	v_mov_b32_e32 v19, 0
	s_and_saveexec_b64 s[22:23], s[2:3]
	s_cbranch_execz .LBB122_28
; %bb.27:                               ;   in Loop: Header=BB122_26 Depth=2
	v_lshl_add_u64 v[46:47], v[10:11], 2, v[6:7]
	global_load_dword v19, v[46:47], off
.LBB122_28:                             ;   in Loop: Header=BB122_26 Depth=2
	s_or_b64 exec, exec, s[22:23]
	s_waitcnt vmcnt(0)
	v_cmp_lt_i32_e64 s[2:3], -1, v4
	s_nop 1
	v_cndmask_b32_e64 v43, -1, v38, s[2:3]
	v_xor_b32_e32 v43, v43, v4
	v_cmp_o_f32_e64 s[2:3], v4, v4
	s_nop 1
	v_cndmask_b32_e64 v43, -1, v43, s[2:3]
	v_and_b32_e32 v43, v43, v41
	v_cmp_eq_u32_e64 s[22:23], v43, v32
	s_cmp_lg_u64 s[22:23], 0
	s_cselect_b64 s[2:3], -1, 0
	s_and_b64 s[2:3], s[4:5], s[2:3]
	s_and_saveexec_b64 s[30:31], s[2:3]
	s_cbranch_execz .LBB122_32
; %bb.29:                               ;   in Loop: Header=BB122_26 Depth=2
	s_mov_b64 s[36:37], exec
	v_mbcnt_lo_u32_b32 v20, s36, 0
	v_mbcnt_hi_u32_b32 v20, s37, v20
	s_bcnt1_i32_b64 s38, s[22:23]
	v_cmp_eq_u32_e64 s[2:3], 0, v20
                                        ; implicit-def: $vgpr43
	s_and_saveexec_b64 s[34:35], s[2:3]
; %bb.30:                               ;   in Loop: Header=BB122_26 Depth=2
	s_bcnt1_i32_b64 s2, s[36:37]
	s_mul_i32 s2, s38, s2
	v_mov_b32_e32 v43, s2
	ds_add_rtn_u32 v43, v11, v43 offset:4112
; %bb.31:                               ;   in Loop: Header=BB122_26 Depth=2
	s_or_b64 exec, exec, s[34:35]
	s_waitcnt lgkmcnt(0)
	v_readfirstlane_b32 s2, v43
	s_nop 1
	v_mov_b32_e32 v43, s2
	v_mad_u32_u24 v20, s38, v20, v43
.LBB122_32:                             ;   in Loop: Header=BB122_26 Depth=2
	s_or_b64 exec, exec, s[30:31]
	ds_bpermute_b32 v20, v9, v20
	s_and_b64 s[2:3], exec, vcc
	s_or_b64 s[28:29], s[2:3], s[28:29]
	s_and_saveexec_b64 s[2:3], s[22:23]
	s_cbranch_execz .LBB122_25
; %bb.33:                               ;   in Loop: Header=BB122_26 Depth=2
	v_and_b32_e32 v45, s22, v14
	v_and_b32_e32 v43, s23, v1
	v_bcnt_u32_b32 v45, v45, 0
	v_bcnt_u32_b32 v43, v43, v45
	v_lshlrev_b32_e32 v43, 2, v43
	s_waitcnt lgkmcnt(0)
	v_lshl_add_u32 v20, v20, 2, v43
	ds_write_b32 v20, v4
	s_branch .LBB122_25
.LBB122_34:                             ;   in Loop: Header=BB122_20 Depth=1
	s_mov_b64 s[8:9], -1
	s_mov_b64 s[2:3], 0
.LBB122_35:                             ;   in Loop: Header=BB122_20 Depth=1
	s_and_b64 vcc, exec, s[8:9]
	s_cbranch_vccz .LBB122_64
.LBB122_36:                             ;   in Loop: Header=BB122_20 Depth=1
	s_and_saveexec_b64 s[22:23], s[0:1]
	s_cbranch_execz .LBB122_61
; %bb.37:                               ;   in Loop: Header=BB122_20 Depth=1
	v_readlane_b32 s2, v70, 20
	v_readlane_b32 s3, v70, 21
	s_nop 4
	global_load_ushort v2, v11, s[2:3]
	global_load_dword v19, v[12:13], off
	v_mov_b32_e32 v3, v0
	s_waitcnt vmcnt(1)
	v_readfirstlane_b32 s34, v2
	v_add_u32_e32 v2, v0, v2
	v_cmp_gt_u32_e32 vcc, s64, v2
	s_and_saveexec_b64 s[26:27], vcc
	s_cbranch_execz .LBB122_60
; %bb.38:                               ;   in Loop: Header=BB122_20 Depth=1
	v_readlane_b32 s28, v70, 22
	s_mov_b64 s[2:3], 0
	s_mul_i32 s35, s66, s34
	v_readlane_b32 s29, v70, 23
                                        ; implicit-def: $vgpr3
                                        ; implicit-def: $vgpr20
                                        ; implicit-def: $vgpr4
                                        ; implicit-def: $vgpr5
	s_and_saveexec_b64 s[8:9], s[28:29]
	s_xor_b64 s[28:29], exec, s[8:9]
	s_cbranch_execnz .LBB122_44
; %bb.39:                               ;   in Loop: Header=BB122_20 Depth=1
	s_andn2_saveexec_b64 s[8:9], s[28:29]
	s_cbranch_execnz .LBB122_55
.LBB122_40:                             ;   in Loop: Header=BB122_20 Depth=1
	s_or_b64 exec, exec, s[8:9]
	s_and_saveexec_b64 s[8:9], s[2:3]
	s_cbranch_execnz .LBB122_56
	s_branch .LBB122_59
.LBB122_41:                             ;   in Loop: Header=BB122_20 Depth=1
	s_or_b64 exec, exec, s[26:27]
	s_waitcnt lgkmcnt(0)
	s_barrier
	s_and_saveexec_b64 s[2:3], s[24:25]
	s_cbranch_execz .LBB122_43
; %bb.42:                               ;   in Loop: Header=BB122_20 Depth=1
	ds_read_b32 v2, v11 offset:4112
	s_waitcnt lgkmcnt(0)
	ds_write_b32 v11, v2 offset:4104
.LBB122_43:                             ;   in Loop: Header=BB122_20 Depth=1
	s_or_b64 exec, exec, s[2:3]
	s_waitcnt lgkmcnt(0)
	s_barrier
	s_mov_b64 s[2:3], -1
	s_and_b64 vcc, exec, s[8:9]
	s_cbranch_vccnz .LBB122_36
	s_branch .LBB122_64
.LBB122_44:                             ;   in Loop: Header=BB122_20 Depth=1
	v_cvt_f32_u32_e32 v3, s34
	v_add_u32_e32 v4, s34, v2
	v_max_u32_e32 v4, s64, v4
	s_lshl_b32 s2, s34, 1
	v_rcp_iflag_f32_e32 v3, v3
	v_sub_u32_e32 v4, v4, v0
	v_cmp_ne_u32_e32 vcc, s2, v4
	s_sub_i32 s3, 0, s34
	v_mul_f32_e32 v3, 0x4f7ffffe, v3
	v_cvt_u32_f32_e32 v3, v3
	v_cndmask_b32_e64 v5, 0, 1, vcc
	v_or_b32_e32 v5, s2, v5
	v_sub_u32_e32 v4, v4, v5
	v_mul_lo_u32 v5, s3, v3
	v_mul_hi_u32 v5, v3, v5
	v_add_u32_e32 v3, v3, v5
	v_mul_hi_u32 v3, v4, v3
	v_mul_lo_u32 v5, v3, s34
	v_sub_u32_e32 v4, v4, v5
	v_add_u32_e32 v5, 1, v3
	v_cmp_le_u32_e64 s[2:3], s34, v4
	s_nop 1
	v_cndmask_b32_e64 v3, v3, v5, s[2:3]
	v_subrev_u32_e32 v5, s34, v4
	v_cndmask_b32_e64 v4, v4, v5, s[2:3]
	v_add_u32_e32 v5, 1, v3
	v_cmp_le_u32_e64 s[2:3], s34, v4
	v_mul_lo_u32 v4, s66, v2
	s_nop 0
	v_cndmask_b32_e64 v3, v3, v5, s[2:3]
	v_addc_co_u32_e32 v3, vcc, 0, v3, vcc
	s_abs_i32 s2, s35
	v_mul_hi_u32 v5, s2, v3
	v_mul_lo_u32 v3, s2, v3
	s_not_b32 s2, s35
	s_ashr_i32 s2, s2, 31
	s_cmp_eq_u32 s34, 1
	v_cmp_eq_u32_e32 vcc, 0, v5
	v_xor_b32_e32 v4, s2, v4
	s_cselect_b64 s[8:9], -1, 0
	v_cmp_le_u32_e64 s[2:3], v3, v4
	s_and_b64 s[8:9], vcc, s[8:9]
	s_and_b64 s[30:31], s[8:9], s[2:3]
	s_mov_b64 s[8:9], -1
	v_mov_b32_e32 v4, v0
                                        ; implicit-def: $vgpr3
	s_and_saveexec_b64 s[2:3], s[30:31]
	s_cbranch_execz .LBB122_54
; %bb.45:                               ;   in Loop: Header=BB122_20 Depth=1
	v_add_u32_e32 v3, 1, v2
	v_mov_b32_e32 v10, 0
	v_mov_b64_e32 v[4:5], v[2:3]
	s_mov_b64 s[8:9], exec
	v_readlane_b32 s30, v70, 24
	v_readlane_b32 s31, v70, 25
	s_and_b64 s[30:31], s[8:9], s[30:31]
	s_mov_b64 exec, s[30:31]
	s_cbranch_execz .LBB122_49
; %bb.46:                               ;   in Loop: Header=BB122_20 Depth=1
	s_mov_b32 s36, 0
	s_mov_b64 s[30:31], 0
	v_mov_b32_e32 v20, v27
	v_mov_b32_e32 v43, v15
	v_mov_b64_e32 v[4:5], v[2:3]
.LBB122_47:                             ;   Parent Loop BB122_20 Depth=1
                                        ; =>  This Inner Loop Header: Depth=2
	v_mul_lo_u32 v10, v4, s66
	v_lshl_add_u64 v[46:47], v[10:11], 2, v[6:7]
	global_load_dword v3, v[46:47], off
	v_add_u32_e32 v10, 2, v4
	v_mul_lo_u32 v46, v5, s79
	v_mov_b32_e32 v47, v11
	v_add_u32_e32 v45, 2, v5
	v_add_u32_e32 v64, 4, v4
	;; [unrolled: 1-line block ×4, first 2 shown]
	v_mul_lo_u32 v10, v10, s66
	v_mov_b32_e32 v49, v11
	v_add_u32_e32 v50, 4, v5
	v_add_u32_e32 v65, 6, v4
	;; [unrolled: 1-line block ×3, first 2 shown]
	v_mov_b32_e32 v55, v11
	v_mov_b32_e32 v57, v11
	v_add_u32_e32 v58, 12, v5
	v_lshl_add_u64 v[46:47], v[46:47], 2, v[6:7]
	v_mul_lo_u32 v48, v45, s79
	v_mul_lo_u32 v54, v54, s79
	;; [unrolled: 1-line block ×3, first 2 shown]
	v_lshl_add_u64 v[62:63], v[10:11], 2, v[6:7]
	v_mul_lo_u32 v10, v64, s66
	v_mov_b32_e32 v51, v11
	v_mov_b32_e32 v53, v11
	v_add_u32_e32 v66, 8, v4
	v_mov_b32_e32 v59, v11
	v_mul_lo_u32 v50, v50, s79
	v_mul_lo_u32 v52, v52, s79
	;; [unrolled: 1-line block ×3, first 2 shown]
	v_lshl_add_u64 v[48:49], v[48:49], 2, v[6:7]
	v_lshl_add_u64 v[54:55], v[54:55], 2, v[6:7]
	;; [unrolled: 1-line block ×3, first 2 shown]
	global_load_dword v45, v[46:47], off
	v_lshl_add_u64 v[46:47], v[10:11], 2, v[6:7]
	v_mul_lo_u32 v10, v65, s66
	v_add_u32_e32 v67, 10, v4
	v_lshl_add_u64 v[50:51], v[50:51], 2, v[6:7]
	v_lshl_add_u64 v[52:53], v[52:53], 2, v[6:7]
	;; [unrolled: 1-line block ×3, first 2 shown]
	global_load_dword v62, v[62:63], off
	s_nop 0
	global_load_dword v63, v[48:49], off
	global_load_dword v64, v[50:51], off
	;; [unrolled: 1-line block ×3, first 2 shown]
	s_nop 0
	global_load_dword v54, v[54:55], off
	s_nop 0
	global_load_dword v55, v[56:57], off
	;; [unrolled: 2-line block ×3, first 2 shown]
	v_lshl_add_u64 v[48:49], v[10:11], 2, v[6:7]
	v_mul_lo_u32 v10, v66, s66
	v_add_u32_e32 v68, 12, v4
	global_load_dword v57, v[48:49], off
	global_load_dword v58, v[46:47], off
	v_lshl_add_u64 v[46:47], v[10:11], 2, v[6:7]
	v_mul_lo_u32 v10, v67, s66
	v_add_u32_e32 v69, 14, v4
	v_add_u32_e32 v60, 14, v5
	v_lshl_add_u64 v[48:49], v[10:11], 2, v[6:7]
	v_mul_lo_u32 v10, v68, s66
	v_mov_b32_e32 v61, v11
	v_mul_lo_u32 v60, v60, s79
	v_lshl_add_u64 v[50:51], v[10:11], 2, v[6:7]
	v_mul_lo_u32 v10, v69, s66
	v_lshl_add_u64 v[60:61], v[60:61], 2, v[6:7]
	v_lshl_add_u64 v[52:53], v[10:11], 2, v[6:7]
	global_load_dword v52, v[52:53], off
	v_add_u32_e32 v20, -8, v20
	s_add_i32 s36, s36, 16
	v_cmp_eq_u32_e32 vcc, 0, v20
	v_add_u32_e32 v5, 16, v5
	v_add_u32_e32 v4, 16, v4
	v_mov_b32_e32 v10, s36
	s_or_b64 s[30:31], vcc, s[30:31]
	s_waitcnt vmcnt(11)
	ds_write2_b32 v43, v19, v3 offset1:1
	global_load_dword v19, v[60:61], off
	global_load_dword v3, v[50:51], off
	s_nop 0
	global_load_dword v48, v[48:49], off
	s_nop 0
	global_load_dword v46, v[46:47], off
	s_waitcnt vmcnt(13)
	ds_write2_b32 v43, v45, v62 offset0:2 offset1:3
	s_waitcnt vmcnt(5)
	ds_write2_b32 v43, v63, v58 offset0:4 offset1:5
	ds_write2_b32 v43, v64, v57 offset0:6 offset1:7
	s_waitcnt vmcnt(4)
	ds_write2_b32 v43, v56, v52 offset0:14 offset1:15
	s_waitcnt vmcnt(0)
	ds_write2_b32 v43, v65, v46 offset0:8 offset1:9
	ds_write2_b32 v43, v54, v48 offset0:10 offset1:11
	;; [unrolled: 1-line block ×3, first 2 shown]
	v_add_u32_e32 v43, 64, v43
	s_andn2_b64 exec, exec, s[30:31]
	s_cbranch_execnz .LBB122_47
; %bb.48:                               ;   in Loop: Header=BB122_20 Depth=1
	s_or_b64 exec, exec, s[30:31]
.LBB122_49:                             ;   in Loop: Header=BB122_20 Depth=1
	s_or_b64 exec, exec, s[8:9]
	s_mov_b64 s[8:9], exec
	v_readlane_b32 s30, v70, 26
	v_readlane_b32 s31, v70, 27
	s_and_b64 s[30:31], s[8:9], s[30:31]
	s_mov_b64 exec, s[30:31]
	s_cbranch_execz .LBB122_53
; %bb.50:                               ;   in Loop: Header=BB122_20 Depth=1
	v_lshl_add_u32 v3, v10, 2, v15
	s_mov_b64 s[30:31], 0
	v_mov_b32_e32 v20, v29
.LBB122_51:                             ;   Parent Loop BB122_20 Depth=1
                                        ; =>  This Inner Loop Header: Depth=2
	v_mul_lo_u32 v10, v4, s66
	v_mul_lo_u32 v46, v5, s79
	v_mov_b32_e32 v47, v11
	v_lshl_add_u64 v[48:49], v[10:11], 2, v[6:7]
	v_lshl_add_u64 v[46:47], v[46:47], 2, v[6:7]
	global_load_dword v43, v[48:49], off
	global_load_dword v10, v[46:47], off
	v_add_u32_e32 v20, -8, v20
	v_cmp_eq_u32_e32 vcc, 0, v20
	v_add_u32_e32 v5, 2, v5
	v_add_u32_e32 v4, 2, v4
	s_or_b64 s[30:31], vcc, s[30:31]
	s_waitcnt vmcnt(1)
	ds_write2_b32 v3, v19, v43 offset1:1
	v_add_u32_e32 v3, 8, v3
	s_waitcnt vmcnt(0)
	v_mov_b32_e32 v19, v10
	s_andn2_b64 exec, exec, s[30:31]
	s_cbranch_execnz .LBB122_51
; %bb.52:                               ;   in Loop: Header=BB122_20 Depth=1
	s_or_b64 exec, exec, s[30:31]
	v_mov_b32_e32 v19, v10
.LBB122_53:                             ;   in Loop: Header=BB122_20 Depth=1
	s_or_b64 exec, exec, s[8:9]
	v_readlane_b32 s8, v70, 28
	v_add_u32_e32 v2, v2, v25
	v_readlane_b32 s9, v70, 29
	v_add_u32_e32 v3, -1, v2
	s_orn2_b64 s[8:9], s[8:9], exec
	v_mov_b32_e32 v4, v26
.LBB122_54:                             ;   in Loop: Header=BB122_20 Depth=1
	s_or_b64 exec, exec, s[2:3]
	v_mov_b32_e32 v5, s35
	s_and_b64 s[2:3], s[8:9], exec
	s_waitcnt vmcnt(0)
	v_mov_b32_e32 v20, v19
	s_andn2_saveexec_b64 s[8:9], s[28:29]
	s_cbranch_execz .LBB122_40
.LBB122_55:                             ;   in Loop: Header=BB122_20 Depth=1
	v_mov_b32_e32 v5, s35
	s_or_b64 s[2:3], s[2:3], exec
	s_waitcnt vmcnt(0)
	v_mov_b32_e32 v20, v19
	v_mov_b32_e32 v4, v0
	s_or_b64 exec, exec, s[8:9]
	s_and_saveexec_b64 s[8:9], s[2:3]
	s_cbranch_execz .LBB122_59
.LBB122_56:                             ;   in Loop: Header=BB122_20 Depth=1
	s_sub_i32 s28, 0, s34
	v_mul_lo_u32 v10, s66, v2
	s_mov_b64 s[2:3], 0
.LBB122_57:                             ;   Parent Loop BB122_20 Depth=1
                                        ; =>  This Inner Loop Header: Depth=2
	v_lshl_add_u64 v[46:47], v[10:11], 2, v[6:7]
	global_load_dword v19, v[46:47], off
	v_mov_b32_e32 v3, v2
	v_lshlrev_b32_e32 v2, 2, v4
	ds_write_b32 v2, v20
	v_add_u32_e32 v2, s34, v3
	v_cmp_le_u32_e32 vcc, s64, v2
	v_add_u32_e32 v10, v10, v5
	v_mov_b32_e32 v4, v3
	s_or_b64 s[2:3], vcc, s[2:3]
	s_waitcnt vmcnt(0)
	v_mov_b32_e32 v20, v19
	s_andn2_b64 exec, exec, s[2:3]
	s_cbranch_execnz .LBB122_57
; %bb.58:                               ;   in Loop: Header=BB122_20 Depth=1
	s_or_b64 exec, exec, s[2:3]
	v_add_u32_e32 v3, s28, v2
.LBB122_59:                             ;   in Loop: Header=BB122_20 Depth=1
	s_or_b64 exec, exec, s[8:9]
.LBB122_60:                             ;   in Loop: Header=BB122_20 Depth=1
	s_or_b64 exec, exec, s[26:27]
	v_lshlrev_b32_e32 v2, 2, v3
	s_waitcnt vmcnt(0)
	ds_write_b32 v2, v19
.LBB122_61:                             ;   in Loop: Header=BB122_20 Depth=1
	s_or_b64 exec, exec, s[22:23]
	s_waitcnt lgkmcnt(0)
	s_barrier
	s_and_saveexec_b64 s[2:3], s[24:25]
; %bb.62:                               ;   in Loop: Header=BB122_20 Depth=1
	ds_write_b32 v11, v44 offset:4104
; %bb.63:                               ;   in Loop: Header=BB122_20 Depth=1
	s_or_b64 exec, exec, s[2:3]
	s_mov_b64 s[2:3], -1
	s_waitcnt lgkmcnt(0)
	s_barrier
.LBB122_64:                             ;   in Loop: Header=BB122_20 Depth=1
	s_mov_b32 s82, 0
	s_and_b64 vcc, exec, s[2:3]
	s_cbranch_vccz .LBB122_66
; %bb.65:                               ;   in Loop: Header=BB122_20 Depth=1
	ds_read_b32 v2, v11 offset:4104
	s_waitcnt lgkmcnt(0)
	v_readfirstlane_b32 s82, v2
.LBB122_66:                             ;   in Loop: Header=BB122_20 Depth=1
	s_cmp_lt_i32 s82, 1
	s_mov_b64 s[2:3], -1
                                        ; implicit-def: $vgpr4_vgpr5
	s_cbranch_scc1 .LBB122_76
; %bb.67:                               ;   in Loop: Header=BB122_20 Depth=1
	s_and_b64 vcc, exec, s[2:3]
	s_cbranch_vccnz .LBB122_87
.LBB122_68:                             ;   in Loop: Header=BB122_20 Depth=1
	s_lshl_b32 s22, s95, 6
	s_and_saveexec_b64 s[2:3], s[4:5]
.LBB122_69:                             ;   in Loop: Header=BB122_20 Depth=1
	v_lshl_add_u32 v10, s22, 2, v24
	ds_write_b128 v10, v[2:5]
.LBB122_70:                             ;   in Loop: Header=BB122_20 Depth=1
	s_or_b64 exec, exec, s[2:3]
	s_waitcnt lgkmcnt(0)
	s_barrier
	s_and_saveexec_b64 s[2:3], s[86:87]
	s_cbranch_execz .LBB122_104
; %bb.71:                               ;   in Loop: Header=BB122_20 Depth=1
	v_add_u32_e32 v4, s22, v22
	s_andn2_b64 vcc, exec, s[90:91]
	v_mov_b32_e32 v2, 0
	s_cbranch_vccnz .LBB122_103
; %bb.72:                               ;   in Loop: Header=BB122_20 Depth=1
	v_readlane_b32 s8, v70, 30
	v_readlane_b32 s9, v70, 31
	s_andn2_b64 vcc, exec, s[8:9]
	s_cbranch_vccnz .LBB122_96
; %bb.73:                               ;   in Loop: Header=BB122_20 Depth=1
	v_readlane_b32 s8, v70, 32
	v_readlane_b32 s9, v70, 33
	s_andn2_b64 vcc, exec, s[8:9]
	v_lshl_add_u32 v5, v4, 2, v40
	s_cbranch_vccnz .LBB122_97
; %bb.74:                               ;   in Loop: Header=BB122_20 Depth=1
	s_mov_b32 s9, 1
	s_mov_b32 s8, 0
	v_mov_b32_e32 v2, 0
	v_mov_b32_e32 v3, 0
	v_readlane_b32 s23, v70, 34
.LBB122_75:                             ;   Parent Loop BB122_20 Depth=1
                                        ; =>  This Inner Loop Header: Depth=2
	v_lshl_add_u32 v10, s8, 4, v5
	v_lshl_add_u32 v19, s9, 4, v5
	ds_read2_b32 v[46:47], v10 offset1:8
	ds_read2_b32 v[48:49], v19 offset1:8
	ds_read2_b32 v[50:51], v10 offset0:16 offset1:24
	ds_read2_b32 v[52:53], v19 offset0:16 offset1:24
	;; [unrolled: 1-line block ×6, first 2 shown]
	s_waitcnt lgkmcnt(7)
	v_add3_u32 v2, v46, v2, v47
	s_waitcnt lgkmcnt(6)
	v_add3_u32 v3, v48, v3, v49
	;; [unrolled: 2-line block ×3, first 2 shown]
	v_add3_u32 v2, v50, v2, v51
	s_add_i32 s9, s9, 16
	s_add_i32 s8, s8, 16
	s_add_i32 s23, s23, -8
	s_waitcnt lgkmcnt(3)
	v_add3_u32 v2, v54, v2, v55
	s_waitcnt lgkmcnt(2)
	v_add3_u32 v3, v56, v3, v57
	s_cmp_lg_u32 s23, 0
	s_waitcnt lgkmcnt(0)
	v_add3_u32 v3, v60, v3, v61
	v_add3_u32 v2, v58, v2, v59
	s_cbranch_scc1 .LBB122_75
	s_branch .LBB122_98
.LBB122_76:                             ;   in Loop: Header=BB122_20 Depth=1
	v_mov_b32_e32 v10, v11
	v_mov_b64_e32 v[4:5], v[10:11]
	v_mov_b64_e32 v[2:3], v[10:11]
	s_and_saveexec_b64 s[52:53], s[16:17]
	s_cbranch_execz .LBB122_80
; %bb.77:                               ;   in Loop: Header=BB122_20 Depth=1
	s_mov_b32 s8, 0
	s_mov_b64 s[54:55], 0
	v_mov_b32_e32 v19, v15
	s_mov_b32 s58, 0
	s_mov_b32 s59, s8
	;; [unrolled: 1-line block ×4, first 2 shown]
.LBB122_78:                             ;   Parent Loop BB122_20 Depth=1
                                        ; =>  This Inner Loop Header: Depth=2
	v_add_u32_e32 v10, s8, v34
	v_lshl_add_u64 v[2:3], v[10:11], 2, v[6:7]
	v_add_u32_e32 v10, s8, v30
	global_load_dword v4, v[2:3], off
	v_lshl_add_u64 v[2:3], v[10:11], 2, v[6:7]
	v_add_u32_e32 v10, s8, v31
	global_load_dword v5, v[2:3], off
	;; [unrolled: 3-line block ×3, first 2 shown]
	v_lshl_add_u64 v[2:3], v[10:11], 2, v[6:7]
	global_load_dword v2, v[2:3], off
	v_add_u32_e32 v19, s98, v19
	v_cmp_le_u32_e32 vcc, s93, v19
	s_add_i32 s8, s8, s77
	s_waitcnt vmcnt(3)
	v_cmp_lt_i32_e64 s[2:3], -1, v4
	s_nop 1
	v_cndmask_b32_e64 v3, -1, v38, s[2:3]
	v_xor_b32_e32 v3, v3, v4
	s_waitcnt vmcnt(2)
	v_cmp_lt_i32_e64 s[2:3], -1, v5
	s_waitcnt vmcnt(0)
	v_cmp_o_f32_e64 s[34:35], v2, v2
	v_cndmask_b32_e64 v10, -1, v38, s[2:3]
	v_cmp_o_f32_e64 s[2:3], v4, v4
	v_xor_b32_e32 v4, v10, v5
	s_nop 0
	v_cndmask_b32_e64 v3, -1, v3, s[2:3]
	v_cmp_lt_i32_e64 s[2:3], -1, v20
	v_and_b32_e32 v43, v3, v41
	v_bfe_u32 v3, v3, v39, 2
	v_cndmask_b32_e64 v10, -1, v38, s[2:3]
	v_cmp_o_f32_e64 s[2:3], v5, v5
	v_xor_b32_e32 v5, v10, v20
	v_cmp_eq_u32_e64 s[22:23], 0, v3
	v_cndmask_b32_e64 v4, -1, v4, s[2:3]
	v_cmp_lt_i32_e64 s[2:3], -1, v2
	v_cmp_eq_u32_e64 s[26:27], 1, v3
	v_cmp_eq_u32_e64 s[28:29], 2, v3
	v_cndmask_b32_e64 v10, -1, v38, s[2:3]
	v_cmp_o_f32_e64 s[2:3], v20, v20
	v_and_b32_e32 v20, v4, v41
	v_bfe_u32 v4, v4, v39, 2
	v_cndmask_b32_e64 v5, -1, v5, s[2:3]
	v_cmp_eq_u32_e64 s[2:3], v43, v32
	s_and_b64 s[22:23], s[2:3], s[22:23]
	v_xor_b32_e32 v10, v10, v2
	v_cmp_eq_u32_e64 s[30:31], 3, v3
	v_cmp_eq_u32_e64 s[36:37], 0, v4
	;; [unrolled: 1-line block ×5, first 2 shown]
	v_cndmask_b32_e64 v4, 0, 1, s[22:23]
	s_and_b64 s[22:23], s[2:3], s[26:27]
	v_cndmask_b32_e64 v2, -1, v10, s[34:35]
	v_cmp_eq_u32_e64 s[34:35], v20, v32
	v_and_b32_e32 v3, v5, v41
	v_bfe_u32 v5, v5, v39, 2
	v_cndmask_b32_e64 v10, 0, 1, s[22:23]
	s_and_b64 s[22:23], s[2:3], s[28:29]
	s_and_b64 s[2:3], s[2:3], s[30:31]
	v_cndmask_b32_e64 v20, 0, 1, s[22:23]
	v_cndmask_b32_e64 v43, 0, 1, s[2:3]
	v_cmp_eq_u32_e64 s[2:3], v3, v32
	v_and_b32_e32 v3, v2, v41
	v_bfe_u32 v2, v2, v39, 2
	v_cmp_eq_u32_e64 s[22:23], 0, v5
	s_and_b64 s[36:37], s[34:35], s[36:37]
	s_and_b64 s[38:39], s[34:35], s[38:39]
	;; [unrolled: 1-line block ×4, first 2 shown]
	v_cmp_eq_u32_e64 s[26:27], 1, v5
	v_cmp_eq_u32_e64 s[28:29], 2, v5
	;; [unrolled: 1-line block ×3, first 2 shown]
	v_cndmask_b32_e64 v5, 0, 1, s[38:39]
	v_cmp_ne_u32_e64 s[38:39], 0, v20
	v_cndmask_b32_e64 v20, 0, 1, s[34:35]
	v_cmp_eq_u32_e64 s[34:35], v3, v32
	v_cmp_eq_u32_e64 s[42:43], 0, v2
	s_and_b64 s[22:23], s[2:3], s[22:23]
	v_cmp_eq_u32_e64 s[46:47], 1, v2
	v_cmp_eq_u32_e64 s[48:49], 2, v2
	;; [unrolled: 1-line block ×3, first 2 shown]
	v_cndmask_b32_e64 v2, 0, 1, s[22:23]
	s_and_b64 s[26:27], s[2:3], s[26:27]
	s_and_b64 s[28:29], s[2:3], s[28:29]
	;; [unrolled: 1-line block ×4, first 2 shown]
	v_cmp_ne_u32_e64 s[44:45], 0, v4
	v_cndmask_b32_e64 v4, 0, 1, s[36:37]
	v_cmp_ne_u32_e64 s[36:37], 0, v10
	v_cndmask_b32_e64 v10, 0, 1, s[40:41]
	v_cmp_ne_u32_e64 s[40:41], 0, v43
	v_cmp_ne_u32_e64 s[22:23], 0, v5
	v_cndmask_b32_e64 v3, 0, 1, s[26:27]
	v_cndmask_b32_e64 v5, 0, 1, s[2:3]
	v_cmp_ne_u32_e64 s[2:3], 0, v2
	v_cndmask_b32_e64 v2, 0, 1, s[30:31]
	s_and_b64 s[30:31], s[34:35], s[46:47]
	s_bcnt1_i32_b64 s9, s[44:45]
	v_cmp_ne_u32_e64 s[44:45], 0, v4
	s_bcnt1_i32_b64 s36, s[36:37]
	s_bcnt1_i32_b64 s37, s[38:39]
	v_cmp_ne_u32_e64 s[26:27], 0, v10
	v_cndmask_b32_e64 v4, 0, 1, s[28:29]
	s_bcnt1_i32_b64 s38, s[40:41]
	s_bcnt1_i32_b64 s40, s[22:23]
	v_cmp_ne_u32_e64 s[22:23], 0, v3
	v_cndmask_b32_e64 v3, 0, 1, s[30:31]
	s_and_b64 s[30:31], s[34:35], s[48:49]
	v_cmp_ne_u32_e64 s[28:29], 0, v20
	s_bcnt1_i32_b64 s41, s[26:27]
	v_cmp_ne_u32_e64 s[26:27], 0, v4
	v_cndmask_b32_e64 v4, 0, 1, s[30:31]
	s_and_b64 s[30:31], s[34:35], s[50:51]
	s_bcnt1_i32_b64 s39, s[44:45]
	s_add_i32 s9, s58, s9
	s_add_i32 s36, s59, s36
	s_bcnt1_i32_b64 s42, s[28:29]
	v_cmp_ne_u32_e64 s[28:29], 0, v5
	v_cndmask_b32_e64 v5, 0, 1, s[30:31]
	s_add_i32 s30, s56, s37
	s_add_i32 s31, s57, s38
	s_bcnt1_i32_b64 s34, s[2:3]
	v_cmp_ne_u32_e64 s[2:3], 0, v2
	s_bcnt1_i32_b64 s35, s[22:23]
	v_cmp_ne_u32_e64 s[22:23], 0, v3
	s_add_i32 s36, s36, s40
	s_add_i32 s9, s9, s39
	s_bcnt1_i32_b64 s37, s[26:27]
	v_cmp_ne_u32_e64 s[26:27], 0, v4
	s_bcnt1_i32_b64 s38, s[28:29]
	v_cmp_ne_u32_e64 s[28:29], 0, v5
	s_add_i32 s31, s31, s42
	s_add_i32 s30, s30, s41
	s_bcnt1_i32_b64 s2, s[2:3]
	s_bcnt1_i32_b64 s3, s[22:23]
	s_add_i32 s9, s9, s34
	s_add_i32 s22, s36, s35
	s_bcnt1_i32_b64 s23, s[26:27]
	s_bcnt1_i32_b64 s26, s[28:29]
	s_add_i32 s27, s30, s37
	s_add_i32 s28, s31, s38
	s_add_i32 s59, s22, s3
	s_add_i32 s58, s9, s2
	s_add_i32 s57, s28, s26
	s_add_i32 s56, s27, s23
	s_or_b64 s[54:55], vcc, s[54:55]
	v_mov_b64_e32 v[2:3], s[58:59]
	v_mov_b64_e32 v[4:5], s[56:57]
	s_andn2_b64 exec, exec, s[54:55]
	s_cbranch_execnz .LBB122_78
; %bb.79:                               ;   in Loop: Header=BB122_20 Depth=1
	s_or_b64 exec, exec, s[54:55]
.LBB122_80:                             ;   in Loop: Header=BB122_20 Depth=1
	s_or_b64 exec, exec, s[52:53]
	s_and_saveexec_b64 s[8:9], s[18:19]
	s_cbranch_execz .LBB122_86
; %bb.81:                               ;   in Loop: Header=BB122_20 Depth=1
	global_load_dword v43, v[16:17], off
	s_mov_b64 s[22:23], 0
	v_mov_b32_e32 v10, v35
	v_mov_b32_e32 v19, v28
	s_branch .LBB122_83
.LBB122_82:                             ;   in Loop: Header=BB122_83 Depth=2
	s_or_b64 exec, exec, s[26:27]
	s_and_b64 s[2:3], exec, vcc
	s_waitcnt vmcnt(0)
	v_cmp_lt_i32_e32 vcc, -1, v43
	s_or_b64 s[22:23], s[2:3], s[22:23]
	v_add_u32_e32 v10, s65, v10
	v_cndmask_b32_e32 v45, -1, v38, vcc
	v_xor_b32_e32 v45, v45, v43
	v_cmp_o_f32_e32 vcc, v43, v43
	s_nop 1
	v_cndmask_b32_e32 v43, -1, v45, vcc
	v_and_b32_e32 v45, v43, v41
	v_bfe_u32 v43, v43, v39, 2
	v_cmp_eq_u32_e32 vcc, v45, v32
	v_cmp_eq_u32_e64 s[2:3], 0, v43
	s_and_b64 s[2:3], vcc, s[2:3]
	s_nop 0
	v_cndmask_b32_e64 v45, 0, 1, s[2:3]
	v_cmp_ne_u32_e64 s[2:3], 0, v45
	s_bcnt1_i32_b64 s26, s[2:3]
	v_cmp_eq_u32_e64 s[2:3], 1, v43
	s_and_b64 s[2:3], vcc, s[2:3]
	v_add_u32_e32 v2, s26, v2
	v_cndmask_b32_e64 v45, 0, 1, s[2:3]
	v_cmp_ne_u32_e64 s[2:3], 0, v45
	s_bcnt1_i32_b64 s2, s[2:3]
	s_nop 0
	v_add_u32_e32 v3, s2, v3
	v_cmp_eq_u32_e64 s[2:3], 2, v43
	s_and_b64 s[2:3], vcc, s[2:3]
	s_nop 0
	v_cndmask_b32_e64 v45, 0, 1, s[2:3]
	v_cmp_ne_u32_e64 s[2:3], 0, v45
	s_bcnt1_i32_b64 s26, s[2:3]
	v_cmp_eq_u32_e64 s[2:3], 3, v43
	s_and_b64 s[2:3], vcc, s[2:3]
	v_add_u32_e32 v4, s26, v4
	v_cndmask_b32_e64 v43, 0, 1, s[2:3]
	v_cmp_ne_u32_e32 vcc, 0, v43
	s_bcnt1_i32_b64 s2, vcc
	v_add_u32_e32 v5, s2, v5
	v_mov_b32_e32 v43, v20
	s_andn2_b64 exec, exec, s[22:23]
	s_cbranch_execz .LBB122_85
.LBB122_83:                             ;   Parent Loop BB122_20 Depth=1
                                        ; =>  This Inner Loop Header: Depth=2
	v_add_u32_e32 v19, s67, v19
	v_cmp_gt_u32_e64 s[2:3], s64, v19
	v_cmp_le_u32_e32 vcc, s64, v19
	v_mov_b32_e32 v20, 0
	s_and_saveexec_b64 s[26:27], s[2:3]
	s_cbranch_execz .LBB122_82
; %bb.84:                               ;   in Loop: Header=BB122_83 Depth=2
	v_lshl_add_u64 v[46:47], v[10:11], 2, v[6:7]
	global_load_dword v20, v[46:47], off
	s_branch .LBB122_82
.LBB122_85:                             ;   in Loop: Header=BB122_20 Depth=1
	s_or_b64 exec, exec, s[22:23]
.LBB122_86:                             ;   in Loop: Header=BB122_20 Depth=1
	s_or_b64 exec, exec, s[8:9]
	s_branch .LBB122_68
.LBB122_87:                             ;   in Loop: Header=BB122_20 Depth=1
	s_mul_hi_u32 s2, s82, s92
	s_mul_i32 s2, s2, s98
	s_sub_i32 s2, s82, s2
	s_sub_i32 s3, s2, s98
	s_cmp_ge_u32 s2, s98
	s_cselect_b32 s2, s3, s2
	s_sub_i32 s3, s2, s98
	s_cmp_ge_u32 s2, s98
	s_cselect_b32 s2, s3, s2
	s_sub_i32 s83, s82, s2
	v_mov_b32_e32 v10, v11
	v_cmp_gt_u32_e32 vcc, s83, v15
	v_mov_b64_e32 v[4:5], v[10:11]
	v_mov_b64_e32 v[2:3], v[10:11]
	s_and_saveexec_b64 s[74:75], vcc
	s_cbranch_execz .LBB122_91
; %bb.88:                               ;   in Loop: Header=BB122_20 Depth=1
	s_mov_b32 s96, 0
	s_mov_b64 s[84:85], 0
	v_mov_b32_e32 v10, v36
	v_mov_b32_e32 v19, v15
	s_mov_b32 s97, s96
	s_mov_b32 s8, s96
	;; [unrolled: 1-line block ×3, first 2 shown]
.LBB122_89:                             ;   Parent Loop BB122_20 Depth=1
                                        ; =>  This Inner Loop Header: Depth=2
	ds_read_b128 v[2:5], v10
	v_add_u32_e32 v19, s98, v19
	v_cmp_le_u32_e32 vcc, s83, v19
	v_add_u32_e32 v10, s94, v10
	s_waitcnt lgkmcnt(0)
	v_cmp_lt_i32_e64 s[2:3], -1, v3
	v_cmp_o_f32_e64 s[22:23], v4, v4
	s_nop 0
	v_cndmask_b32_e64 v20, -1, v38, s[2:3]
	v_cmp_lt_i32_e64 s[2:3], -1, v2
	v_cmp_o_f32_e64 s[26:27], v5, v5
	v_cmp_o_f32_e64 s[28:29], v3, v3
	v_cndmask_b32_e64 v43, -1, v38, s[2:3]
	v_cmp_lt_i32_e64 s[2:3], -1, v5
	v_xor_b32_e32 v43, v43, v2
	s_nop 0
	v_cndmask_b32_e64 v45, -1, v38, s[2:3]
	v_cmp_lt_i32_e64 s[2:3], -1, v4
	s_nop 1
	v_cndmask_b32_e64 v46, -1, v38, s[2:3]
	v_cmp_o_f32_e64 s[2:3], v2, v2
	v_xor_b32_e32 v2, v46, v4
	v_xor_b32_e32 v4, v45, v5
	;; [unrolled: 1-line block ×3, first 2 shown]
	v_cndmask_b32_e64 v3, -1, v5, s[28:29]
	v_cndmask_b32_e64 v5, -1, v43, s[2:3]
	v_and_b32_e32 v20, v5, v41
	v_lshrrev_b32_e32 v5, v39, v5
	v_cndmask_b32_e64 v2, -1, v2, s[22:23]
	v_and_b32_e32 v43, v3, v41
	v_lshrrev_b32_e32 v3, v39, v3
	v_and_b32_e32 v5, 3, v5
	v_and_b32_e32 v45, v2, v41
	v_lshrrev_b32_e32 v2, v39, v2
	v_cmp_eq_u32_e64 s[2:3], v20, v32
	v_and_b32_e32 v3, 3, v3
	v_cmp_eq_u32_e64 s[30:31], 0, v5
	v_cndmask_b32_e64 v4, -1, v4, s[26:27]
	v_cmp_eq_u32_e64 s[22:23], v43, v32
	v_and_b32_e32 v2, 3, v2
	v_cmp_eq_u32_e64 s[34:35], 0, v3
	s_and_b64 s[30:31], s[2:3], s[30:31]
	v_and_b32_e32 v46, v4, v41
	v_lshrrev_b32_e32 v4, v39, v4
	v_cmp_eq_u32_e64 s[36:37], 1, v5
	v_cmp_eq_u32_e64 s[48:49], 0, v2
	;; [unrolled: 1-line block ×5, first 2 shown]
	v_cndmask_b32_e64 v2, 0, 1, s[30:31]
	s_and_b64 s[30:31], s[22:23], s[34:35]
	v_and_b32_e32 v4, 3, v4
	v_cmp_eq_u32_e64 s[38:39], 1, v3
	v_cmp_eq_u32_e64 s[42:43], 2, v3
	;; [unrolled: 1-line block ×3, first 2 shown]
	v_cndmask_b32_e64 v3, 0, 1, s[30:31]
	s_and_b64 s[30:31], s[2:3], s[36:37]
	v_cmp_eq_u32_e64 s[40:41], 2, v5
	v_cmp_eq_u32_e64 s[50:51], 0, v4
	v_cmp_eq_u32_e64 s[54:55], 1, v4
	v_cmp_eq_u32_e64 s[58:59], 2, v4
	v_cmp_eq_u32_e64 s[60:61], 3, v4
	v_cndmask_b32_e64 v4, 0, 1, s[30:31]
	s_and_b64 s[30:31], s[22:23], s[38:39]
	v_cmp_eq_u32_e64 s[46:47], 3, v5
	v_cndmask_b32_e64 v5, 0, 1, s[30:31]
	s_and_b64 s[30:31], s[2:3], s[40:41]
	v_cmp_eq_u32_e64 s[26:27], v45, v32
	v_cndmask_b32_e64 v20, 0, 1, s[30:31]
	s_and_b64 s[30:31], s[22:23], s[42:43]
	v_cmp_eq_u32_e64 s[28:29], v46, v32
	v_cndmask_b32_e64 v43, 0, 1, s[30:31]
	s_and_b64 s[30:31], s[26:27], s[48:49]
	v_cndmask_b32_e64 v45, 0, 1, s[30:31]
	s_and_b64 s[30:31], s[28:29], s[50:51]
	;; [unrolled: 2-line block ×3, first 2 shown]
	s_and_b64 s[2:3], s[2:3], s[46:47]
	v_cndmask_b32_e64 v47, 0, 1, s[30:31]
	s_and_b64 s[30:31], s[28:29], s[54:55]
	v_cndmask_b32_e64 v51, 0, 1, s[2:3]
	;; [unrolled: 2-line block ×7, first 2 shown]
	v_cndmask_b32_e64 v54, 0, 1, s[2:3]
	v_cmp_ne_u32_e64 s[2:3], 0, v2
	v_cmp_ne_u32_e64 s[22:23], 0, v3
	;; [unrolled: 1-line block ×9, first 2 shown]
	s_bcnt1_i32_b64 s2, s[2:3]
	s_bcnt1_i32_b64 s3, s[22:23]
	;; [unrolled: 1-line block ×7, first 2 shown]
	v_cmp_ne_u32_e64 s[38:39], 0, v46
	v_cmp_ne_u32_e64 s[40:41], 0, v47
	;; [unrolled: 1-line block ×4, first 2 shown]
	s_bcnt1_i32_b64 s27, s[34:35]
	s_bcnt1_i32_b64 s37, s[50:51]
	s_add_i32 s2, s96, s2
	s_add_i32 s22, s97, s22
	;; [unrolled: 1-line block ×4, first 2 shown]
	v_cmp_ne_u32_e64 s[42:43], 0, v48
	v_cmp_ne_u32_e64 s[46:47], 0, v50
	;; [unrolled: 1-line block ×3, first 2 shown]
	s_bcnt1_i32_b64 s29, s[38:39]
	s_bcnt1_i32_b64 s30, s[40:41]
	;; [unrolled: 1-line block ×4, first 2 shown]
	s_add_i32 s22, s22, s23
	s_add_i32 s2, s2, s3
	;; [unrolled: 1-line block ×4, first 2 shown]
	s_bcnt1_i32_b64 s31, s[42:43]
	s_bcnt1_i32_b64 s35, s[46:47]
	;; [unrolled: 1-line block ×3, first 2 shown]
	s_add_i32 s2, s2, s28
	s_add_i32 s9, s22, s30
	;; [unrolled: 1-line block ×8, first 2 shown]
	s_or_b64 s[84:85], vcc, s[84:85]
	v_mov_b64_e32 v[2:3], s[96:97]
	v_mov_b64_e32 v[4:5], s[8:9]
	s_andn2_b64 exec, exec, s[84:85]
	s_cbranch_execnz .LBB122_89
; %bb.90:                               ;   in Loop: Header=BB122_20 Depth=1
	s_or_b64 exec, exec, s[84:85]
.LBB122_91:                             ;   in Loop: Header=BB122_20 Depth=1
	s_or_b64 exec, exec, s[74:75]
	v_add_u32_e32 v10, s83, v0
	v_cmp_gt_u32_e32 vcc, s82, v10
	s_and_saveexec_b64 s[8:9], vcc
	s_cbranch_execz .LBB122_95
; %bb.92:                               ;   in Loop: Header=BB122_20 Depth=1
	v_lshlrev_b32_e32 v19, 2, v10
	s_mov_b64 s[34:35], 0
.LBB122_93:                             ;   Parent Loop BB122_20 Depth=1
                                        ; =>  This Inner Loop Header: Depth=2
	ds_read_b32 v20, v19
	v_add_u32_e32 v10, s67, v10
	v_cmp_le_u32_e32 vcc, s82, v10
	v_add_u32_e32 v19, s98, v19
	s_waitcnt lgkmcnt(0)
	v_cmp_lt_i32_e64 s[2:3], -1, v20
	s_nop 1
	v_cndmask_b32_e64 v43, -1, v38, s[2:3]
	v_xor_b32_e32 v43, v43, v20
	v_cmp_o_f32_e64 s[2:3], v20, v20
	s_nop 1
	v_cndmask_b32_e64 v20, -1, v43, s[2:3]
	v_and_b32_e32 v43, v20, v41
	v_bfe_u32 v20, v20, v39, 2
	v_cmp_eq_u32_e64 s[2:3], v43, v32
	v_cmp_eq_u32_e64 s[22:23], 0, v20
	;; [unrolled: 1-line block ×3, first 2 shown]
	s_and_b64 s[22:23], s[2:3], s[22:23]
	v_cmp_eq_u32_e64 s[28:29], 2, v20
	v_cmp_eq_u32_e64 s[30:31], 3, v20
	v_cndmask_b32_e64 v20, 0, 1, s[22:23]
	s_and_b64 s[22:23], s[2:3], s[26:27]
	v_cndmask_b32_e64 v43, 0, 1, s[22:23]
	s_and_b64 s[22:23], s[2:3], s[28:29]
	s_and_b64 s[2:3], s[2:3], s[30:31]
	v_cndmask_b32_e64 v45, 0, 1, s[22:23]
	v_cndmask_b32_e64 v46, 0, 1, s[2:3]
	v_cmp_ne_u32_e64 s[2:3], 0, v20
	v_cmp_ne_u32_e64 s[22:23], 0, v43
	;; [unrolled: 1-line block ×4, first 2 shown]
	s_bcnt1_i32_b64 s2, s[2:3]
	s_bcnt1_i32_b64 s3, s[22:23]
	;; [unrolled: 1-line block ×4, first 2 shown]
	v_add_u32_e32 v3, s3, v3
	v_add_u32_e32 v2, s2, v2
	;; [unrolled: 1-line block ×3, first 2 shown]
	s_or_b64 s[34:35], vcc, s[34:35]
	v_add_u32_e32 v4, s22, v4
	s_andn2_b64 exec, exec, s[34:35]
	s_cbranch_execnz .LBB122_93
; %bb.94:                               ;   in Loop: Header=BB122_20 Depth=1
	s_or_b64 exec, exec, s[34:35]
.LBB122_95:                             ;   in Loop: Header=BB122_20 Depth=1
	s_or_b64 exec, exec, s[8:9]
	s_lshl_b32 s22, s95, 6
	s_and_saveexec_b64 s[2:3], s[4:5]
	s_cbranch_execnz .LBB122_69
	s_branch .LBB122_70
.LBB122_96:                             ;   in Loop: Header=BB122_20 Depth=1
	v_mov_b32_e32 v2, 0
	s_mov_b32 s23, 0
	s_cbranch_execnz .LBB122_101
	s_branch .LBB122_103
.LBB122_97:                             ;   in Loop: Header=BB122_20 Depth=1
	v_mov_b32_e32 v10, v11
	s_mov_b32 s8, 0
	v_mov_b64_e32 v[2:3], v[10:11]
	s_mov_b32 s9, 1
.LBB122_98:                             ;   in Loop: Header=BB122_20 Depth=1
	v_readlane_b32 s26, v70, 36
	v_readlane_b32 s27, v70, 37
	s_andn2_b64 vcc, exec, s[26:27]
	v_readlane_b32 s23, v70, 35
	s_cbranch_vccnz .LBB122_100
.LBB122_99:                             ;   Parent Loop BB122_20 Depth=1
                                        ; =>  This Inner Loop Header: Depth=2
	v_lshl_add_u32 v10, s8, 4, v5
	v_lshl_add_u32 v19, s9, 4, v5
	ds_read_b32 v19, v19
	ds_read_b32 v10, v10
	s_add_i32 s9, s9, 2
	s_add_i32 s8, s8, 2
	s_add_i32 s23, s23, -1
	s_cmp_lg_u32 s23, 0
	s_waitcnt lgkmcnt(1)
	v_add_u32_e32 v3, v19, v3
	s_waitcnt lgkmcnt(0)
	v_add_u32_e32 v2, v10, v2
	s_cbranch_scc1 .LBB122_99
.LBB122_100:                            ;   in Loop: Header=BB122_20 Depth=1
	v_readlane_b32 s8, v70, 40
	v_add_u32_e32 v2, v2, v3
	v_readlane_b32 s23, v70, 39
	v_readlane_b32 s9, v70, 41
	s_and_b64 vcc, exec, s[8:9]
	s_cbranch_vccz .LBB122_103
.LBB122_101:                            ;   in Loop: Header=BB122_20 Depth=1
	s_lshl_b32 s8, s95, 8
	s_lshl_b32 s9, s23, 4
	s_add_i32 s8, s8, s9
	v_add_u32_e32 v3, s8, v37
	v_readlane_b32 s8, v70, 38
	s_sub_i32 s8, s8, s23
.LBB122_102:                            ;   Parent Loop BB122_20 Depth=1
                                        ; =>  This Inner Loop Header: Depth=2
	ds_read_b32 v5, v3
	s_add_i32 s8, s8, -1
	v_add_u32_e32 v3, 16, v3
	s_cmp_eq_u32 s8, 0
	s_waitcnt lgkmcnt(0)
	v_add_u32_e32 v2, v5, v2
	s_cbranch_scc0 .LBB122_102
.LBB122_103:                            ;   in Loop: Header=BB122_20 Depth=1
	v_lshlrev_b32_e32 v3, 2, v4
	ds_write_b32 v3, v2 offset:3072
.LBB122_104:                            ;   in Loop: Header=BB122_20 Depth=1
	s_or_b64 exec, exec, s[2:3]
	s_lshl_b32 s2, s22, 2
	v_mov_b32_e32 v2, s2
	s_waitcnt lgkmcnt(0)
	s_barrier
	ds_read_b128 v[2:5], v2 offset:3072
	v_cmp_eq_u32_e32 vcc, 1, v42
	s_mov_b64 s[22:23], -1
	s_mov_b64 s[30:31], -1
                                        ; implicit-def: $sgpr28_sgpr29
                                        ; implicit-def: $sgpr8_sgpr9
	s_waitcnt lgkmcnt(0)
	v_readfirstlane_b32 s44, v2
	s_cmp_eq_u32 s44, 1
	v_lshlrev_b32_e64 v2, v39, 3
	s_cselect_b64 s[2:3], -1, 0
	v_readfirstlane_b32 s48, v3
	v_readfirstlane_b32 s56, v4
	;; [unrolled: 1-line block ×3, first 2 shown]
	v_not_b32_e32 v4, v2
	s_and_b64 s[26:27], s[2:3], vcc
	s_and_saveexec_b64 s[2:3], s[26:27]
	s_cbranch_execz .LBB122_132
; %bb.105:                              ;   in Loop: Header=BB122_20 Depth=1
	ds_read_b32 v3, v11 offset:4104
	s_waitcnt lgkmcnt(0)
	s_barrier
	v_readfirstlane_b32 s45, v3
	s_and_saveexec_b64 s[8:9], s[6:7]
; %bb.106:                              ;   in Loop: Header=BB122_20 Depth=1
	ds_write_b32 v23, v11
; %bb.107:                              ;   in Loop: Header=BB122_20 Depth=1
	s_or_b64 exec, exec, s[8:9]
	v_and_b32_e32 v32, v32, v4
	v_or_b32_e32 v41, v41, v2
	s_mov_b64 s[8:9], -1
	s_mov_b64 s[28:29], 0
	s_cmp_eq_u32 s45, 0
	s_mov_b64 s[30:31], 0
	s_mov_b64 s[34:35], -1
	s_waitcnt lgkmcnt(0)
	s_barrier
                                        ; implicit-def: $vgpr21
	s_cbranch_scc1 .LBB122_119
; %bb.108:                              ;   in Loop: Header=BB122_20 Depth=1
	s_add_i32 s30, s45, s99
	s_mul_hi_u32 s31, s30, s78
	s_mul_i32 s31, s31, s67
	s_sub_i32 s31, s30, s31
	s_sub_i32 s34, s31, s67
	s_cmp_ge_u32 s31, s67
	s_cselect_b32 s31, s34, s31
	s_sub_i32 s34, s31, s67
	s_cmp_ge_u32 s31, s67
	s_cselect_b32 s31, s34, s31
	s_sub_i32 s46, s30, s31
	v_cmp_gt_u32_e32 vcc, s46, v0
	s_mov_b64 s[34:35], 0
	s_mov_b64 s[30:31], 0
                                        ; implicit-def: $vgpr21
	s_and_saveexec_b64 s[36:37], vcc
	s_cbranch_execz .LBB122_118
; %bb.109:                              ;   in Loop: Header=BB122_20 Depth=1
	v_mov_b32_e32 v3, v15
	v_mov_b32_e32 v5, v0
                                        ; implicit-def: $sgpr38_sgpr39
	s_branch .LBB122_113
.LBB122_110:                            ;   in Loop: Header=BB122_113 Depth=2
	s_or_b64 exec, exec, s[40:41]
	s_waitcnt lgkmcnt(0)
	s_barrier
	ds_read_b64 v[20:21], v11 offset:3072
	s_waitcnt lgkmcnt(0)
	s_barrier
	v_cmp_neq_f32_e32 vcc, 0, v20
	s_cbranch_vccnz .LBB122_116
; %bb.111:                              ;   in Loop: Header=BB122_113 Depth=2
	v_add_u32_e32 v5, s67, v5
	v_cmp_le_u32_e32 vcc, s46, v5
	v_add_u32_e32 v3, s98, v3
	s_mov_b64 s[40:41], 0
	s_orn2_b64 s[42:43], vcc, exec
.LBB122_112:                            ;   in Loop: Header=BB122_113 Depth=2
	s_and_b64 s[42:43], exec, s[42:43]
	s_or_b64 s[30:31], s[42:43], s[30:31]
	s_andn2_b64 s[38:39], s[38:39], exec
	s_and_b64 s[40:41], s[40:41], exec
	s_or_b64 s[38:39], s[38:39], s[40:41]
	s_andn2_b64 exec, exec, s[30:31]
	s_cbranch_execz .LBB122_117
.LBB122_113:                            ;   Parent Loop BB122_20 Depth=1
                                        ; =>  This Inner Loop Header: Depth=2
	v_cmp_gt_u32_e32 vcc, s45, v5
	s_and_saveexec_b64 s[40:41], vcc
	s_cbranch_execz .LBB122_110
; %bb.114:                              ;   in Loop: Header=BB122_113 Depth=2
	ds_read_b32 v19, v3
	s_waitcnt lgkmcnt(0)
	v_cmp_lt_i32_e32 vcc, -1, v19
	s_nop 1
	v_cndmask_b32_e32 v10, -1, v38, vcc
	v_xor_b32_e32 v10, v10, v19
	v_cmp_o_f32_e32 vcc, v19, v19
	s_nop 1
	v_cndmask_b32_e32 v10, -1, v10, vcc
	v_and_b32_e32 v10, v10, v41
	v_cmp_eq_u32_e32 vcc, v10, v32
	s_and_b64 exec, exec, vcc
	s_cbranch_execz .LBB122_110
; %bb.115:                              ;   in Loop: Header=BB122_113 Depth=2
	ds_write_b64 v11, v[18:19] offset:3072
	s_branch .LBB122_110
.LBB122_116:                            ;   in Loop: Header=BB122_113 Depth=2
	s_mov_b64 s[42:43], -1
                                        ; implicit-def: $vgpr5
                                        ; implicit-def: $vgpr3
	s_mov_b64 s[40:41], -1
	s_branch .LBB122_112
.LBB122_117:                            ;   in Loop: Header=BB122_20 Depth=1
	s_or_b64 exec, exec, s[30:31]
	s_and_b64 s[30:31], s[38:39], exec
.LBB122_118:                            ;   in Loop: Header=BB122_20 Depth=1
	s_or_b64 exec, exec, s[36:37]
.LBB122_119:                            ;   in Loop: Header=BB122_20 Depth=1
	s_and_b64 vcc, exec, s[34:35]
	s_cbranch_vccz .LBB122_131
; %bb.120:                              ;   in Loop: Header=BB122_20 Depth=1
                                        ; implicit-def: $vgpr21
	s_and_saveexec_b64 s[8:9], s[20:21]
	s_cbranch_execz .LBB122_130
; %bb.121:                              ;   in Loop: Header=BB122_20 Depth=1
	s_mov_b64 s[28:29], 0
	v_mov_b32_e32 v10, v8
	v_mov_b32_e32 v3, v0
                                        ; implicit-def: $sgpr34_sgpr35
	s_branch .LBB122_125
.LBB122_122:                            ;   in Loop: Header=BB122_125 Depth=2
	s_or_b64 exec, exec, s[36:37]
	s_waitcnt lgkmcnt(0)
	s_barrier
	ds_read_b64 v[20:21], v11 offset:3072
	s_waitcnt lgkmcnt(0)
	s_barrier
	v_cmp_neq_f32_e32 vcc, 0, v20
	s_cbranch_vccnz .LBB122_128
; %bb.123:                              ;   in Loop: Header=BB122_125 Depth=2
	v_add_u32_e32 v3, s67, v3
	v_cmp_le_u32_e32 vcc, s76, v3
	v_add_u32_e32 v10, s65, v10
	s_mov_b64 s[36:37], 0
	s_orn2_b64 s[38:39], vcc, exec
.LBB122_124:                            ;   in Loop: Header=BB122_125 Depth=2
	s_and_b64 s[38:39], exec, s[38:39]
	s_or_b64 s[28:29], s[38:39], s[28:29]
	s_andn2_b64 s[34:35], s[34:35], exec
	s_and_b64 s[36:37], s[36:37], exec
	s_or_b64 s[34:35], s[34:35], s[36:37]
	s_andn2_b64 exec, exec, s[28:29]
	s_cbranch_execz .LBB122_129
.LBB122_125:                            ;   Parent Loop BB122_20 Depth=1
                                        ; =>  This Inner Loop Header: Depth=2
	v_cmp_gt_u32_e32 vcc, s64, v3
	s_and_saveexec_b64 s[36:37], vcc
	s_cbranch_execz .LBB122_122
; %bb.126:                              ;   in Loop: Header=BB122_125 Depth=2
	v_lshl_add_u64 v[20:21], v[10:11], 2, v[6:7]
	global_load_dword v19, v[20:21], off
	s_waitcnt vmcnt(0)
	v_cmp_lt_i32_e32 vcc, -1, v19
	s_nop 1
	v_cndmask_b32_e32 v5, -1, v38, vcc
	v_xor_b32_e32 v5, v5, v19
	v_cmp_o_f32_e32 vcc, v19, v19
	s_nop 1
	v_cndmask_b32_e32 v5, -1, v5, vcc
	v_and_b32_e32 v5, v5, v41
	v_cmp_eq_u32_e32 vcc, v5, v32
	s_and_b64 exec, exec, vcc
	s_cbranch_execz .LBB122_122
; %bb.127:                              ;   in Loop: Header=BB122_125 Depth=2
	ds_write_b64 v11, v[18:19] offset:3072
	s_branch .LBB122_122
.LBB122_128:                            ;   in Loop: Header=BB122_125 Depth=2
	s_mov_b64 s[38:39], -1
                                        ; implicit-def: $vgpr3
	s_mov_b64 s[36:37], -1
	s_branch .LBB122_124
.LBB122_129:                            ;   in Loop: Header=BB122_20 Depth=1
	s_or_b64 exec, exec, s[28:29]
	s_andn2_b64 s[28:29], s[30:31], exec
	s_and_b64 s[30:31], s[34:35], exec
	s_or_b64 s[30:31], s[28:29], s[30:31]
.LBB122_130:                            ;   in Loop: Header=BB122_20 Depth=1
	s_or_b64 exec, exec, s[8:9]
	s_mov_b64 s[8:9], 0
	s_mov_b64 s[28:29], -1
.LBB122_131:                            ;   in Loop: Header=BB122_20 Depth=1
	s_orn2_b64 s[30:31], s[30:31], exec
.LBB122_132:                            ;   in Loop: Header=BB122_20 Depth=1
	s_or_b64 exec, exec, s[2:3]
	s_andn2_b64 s[2:3], s[72:73], exec
	s_and_b64 s[28:29], s[28:29], exec
	s_or_b64 s[72:73], s[2:3], s[28:29]
	s_andn2_b64 s[2:3], s[14:15], exec
	s_and_b64 s[8:9], s[8:9], exec
	v_readfirstlane_b32 s36, v0
	s_andn2_b64 s[12:13], s[12:13], exec
	s_or_b64 s[14:15], s[2:3], s[8:9]
                                        ; implicit-def: $vgpr5
	s_and_saveexec_b64 s[2:3], s[30:31]
	s_cbranch_execz .LBB122_19
; %bb.133:                              ;   in Loop: Header=BB122_20 Depth=1
	s_xor_b64 s[22:23], s[26:27], -1
	s_mov_b64 s[26:27], 0
	v_mov_b32_e32 v5, 1
	v_mov_b32_e32 v3, 1
	s_and_saveexec_b64 s[8:9], s[22:23]
	s_cbranch_execz .LBB122_142
; %bb.134:                              ;   in Loop: Header=BB122_20 Depth=1
	v_cmp_ge_u32_e32 vcc, s44, v42
	s_and_saveexec_b64 s[22:23], vcc
	s_xor_b64 s[22:23], exec, s[22:23]
	s_cbranch_execz .LBB122_139
; %bb.135:                              ;   in Loop: Header=BB122_20 Depth=1
	ds_read_b32 v3, v11 offset:4104
	v_and_b32_e32 v32, v32, v4
	v_or_b32_e32 v41, v41, v2
	s_waitcnt lgkmcnt(0)
	v_cmp_ne_u32_e32 vcc, 0, v3
	s_cbranch_vccnz .LBB122_139
; %bb.136:                              ;   in Loop: Header=BB122_20 Depth=1
	s_and_saveexec_b64 s[26:27], s[24:25]
; %bb.137:                              ;   in Loop: Header=BB122_20 Depth=1
	v_mov_b32_e32 v3, s44
	ds_write_b32 v11, v3 offset:4108
; %bb.138:                              ;   in Loop: Header=BB122_20 Depth=1
	s_or_b64 exec, exec, s[26:27]
	s_waitcnt lgkmcnt(0)
	s_barrier
.LBB122_139:                            ;   in Loop: Header=BB122_20 Depth=1
	s_or_saveexec_b64 s[22:23], s[22:23]
	s_mov_b64 s[26:27], 0
	v_mov_b32_e32 v3, 8
	s_xor_b64 exec, exec, s[22:23]
; %bb.140:                              ;   in Loop: Header=BB122_20 Depth=1
	s_mov_b64 s[26:27], exec
	v_subrev_u32_e32 v42, s44, v42
	v_mov_b32_e32 v3, 0
; %bb.141:                              ;   in Loop: Header=BB122_20 Depth=1
	s_or_b64 exec, exec, s[22:23]
	s_and_b64 s[26:27], s[26:27], exec
	v_mov_b32_e32 v5, v42
.LBB122_142:                            ;   in Loop: Header=BB122_20 Depth=1
	s_or_b64 exec, exec, s[8:9]
	s_mov_b64 s[22:23], -1
	s_mov_b64 s[8:9], -1
                                        ; implicit-def: $sgpr28_sgpr29
                                        ; implicit-def: $sgpr30_sgpr31
	s_and_saveexec_b64 s[34:35], s[26:27]
	s_xor_b64 s[26:27], exec, s[34:35]
	s_cbranch_execz .LBB122_265
; %bb.143:                              ;   in Loop: Header=BB122_20 Depth=1
	s_cmp_eq_u32 s48, 1
	s_cselect_b64 s[8:9], -1, 0
	v_cmp_eq_u32_e32 vcc, 1, v5
	s_and_b64 s[8:9], s[8:9], vcc
	s_mov_b64 s[36:37], -1
                                        ; implicit-def: $sgpr30_sgpr31
                                        ; implicit-def: $sgpr28_sgpr29
	s_and_saveexec_b64 s[34:35], s[8:9]
	s_cbranch_execz .LBB122_171
; %bb.144:                              ;   in Loop: Header=BB122_20 Depth=1
	ds_read_b32 v10, v11 offset:4104
	s_waitcnt lgkmcnt(0)
	s_barrier
	v_readfirstlane_b32 s49, v10
	s_and_saveexec_b64 s[28:29], s[6:7]
; %bb.145:                              ;   in Loop: Header=BB122_20 Depth=1
	ds_write_b32 v23, v11
; %bb.146:                              ;   in Loop: Header=BB122_20 Depth=1
	s_or_b64 exec, exec, s[28:29]
	v_and_b32_e32 v10, v32, v4
	v_lshl_or_b32 v32, 1, v39, v10
	v_or_b32_e32 v41, v41, v2
	s_mov_b64 s[28:29], -1
	s_mov_b64 s[30:31], 0
	s_cmp_eq_u32 s49, 0
	s_mov_b64 s[36:37], 0
	s_mov_b64 s[38:39], -1
	s_waitcnt lgkmcnt(0)
	s_barrier
                                        ; implicit-def: $vgpr21
	s_cbranch_scc1 .LBB122_158
; %bb.147:                              ;   in Loop: Header=BB122_20 Depth=1
	s_add_i32 s36, s49, s99
	s_mul_hi_u32 s37, s36, s78
	s_mul_i32 s37, s37, s67
	s_sub_i32 s37, s36, s37
	s_sub_i32 s38, s37, s67
	s_cmp_ge_u32 s37, s67
	s_cselect_b32 s37, s38, s37
	s_sub_i32 s38, s37, s67
	s_cmp_ge_u32 s37, s67
	s_cselect_b32 s37, s38, s37
	s_sub_i32 s50, s36, s37
	v_cmp_gt_u32_e32 vcc, s50, v0
	s_mov_b64 s[38:39], 0
	s_mov_b64 s[36:37], 0
                                        ; implicit-def: $vgpr21
	s_and_saveexec_b64 s[40:41], vcc
	s_cbranch_execz .LBB122_157
; %bb.148:                              ;   in Loop: Header=BB122_20 Depth=1
	v_mov_b32_e32 v10, v15
	v_mov_b32_e32 v42, v0
                                        ; implicit-def: $sgpr42_sgpr43
	s_branch .LBB122_152
.LBB122_149:                            ;   in Loop: Header=BB122_152 Depth=2
	s_or_b64 exec, exec, s[44:45]
	s_waitcnt lgkmcnt(0)
	s_barrier
	ds_read_b64 v[20:21], v11 offset:3072
	s_waitcnt lgkmcnt(0)
	s_barrier
	v_cmp_neq_f32_e32 vcc, 0, v20
	s_cbranch_vccnz .LBB122_155
; %bb.150:                              ;   in Loop: Header=BB122_152 Depth=2
	v_add_u32_e32 v42, s67, v42
	v_cmp_le_u32_e32 vcc, s50, v42
	v_add_u32_e32 v10, s98, v10
	s_mov_b64 s[44:45], 0
	s_orn2_b64 s[46:47], vcc, exec
.LBB122_151:                            ;   in Loop: Header=BB122_152 Depth=2
	s_and_b64 s[46:47], exec, s[46:47]
	s_or_b64 s[36:37], s[46:47], s[36:37]
	s_andn2_b64 s[42:43], s[42:43], exec
	s_and_b64 s[44:45], s[44:45], exec
	s_or_b64 s[42:43], s[42:43], s[44:45]
	s_andn2_b64 exec, exec, s[36:37]
	s_cbranch_execz .LBB122_156
.LBB122_152:                            ;   Parent Loop BB122_20 Depth=1
                                        ; =>  This Inner Loop Header: Depth=2
	v_cmp_gt_u32_e32 vcc, s49, v42
	s_and_saveexec_b64 s[44:45], vcc
	s_cbranch_execz .LBB122_149
; %bb.153:                              ;   in Loop: Header=BB122_152 Depth=2
	ds_read_b32 v19, v10
	s_waitcnt lgkmcnt(0)
	v_cmp_lt_i32_e32 vcc, -1, v19
	s_nop 1
	v_cndmask_b32_e32 v20, -1, v38, vcc
	v_xor_b32_e32 v20, v20, v19
	v_cmp_o_f32_e32 vcc, v19, v19
	s_nop 1
	v_cndmask_b32_e32 v20, -1, v20, vcc
	v_and_b32_e32 v20, v20, v41
	v_cmp_eq_u32_e32 vcc, v20, v32
	s_and_b64 exec, exec, vcc
	s_cbranch_execz .LBB122_149
; %bb.154:                              ;   in Loop: Header=BB122_152 Depth=2
	ds_write_b64 v11, v[18:19] offset:3072
	s_branch .LBB122_149
.LBB122_155:                            ;   in Loop: Header=BB122_152 Depth=2
	s_mov_b64 s[46:47], -1
                                        ; implicit-def: $vgpr42
                                        ; implicit-def: $vgpr10
	s_mov_b64 s[44:45], -1
	s_branch .LBB122_151
.LBB122_156:                            ;   in Loop: Header=BB122_20 Depth=1
	s_or_b64 exec, exec, s[36:37]
	s_and_b64 s[36:37], s[42:43], exec
.LBB122_157:                            ;   in Loop: Header=BB122_20 Depth=1
	s_or_b64 exec, exec, s[40:41]
.LBB122_158:                            ;   in Loop: Header=BB122_20 Depth=1
	s_and_b64 vcc, exec, s[38:39]
	s_cbranch_vccz .LBB122_170
; %bb.159:                              ;   in Loop: Header=BB122_20 Depth=1
                                        ; implicit-def: $vgpr21
	s_and_saveexec_b64 s[28:29], s[20:21]
	s_cbranch_execz .LBB122_169
; %bb.160:                              ;   in Loop: Header=BB122_20 Depth=1
	s_mov_b64 s[30:31], 0
	v_mov_b32_e32 v10, v8
	v_mov_b32_e32 v42, v0
                                        ; implicit-def: $sgpr38_sgpr39
	s_branch .LBB122_164
.LBB122_161:                            ;   in Loop: Header=BB122_164 Depth=2
	s_or_b64 exec, exec, s[40:41]
	s_waitcnt lgkmcnt(0)
	s_barrier
	ds_read_b64 v[20:21], v11 offset:3072
	s_waitcnt lgkmcnt(0)
	s_barrier
	v_cmp_eq_f32_e32 vcc, 0, v20
	s_cbranch_vccz .LBB122_167
; %bb.162:                              ;   in Loop: Header=BB122_164 Depth=2
	v_add_u32_e32 v42, s67, v42
	v_cmp_le_u32_e32 vcc, s76, v42
	v_add_u32_e32 v10, s65, v10
	s_mov_b64 s[40:41], 0
	s_orn2_b64 s[42:43], vcc, exec
.LBB122_163:                            ;   in Loop: Header=BB122_164 Depth=2
	s_and_b64 s[42:43], exec, s[42:43]
	s_or_b64 s[30:31], s[42:43], s[30:31]
	s_andn2_b64 s[38:39], s[38:39], exec
	s_and_b64 s[40:41], s[40:41], exec
	s_or_b64 s[38:39], s[38:39], s[40:41]
	s_andn2_b64 exec, exec, s[30:31]
	s_cbranch_execz .LBB122_168
.LBB122_164:                            ;   Parent Loop BB122_20 Depth=1
                                        ; =>  This Inner Loop Header: Depth=2
	v_cmp_gt_u32_e32 vcc, s64, v42
	s_and_saveexec_b64 s[40:41], vcc
	s_cbranch_execz .LBB122_161
; %bb.165:                              ;   in Loop: Header=BB122_164 Depth=2
	v_lshl_add_u64 v[20:21], v[10:11], 2, v[6:7]
	global_load_dword v19, v[20:21], off
	s_waitcnt vmcnt(0)
	v_cmp_lt_i32_e32 vcc, -1, v19
	s_nop 1
	v_cndmask_b32_e32 v20, -1, v38, vcc
	v_xor_b32_e32 v20, v20, v19
	v_cmp_o_f32_e32 vcc, v19, v19
	s_nop 1
	v_cndmask_b32_e32 v20, -1, v20, vcc
	v_and_b32_e32 v20, v20, v41
	v_cmp_eq_u32_e32 vcc, v20, v32
	s_and_b64 exec, exec, vcc
	s_cbranch_execz .LBB122_161
; %bb.166:                              ;   in Loop: Header=BB122_164 Depth=2
	ds_write_b64 v11, v[18:19] offset:3072
	s_branch .LBB122_161
.LBB122_167:                            ;   in Loop: Header=BB122_164 Depth=2
	s_mov_b64 s[42:43], -1
                                        ; implicit-def: $vgpr42
	s_mov_b64 s[40:41], -1
	s_branch .LBB122_163
.LBB122_168:                            ;   in Loop: Header=BB122_20 Depth=1
	s_or_b64 exec, exec, s[30:31]
	s_andn2_b64 s[30:31], s[36:37], exec
	s_and_b64 s[36:37], s[38:39], exec
	s_or_b64 s[36:37], s[30:31], s[36:37]
.LBB122_169:                            ;   in Loop: Header=BB122_20 Depth=1
	s_or_b64 exec, exec, s[28:29]
	s_mov_b64 s[28:29], 0
	s_mov_b64 s[30:31], -1
.LBB122_170:                            ;   in Loop: Header=BB122_20 Depth=1
	s_orn2_b64 s[36:37], s[36:37], exec
.LBB122_171:                            ;   in Loop: Header=BB122_20 Depth=1
	s_or_b64 exec, exec, s[34:35]
	s_mov_b64 s[38:39], 0
	s_and_saveexec_b64 s[34:35], s[36:37]
	s_cbranch_execz .LBB122_264
; %bb.172:                              ;   in Loop: Header=BB122_20 Depth=1
	s_xor_b64 s[36:37], s[8:9], -1
	s_mov_b64 s[42:43], 0
	v_mov_b32_e32 v42, 1
	v_mov_b32_e32 v3, 1
	s_and_saveexec_b64 s[8:9], s[36:37]
	s_cbranch_execz .LBB122_181
; %bb.173:                              ;   in Loop: Header=BB122_20 Depth=1
	v_cmp_ge_u32_e32 vcc, s48, v5
	s_and_saveexec_b64 s[36:37], vcc
	s_xor_b64 s[36:37], exec, s[36:37]
	s_cbranch_execz .LBB122_178
; %bb.174:                              ;   in Loop: Header=BB122_20 Depth=1
	ds_read_b32 v3, v11 offset:4104
	v_and_b32_e32 v10, v32, v4
	v_lshl_or_b32 v32, 1, v39, v10
	v_or_b32_e32 v41, v41, v2
	s_waitcnt lgkmcnt(0)
	v_cmp_ne_u32_e32 vcc, 0, v3
	s_cbranch_vccnz .LBB122_178
; %bb.175:                              ;   in Loop: Header=BB122_20 Depth=1
	s_and_saveexec_b64 s[38:39], s[24:25]
; %bb.176:                              ;   in Loop: Header=BB122_20 Depth=1
	v_mov_b32_e32 v3, s48
	ds_write_b32 v11, v3 offset:4108
; %bb.177:                              ;   in Loop: Header=BB122_20 Depth=1
	s_or_b64 exec, exec, s[38:39]
	s_waitcnt lgkmcnt(0)
	s_barrier
.LBB122_178:                            ;   in Loop: Header=BB122_20 Depth=1
	s_or_saveexec_b64 s[36:37], s[36:37]
	s_mov_b64 s[38:39], 0
	v_mov_b32_e32 v3, 8
	s_xor_b64 exec, exec, s[36:37]
; %bb.179:                              ;   in Loop: Header=BB122_20 Depth=1
	s_mov_b64 s[38:39], exec
	v_subrev_u32_e32 v5, s48, v5
	v_mov_b32_e32 v3, 0
; %bb.180:                              ;   in Loop: Header=BB122_20 Depth=1
	s_or_b64 exec, exec, s[36:37]
	s_and_b64 s[42:43], s[38:39], exec
	v_mov_b32_e32 v42, v5
.LBB122_181:                            ;   in Loop: Header=BB122_20 Depth=1
	s_or_b64 exec, exec, s[8:9]
	s_mov_b64 s[8:9], -1
                                        ; implicit-def: $sgpr38_sgpr39
                                        ; implicit-def: $sgpr40_sgpr41
	s_and_saveexec_b64 s[36:37], s[42:43]
	s_cbranch_execz .LBB122_263
; %bb.182:                              ;   in Loop: Header=BB122_20 Depth=1
	s_cmp_eq_u32 s56, 1
	s_cselect_b64 s[8:9], -1, 0
	v_cmp_eq_u32_e32 vcc, 1, v42
	s_and_b64 s[8:9], s[8:9], vcc
	s_mov_b64 s[44:45], -1
                                        ; implicit-def: $sgpr40_sgpr41
                                        ; implicit-def: $sgpr38_sgpr39
	s_and_saveexec_b64 s[42:43], s[8:9]
	s_cbranch_execz .LBB122_210
; %bb.183:                              ;   in Loop: Header=BB122_20 Depth=1
	ds_read_b32 v5, v11 offset:4104
	s_waitcnt lgkmcnt(0)
	s_barrier
	v_readfirstlane_b32 s57, v5
	s_and_saveexec_b64 s[38:39], s[6:7]
; %bb.184:                              ;   in Loop: Header=BB122_20 Depth=1
	ds_write_b32 v23, v11
; %bb.185:                              ;   in Loop: Header=BB122_20 Depth=1
	s_or_b64 exec, exec, s[38:39]
	v_and_b32_e32 v5, v32, v4
	v_lshl_or_b32 v32, 2, v39, v5
	v_or_b32_e32 v41, v41, v2
	s_mov_b64 s[38:39], -1
	s_mov_b64 s[40:41], 0
	s_cmp_eq_u32 s57, 0
	s_mov_b64 s[44:45], 0
	s_mov_b64 s[46:47], -1
	s_waitcnt lgkmcnt(0)
	s_barrier
                                        ; implicit-def: $vgpr21
	s_cbranch_scc1 .LBB122_197
; %bb.186:                              ;   in Loop: Header=BB122_20 Depth=1
	s_add_i32 s44, s57, s99
	s_mul_hi_u32 s45, s44, s78
	s_mul_i32 s45, s45, s67
	s_sub_i32 s45, s44, s45
	s_sub_i32 s46, s45, s67
	s_cmp_ge_u32 s45, s67
	s_cselect_b32 s45, s46, s45
	s_sub_i32 s46, s45, s67
	s_cmp_ge_u32 s45, s67
	s_cselect_b32 s45, s46, s45
	s_sub_i32 s58, s44, s45
	v_cmp_gt_u32_e32 vcc, s58, v0
	s_mov_b64 s[46:47], 0
	s_mov_b64 s[44:45], 0
                                        ; implicit-def: $vgpr21
	s_and_saveexec_b64 s[48:49], vcc
	s_cbranch_execz .LBB122_196
; %bb.187:                              ;   in Loop: Header=BB122_20 Depth=1
	v_mov_b32_e32 v5, v15
	v_mov_b32_e32 v10, v0
                                        ; implicit-def: $sgpr50_sgpr51
	s_branch .LBB122_191
.LBB122_188:                            ;   in Loop: Header=BB122_191 Depth=2
	s_or_b64 exec, exec, s[52:53]
	s_waitcnt lgkmcnt(0)
	s_barrier
	ds_read_b64 v[20:21], v11 offset:3072
	s_waitcnt lgkmcnt(0)
	s_barrier
	v_cmp_neq_f32_e32 vcc, 0, v20
	s_cbranch_vccnz .LBB122_194
; %bb.189:                              ;   in Loop: Header=BB122_191 Depth=2
	v_add_u32_e32 v10, s67, v10
	v_cmp_le_u32_e32 vcc, s58, v10
	v_add_u32_e32 v5, s98, v5
	s_mov_b64 s[52:53], 0
	s_orn2_b64 s[54:55], vcc, exec
.LBB122_190:                            ;   in Loop: Header=BB122_191 Depth=2
	s_and_b64 s[54:55], exec, s[54:55]
	s_or_b64 s[44:45], s[54:55], s[44:45]
	s_andn2_b64 s[50:51], s[50:51], exec
	s_and_b64 s[52:53], s[52:53], exec
	s_or_b64 s[50:51], s[50:51], s[52:53]
	s_andn2_b64 exec, exec, s[44:45]
	s_cbranch_execz .LBB122_195
.LBB122_191:                            ;   Parent Loop BB122_20 Depth=1
                                        ; =>  This Inner Loop Header: Depth=2
	v_cmp_gt_u32_e32 vcc, s57, v10
	s_and_saveexec_b64 s[52:53], vcc
	s_cbranch_execz .LBB122_188
; %bb.192:                              ;   in Loop: Header=BB122_191 Depth=2
	ds_read_b32 v19, v5
	s_waitcnt lgkmcnt(0)
	v_cmp_lt_i32_e32 vcc, -1, v19
	s_nop 1
	v_cndmask_b32_e32 v20, -1, v38, vcc
	v_xor_b32_e32 v20, v20, v19
	v_cmp_o_f32_e32 vcc, v19, v19
	s_nop 1
	v_cndmask_b32_e32 v20, -1, v20, vcc
	v_and_b32_e32 v20, v20, v41
	v_cmp_eq_u32_e32 vcc, v20, v32
	s_and_b64 exec, exec, vcc
	s_cbranch_execz .LBB122_188
; %bb.193:                              ;   in Loop: Header=BB122_191 Depth=2
	ds_write_b64 v11, v[18:19] offset:3072
	s_branch .LBB122_188
.LBB122_194:                            ;   in Loop: Header=BB122_191 Depth=2
	s_mov_b64 s[54:55], -1
                                        ; implicit-def: $vgpr10
                                        ; implicit-def: $vgpr5
	s_mov_b64 s[52:53], -1
	s_branch .LBB122_190
.LBB122_195:                            ;   in Loop: Header=BB122_20 Depth=1
	s_or_b64 exec, exec, s[44:45]
	s_and_b64 s[44:45], s[50:51], exec
.LBB122_196:                            ;   in Loop: Header=BB122_20 Depth=1
	s_or_b64 exec, exec, s[48:49]
.LBB122_197:                            ;   in Loop: Header=BB122_20 Depth=1
	s_and_b64 vcc, exec, s[46:47]
	s_cbranch_vccz .LBB122_209
; %bb.198:                              ;   in Loop: Header=BB122_20 Depth=1
                                        ; implicit-def: $vgpr21
	s_and_saveexec_b64 s[38:39], s[20:21]
	s_cbranch_execz .LBB122_208
; %bb.199:                              ;   in Loop: Header=BB122_20 Depth=1
	s_mov_b64 s[40:41], 0
	v_mov_b32_e32 v10, v8
	v_mov_b32_e32 v5, v0
                                        ; implicit-def: $sgpr46_sgpr47
	s_branch .LBB122_203
.LBB122_200:                            ;   in Loop: Header=BB122_203 Depth=2
	s_or_b64 exec, exec, s[48:49]
	s_waitcnt lgkmcnt(0)
	s_barrier
	ds_read_b64 v[20:21], v11 offset:3072
	s_waitcnt lgkmcnt(0)
	s_barrier
	v_cmp_eq_f32_e32 vcc, 0, v20
	s_cbranch_vccz .LBB122_206
; %bb.201:                              ;   in Loop: Header=BB122_203 Depth=2
	v_add_u32_e32 v5, s67, v5
	v_cmp_le_u32_e32 vcc, s76, v5
	v_add_u32_e32 v10, s65, v10
	s_mov_b64 s[48:49], 0
	s_orn2_b64 s[50:51], vcc, exec
.LBB122_202:                            ;   in Loop: Header=BB122_203 Depth=2
	s_and_b64 s[50:51], exec, s[50:51]
	s_or_b64 s[40:41], s[50:51], s[40:41]
	s_andn2_b64 s[46:47], s[46:47], exec
	s_and_b64 s[48:49], s[48:49], exec
	s_or_b64 s[46:47], s[46:47], s[48:49]
	s_andn2_b64 exec, exec, s[40:41]
	s_cbranch_execz .LBB122_207
.LBB122_203:                            ;   Parent Loop BB122_20 Depth=1
                                        ; =>  This Inner Loop Header: Depth=2
	v_cmp_gt_u32_e32 vcc, s64, v5
	s_and_saveexec_b64 s[48:49], vcc
	s_cbranch_execz .LBB122_200
; %bb.204:                              ;   in Loop: Header=BB122_203 Depth=2
	v_lshl_add_u64 v[20:21], v[10:11], 2, v[6:7]
	global_load_dword v19, v[20:21], off
	s_waitcnt vmcnt(0)
	v_cmp_lt_i32_e32 vcc, -1, v19
	s_nop 1
	v_cndmask_b32_e32 v20, -1, v38, vcc
	v_xor_b32_e32 v20, v20, v19
	v_cmp_o_f32_e32 vcc, v19, v19
	s_nop 1
	v_cndmask_b32_e32 v20, -1, v20, vcc
	v_and_b32_e32 v20, v20, v41
	v_cmp_eq_u32_e32 vcc, v20, v32
	s_and_b64 exec, exec, vcc
	s_cbranch_execz .LBB122_200
; %bb.205:                              ;   in Loop: Header=BB122_203 Depth=2
	ds_write_b64 v11, v[18:19] offset:3072
	s_branch .LBB122_200
.LBB122_206:                            ;   in Loop: Header=BB122_203 Depth=2
	s_mov_b64 s[50:51], -1
                                        ; implicit-def: $vgpr5
	s_mov_b64 s[48:49], -1
	s_branch .LBB122_202
.LBB122_207:                            ;   in Loop: Header=BB122_20 Depth=1
	s_or_b64 exec, exec, s[40:41]
	s_andn2_b64 s[40:41], s[44:45], exec
	s_and_b64 s[44:45], s[46:47], exec
	s_or_b64 s[44:45], s[40:41], s[44:45]
.LBB122_208:                            ;   in Loop: Header=BB122_20 Depth=1
	s_or_b64 exec, exec, s[38:39]
	s_mov_b64 s[38:39], 0
	s_mov_b64 s[40:41], -1
.LBB122_209:                            ;   in Loop: Header=BB122_20 Depth=1
	s_orn2_b64 s[44:45], s[44:45], exec
.LBB122_210:                            ;   in Loop: Header=BB122_20 Depth=1
	s_or_b64 exec, exec, s[42:43]
	s_mov_b64 s[46:47], 0
	s_and_saveexec_b64 s[42:43], s[44:45]
	s_cbranch_execz .LBB122_262
; %bb.211:                              ;   in Loop: Header=BB122_20 Depth=1
	s_xor_b64 s[44:45], s[8:9], -1
	s_mov_b64 s[50:51], 0
	v_mov_b32_e32 v5, 1
	v_mov_b32_e32 v3, 1
	s_and_saveexec_b64 s[8:9], s[44:45]
	s_cbranch_execz .LBB122_220
; %bb.212:                              ;   in Loop: Header=BB122_20 Depth=1
	v_cmp_ge_u32_e32 vcc, s56, v42
	s_and_saveexec_b64 s[44:45], vcc
	s_xor_b64 s[44:45], exec, s[44:45]
	s_cbranch_execz .LBB122_217
; %bb.213:                              ;   in Loop: Header=BB122_20 Depth=1
	ds_read_b32 v3, v11 offset:4104
	v_and_b32_e32 v4, v32, v4
	v_lshl_or_b32 v32, 2, v39, v4
	v_or_b32_e32 v41, v41, v2
	s_waitcnt lgkmcnt(0)
	v_cmp_ne_u32_e32 vcc, 0, v3
	s_cbranch_vccnz .LBB122_217
; %bb.214:                              ;   in Loop: Header=BB122_20 Depth=1
	s_and_saveexec_b64 s[46:47], s[24:25]
; %bb.215:                              ;   in Loop: Header=BB122_20 Depth=1
	v_mov_b32_e32 v3, s56
	ds_write_b32 v11, v3 offset:4108
; %bb.216:                              ;   in Loop: Header=BB122_20 Depth=1
	s_or_b64 exec, exec, s[46:47]
	s_waitcnt lgkmcnt(0)
	s_barrier
.LBB122_217:                            ;   in Loop: Header=BB122_20 Depth=1
	s_or_saveexec_b64 s[44:45], s[44:45]
	s_mov_b64 s[46:47], 0
	v_mov_b32_e32 v3, 8
	s_xor_b64 exec, exec, s[44:45]
; %bb.218:                              ;   in Loop: Header=BB122_20 Depth=1
	s_mov_b64 s[46:47], exec
	v_subrev_u32_e32 v42, s56, v42
	v_mov_b32_e32 v3, 0
; %bb.219:                              ;   in Loop: Header=BB122_20 Depth=1
	s_or_b64 exec, exec, s[44:45]
	s_and_b64 s[50:51], s[46:47], exec
	v_mov_b32_e32 v5, v42
.LBB122_220:                            ;   in Loop: Header=BB122_20 Depth=1
	s_or_b64 exec, exec, s[8:9]
	s_mov_b64 s[48:49], -1
                                        ; implicit-def: $sgpr46_sgpr47
                                        ; implicit-def: $sgpr8_sgpr9
	s_and_saveexec_b64 s[44:45], s[50:51]
	s_cbranch_execz .LBB122_261
; %bb.221:                              ;   in Loop: Header=BB122_20 Depth=1
	s_cmp_eq_u32 s74, 1
	s_cselect_b64 s[8:9], -1, 0
	v_cmp_eq_u32_e32 vcc, 1, v5
	s_and_b64 s[48:49], s[8:9], vcc
	s_mov_b64 s[52:53], -1
                                        ; implicit-def: $sgpr46_sgpr47
                                        ; implicit-def: $sgpr8_sgpr9
	s_and_saveexec_b64 s[50:51], s[48:49]
	s_cbranch_execz .LBB122_249
; %bb.222:                              ;   in Loop: Header=BB122_20 Depth=1
	ds_read_b32 v4, v11 offset:4104
	s_waitcnt lgkmcnt(0)
	s_barrier
	v_readfirstlane_b32 s75, v4
	s_and_saveexec_b64 s[8:9], s[6:7]
; %bb.223:                              ;   in Loop: Header=BB122_20 Depth=1
	ds_write_b32 v23, v11
; %bb.224:                              ;   in Loop: Header=BB122_20 Depth=1
	s_or_b64 exec, exec, s[8:9]
	v_or_b32_e32 v32, v32, v2
	v_or_b32_e32 v41, v41, v2
	s_mov_b64 s[8:9], -1
	s_mov_b64 s[46:47], 0
	s_cmp_eq_u32 s75, 0
	s_mov_b64 s[52:53], 0
	s_mov_b64 s[54:55], -1
	s_waitcnt lgkmcnt(0)
	s_barrier
                                        ; implicit-def: $vgpr21
	s_cbranch_scc1 .LBB122_236
; %bb.225:                              ;   in Loop: Header=BB122_20 Depth=1
	s_add_i32 s52, s75, s99
	s_mul_hi_u32 s53, s52, s78
	s_mul_i32 s53, s53, s67
	s_sub_i32 s53, s52, s53
	s_sub_i32 s54, s53, s67
	s_cmp_ge_u32 s53, s67
	s_cselect_b32 s53, s54, s53
	s_sub_i32 s54, s53, s67
	s_cmp_ge_u32 s53, s67
	s_cselect_b32 s53, s54, s53
	s_sub_i32 s82, s52, s53
	v_cmp_gt_u32_e32 vcc, s82, v0
	s_mov_b64 s[54:55], 0
	s_mov_b64 s[52:53], 0
                                        ; implicit-def: $vgpr21
	s_and_saveexec_b64 s[56:57], vcc
	s_cbranch_execz .LBB122_235
; %bb.226:                              ;   in Loop: Header=BB122_20 Depth=1
	v_mov_b32_e32 v4, v15
	v_mov_b32_e32 v10, v0
                                        ; implicit-def: $sgpr58_sgpr59
	s_branch .LBB122_230
.LBB122_227:                            ;   in Loop: Header=BB122_230 Depth=2
	s_or_b64 exec, exec, s[60:61]
	s_waitcnt lgkmcnt(0)
	s_barrier
	ds_read_b64 v[20:21], v11 offset:3072
	s_waitcnt lgkmcnt(0)
	s_barrier
	v_cmp_neq_f32_e32 vcc, 0, v20
	s_cbranch_vccnz .LBB122_233
; %bb.228:                              ;   in Loop: Header=BB122_230 Depth=2
	v_add_u32_e32 v10, s67, v10
	v_cmp_le_u32_e32 vcc, s82, v10
	v_add_u32_e32 v4, s98, v4
	s_mov_b64 s[60:61], 0
	s_orn2_b64 s[62:63], vcc, exec
.LBB122_229:                            ;   in Loop: Header=BB122_230 Depth=2
	s_and_b64 s[62:63], exec, s[62:63]
	s_or_b64 s[52:53], s[62:63], s[52:53]
	s_andn2_b64 s[58:59], s[58:59], exec
	s_and_b64 s[60:61], s[60:61], exec
	s_or_b64 s[58:59], s[58:59], s[60:61]
	s_andn2_b64 exec, exec, s[52:53]
	s_cbranch_execz .LBB122_234
.LBB122_230:                            ;   Parent Loop BB122_20 Depth=1
                                        ; =>  This Inner Loop Header: Depth=2
	v_cmp_gt_u32_e32 vcc, s75, v10
	s_and_saveexec_b64 s[60:61], vcc
	s_cbranch_execz .LBB122_227
; %bb.231:                              ;   in Loop: Header=BB122_230 Depth=2
	ds_read_b32 v19, v4
	s_waitcnt lgkmcnt(0)
	v_cmp_lt_i32_e32 vcc, -1, v19
	s_nop 1
	v_cndmask_b32_e32 v20, -1, v38, vcc
	v_xor_b32_e32 v20, v20, v19
	v_cmp_o_f32_e32 vcc, v19, v19
	s_nop 1
	v_cndmask_b32_e32 v20, -1, v20, vcc
	v_and_b32_e32 v20, v20, v41
	v_cmp_eq_u32_e32 vcc, v20, v32
	s_and_b64 exec, exec, vcc
	s_cbranch_execz .LBB122_227
; %bb.232:                              ;   in Loop: Header=BB122_230 Depth=2
	ds_write_b64 v11, v[18:19] offset:3072
	s_branch .LBB122_227
.LBB122_233:                            ;   in Loop: Header=BB122_230 Depth=2
	s_mov_b64 s[62:63], -1
                                        ; implicit-def: $vgpr10
                                        ; implicit-def: $vgpr4
	s_mov_b64 s[60:61], -1
	s_branch .LBB122_229
.LBB122_234:                            ;   in Loop: Header=BB122_20 Depth=1
	s_or_b64 exec, exec, s[52:53]
	s_and_b64 s[52:53], s[58:59], exec
.LBB122_235:                            ;   in Loop: Header=BB122_20 Depth=1
	s_or_b64 exec, exec, s[56:57]
.LBB122_236:                            ;   in Loop: Header=BB122_20 Depth=1
	s_and_b64 vcc, exec, s[54:55]
	s_cbranch_vccz .LBB122_248
; %bb.237:                              ;   in Loop: Header=BB122_20 Depth=1
                                        ; implicit-def: $vgpr21
	s_and_saveexec_b64 s[8:9], s[20:21]
	s_cbranch_execz .LBB122_247
; %bb.238:                              ;   in Loop: Header=BB122_20 Depth=1
	s_mov_b64 s[46:47], 0
	v_mov_b32_e32 v10, v8
	v_mov_b32_e32 v4, v0
                                        ; implicit-def: $sgpr54_sgpr55
	s_branch .LBB122_242
.LBB122_239:                            ;   in Loop: Header=BB122_242 Depth=2
	s_or_b64 exec, exec, s[56:57]
	s_waitcnt lgkmcnt(0)
	s_barrier
	ds_read_b64 v[20:21], v11 offset:3072
	s_waitcnt lgkmcnt(0)
	s_barrier
	v_cmp_eq_f32_e32 vcc, 0, v20
	s_cbranch_vccz .LBB122_245
; %bb.240:                              ;   in Loop: Header=BB122_242 Depth=2
	v_add_u32_e32 v4, s67, v4
	v_cmp_le_u32_e32 vcc, s76, v4
	v_add_u32_e32 v10, s65, v10
	s_mov_b64 s[56:57], 0
	s_orn2_b64 s[58:59], vcc, exec
.LBB122_241:                            ;   in Loop: Header=BB122_242 Depth=2
	s_and_b64 s[58:59], exec, s[58:59]
	s_or_b64 s[46:47], s[58:59], s[46:47]
	s_andn2_b64 s[54:55], s[54:55], exec
	s_and_b64 s[56:57], s[56:57], exec
	s_or_b64 s[54:55], s[54:55], s[56:57]
	s_andn2_b64 exec, exec, s[46:47]
	s_cbranch_execz .LBB122_246
.LBB122_242:                            ;   Parent Loop BB122_20 Depth=1
                                        ; =>  This Inner Loop Header: Depth=2
	v_cmp_gt_u32_e32 vcc, s64, v4
	s_and_saveexec_b64 s[56:57], vcc
	s_cbranch_execz .LBB122_239
; %bb.243:                              ;   in Loop: Header=BB122_242 Depth=2
	v_lshl_add_u64 v[20:21], v[10:11], 2, v[6:7]
	global_load_dword v19, v[20:21], off
	s_waitcnt vmcnt(0)
	v_cmp_lt_i32_e32 vcc, -1, v19
	s_nop 1
	v_cndmask_b32_e32 v20, -1, v38, vcc
	v_xor_b32_e32 v20, v20, v19
	v_cmp_o_f32_e32 vcc, v19, v19
	s_nop 1
	v_cndmask_b32_e32 v20, -1, v20, vcc
	v_and_b32_e32 v20, v20, v41
	v_cmp_eq_u32_e32 vcc, v20, v32
	s_and_b64 exec, exec, vcc
	s_cbranch_execz .LBB122_239
; %bb.244:                              ;   in Loop: Header=BB122_242 Depth=2
	ds_write_b64 v11, v[18:19] offset:3072
	s_branch .LBB122_239
.LBB122_245:                            ;   in Loop: Header=BB122_242 Depth=2
	s_mov_b64 s[58:59], -1
                                        ; implicit-def: $vgpr4
	s_mov_b64 s[56:57], -1
	s_branch .LBB122_241
.LBB122_246:                            ;   in Loop: Header=BB122_20 Depth=1
	s_or_b64 exec, exec, s[46:47]
	s_andn2_b64 s[46:47], s[52:53], exec
	s_and_b64 s[52:53], s[54:55], exec
	s_or_b64 s[52:53], s[46:47], s[52:53]
.LBB122_247:                            ;   in Loop: Header=BB122_20 Depth=1
	s_or_b64 exec, exec, s[8:9]
	s_mov_b64 s[8:9], 0
	s_mov_b64 s[46:47], -1
.LBB122_248:                            ;   in Loop: Header=BB122_20 Depth=1
	s_orn2_b64 s[52:53], s[52:53], exec
.LBB122_249:                            ;   in Loop: Header=BB122_20 Depth=1
	s_or_b64 exec, exec, s[50:51]
	s_mov_b64 s[54:55], 0
	s_and_saveexec_b64 s[50:51], s[52:53]
	s_cbranch_execz .LBB122_260
; %bb.250:                              ;   in Loop: Header=BB122_20 Depth=1
	s_xor_b64 s[52:53], s[48:49], -1
	v_mov_b32_e32 v3, 1
	v_mov_b32_e32 v4, 1
	s_and_saveexec_b64 s[48:49], s[52:53]
	s_cbranch_execz .LBB122_259
; %bb.251:                              ;   in Loop: Header=BB122_20 Depth=1
	v_cmp_ge_u32_e32 vcc, s74, v5
	s_and_saveexec_b64 s[52:53], vcc
	s_xor_b64 s[52:53], exec, s[52:53]
	s_cbranch_execz .LBB122_256
; %bb.252:                              ;   in Loop: Header=BB122_20 Depth=1
	ds_read_b32 v3, v11 offset:4104
	v_or_b32_e32 v32, v32, v2
	v_or_b32_e32 v41, v41, v2
	s_waitcnt lgkmcnt(0)
	v_cmp_ne_u32_e32 vcc, 0, v3
	s_cbranch_vccnz .LBB122_256
; %bb.253:                              ;   in Loop: Header=BB122_20 Depth=1
	s_and_saveexec_b64 s[54:55], s[24:25]
; %bb.254:                              ;   in Loop: Header=BB122_20 Depth=1
	v_mov_b32_e32 v2, s74
	ds_write_b32 v11, v2 offset:4108
; %bb.255:                              ;   in Loop: Header=BB122_20 Depth=1
	s_or_b64 exec, exec, s[54:55]
	s_waitcnt lgkmcnt(0)
	s_barrier
.LBB122_256:                            ;   in Loop: Header=BB122_20 Depth=1
	s_andn2_saveexec_b64 s[52:53], s[52:53]
; %bb.257:                              ;   in Loop: Header=BB122_20 Depth=1
	v_subrev_u32_e32 v5, s74, v5
; %bb.258:                              ;   in Loop: Header=BB122_20 Depth=1
	s_or_b64 exec, exec, s[52:53]
	v_mov_b32_e32 v3, 8
	v_mov_b32_e32 v4, v5
.LBB122_259:                            ;   in Loop: Header=BB122_20 Depth=1
	s_or_b64 exec, exec, s[48:49]
	s_mov_b64 s[54:55], exec
	v_mov_b32_e32 v5, v4
.LBB122_260:                            ;   in Loop: Header=BB122_20 Depth=1
	s_or_b64 exec, exec, s[50:51]
	s_orn2_b64 s[48:49], s[54:55], exec
.LBB122_261:                            ;   in Loop: Header=BB122_20 Depth=1
	s_or_b64 exec, exec, s[44:45]
	s_andn2_b64 s[40:41], s[40:41], exec
	s_and_b64 s[44:45], s[46:47], exec
	s_andn2_b64 s[38:39], s[38:39], exec
	s_and_b64 s[8:9], s[8:9], exec
	s_or_b64 s[40:41], s[40:41], s[44:45]
	s_or_b64 s[38:39], s[38:39], s[8:9]
	s_and_b64 s[46:47], s[48:49], exec
	v_mov_b32_e32 v42, v5
.LBB122_262:                            ;   in Loop: Header=BB122_20 Depth=1
	s_or_b64 exec, exec, s[42:43]
	s_orn2_b64 s[8:9], s[46:47], exec
.LBB122_263:                            ;   in Loop: Header=BB122_20 Depth=1
	s_or_b64 exec, exec, s[36:37]
	s_andn2_b64 s[30:31], s[30:31], exec
	s_and_b64 s[36:37], s[40:41], exec
	s_or_b64 s[30:31], s[30:31], s[36:37]
	s_andn2_b64 s[28:29], s[28:29], exec
	s_and_b64 s[36:37], s[38:39], exec
	s_or_b64 s[28:29], s[28:29], s[36:37]
	s_and_b64 s[38:39], s[8:9], exec
	v_mov_b32_e32 v5, v42
.LBB122_264:                            ;   in Loop: Header=BB122_20 Depth=1
	s_or_b64 exec, exec, s[34:35]
	s_orn2_b64 s[8:9], s[38:39], exec
.LBB122_265:                            ;   in Loop: Header=BB122_20 Depth=1
	s_or_b64 exec, exec, s[26:27]
	s_mov_b64 s[26:27], 0
                                        ; implicit-def: $sgpr36
	s_and_saveexec_b64 s[34:35], s[8:9]
	s_xor_b64 s[8:9], exec, s[34:35]
	s_cbranch_execz .LBB122_18
; %bb.266:                              ;   in Loop: Header=BB122_20 Depth=1
	v_and_b32_e32 v2, 7, v3
	v_cmp_eq_u32_e32 vcc, 0, v2
	s_mov_b64 s[22:23], -1
	s_mov_b64 s[26:27], -1
                                        ; implicit-def: $sgpr36
	s_and_saveexec_b64 s[34:35], vcc
	s_cbranch_execz .LBB122_17
; %bb.267:                              ;   in Loop: Header=BB122_20 Depth=1
	v_add_u32_e32 v2, -2, v39
	v_cmp_eq_u32_e32 vcc, 0, v39
	s_xor_b32 s36, s95, 1
	s_xor_b64 s[26:27], exec, -1
	s_orn2_b64 s[22:23], vcc, exec
	v_mov_b32_e32 v39, v2
	s_branch .LBB122_17
.LBB122_268:
	s_or_b64 exec, exec, s[68:69]
	s_xor_b64 s[8:9], s[10:11], -1
	s_xor_b64 s[2:3], s[70:71], -1
	;; [unrolled: 1-line block ×3, first 2 shown]
	s_mov_b64 s[4:5], 0
	s_and_saveexec_b64 s[10:11], s[2:3]
	s_xor_b64 s[2:3], exec, s[10:11]
	s_cbranch_execnz .LBB122_273
; %bb.269:
	s_andn2_saveexec_b64 s[0:1], s[2:3]
	s_cbranch_execnz .LBB122_286
.LBB122_270:
	s_or_b64 exec, exec, s[0:1]
	s_and_saveexec_b64 s[0:1], s[4:5]
.LBB122_271:
	; divergent unreachable
.LBB122_272:
	s_endpgm
.LBB122_273:
	s_and_saveexec_b64 s[4:5], s[8:9]
	s_xor_b64 s[4:5], exec, s[4:5]
	s_cbranch_execz .LBB122_284
; %bb.274:
	s_and_saveexec_b64 s[8:9], s[6:7]
	s_xor_b64 s[6:7], exec, s[8:9]
; %bb.275:
	v_bfrev_b32_e32 v1, 1
	v_cmp_lt_i32_e32 vcc, -1, v32
	s_nop 1
	v_cndmask_b32_e64 v1, v1, -1, vcc
	v_xor_b32_e32 v21, v1, v32
; %bb.276:
	s_or_b64 exec, exec, s[6:7]
	v_readlane_b32 s10, v70, 12
	v_readlane_b32 s11, v70, 13
	;; [unrolled: 1-line block ×3, first 2 shown]
	s_mul_i32 s6, s16, s11
	v_readlane_b32 s11, v70, 15
	s_mul_i32 s7, s11, s10
	s_sub_i32 s7, s16, s7
	s_sub_i32 s6, s33, s6
	s_add_i32 s8, s11, 1
	s_sub_i32 s9, s7, s10
	s_cmp_ge_u32 s7, s10
	s_cselect_b32 s8, s8, s11
	s_cselect_b32 s7, s9, s7
	s_add_i32 s9, s8, 1
	s_cmp_ge_u32 s7, s10
	s_cselect_b32 s7, s9, s8
	v_readlane_b32 s12, v70, 8
	s_mul_i32 s8, s7, s10
	v_readlane_b32 s13, v70, 9
	v_readlane_b32 s14, v70, 10
	s_sub_i32 s8, s16, s8
	s_mul_i32 s6, s6, s14
	s_mul_i32 s8, s8, s13
	s_add_i32 s6, s8, s6
	s_mul_i32 s7, s7, s12
	s_add_i32 s6, s6, s7
	s_mov_b32 s7, 0
	s_lshl_b64 s[6:7], s[6:7], 2
	v_readlane_b32 s8, v70, 0
	v_readlane_b32 s9, v70, 1
	s_add_u32 s6, s8, s6
	s_addc_u32 s7, s9, s7
	v_mov_b32_e32 v9, 0
	v_readlane_b32 s15, v70, 11
	global_store_dword v9, v21, s[6:7]
	s_and_saveexec_b64 s[6:7], s[0:1]
	s_cbranch_execz .LBB122_283
; %bb.277:
	v_cmp_u_f32_e32 vcc, v21, v21
	s_mov_b64 s[8:9], 0
	s_xor_b64 s[12:13], vcc, -1
                                        ; implicit-def: $sgpr10_sgpr11
                                        ; implicit-def: $sgpr16_sgpr17
                                        ; implicit-def: $sgpr14_sgpr15
	s_branch .LBB122_279
.LBB122_278:                            ;   in Loop: Header=BB122_279 Depth=1
	s_or_b64 exec, exec, s[0:1]
	s_and_b64 s[0:1], exec, s[16:17]
	s_or_b64 s[8:9], s[0:1], s[8:9]
	s_andn2_b64 s[0:1], s[10:11], exec
	s_and_b64 s[10:11], s[14:15], exec
	s_or_b64 s[10:11], s[0:1], s[10:11]
	s_andn2_b64 exec, exec, s[8:9]
	s_cbranch_execz .LBB122_281
.LBB122_279:                            ; =>This Inner Loop Header: Depth=1
	v_lshl_add_u64 v[2:3], v[8:9], 2, v[6:7]
	global_load_dword v1, v[2:3], off
	v_mov_b32_e32 v2, v0
	s_or_b64 s[14:15], s[14:15], exec
	s_or_b64 s[16:17], s[16:17], exec
                                        ; implicit-def: $vgpr0
	s_waitcnt vmcnt(0)
	v_cmp_o_f32_e64 s[0:1], v1, v1
	v_cmp_neq_f32_e32 vcc, v1, v21
	s_or_b64 s[0:1], s[0:1], s[12:13]
	s_and_b64 s[18:19], vcc, s[0:1]
	s_and_saveexec_b64 s[0:1], s[18:19]
	s_cbranch_execz .LBB122_278
; %bb.280:                              ;   in Loop: Header=BB122_279 Depth=1
	v_add_u32_e32 v0, s67, v2
	v_cmp_le_u32_e32 vcc, s64, v0
	s_andn2_b64 s[16:17], s[16:17], exec
	s_and_b64 s[18:19], vcc, exec
	v_add_u32_e32 v8, s65, v8
	s_andn2_b64 s[14:15], s[14:15], exec
	s_or_b64 s[16:17], s[16:17], s[18:19]
	s_branch .LBB122_278
.LBB122_281:
	s_or_b64 exec, exec, s[8:9]
	s_and_saveexec_b64 s[0:1], s[10:11]
	s_xor_b64 s[0:1], exec, s[0:1]
	s_cbranch_execz .LBB122_283
; %bb.282:
	v_readlane_b32 s8, v70, 2
	v_readlane_b32 s10, v70, 4
	;; [unrolled: 1-line block ×3, first 2 shown]
	s_mov_b32 s14, s10
	v_readlane_b32 s16, v70, 16
	s_mov_b64 s[12:13], s[8:9]
	v_readlane_b32 s10, v70, 19
	v_readlane_b32 s17, v70, 17
	;; [unrolled: 1-line block ×3, first 2 shown]
	s_mul_i32 s1, s10, s16
	s_mul_i32 s0, s15, s17
	s_sub_i32 s1, s15, s1
	s_sub_i32 s0, s33, s0
	s_add_i32 s8, s10, 1
	s_sub_i32 s9, s1, s16
	s_cmp_ge_u32 s1, s16
	s_cselect_b32 s8, s8, s10
	s_cselect_b32 s1, s9, s1
	s_add_i32 s9, s8, 1
	s_cmp_ge_u32 s1, s16
	s_cselect_b32 s1, s9, s8
	s_mul_i32 s8, s1, s16
	s_sub_i32 s8, s15, s8
	s_mul_i32 s0, s0, s14
	s_mul_i32 s8, s8, s13
	s_add_i32 s0, s8, s0
	s_mul_i32 s1, s1, s12
	s_add_i32 s0, s0, s1
	s_mov_b32 s1, 0
	s_lshl_b64 s[0:1], s[0:1], 3
	v_readlane_b32 s8, v70, 6
	v_readlane_b32 s9, v70, 7
	s_add_u32 s0, s8, s0
	s_addc_u32 s1, s9, s1
	v_mov_b32_e32 v3, 0
	v_readlane_b32 s11, v70, 5
	global_store_dwordx2 v3, v[2:3], s[0:1]
.LBB122_283:
	s_or_b64 exec, exec, s[6:7]
.LBB122_284:
	s_or_saveexec_b64 s[0:1], s[4:5]
	s_mov_b64 s[4:5], 0
	s_xor_b64 exec, exec, s[0:1]
	s_cbranch_execnz .LBB122_287
.LBB122_285:
	s_or_b64 exec, exec, s[0:1]
	s_and_b64 s[4:5], s[4:5], exec
	s_andn2_saveexec_b64 s[0:1], s[2:3]
	s_cbranch_execz .LBB122_270
.LBB122_286:
	s_or_b64 s[4:5], s[4:5], exec
	s_trap 2
	s_or_b64 exec, exec, s[0:1]
	s_and_saveexec_b64 s[0:1], s[4:5]
	s_cbranch_execnz .LBB122_271
	s_branch .LBB122_272
.LBB122_287:
	s_mov_b64 s[4:5], exec
	s_trap 2
	s_branch .LBB122_285
	.section	.rodata,"a",@progbits
	.p2align	6, 0x0
	.amdhsa_kernel _ZN2at6native12_GLOBAL__N_112gatherMedianIfjLi3EEEvNS_4cuda6detail10TensorInfoIT_T0_EENS5_IlS7_EENS5_IKS6_S7_EES7_S7_S7_b
		.amdhsa_group_segment_fixed_size 4120
		.amdhsa_private_segment_fixed_size 0
		.amdhsa_kernarg_size 920
		.amdhsa_user_sgpr_count 2
		.amdhsa_user_sgpr_dispatch_ptr 0
		.amdhsa_user_sgpr_queue_ptr 0
		.amdhsa_user_sgpr_kernarg_segment_ptr 1
		.amdhsa_user_sgpr_dispatch_id 0
		.amdhsa_user_sgpr_kernarg_preload_length 0
		.amdhsa_user_sgpr_kernarg_preload_offset 0
		.amdhsa_user_sgpr_private_segment_size 0
		.amdhsa_uses_dynamic_stack 0
		.amdhsa_enable_private_segment 0
		.amdhsa_system_sgpr_workgroup_id_x 1
		.amdhsa_system_sgpr_workgroup_id_y 1
		.amdhsa_system_sgpr_workgroup_id_z 1
		.amdhsa_system_sgpr_workgroup_info 0
		.amdhsa_system_vgpr_workitem_id 0
		.amdhsa_next_free_vgpr 71
		.amdhsa_next_free_sgpr 100
		.amdhsa_accum_offset 72
		.amdhsa_reserve_vcc 1
		.amdhsa_float_round_mode_32 0
		.amdhsa_float_round_mode_16_64 0
		.amdhsa_float_denorm_mode_32 3
		.amdhsa_float_denorm_mode_16_64 3
		.amdhsa_dx10_clamp 1
		.amdhsa_ieee_mode 1
		.amdhsa_fp16_overflow 0
		.amdhsa_tg_split 0
		.amdhsa_exception_fp_ieee_invalid_op 0
		.amdhsa_exception_fp_denorm_src 0
		.amdhsa_exception_fp_ieee_div_zero 0
		.amdhsa_exception_fp_ieee_overflow 0
		.amdhsa_exception_fp_ieee_underflow 0
		.amdhsa_exception_fp_ieee_inexact 0
		.amdhsa_exception_int_div_zero 0
	.end_amdhsa_kernel
	.section	.text._ZN2at6native12_GLOBAL__N_112gatherMedianIfjLi3EEEvNS_4cuda6detail10TensorInfoIT_T0_EENS5_IlS7_EENS5_IKS6_S7_EES7_S7_S7_b,"axG",@progbits,_ZN2at6native12_GLOBAL__N_112gatherMedianIfjLi3EEEvNS_4cuda6detail10TensorInfoIT_T0_EENS5_IlS7_EENS5_IKS6_S7_EES7_S7_S7_b,comdat
.Lfunc_end122:
	.size	_ZN2at6native12_GLOBAL__N_112gatherMedianIfjLi3EEEvNS_4cuda6detail10TensorInfoIT_T0_EENS5_IlS7_EENS5_IKS6_S7_EES7_S7_S7_b, .Lfunc_end122-_ZN2at6native12_GLOBAL__N_112gatherMedianIfjLi3EEEvNS_4cuda6detail10TensorInfoIT_T0_EENS5_IlS7_EENS5_IKS6_S7_EES7_S7_S7_b
                                        ; -- End function
	.set _ZN2at6native12_GLOBAL__N_112gatherMedianIfjLi3EEEvNS_4cuda6detail10TensorInfoIT_T0_EENS5_IlS7_EENS5_IKS6_S7_EES7_S7_S7_b.num_vgpr, 71
	.set _ZN2at6native12_GLOBAL__N_112gatherMedianIfjLi3EEEvNS_4cuda6detail10TensorInfoIT_T0_EENS5_IlS7_EENS5_IKS6_S7_EES7_S7_S7_b.num_agpr, 0
	.set _ZN2at6native12_GLOBAL__N_112gatherMedianIfjLi3EEEvNS_4cuda6detail10TensorInfoIT_T0_EENS5_IlS7_EENS5_IKS6_S7_EES7_S7_S7_b.numbered_sgpr, 100
	.set _ZN2at6native12_GLOBAL__N_112gatherMedianIfjLi3EEEvNS_4cuda6detail10TensorInfoIT_T0_EENS5_IlS7_EENS5_IKS6_S7_EES7_S7_S7_b.num_named_barrier, 0
	.set _ZN2at6native12_GLOBAL__N_112gatherMedianIfjLi3EEEvNS_4cuda6detail10TensorInfoIT_T0_EENS5_IlS7_EENS5_IKS6_S7_EES7_S7_S7_b.private_seg_size, 0
	.set _ZN2at6native12_GLOBAL__N_112gatherMedianIfjLi3EEEvNS_4cuda6detail10TensorInfoIT_T0_EENS5_IlS7_EENS5_IKS6_S7_EES7_S7_S7_b.uses_vcc, 1
	.set _ZN2at6native12_GLOBAL__N_112gatherMedianIfjLi3EEEvNS_4cuda6detail10TensorInfoIT_T0_EENS5_IlS7_EENS5_IKS6_S7_EES7_S7_S7_b.uses_flat_scratch, 0
	.set _ZN2at6native12_GLOBAL__N_112gatherMedianIfjLi3EEEvNS_4cuda6detail10TensorInfoIT_T0_EENS5_IlS7_EENS5_IKS6_S7_EES7_S7_S7_b.has_dyn_sized_stack, 0
	.set _ZN2at6native12_GLOBAL__N_112gatherMedianIfjLi3EEEvNS_4cuda6detail10TensorInfoIT_T0_EENS5_IlS7_EENS5_IKS6_S7_EES7_S7_S7_b.has_recursion, 0
	.set _ZN2at6native12_GLOBAL__N_112gatherMedianIfjLi3EEEvNS_4cuda6detail10TensorInfoIT_T0_EENS5_IlS7_EENS5_IKS6_S7_EES7_S7_S7_b.has_indirect_call, 0
	.section	.AMDGPU.csdata,"",@progbits
; Kernel info:
; codeLenInByte = 11576
; TotalNumSgprs: 106
; NumVgprs: 71
; NumAgprs: 0
; TotalNumVgprs: 71
; ScratchSize: 0
; MemoryBound: 0
; FloatMode: 240
; IeeeMode: 1
; LDSByteSize: 4120 bytes/workgroup (compile time only)
; SGPRBlocks: 13
; VGPRBlocks: 8
; NumSGPRsForWavesPerEU: 106
; NumVGPRsForWavesPerEU: 71
; AccumOffset: 72
; Occupancy: 7
; WaveLimiterHint : 1
; COMPUTE_PGM_RSRC2:SCRATCH_EN: 0
; COMPUTE_PGM_RSRC2:USER_SGPR: 2
; COMPUTE_PGM_RSRC2:TRAP_HANDLER: 0
; COMPUTE_PGM_RSRC2:TGID_X_EN: 1
; COMPUTE_PGM_RSRC2:TGID_Y_EN: 1
; COMPUTE_PGM_RSRC2:TGID_Z_EN: 1
; COMPUTE_PGM_RSRC2:TIDIG_COMP_CNT: 0
; COMPUTE_PGM_RSRC3_GFX90A:ACCUM_OFFSET: 17
; COMPUTE_PGM_RSRC3_GFX90A:TG_SPLIT: 0
	.section	.text._ZN2at6native12_GLOBAL__N_112gatherMedianIfjLin1EEEvNS_4cuda6detail10TensorInfoIT_T0_EENS5_IlS7_EENS5_IKS6_S7_EES7_S7_S7_b,"axG",@progbits,_ZN2at6native12_GLOBAL__N_112gatherMedianIfjLin1EEEvNS_4cuda6detail10TensorInfoIT_T0_EENS5_IlS7_EENS5_IKS6_S7_EES7_S7_S7_b,comdat
	.globl	_ZN2at6native12_GLOBAL__N_112gatherMedianIfjLin1EEEvNS_4cuda6detail10TensorInfoIT_T0_EENS5_IlS7_EENS5_IKS6_S7_EES7_S7_S7_b ; -- Begin function _ZN2at6native12_GLOBAL__N_112gatherMedianIfjLin1EEEvNS_4cuda6detail10TensorInfoIT_T0_EENS5_IlS7_EENS5_IKS6_S7_EES7_S7_S7_b
	.p2align	8
	.type	_ZN2at6native12_GLOBAL__N_112gatherMedianIfjLin1EEEvNS_4cuda6detail10TensorInfoIT_T0_EENS5_IlS7_EENS5_IKS6_S7_EES7_S7_S7_b,@function
_ZN2at6native12_GLOBAL__N_112gatherMedianIfjLin1EEEvNS_4cuda6detail10TensorInfoIT_T0_EENS5_IlS7_EENS5_IKS6_S7_EES7_S7_S7_b: ; @_ZN2at6native12_GLOBAL__N_112gatherMedianIfjLin1EEEvNS_4cuda6detail10TensorInfoIT_T0_EENS5_IlS7_EENS5_IKS6_S7_EES7_S7_S7_b
; %bb.0:
	s_load_dwordx2 s[10:11], s[0:1], 0x298
	s_load_dwordx4 s[64:67], s[0:1], 0x288
	s_add_u32 s8, s0, 0x298
	s_addc_u32 s9, s1, 0
	s_waitcnt lgkmcnt(0)
	s_mul_i32 s4, s11, s4
	s_add_i32 s3, s4, s3
	s_mul_i32 s3, s3, s10
	s_add_i32 s3, s3, s2
	s_cmp_ge_u32 s3, s65
	s_cbranch_scc1 .LBB123_281
; %bb.1:
	s_load_dword s4, s[0:1], 0xd0
	s_mov_b32 s69, 0
	s_mov_b32 s33, s3
	s_waitcnt lgkmcnt(0)
	s_cmp_lt_i32 s4, 2
	s_cbranch_scc1 .LBB123_4
; %bb.2:
	s_add_i32 s68, s4, -1
	s_add_i32 s6, s4, 1
	s_lshl_b64 s[4:5], s[68:69], 2
	s_add_u32 s4, s0, s4
	s_addc_u32 s5, s1, s5
	s_add_u32 s4, s4, 8
	s_addc_u32 s5, s5, 0
	s_mov_b32 s33, s3
.LBB123_3:                              ; =>This Inner Loop Header: Depth=1
	s_load_dword s7, s[4:5], 0x0
	s_load_dword s12, s[4:5], 0x64
	s_mov_b32 s11, s33
	s_waitcnt lgkmcnt(0)
	v_cvt_f32_u32_e32 v1, s7
	s_sub_i32 s13, 0, s7
	v_rcp_iflag_f32_e32 v1, v1
	s_nop 0
	v_mul_f32_e32 v1, 0x4f7ffffe, v1
	v_cvt_u32_f32_e32 v1, v1
	s_nop 0
	v_readfirstlane_b32 s14, v1
	s_mul_i32 s13, s13, s14
	s_mul_hi_u32 s13, s14, s13
	s_add_i32 s14, s14, s13
	s_mul_hi_u32 s13, s33, s14
	s_mul_i32 s14, s13, s7
	s_sub_i32 s14, s33, s14
	s_add_i32 s15, s13, 1
	s_sub_i32 s16, s14, s7
	s_cmp_ge_u32 s14, s7
	s_cselect_b32 s13, s15, s13
	s_cselect_b32 s14, s16, s14
	s_add_i32 s15, s13, 1
	s_cmp_ge_u32 s14, s7
	s_cselect_b32 s33, s15, s13
	s_mul_i32 s7, s33, s7
	s_sub_i32 s7, s11, s7
	s_mul_i32 s7, s12, s7
	s_add_i32 s6, s6, -1
	s_add_i32 s69, s7, s69
	s_add_u32 s4, s4, -4
	s_addc_u32 s5, s5, -1
	s_cmp_gt_u32 s6, 2
	s_cbranch_scc1 .LBB123_3
.LBB123_4:
	s_load_dword s6, s[0:1], 0x1a8
	s_add_u32 s4, s0, 0xd8
	s_addc_u32 s5, s1, 0
	s_mov_b32 s71, 0
	s_mov_b32 s65, s3
	s_waitcnt lgkmcnt(0)
	s_cmp_lt_i32 s6, 2
	s_cbranch_scc1 .LBB123_7
; %bb.5:
	s_add_i32 s70, s6, -1
	s_add_i32 s11, s6, 1
	s_lshl_b64 s[6:7], s[70:71], 2
	s_add_u32 s6, s4, s6
	s_addc_u32 s7, s5, s7
	s_add_u32 s6, s6, 8
	s_addc_u32 s7, s7, 0
	s_mov_b32 s65, s3
.LBB123_6:                              ; =>This Inner Loop Header: Depth=1
	s_load_dword s12, s[6:7], 0x0
	s_load_dword s14, s[6:7], 0x64
	s_mov_b32 s13, s65
	s_waitcnt lgkmcnt(0)
	v_cvt_f32_u32_e32 v1, s12
	s_sub_i32 s15, 0, s12
	v_rcp_iflag_f32_e32 v1, v1
	s_nop 0
	v_mul_f32_e32 v1, 0x4f7ffffe, v1
	v_cvt_u32_f32_e32 v1, v1
	s_nop 0
	v_readfirstlane_b32 s16, v1
	s_mul_i32 s15, s15, s16
	s_mul_hi_u32 s15, s16, s15
	s_add_i32 s16, s16, s15
	s_mul_hi_u32 s15, s65, s16
	s_mul_i32 s16, s15, s12
	s_sub_i32 s16, s65, s16
	s_add_i32 s17, s15, 1
	s_sub_i32 s18, s16, s12
	s_cmp_ge_u32 s16, s12
	s_cselect_b32 s15, s17, s15
	s_cselect_b32 s16, s18, s16
	s_add_i32 s17, s15, 1
	s_cmp_ge_u32 s16, s12
	s_cselect_b32 s65, s17, s15
	s_mul_i32 s12, s65, s12
	s_sub_i32 s12, s13, s12
	s_mul_i32 s12, s14, s12
	s_add_i32 s11, s11, -1
	s_add_i32 s71, s12, s71
	s_add_u32 s6, s6, -4
	s_addc_u32 s7, s7, -1
	s_cmp_gt_u32 s11, 2
	s_cbranch_scc1 .LBB123_6
.LBB123_7:
	s_load_dword s6, s[0:1], 0x6c
	s_load_dword s12, s[0:1], 0x280
                                        ; implicit-def: $vgpr70 : SGPR spill to VGPR lane
	v_mov_b32_e32 v2, s3
	v_mov_b32_e32 v1, 0
	s_waitcnt lgkmcnt(0)
	v_writelane_b32 v70, s6, 0
	s_add_u32 s6, s0, 0x1b0
	s_addc_u32 s7, s1, 0
	s_cmp_lt_i32 s12, 2
	s_cbranch_scc1 .LBB123_10
; %bb.8:
	s_add_i32 s11, s12, 1
	s_add_i32 s12, s12, -1
	s_mov_b32 s13, 0
	s_lshl_b64 s[12:13], s[12:13], 2
	s_add_u32 s6, s6, s12
	s_addc_u32 s7, s7, s13
	s_add_u32 s6, s6, 8
	s_addc_u32 s7, s7, 0
	v_mov_b32_e32 v2, s3
	v_mov_b32_e32 v1, 0
.LBB123_9:                              ; =>This Inner Loop Header: Depth=1
	s_load_dword s3, s[6:7], 0x0
	s_load_dword s12, s[6:7], 0x64
	v_mov_b32_e32 v3, v2
	s_add_i32 s11, s11, -1
	s_waitcnt lgkmcnt(0)
	v_cvt_f32_u32_e32 v2, s3
	s_sub_i32 s13, 0, s3
	s_add_u32 s6, s6, -4
	s_addc_u32 s7, s7, -1
	v_rcp_iflag_f32_e32 v2, v2
	s_cmp_gt_u32 s11, 2
	v_mul_f32_e32 v2, 0x4f7ffffe, v2
	v_cvt_u32_f32_e32 v2, v2
	v_mul_lo_u32 v4, s13, v2
	v_mul_hi_u32 v4, v2, v4
	v_add_u32_e32 v2, v2, v4
	v_mul_hi_u32 v2, v3, v2
	v_mul_lo_u32 v4, v2, s3
	v_sub_u32_e32 v4, v3, v4
	v_add_u32_e32 v5, 1, v2
	v_subrev_u32_e32 v6, s3, v4
	v_cmp_le_u32_e32 vcc, s3, v4
	s_nop 1
	v_cndmask_b32_e32 v2, v2, v5, vcc
	v_cndmask_b32_e32 v4, v4, v6, vcc
	v_add_u32_e32 v5, 1, v2
	v_cmp_le_u32_e32 vcc, s3, v4
	s_nop 1
	v_cndmask_b32_e32 v2, v2, v5, vcc
	v_mul_lo_u32 v4, v2, s3
	v_sub_u32_e32 v3, v3, v4
	v_mul_lo_u32 v3, s12, v3
	v_add_u32_e32 v1, v3, v1
	s_cbranch_scc1 .LBB123_9
.LBB123_10:
	s_load_dword s3, s[4:5], 0x6c
	v_mov_b32_e32 v3, 0
                                        ; kill: killed $sgpr0 killed $sgpr1
	s_waitcnt lgkmcnt(0)
	v_writelane_b32 v70, s3, 1
	s_load_dword s3, s[0:1], 0x21c
	s_load_dwordx2 s[4:5], s[0:1], 0x0
	s_waitcnt lgkmcnt(0)
	v_mul_lo_u32 v2, s3, v2
	v_writelane_b32 v70, s4, 2
	v_add_u32_e32 v2, v2, v1
	v_lshlrev_b64 v[4:5], 2, v[2:3]
	v_writelane_b32 v70, s5, 3
	s_load_dwordx2 s[4:5], s[0:1], 0xd8
	v_mov_b32_e32 v2, v3
	s_waitcnt lgkmcnt(0)
	v_writelane_b32 v70, s4, 4
	s_nop 1
	v_writelane_b32 v70, s5, 5
	s_load_dwordx2 s[4:5], s[0:1], 0x1b0
	v_cmp_gt_u32_e64 s[0:1], s64, v0
	s_waitcnt lgkmcnt(0)
	v_lshl_add_u64 v[6:7], s[4:5], 0, v[4:5]
	s_mov_b64 s[4:5], exec
	v_writelane_b32 v70, s0, 6
	s_nop 1
	v_writelane_b32 v70, s1, 7
	s_and_b64 s[0:1], s[4:5], s[0:1]
	s_mov_b64 exec, s[0:1]
	s_cbranch_execz .LBB123_14
; %bb.11:
	s_load_dword s0, s[8:9], 0xc
	v_mov_b32_e32 v5, 0
	v_mul_lo_u32 v4, v0, s66
	s_mov_b64 s[6:7], 0
	v_mov_b32_e32 v2, v5
	s_waitcnt lgkmcnt(0)
	s_and_b32 s0, s0, 0xffff
	s_mul_i32 s1, s66, s0
	v_mov_b32_e32 v1, v0
.LBB123_12:                             ; =>This Inner Loop Header: Depth=1
	v_lshl_add_u64 v[8:9], v[4:5], 2, v[6:7]
	global_load_dword v3, v[8:9], off
	v_add_u32_e32 v1, s0, v1
	v_cmp_le_u32_e32 vcc, s64, v1
	s_or_b64 s[6:7], vcc, s[6:7]
	v_add_u32_e32 v4, s1, v4
	s_waitcnt vmcnt(0)
	v_cmp_u_f32_e32 vcc, v3, v3
	s_nop 1
	v_addc_co_u32_e32 v2, vcc, 0, v2, vcc
	s_andn2_b64 exec, exec, s[6:7]
	s_cbranch_execnz .LBB123_12
; %bb.13:
	s_or_b64 exec, exec, s[6:7]
.LBB123_14:
	s_or_b64 exec, exec, s[4:5]
	v_cmp_eq_u32_e64 s[24:25], 0, v0
	s_and_saveexec_b64 s[4:5], s[24:25]
; %bb.15:
	v_mov_b32_e32 v4, 0
	v_mov_b32_e32 v5, v4
	ds_write_b64 v4, v[4:5] offset:4096
; %bb.16:
	s_or_b64 exec, exec, s[4:5]
	v_cmp_ne_u32_e32 vcc, 0, v2
	s_waitcnt lgkmcnt(0)
	s_barrier
	s_and_saveexec_b64 s[4:5], vcc
	s_cbranch_execz .LBB123_21
; %bb.17:
	s_mov_b64 s[12:13], exec
	v_mov_b32_e32 v1, 0
	s_mov_b64 s[6:7], 0
.LBB123_18:                             ; =>This Inner Loop Header: Depth=1
	s_ff1_i32_b64 s0, s[12:13]
	v_readlane_b32 s3, v2, s0
	v_readlane_b32 s1, v1, s0
	s_add_u32 s6, s6, s3
	s_addc_u32 s7, s7, s1
	s_lshl_b64 s[0:1], 1, s0
	s_andn2_b64 s[12:13], s[12:13], s[0:1]
	s_cmp_lg_u64 s[12:13], 0
	s_cbranch_scc1 .LBB123_18
; %bb.19:
	v_mbcnt_lo_u32_b32 v1, exec_lo, 0
	v_mbcnt_hi_u32_b32 v1, exec_hi, v1
	v_cmp_eq_u32_e32 vcc, 0, v1
	s_and_saveexec_b64 s[0:1], vcc
	s_xor_b64 s[0:1], exec, s[0:1]
; %bb.20:
	v_mov_b32_e32 v1, 0
	v_mov_b64_e32 v[2:3], s[6:7]
	ds_add_u64 v1, v[2:3] offset:4096
.LBB123_21:
	s_or_b64 exec, exec, s[4:5]
	v_mov_b32_e32 v1, 0
	s_waitcnt lgkmcnt(0)
	s_barrier
	ds_read_b64 v[2:3], v1 offset:4096
	s_bitcmp1_b32 s67, 0
	s_cselect_b64 s[0:1], -1, 0
	s_waitcnt lgkmcnt(0)
	v_readfirstlane_b32 s4, v2
	v_readfirstlane_b32 s5, v3
	s_nop 1
	v_cmp_lt_i64_e64 s[6:7], s[4:5], 1
	s_or_b64 s[0:1], s[0:1], s[6:7]
	s_andn2_b64 vcc, exec, s[0:1]
	s_mov_b32 s0, s64
	s_cbranch_vccnz .LBB123_23
; %bb.22:
	s_not_b64 s[0:1], s[4:5]
	s_add_u32 s0, s0, s64
	s_addc_u32 s1, s1, 0
	s_lshr_b32 s3, s1, 31
	s_add_u32 s0, s0, s3
	s_addc_u32 s1, s1, 0
	s_lshr_b64 s[0:1], s[0:1], 1
	s_add_i32 s0, s0, 1
.LBB123_23:
	s_and_saveexec_b64 s[4:5], s[24:25]
	s_cbranch_execz .LBB123_25
; %bb.24:
	v_mov_b32_e32 v2, 0
	v_mov_b32_e32 v3, s64
	ds_write_b32 v2, v2 offset:4112
	ds_write_b64 v2, v[2:3] offset:4104
.LBB123_25:
	s_or_b64 exec, exec, s[4:5]
	s_waitcnt lgkmcnt(0)
	s_barrier
	s_load_dword s1, s[8:9], 0xc
	v_mbcnt_lo_u32_b32 v1, -1, 0
	v_mbcnt_hi_u32_b32 v22, -1, v1
	v_cmp_gt_u32_e32 vcc, 64, v0
	v_cmp_gt_i32_e64 s[6:7], 4, v22
	s_waitcnt lgkmcnt(0)
	s_and_b32 s67, s1, 0xffff
	s_add_i32 s90, s67, -1
	s_lshl_b32 s70, s67, 2
	s_and_b64 s[78:79], vcc, s[6:7]
	s_add_i32 s3, s90, s64
	s_cmpk_gt_u32 s64, 0x300
	s_cselect_b64 s[80:81], -1, 0
	s_cmp_gt_u32 s67, 63
	v_lshlrev_b64 v[2:3], v22, -1
	s_cselect_b64 s[82:83], -1, 0
	v_not_b32_e32 v14, v2
	v_lshrrev_b32_e32 v2, 2, v0
	s_cmp_lt_u32 s2, s10
	v_and_b32_e32 v2, 0xf0, v2
	s_cselect_b32 s2, 12, 18
	v_or_b32_e32 v24, 0xc00, v2
	s_add_u32 s8, s8, s2
	v_add_u32_e32 v2, 2, v0
	s_addc_u32 s9, s9, 0
	v_max_u32_e32 v2, s64, v2
	v_writelane_b32 v70, s8, 8
	v_xad_u32 v2, v0, -1, v2
	v_not_b32_e32 v1, v3
	v_writelane_b32 v70, s9, 9
	v_add_u32_e32 v3, -2, v2
	v_cmp_lt_u32_e64 s[10:11], 29, v2
	v_lshrrev_b32_e32 v5, 1, v3
	v_add_u32_e32 v5, 1, v5
	v_writelane_b32 v70, s10, 10
	s_bfe_u32 s8, s1, 0xa0006
	v_and_b32_e32 v18, 7, v5
	v_writelane_b32 v70, s11, 11
	v_cmp_lt_u32_e64 s[10:11], 13, v3
	s_add_i32 s1, s8, -2
	s_lshr_b32 s2, s1, 1
	v_writelane_b32 v70, s10, 12
	v_and_b32_e32 v25, -2, v2
	s_add_i32 s2, s2, 1
	v_writelane_b32 v70, s11, 13
	v_cmp_ne_u32_e64 s[10:11], 0, v18
	s_cmpk_gt_u32 s67, 0x7f
	v_lshlrev_b32_e32 v15, 2, v0
	v_writelane_b32 v70, s10, 14
	v_mov_b32_e32 v11, 0
	s_mov_b32 s20, 0
	v_writelane_b32 v70, s11, 15
	v_cmp_ne_u32_e64 s[10:11], v2, v25
	v_cvt_f32_u32_e32 v2, s70
	v_mul_lo_u32 v8, s66, v0
	v_writelane_b32 v70, s10, 16
	v_mov_b32_e32 v9, v11
	v_rcp_iflag_f32_e32 v2, v2
	v_writelane_b32 v70, s11, 17
	s_cselect_b64 s[10:11], -1, 0
	v_writelane_b32 v70, s10, 18
	s_and_b32 s9, s8, 0x3fe
	v_mul_f32_e32 v2, 0x4f7ffffe, v2
	v_writelane_b32 v70, s11, 19
	s_and_b32 s10, s2, 7
	s_cmp_gt_u32 s1, 13
	s_cselect_b64 s[12:13], -1, 0
	v_writelane_b32 v70, s12, 20
	s_and_b32 s1, s2, -8
	s_cmp_lg_u32 s10, 0
	v_writelane_b32 v70, s13, 21
	v_writelane_b32 v70, s1, 22
	v_cvt_u32_f32_e32 v2, v2
	v_writelane_b32 v70, s10, 23
	s_cselect_b64 s[10:11], -1, 0
	v_writelane_b32 v70, s10, 24
	s_cmp_lg_u32 s9, s8
	v_readfirstlane_b32 s2, v2
	v_writelane_b32 v70, s11, 25
	v_writelane_b32 v70, s8, 26
	v_cvt_f32_u32_e32 v2, s67
	v_writelane_b32 v70, s9, 27
	s_cselect_b64 s[8:9], -1, 0
	s_sub_i32 s1, 0, s70
	s_mul_i32 s1, s1, s2
	s_mul_hi_u32 s1, s2, s1
	s_add_i32 s93, s2, s1
	v_rcp_iflag_f32_e32 v2, v2
	s_mul_hi_u32 s1, s64, s93
	s_mul_i32 s1, s1, s70
	s_sub_i32 s1, s64, s1
	s_sub_i32 s2, s1, s70
	v_mul_f32_e32 v2, 0x4f7ffffe, v2
	s_cmp_ge_u32 s1, s70
	v_cvt_u32_f32_e32 v2, v2
	s_cselect_b32 s1, s2, s1
	s_sub_i32 s2, s1, s70
	v_writelane_b32 v70, s8, 28
	s_cmp_ge_u32 s1, s70
	s_cselect_b32 s1, s2, s1
	v_writelane_b32 v70, s9, 29
	s_sub_i32 s2, 0, s67
	v_readfirstlane_b32 s8, v2
	s_mul_i32 s2, s2, s8
	s_mul_hi_u32 s2, s8, s2
	s_add_i32 s85, s8, s2
	s_mul_hi_u32 s2, s3, s85
	s_mul_i32 s2, s2, s67
	s_sub_i32 s2, s3, s2
	s_sub_i32 s84, s64, s1
	;; [unrolled: 1-line block ×3, first 2 shown]
	s_cmp_ge_u32 s2, s67
	s_cselect_b32 s2, s8, s2
	s_sub_i32 s8, s2, s67
	s_cmp_ge_u32 s2, s67
	s_cselect_b32 s2, s8, s2
	s_sub_i32 s91, s3, s2
	v_cmp_gt_u32_e64 s[2:3], s91, v0
	v_mul_lo_u32 v2, s66, v15
	v_add_u32_e32 v30, s66, v2
	v_writelane_b32 v70, s2, 30
	v_or_b32_e32 v2, 2, v15
	v_mul_lo_u32 v31, s66, v2
	v_writelane_b32 v70, s3, 31
	v_or_b32_e32 v2, 3, v15
	s_add_i32 s2, s67, s64
	v_add_u32_e32 v28, s84, v0
	v_mul_lo_u32 v33, s66, v2
	v_add_u32_e32 v2, s2, v0
	v_lshlrev_b32_e32 v4, 2, v22
	v_mul_lo_u32 v10, v28, s66
	s_mul_i32 s68, s66, s67
	v_subrev_u32_e32 v2, s1, v2
	s_mov_b32 s21, 1
	v_cmp_eq_u32_e64 s[4:5], 0, v22
	v_cmp_gt_u32_e64 s[6:7], 2, v0
	v_add_u32_e32 v23, 0xc00, v15
	v_lshl_add_u64 v[12:13], v[8:9], 2, v[6:7]
	v_and_b32_e32 v9, 0x100, v4
	v_add_u32_e32 v26, v0, v25
	s_mov_b32 s92, s66
	v_and_b32_e32 v27, -8, v5
	v_cmp_gt_u32_e64 s[16:17], s84, v15
	v_cmp_gt_u32_e64 s[18:19], s64, v28
	v_lshl_add_u64 v[16:17], v[10:11], 2, v[6:7]
	v_lshlrev_b32_e32 v29, 3, v18
	s_lshl_b32 s86, s68, 2
	v_lshlrev_b32_e32 v34, 2, v8
	v_mul_lo_u32 v35, s66, v2
	v_lshlrev_b32_e32 v36, 4, v0
	s_lshl_b32 s87, s67, 4
	v_or_b32_e32 v37, 0xc00, v4
	s_mov_b64 s[94:95], 0
	v_mov_b32_e32 v39, 30
	v_mov_b32_e32 v42, s0
	;; [unrolled: 1-line block ×3, first 2 shown]
	v_mov_b32_e32 v18, 1.0
	v_bfrev_b32_e32 v38, 1
	v_mov_b32_e32 v40, 0xc00
	v_mov_b32_e32 v21, 0
	s_mov_b32 s0, s20
	v_mov_b32_e32 v32, 0
	v_mov_b32_e32 v41, 0
                                        ; implicit-def: $sgpr96_sgpr97
                                        ; implicit-def: $sgpr72_sgpr73
                                        ; implicit-def: $sgpr98_sgpr99
                                        ; implicit-def: $sgpr12_sgpr13
                                        ; implicit-def: $sgpr14_sgpr15
                                        ; implicit-def: $sgpr10_sgpr11
	s_branch .LBB123_29
.LBB123_26:                             ;   in Loop: Header=BB123_29 Depth=1
	s_or_b64 exec, exec, s[34:35]
	s_and_b64 s[26:27], s[26:27], exec
	s_andn2_b64 s[30:31], s[30:31], exec
	s_andn2_b64 s[28:29], s[28:29], exec
	s_orn2_b64 s[22:23], s[22:23], exec
.LBB123_27:                             ;   in Loop: Header=BB123_29 Depth=1
	s_or_b64 exec, exec, s[8:9]
	s_andn2_b64 s[0:1], s[10:11], exec
	s_and_b64 s[8:9], s[26:27], exec
	s_or_b64 s[10:11], s[0:1], s[8:9]
	s_andn2_b64 s[0:1], s[14:15], exec
	s_and_b64 s[8:9], s[30:31], exec
	s_or_b64 s[14:15], s[0:1], s[8:9]
	;; [unrolled: 3-line block ×3, first 2 shown]
	s_orn2_b64 s[22:23], s[22:23], exec
.LBB123_28:                             ;   in Loop: Header=BB123_29 Depth=1
	s_or_b64 exec, exec, s[2:3]
	s_and_b64 s[0:1], exec, s[22:23]
	s_or_b64 s[94:95], s[0:1], s[94:95]
	s_andn2_b64 s[0:1], s[98:99], exec
	s_and_b64 s[2:3], s[10:11], exec
	s_or_b64 s[98:99], s[0:1], s[2:3]
	s_andn2_b64 s[0:1], s[72:73], exec
	s_and_b64 s[2:3], s[14:15], exec
	;; [unrolled: 3-line block ×3, first 2 shown]
	s_or_b64 s[96:97], s[0:1], s[2:3]
	s_mov_b32 s0, s20
	v_mov_b32_e32 v42, v5
	s_andn2_b64 exec, exec, s[94:95]
	s_cbranch_execz .LBB123_277
.LBB123_29:                             ; =>This Loop Header: Depth=1
                                        ;     Child Loop BB123_35 Depth 2
                                        ;     Child Loop BB123_56 Depth 2
	;; [unrolled: 1-line block ×19, first 2 shown]
	ds_read_b64 v[2:3], v11 offset:4104
	s_waitcnt lgkmcnt(0)
	v_readfirstlane_b32 s1, v2
	s_cmp_lg_u32 s1, 0
	s_cbranch_scc1 .LBB123_75
; %bb.30:                               ;   in Loop: Header=BB123_29 Depth=1
	s_and_b64 vcc, exec, s[80:81]
	s_cbranch_vccz .LBB123_43
; %bb.31:                               ;   in Loop: Header=BB123_29 Depth=1
	s_movk_i32 s1, 0x301
	v_cmp_gt_u32_e32 vcc, s1, v3
	s_mov_b64 s[8:9], 0
	s_mov_b64 s[2:3], 0
	s_cbranch_vccz .LBB123_44
; %bb.32:                               ;   in Loop: Header=BB123_29 Depth=1
	s_mov_b64 s[26:27], exec
	v_readlane_b32 s2, v70, 6
	v_readlane_b32 s3, v70, 7
	s_and_b64 s[2:3], s[26:27], s[2:3]
	s_mov_b64 exec, s[2:3]
	s_cbranch_execz .LBB123_50
; %bb.33:                               ;   in Loop: Header=BB123_29 Depth=1
	v_readlane_b32 s2, v70, 8
	v_readlane_b32 s3, v70, 9
	s_nop 4
	global_load_ushort v2, v11, s[2:3]
	global_load_dword v4, v[12:13], off
	s_mov_b64 s[28:29], 0
	s_waitcnt vmcnt(1)
	v_add_u32_e32 v5, v0, v2
	v_mul_lo_u32 v3, s66, v2
	v_mul_lo_u32 v10, s66, v5
	v_mov_b32_e32 v5, v0
	s_branch .LBB123_35
.LBB123_34:                             ;   in Loop: Header=BB123_35 Depth=2
	s_or_b64 exec, exec, s[2:3]
	v_add_u32_e32 v10, v10, v3
	v_mov_b32_e32 v4, v19
	s_andn2_b64 exec, exec, s[28:29]
	s_cbranch_execz .LBB123_50
.LBB123_35:                             ;   Parent Loop BB123_29 Depth=1
                                        ; =>  This Inner Loop Header: Depth=2
	v_add_u32_e32 v5, v5, v2
	v_cmp_gt_u32_e64 s[2:3], s64, v5
	v_cmp_le_u32_e32 vcc, s64, v5
	s_waitcnt lgkmcnt(0)
	v_mov_b32_e32 v20, 0
	v_mov_b32_e32 v19, 0
	s_and_saveexec_b64 s[22:23], s[2:3]
	s_cbranch_execz .LBB123_37
; %bb.36:                               ;   in Loop: Header=BB123_35 Depth=2
	v_lshl_add_u64 v[46:47], v[10:11], 2, v[6:7]
	global_load_dword v19, v[46:47], off
.LBB123_37:                             ;   in Loop: Header=BB123_35 Depth=2
	s_or_b64 exec, exec, s[22:23]
	s_waitcnt vmcnt(0)
	v_cmp_lt_i32_e64 s[2:3], -1, v4
	s_nop 1
	v_cndmask_b32_e64 v43, -1, v38, s[2:3]
	v_xor_b32_e32 v43, v43, v4
	v_cmp_o_f32_e64 s[2:3], v4, v4
	s_nop 1
	v_cndmask_b32_e64 v43, -1, v43, s[2:3]
	v_and_b32_e32 v43, v43, v41
	v_cmp_eq_u32_e64 s[22:23], v43, v32
	s_cmp_lg_u64 s[22:23], 0
	s_cselect_b64 s[2:3], -1, 0
	s_and_b64 s[2:3], s[4:5], s[2:3]
	s_and_saveexec_b64 s[30:31], s[2:3]
	s_cbranch_execz .LBB123_41
; %bb.38:                               ;   in Loop: Header=BB123_35 Depth=2
	s_mov_b64 s[36:37], exec
	v_mbcnt_lo_u32_b32 v20, s36, 0
	v_mbcnt_hi_u32_b32 v20, s37, v20
	s_bcnt1_i32_b64 s1, s[22:23]
	v_cmp_eq_u32_e64 s[2:3], 0, v20
                                        ; implicit-def: $vgpr43
	s_and_saveexec_b64 s[34:35], s[2:3]
; %bb.39:                               ;   in Loop: Header=BB123_35 Depth=2
	s_bcnt1_i32_b64 s2, s[36:37]
	s_mul_i32 s2, s1, s2
	v_mov_b32_e32 v43, s2
	ds_add_rtn_u32 v43, v11, v43 offset:4112
; %bb.40:                               ;   in Loop: Header=BB123_35 Depth=2
	s_or_b64 exec, exec, s[34:35]
	s_waitcnt lgkmcnt(0)
	v_readfirstlane_b32 s2, v43
	s_nop 1
	v_mov_b32_e32 v43, s2
	v_mad_u32_u24 v20, s1, v20, v43
.LBB123_41:                             ;   in Loop: Header=BB123_35 Depth=2
	s_or_b64 exec, exec, s[30:31]
	ds_bpermute_b32 v20, v9, v20
	s_and_b64 s[2:3], exec, vcc
	s_or_b64 s[28:29], s[2:3], s[28:29]
	s_and_saveexec_b64 s[2:3], s[22:23]
	s_cbranch_execz .LBB123_34
; %bb.42:                               ;   in Loop: Header=BB123_35 Depth=2
	v_and_b32_e32 v45, s22, v14
	v_and_b32_e32 v43, s23, v1
	v_bcnt_u32_b32 v45, v45, 0
	v_bcnt_u32_b32 v43, v43, v45
	v_lshlrev_b32_e32 v43, 2, v43
	s_waitcnt lgkmcnt(0)
	v_lshl_add_u32 v20, v20, 2, v43
	ds_write_b32 v20, v4
	s_branch .LBB123_34
.LBB123_43:                             ;   in Loop: Header=BB123_29 Depth=1
	s_mov_b64 s[8:9], -1
	s_mov_b64 s[2:3], 0
.LBB123_44:                             ;   in Loop: Header=BB123_29 Depth=1
	s_and_b64 vcc, exec, s[8:9]
	s_cbranch_vccz .LBB123_73
.LBB123_45:                             ;   in Loop: Header=BB123_29 Depth=1
	s_mov_b64 s[22:23], exec
	v_readlane_b32 s2, v70, 6
	v_readlane_b32 s3, v70, 7
	s_and_b64 s[2:3], s[22:23], s[2:3]
	s_mov_b64 exec, s[2:3]
	s_cbranch_execz .LBB123_70
; %bb.46:                               ;   in Loop: Header=BB123_29 Depth=1
	v_readlane_b32 s2, v70, 8
	v_readlane_b32 s3, v70, 9
	s_nop 4
	global_load_ushort v2, v11, s[2:3]
	global_load_dword v19, v[12:13], off
	v_mov_b32_e32 v3, v0
	s_waitcnt vmcnt(1)
	v_readfirstlane_b32 s1, v2
	v_add_u32_e32 v2, v0, v2
	v_cmp_gt_u32_e32 vcc, s64, v2
	s_and_saveexec_b64 s[26:27], vcc
	s_cbranch_execz .LBB123_69
; %bb.47:                               ;   in Loop: Header=BB123_29 Depth=1
	s_mov_b64 s[2:3], 0
	s_mul_i32 s34, s66, s1
                                        ; implicit-def: $vgpr3
                                        ; implicit-def: $vgpr20
                                        ; implicit-def: $vgpr4
                                        ; implicit-def: $vgpr5
	s_mov_b64 s[8:9], exec
	v_readlane_b32 s20, v70, 10
	v_readlane_b32 s21, v70, 11
	s_and_b64 s[20:21], s[8:9], s[20:21]
	s_xor_b64 s[28:29], s[20:21], s[8:9]
	s_mov_b64 exec, s[20:21]
	s_cbranch_execnz .LBB123_53
; %bb.48:                               ;   in Loop: Header=BB123_29 Depth=1
	s_andn2_saveexec_b64 s[8:9], s[28:29]
	s_cbranch_execnz .LBB123_64
.LBB123_49:                             ;   in Loop: Header=BB123_29 Depth=1
	s_or_b64 exec, exec, s[8:9]
	s_and_saveexec_b64 s[8:9], s[2:3]
	s_cbranch_execnz .LBB123_65
	s_branch .LBB123_68
.LBB123_50:                             ;   in Loop: Header=BB123_29 Depth=1
	s_or_b64 exec, exec, s[26:27]
	s_waitcnt lgkmcnt(0)
	s_barrier
	s_and_saveexec_b64 s[2:3], s[24:25]
	s_cbranch_execz .LBB123_52
; %bb.51:                               ;   in Loop: Header=BB123_29 Depth=1
	ds_read_b32 v2, v11 offset:4112
	s_waitcnt lgkmcnt(0)
	ds_write_b32 v11, v2 offset:4104
.LBB123_52:                             ;   in Loop: Header=BB123_29 Depth=1
	s_or_b64 exec, exec, s[2:3]
	s_waitcnt lgkmcnt(0)
	s_barrier
	s_mov_b64 s[2:3], -1
	s_and_b64 vcc, exec, s[8:9]
	s_cbranch_vccnz .LBB123_45
	s_branch .LBB123_73
.LBB123_53:                             ;   in Loop: Header=BB123_29 Depth=1
	v_cvt_f32_u32_e32 v3, s1
	v_add_u32_e32 v4, s1, v2
	v_max_u32_e32 v4, s64, v4
	s_lshl_b32 s2, s1, 1
	v_rcp_iflag_f32_e32 v3, v3
	v_sub_u32_e32 v4, v4, v0
	v_cmp_ne_u32_e32 vcc, s2, v4
	s_sub_i32 s3, 0, s1
	v_mul_f32_e32 v3, 0x4f7ffffe, v3
	v_cvt_u32_f32_e32 v3, v3
	v_cndmask_b32_e64 v5, 0, 1, vcc
	v_or_b32_e32 v5, s2, v5
	v_sub_u32_e32 v4, v4, v5
	v_mul_lo_u32 v5, s3, v3
	v_mul_hi_u32 v5, v3, v5
	v_add_u32_e32 v3, v3, v5
	v_mul_hi_u32 v3, v4, v3
	v_mul_lo_u32 v5, v3, s1
	v_sub_u32_e32 v4, v4, v5
	v_add_u32_e32 v5, 1, v3
	v_cmp_le_u32_e64 s[2:3], s1, v4
	s_nop 1
	v_cndmask_b32_e64 v3, v3, v5, s[2:3]
	v_subrev_u32_e32 v5, s1, v4
	v_cndmask_b32_e64 v4, v4, v5, s[2:3]
	v_add_u32_e32 v5, 1, v3
	v_cmp_le_u32_e64 s[2:3], s1, v4
	v_mul_lo_u32 v4, s66, v2
	s_nop 0
	v_cndmask_b32_e64 v3, v3, v5, s[2:3]
	v_addc_co_u32_e32 v3, vcc, 0, v3, vcc
	s_abs_i32 s2, s34
	v_mul_hi_u32 v5, s2, v3
	v_mul_lo_u32 v3, s2, v3
	s_not_b32 s2, s34
	s_ashr_i32 s2, s2, 31
	s_cmp_eq_u32 s1, 1
	v_cmp_eq_u32_e32 vcc, 0, v5
	v_xor_b32_e32 v4, s2, v4
	s_cselect_b64 s[8:9], -1, 0
	v_cmp_le_u32_e64 s[2:3], v3, v4
	s_and_b64 s[8:9], vcc, s[8:9]
	s_and_b64 s[20:21], s[8:9], s[2:3]
	s_mov_b64 s[8:9], -1
	v_mov_b32_e32 v4, v0
                                        ; implicit-def: $vgpr3
	s_and_saveexec_b64 s[2:3], s[20:21]
	s_cbranch_execz .LBB123_63
; %bb.54:                               ;   in Loop: Header=BB123_29 Depth=1
	v_add_u32_e32 v3, 1, v2
	v_mov_b32_e32 v10, 0
	v_mov_b64_e32 v[4:5], v[2:3]
	s_mov_b64 s[8:9], exec
	v_readlane_b32 s20, v70, 12
	v_readlane_b32 s21, v70, 13
	s_and_b64 s[20:21], s[8:9], s[20:21]
	s_mov_b64 exec, s[20:21]
	s_cbranch_execz .LBB123_58
; %bb.55:                               ;   in Loop: Header=BB123_29 Depth=1
	s_mov_b32 s20, 0
	s_mov_b64 s[30:31], 0
	v_mov_b32_e32 v20, v27
	v_mov_b32_e32 v43, v15
	v_mov_b64_e32 v[4:5], v[2:3]
.LBB123_56:                             ;   Parent Loop BB123_29 Depth=1
                                        ; =>  This Inner Loop Header: Depth=2
	v_mul_lo_u32 v10, v4, s66
	v_lshl_add_u64 v[46:47], v[10:11], 2, v[6:7]
	global_load_dword v3, v[46:47], off
	v_add_u32_e32 v10, 2, v4
	v_mul_lo_u32 v46, v5, s92
	v_mov_b32_e32 v47, v11
	v_add_u32_e32 v45, 2, v5
	v_add_u32_e32 v64, 4, v4
	;; [unrolled: 1-line block ×4, first 2 shown]
	v_mul_lo_u32 v10, v10, s66
	v_mov_b32_e32 v49, v11
	v_add_u32_e32 v50, 4, v5
	v_add_u32_e32 v65, 6, v4
	;; [unrolled: 1-line block ×3, first 2 shown]
	v_mov_b32_e32 v55, v11
	v_mov_b32_e32 v57, v11
	v_add_u32_e32 v58, 12, v5
	v_lshl_add_u64 v[46:47], v[46:47], 2, v[6:7]
	v_mul_lo_u32 v48, v45, s92
	v_mul_lo_u32 v54, v54, s92
	;; [unrolled: 1-line block ×3, first 2 shown]
	v_lshl_add_u64 v[62:63], v[10:11], 2, v[6:7]
	v_mul_lo_u32 v10, v64, s66
	v_mov_b32_e32 v51, v11
	v_mov_b32_e32 v53, v11
	v_add_u32_e32 v66, 8, v4
	v_mov_b32_e32 v59, v11
	v_mul_lo_u32 v50, v50, s92
	v_mul_lo_u32 v52, v52, s92
	;; [unrolled: 1-line block ×3, first 2 shown]
	v_lshl_add_u64 v[48:49], v[48:49], 2, v[6:7]
	v_lshl_add_u64 v[54:55], v[54:55], 2, v[6:7]
	;; [unrolled: 1-line block ×3, first 2 shown]
	global_load_dword v45, v[46:47], off
	v_lshl_add_u64 v[46:47], v[10:11], 2, v[6:7]
	v_mul_lo_u32 v10, v65, s66
	v_add_u32_e32 v67, 10, v4
	v_lshl_add_u64 v[50:51], v[50:51], 2, v[6:7]
	v_lshl_add_u64 v[52:53], v[52:53], 2, v[6:7]
	;; [unrolled: 1-line block ×3, first 2 shown]
	global_load_dword v62, v[62:63], off
	s_nop 0
	global_load_dword v63, v[48:49], off
	global_load_dword v64, v[50:51], off
	;; [unrolled: 1-line block ×3, first 2 shown]
	s_nop 0
	global_load_dword v54, v[54:55], off
	s_nop 0
	global_load_dword v55, v[56:57], off
	;; [unrolled: 2-line block ×3, first 2 shown]
	v_lshl_add_u64 v[48:49], v[10:11], 2, v[6:7]
	v_mul_lo_u32 v10, v66, s66
	v_add_u32_e32 v68, 12, v4
	global_load_dword v57, v[48:49], off
	global_load_dword v58, v[46:47], off
	v_lshl_add_u64 v[46:47], v[10:11], 2, v[6:7]
	v_mul_lo_u32 v10, v67, s66
	v_add_u32_e32 v69, 14, v4
	v_add_u32_e32 v60, 14, v5
	v_lshl_add_u64 v[48:49], v[10:11], 2, v[6:7]
	v_mul_lo_u32 v10, v68, s66
	v_mov_b32_e32 v61, v11
	v_mul_lo_u32 v60, v60, s92
	v_lshl_add_u64 v[50:51], v[10:11], 2, v[6:7]
	v_mul_lo_u32 v10, v69, s66
	v_lshl_add_u64 v[60:61], v[60:61], 2, v[6:7]
	v_lshl_add_u64 v[52:53], v[10:11], 2, v[6:7]
	global_load_dword v52, v[52:53], off
	v_add_u32_e32 v20, -8, v20
	s_add_i32 s20, s20, 16
	v_cmp_eq_u32_e32 vcc, 0, v20
	v_add_u32_e32 v5, 16, v5
	v_add_u32_e32 v4, 16, v4
	v_mov_b32_e32 v10, s20
	s_or_b64 s[30:31], vcc, s[30:31]
	s_waitcnt vmcnt(11)
	ds_write2_b32 v43, v19, v3 offset1:1
	global_load_dword v19, v[60:61], off
	global_load_dword v3, v[50:51], off
	s_nop 0
	global_load_dword v48, v[48:49], off
	s_nop 0
	global_load_dword v46, v[46:47], off
	s_waitcnt vmcnt(13)
	ds_write2_b32 v43, v45, v62 offset0:2 offset1:3
	s_waitcnt vmcnt(5)
	ds_write2_b32 v43, v63, v58 offset0:4 offset1:5
	ds_write2_b32 v43, v64, v57 offset0:6 offset1:7
	s_waitcnt vmcnt(4)
	ds_write2_b32 v43, v56, v52 offset0:14 offset1:15
	s_waitcnt vmcnt(0)
	ds_write2_b32 v43, v65, v46 offset0:8 offset1:9
	ds_write2_b32 v43, v54, v48 offset0:10 offset1:11
	ds_write2_b32 v43, v55, v3 offset0:12 offset1:13
	v_add_u32_e32 v43, 64, v43
	s_andn2_b64 exec, exec, s[30:31]
	s_cbranch_execnz .LBB123_56
; %bb.57:                               ;   in Loop: Header=BB123_29 Depth=1
	s_or_b64 exec, exec, s[30:31]
.LBB123_58:                             ;   in Loop: Header=BB123_29 Depth=1
	s_or_b64 exec, exec, s[8:9]
	s_mov_b64 s[8:9], exec
	v_readlane_b32 s20, v70, 14
	v_readlane_b32 s21, v70, 15
	s_and_b64 s[20:21], s[8:9], s[20:21]
	s_mov_b64 exec, s[20:21]
	s_cbranch_execz .LBB123_62
; %bb.59:                               ;   in Loop: Header=BB123_29 Depth=1
	v_lshl_add_u32 v3, v10, 2, v15
	s_mov_b64 s[30:31], 0
	v_mov_b32_e32 v20, v29
.LBB123_60:                             ;   Parent Loop BB123_29 Depth=1
                                        ; =>  This Inner Loop Header: Depth=2
	v_mul_lo_u32 v10, v4, s66
	v_mul_lo_u32 v46, v5, s92
	v_mov_b32_e32 v47, v11
	v_lshl_add_u64 v[48:49], v[10:11], 2, v[6:7]
	v_lshl_add_u64 v[46:47], v[46:47], 2, v[6:7]
	global_load_dword v43, v[48:49], off
	global_load_dword v10, v[46:47], off
	v_add_u32_e32 v20, -8, v20
	v_cmp_eq_u32_e32 vcc, 0, v20
	v_add_u32_e32 v5, 2, v5
	v_add_u32_e32 v4, 2, v4
	s_or_b64 s[30:31], vcc, s[30:31]
	s_waitcnt vmcnt(1)
	ds_write2_b32 v3, v19, v43 offset1:1
	v_add_u32_e32 v3, 8, v3
	s_waitcnt vmcnt(0)
	v_mov_b32_e32 v19, v10
	s_andn2_b64 exec, exec, s[30:31]
	s_cbranch_execnz .LBB123_60
; %bb.61:                               ;   in Loop: Header=BB123_29 Depth=1
	s_or_b64 exec, exec, s[30:31]
	v_mov_b32_e32 v19, v10
.LBB123_62:                             ;   in Loop: Header=BB123_29 Depth=1
	s_or_b64 exec, exec, s[8:9]
	v_readlane_b32 s8, v70, 16
	v_add_u32_e32 v2, v2, v25
	v_readlane_b32 s9, v70, 17
	v_add_u32_e32 v3, -1, v2
	s_orn2_b64 s[8:9], s[8:9], exec
	v_mov_b32_e32 v4, v26
.LBB123_63:                             ;   in Loop: Header=BB123_29 Depth=1
	s_or_b64 exec, exec, s[2:3]
	v_mov_b32_e32 v5, s34
	s_and_b64 s[2:3], s[8:9], exec
	s_waitcnt vmcnt(0)
	v_mov_b32_e32 v20, v19
	s_andn2_saveexec_b64 s[8:9], s[28:29]
	s_cbranch_execz .LBB123_49
.LBB123_64:                             ;   in Loop: Header=BB123_29 Depth=1
	v_mov_b32_e32 v5, s34
	s_or_b64 s[2:3], s[2:3], exec
	s_waitcnt vmcnt(0)
	v_mov_b32_e32 v20, v19
	v_mov_b32_e32 v4, v0
	s_or_b64 exec, exec, s[8:9]
	s_and_saveexec_b64 s[8:9], s[2:3]
	s_cbranch_execz .LBB123_68
.LBB123_65:                             ;   in Loop: Header=BB123_29 Depth=1
	s_sub_i32 s20, 0, s1
	v_mul_lo_u32 v10, s66, v2
	s_mov_b64 s[2:3], 0
.LBB123_66:                             ;   Parent Loop BB123_29 Depth=1
                                        ; =>  This Inner Loop Header: Depth=2
	v_lshl_add_u64 v[46:47], v[10:11], 2, v[6:7]
	global_load_dword v19, v[46:47], off
	v_mov_b32_e32 v3, v2
	v_lshlrev_b32_e32 v2, 2, v4
	ds_write_b32 v2, v20
	v_add_u32_e32 v2, s1, v3
	v_cmp_le_u32_e32 vcc, s64, v2
	v_add_u32_e32 v10, v10, v5
	v_mov_b32_e32 v4, v3
	s_or_b64 s[2:3], vcc, s[2:3]
	s_waitcnt vmcnt(0)
	v_mov_b32_e32 v20, v19
	s_andn2_b64 exec, exec, s[2:3]
	s_cbranch_execnz .LBB123_66
; %bb.67:                               ;   in Loop: Header=BB123_29 Depth=1
	s_or_b64 exec, exec, s[2:3]
	v_add_u32_e32 v3, s20, v2
.LBB123_68:                             ;   in Loop: Header=BB123_29 Depth=1
	s_or_b64 exec, exec, s[8:9]
.LBB123_69:                             ;   in Loop: Header=BB123_29 Depth=1
	s_or_b64 exec, exec, s[26:27]
	v_lshlrev_b32_e32 v2, 2, v3
	s_waitcnt vmcnt(0)
	ds_write_b32 v2, v19
.LBB123_70:                             ;   in Loop: Header=BB123_29 Depth=1
	s_or_b64 exec, exec, s[22:23]
	s_waitcnt lgkmcnt(0)
	s_barrier
	s_and_saveexec_b64 s[2:3], s[24:25]
; %bb.71:                               ;   in Loop: Header=BB123_29 Depth=1
	ds_write_b32 v11, v44 offset:4104
; %bb.72:                               ;   in Loop: Header=BB123_29 Depth=1
	s_or_b64 exec, exec, s[2:3]
	s_mov_b64 s[2:3], -1
	s_waitcnt lgkmcnt(0)
	s_barrier
.LBB123_73:                             ;   in Loop: Header=BB123_29 Depth=1
	s_mov_b32 s1, 0
	s_and_b64 vcc, exec, s[2:3]
	s_cbranch_vccz .LBB123_75
; %bb.74:                               ;   in Loop: Header=BB123_29 Depth=1
	ds_read_b32 v2, v11 offset:4104
	s_waitcnt lgkmcnt(0)
	v_readfirstlane_b32 s1, v2
.LBB123_75:                             ;   in Loop: Header=BB123_29 Depth=1
	s_cmp_lt_i32 s1, 1
	s_mov_b64 s[2:3], -1
                                        ; implicit-def: $vgpr4_vgpr5
	s_cbranch_scc1 .LBB123_85
; %bb.76:                               ;   in Loop: Header=BB123_29 Depth=1
	s_and_b64 vcc, exec, s[2:3]
	s_cbranch_vccnz .LBB123_96
.LBB123_77:                             ;   in Loop: Header=BB123_29 Depth=1
	s_lshl_b32 s1, s0, 6
	s_and_saveexec_b64 s[2:3], s[4:5]
.LBB123_78:                             ;   in Loop: Header=BB123_29 Depth=1
	v_lshl_add_u32 v10, s1, 2, v24
	ds_write_b128 v10, v[2:5]
.LBB123_79:                             ;   in Loop: Header=BB123_29 Depth=1
	s_or_b64 exec, exec, s[2:3]
	s_waitcnt lgkmcnt(0)
	s_barrier
	s_and_saveexec_b64 s[2:3], s[78:79]
	s_cbranch_execz .LBB123_113
; %bb.80:                               ;   in Loop: Header=BB123_29 Depth=1
	v_add_u32_e32 v4, s1, v22
	s_andn2_b64 vcc, exec, s[82:83]
	v_mov_b32_e32 v2, 0
	s_cbranch_vccnz .LBB123_112
; %bb.81:                               ;   in Loop: Header=BB123_29 Depth=1
	v_readlane_b32 s8, v70, 18
	v_readlane_b32 s9, v70, 19
	s_andn2_b64 vcc, exec, s[8:9]
	s_cbranch_vccnz .LBB123_105
; %bb.82:                               ;   in Loop: Header=BB123_29 Depth=1
	v_readlane_b32 s8, v70, 20
	v_readlane_b32 s9, v70, 21
	s_andn2_b64 vcc, exec, s[8:9]
	v_lshl_add_u32 v5, v4, 2, v40
	s_cbranch_vccnz .LBB123_106
; %bb.83:                               ;   in Loop: Header=BB123_29 Depth=1
	s_mov_b32 s9, 1
	s_mov_b32 s8, 0
	v_mov_b32_e32 v2, 0
	v_mov_b32_e32 v3, 0
	v_readlane_b32 s20, v70, 22
.LBB123_84:                             ;   Parent Loop BB123_29 Depth=1
                                        ; =>  This Inner Loop Header: Depth=2
	v_lshl_add_u32 v10, s8, 4, v5
	v_lshl_add_u32 v19, s9, 4, v5
	ds_read2_b32 v[46:47], v10 offset1:8
	ds_read2_b32 v[48:49], v19 offset1:8
	ds_read2_b32 v[50:51], v10 offset0:16 offset1:24
	ds_read2_b32 v[52:53], v19 offset0:16 offset1:24
	;; [unrolled: 1-line block ×6, first 2 shown]
	s_waitcnt lgkmcnt(7)
	v_add3_u32 v2, v46, v2, v47
	s_waitcnt lgkmcnt(6)
	v_add3_u32 v3, v48, v3, v49
	;; [unrolled: 2-line block ×3, first 2 shown]
	v_add3_u32 v2, v50, v2, v51
	s_add_i32 s9, s9, 16
	s_add_i32 s8, s8, 16
	s_add_i32 s20, s20, -8
	s_waitcnt lgkmcnt(3)
	v_add3_u32 v2, v54, v2, v55
	s_waitcnt lgkmcnt(2)
	v_add3_u32 v3, v56, v3, v57
	s_cmp_lg_u32 s20, 0
	s_waitcnt lgkmcnt(0)
	v_add3_u32 v3, v60, v3, v61
	v_add3_u32 v2, v58, v2, v59
	s_cbranch_scc1 .LBB123_84
	s_branch .LBB123_107
.LBB123_85:                             ;   in Loop: Header=BB123_29 Depth=1
	v_mov_b32_e32 v10, v11
	v_mov_b64_e32 v[4:5], v[10:11]
	v_mov_b64_e32 v[2:3], v[10:11]
	s_and_saveexec_b64 s[52:53], s[16:17]
	s_cbranch_execz .LBB123_89
; %bb.86:                               ;   in Loop: Header=BB123_29 Depth=1
	s_mov_b32 s8, 0
	s_mov_b64 s[54:55], 0
	v_mov_b32_e32 v19, v15
	s_mov_b32 s58, 0
	s_mov_b32 s59, s8
	;; [unrolled: 1-line block ×4, first 2 shown]
.LBB123_87:                             ;   Parent Loop BB123_29 Depth=1
                                        ; =>  This Inner Loop Header: Depth=2
	v_add_u32_e32 v10, s8, v34
	v_lshl_add_u64 v[2:3], v[10:11], 2, v[6:7]
	v_add_u32_e32 v10, s8, v30
	global_load_dword v4, v[2:3], off
	v_lshl_add_u64 v[2:3], v[10:11], 2, v[6:7]
	v_add_u32_e32 v10, s8, v31
	global_load_dword v5, v[2:3], off
	v_lshl_add_u64 v[2:3], v[10:11], 2, v[6:7]
	v_add_u32_e32 v10, s8, v33
	global_load_dword v20, v[2:3], off
	v_lshl_add_u64 v[2:3], v[10:11], 2, v[6:7]
	global_load_dword v2, v[2:3], off
	v_add_u32_e32 v19, s70, v19
	v_cmp_le_u32_e32 vcc, s84, v19
	s_add_i32 s8, s8, s86
	s_waitcnt vmcnt(3)
	v_cmp_lt_i32_e64 s[2:3], -1, v4
	s_nop 1
	v_cndmask_b32_e64 v3, -1, v38, s[2:3]
	v_xor_b32_e32 v3, v3, v4
	s_waitcnt vmcnt(2)
	v_cmp_lt_i32_e64 s[2:3], -1, v5
	s_waitcnt vmcnt(0)
	v_cmp_o_f32_e64 s[34:35], v2, v2
	v_cndmask_b32_e64 v10, -1, v38, s[2:3]
	v_cmp_o_f32_e64 s[2:3], v4, v4
	v_xor_b32_e32 v4, v10, v5
	s_nop 0
	v_cndmask_b32_e64 v3, -1, v3, s[2:3]
	v_cmp_lt_i32_e64 s[2:3], -1, v20
	v_and_b32_e32 v43, v3, v41
	v_bfe_u32 v3, v3, v39, 2
	v_cndmask_b32_e64 v10, -1, v38, s[2:3]
	v_cmp_o_f32_e64 s[2:3], v5, v5
	v_xor_b32_e32 v5, v10, v20
	v_cmp_eq_u32_e64 s[22:23], 0, v3
	v_cndmask_b32_e64 v4, -1, v4, s[2:3]
	v_cmp_lt_i32_e64 s[2:3], -1, v2
	v_cmp_eq_u32_e64 s[26:27], 1, v3
	v_cmp_eq_u32_e64 s[28:29], 2, v3
	v_cndmask_b32_e64 v10, -1, v38, s[2:3]
	v_cmp_o_f32_e64 s[2:3], v20, v20
	v_and_b32_e32 v20, v4, v41
	v_bfe_u32 v4, v4, v39, 2
	v_cndmask_b32_e64 v5, -1, v5, s[2:3]
	v_cmp_eq_u32_e64 s[2:3], v43, v32
	s_and_b64 s[20:21], s[2:3], s[22:23]
	v_xor_b32_e32 v10, v10, v2
	v_cmp_eq_u32_e64 s[36:37], 0, v4
	v_cmp_eq_u32_e64 s[38:39], 1, v4
	;; [unrolled: 1-line block ×4, first 2 shown]
	v_cndmask_b32_e64 v4, 0, 1, s[20:21]
	s_and_b64 s[20:21], s[2:3], s[26:27]
	v_cndmask_b32_e64 v2, -1, v10, s[34:35]
	v_cmp_eq_u32_e64 s[34:35], v20, v32
	v_cndmask_b32_e64 v10, 0, 1, s[20:21]
	s_and_b64 s[20:21], s[2:3], s[28:29]
	v_cndmask_b32_e64 v20, 0, 1, s[20:21]
	s_and_b64 s[20:21], s[34:35], s[36:37]
	v_cmp_eq_u32_e64 s[30:31], 3, v3
	v_and_b32_e32 v3, v5, v41
	v_bfe_u32 v5, v5, v39, 2
	v_cmp_ne_u32_e64 s[44:45], 0, v4
	v_cndmask_b32_e64 v4, 0, 1, s[20:21]
	s_and_b64 s[20:21], s[34:35], s[38:39]
	s_and_b64 s[2:3], s[2:3], s[30:31]
	v_cmp_eq_u32_e64 s[22:23], 0, v5
	v_cmp_eq_u32_e64 s[26:27], 1, v5
	;; [unrolled: 1-line block ×4, first 2 shown]
	v_cndmask_b32_e64 v5, 0, 1, s[20:21]
	s_and_b64 s[20:21], s[34:35], s[40:41]
	v_cndmask_b32_e64 v43, 0, 1, s[2:3]
	v_cmp_eq_u32_e64 s[2:3], v3, v32
	v_cmp_ne_u32_e64 s[36:37], 0, v10
	v_cndmask_b32_e64 v10, 0, 1, s[20:21]
	s_and_b64 s[20:21], s[34:35], s[42:43]
	v_and_b32_e32 v3, v2, v41
	v_bfe_u32 v2, v2, v39, 2
	v_cmp_ne_u32_e64 s[38:39], 0, v20
	v_cndmask_b32_e64 v20, 0, 1, s[20:21]
	s_and_b64 s[20:21], s[2:3], s[22:23]
	v_cmp_eq_u32_e64 s[42:43], 0, v2
	v_cmp_eq_u32_e64 s[46:47], 1, v2
	;; [unrolled: 1-line block ×4, first 2 shown]
	v_cndmask_b32_e64 v2, 0, 1, s[20:21]
	s_and_b64 s[20:21], s[2:3], s[26:27]
	v_cmp_eq_u32_e64 s[34:35], v3, v32
	v_cndmask_b32_e64 v3, 0, 1, s[20:21]
	s_and_b64 s[20:21], s[2:3], s[28:29]
	s_bcnt1_i32_b64 s9, s[44:45]
	v_cmp_ne_u32_e64 s[44:45], 0, v4
	v_cndmask_b32_e64 v4, 0, 1, s[20:21]
	s_and_b64 s[2:3], s[2:3], s[30:31]
	s_and_b64 s[20:21], s[34:35], s[42:43]
	v_cmp_ne_u32_e64 s[22:23], 0, v5
	v_cndmask_b32_e64 v5, 0, 1, s[2:3]
	v_cmp_ne_u32_e64 s[2:3], 0, v2
	v_cndmask_b32_e64 v2, 0, 1, s[20:21]
	s_and_b64 s[20:21], s[34:35], s[46:47]
	v_cmp_ne_u32_e64 s[40:41], 0, v43
	v_cmp_ne_u32_e64 s[26:27], 0, v10
	s_bcnt1_i32_b64 s31, s[22:23]
	v_cmp_ne_u32_e64 s[22:23], 0, v3
	v_cndmask_b32_e64 v3, 0, 1, s[20:21]
	s_and_b64 s[20:21], s[34:35], s[48:49]
	s_bcnt1_i32_b64 s36, s[36:37]
	s_bcnt1_i32_b64 s37, s[38:39]
	;; [unrolled: 1-line block ×3, first 2 shown]
	v_cmp_ne_u32_e64 s[28:29], 0, v20
	s_bcnt1_i32_b64 s39, s[26:27]
	v_cmp_ne_u32_e64 s[26:27], 0, v4
	v_cndmask_b32_e64 v4, 0, 1, s[20:21]
	s_and_b64 s[20:21], s[34:35], s[50:51]
	s_bcnt1_i32_b64 s30, s[44:45]
	s_add_i32 s9, s58, s9
	s_add_i32 s36, s59, s36
	s_bcnt1_i32_b64 s40, s[28:29]
	v_cmp_ne_u32_e64 s[28:29], 0, v5
	v_cndmask_b32_e64 v5, 0, 1, s[20:21]
	s_add_i32 s20, s56, s37
	s_add_i32 s21, s57, s38
	s_bcnt1_i32_b64 s34, s[2:3]
	v_cmp_ne_u32_e64 s[2:3], 0, v2
	s_bcnt1_i32_b64 s35, s[22:23]
	v_cmp_ne_u32_e64 s[22:23], 0, v3
	s_add_i32 s31, s36, s31
	s_add_i32 s9, s9, s30
	s_bcnt1_i32_b64 s30, s[26:27]
	v_cmp_ne_u32_e64 s[26:27], 0, v4
	s_bcnt1_i32_b64 s36, s[28:29]
	v_cmp_ne_u32_e64 s[28:29], 0, v5
	s_add_i32 s21, s21, s40
	s_add_i32 s20, s20, s39
	s_bcnt1_i32_b64 s2, s[2:3]
	s_bcnt1_i32_b64 s3, s[22:23]
	s_add_i32 s9, s9, s34
	s_add_i32 s22, s31, s35
	s_bcnt1_i32_b64 s23, s[26:27]
	s_bcnt1_i32_b64 s26, s[28:29]
	s_add_i32 s20, s20, s30
	s_add_i32 s21, s21, s36
	;; [unrolled: 1-line block ×6, first 2 shown]
	s_or_b64 s[54:55], vcc, s[54:55]
	v_mov_b64_e32 v[2:3], s[58:59]
	v_mov_b64_e32 v[4:5], s[56:57]
	s_andn2_b64 exec, exec, s[54:55]
	s_cbranch_execnz .LBB123_87
; %bb.88:                               ;   in Loop: Header=BB123_29 Depth=1
	s_or_b64 exec, exec, s[54:55]
.LBB123_89:                             ;   in Loop: Header=BB123_29 Depth=1
	s_or_b64 exec, exec, s[52:53]
	s_and_saveexec_b64 s[8:9], s[18:19]
	s_cbranch_execz .LBB123_95
; %bb.90:                               ;   in Loop: Header=BB123_29 Depth=1
	global_load_dword v43, v[16:17], off
	s_mov_b64 s[22:23], 0
	v_mov_b32_e32 v10, v35
	v_mov_b32_e32 v19, v28
	s_branch .LBB123_92
.LBB123_91:                             ;   in Loop: Header=BB123_92 Depth=2
	s_or_b64 exec, exec, s[26:27]
	s_and_b64 s[2:3], exec, vcc
	s_waitcnt vmcnt(0)
	v_cmp_lt_i32_e32 vcc, -1, v43
	s_or_b64 s[22:23], s[2:3], s[22:23]
	v_add_u32_e32 v10, s68, v10
	v_cndmask_b32_e32 v45, -1, v38, vcc
	v_xor_b32_e32 v45, v45, v43
	v_cmp_o_f32_e32 vcc, v43, v43
	s_nop 1
	v_cndmask_b32_e32 v43, -1, v45, vcc
	v_and_b32_e32 v45, v43, v41
	v_bfe_u32 v43, v43, v39, 2
	v_cmp_eq_u32_e32 vcc, v45, v32
	v_cmp_eq_u32_e64 s[2:3], 0, v43
	s_and_b64 s[2:3], vcc, s[2:3]
	s_nop 0
	v_cndmask_b32_e64 v45, 0, 1, s[2:3]
	v_cmp_ne_u32_e64 s[2:3], 0, v45
	s_bcnt1_i32_b64 s20, s[2:3]
	v_cmp_eq_u32_e64 s[2:3], 1, v43
	s_and_b64 s[2:3], vcc, s[2:3]
	v_add_u32_e32 v2, s20, v2
	v_cndmask_b32_e64 v45, 0, 1, s[2:3]
	v_cmp_ne_u32_e64 s[2:3], 0, v45
	s_bcnt1_i32_b64 s2, s[2:3]
	s_nop 0
	v_add_u32_e32 v3, s2, v3
	v_cmp_eq_u32_e64 s[2:3], 2, v43
	s_and_b64 s[2:3], vcc, s[2:3]
	s_nop 0
	v_cndmask_b32_e64 v45, 0, 1, s[2:3]
	v_cmp_ne_u32_e64 s[2:3], 0, v45
	s_bcnt1_i32_b64 s20, s[2:3]
	v_cmp_eq_u32_e64 s[2:3], 3, v43
	s_and_b64 s[2:3], vcc, s[2:3]
	v_add_u32_e32 v4, s20, v4
	v_cndmask_b32_e64 v43, 0, 1, s[2:3]
	v_cmp_ne_u32_e32 vcc, 0, v43
	s_bcnt1_i32_b64 s2, vcc
	v_add_u32_e32 v5, s2, v5
	v_mov_b32_e32 v43, v20
	s_andn2_b64 exec, exec, s[22:23]
	s_cbranch_execz .LBB123_94
.LBB123_92:                             ;   Parent Loop BB123_29 Depth=1
                                        ; =>  This Inner Loop Header: Depth=2
	v_add_u32_e32 v19, s67, v19
	v_cmp_gt_u32_e64 s[2:3], s64, v19
	v_cmp_le_u32_e32 vcc, s64, v19
	v_mov_b32_e32 v20, 0
	s_and_saveexec_b64 s[26:27], s[2:3]
	s_cbranch_execz .LBB123_91
; %bb.93:                               ;   in Loop: Header=BB123_92 Depth=2
	v_lshl_add_u64 v[46:47], v[10:11], 2, v[6:7]
	global_load_dword v20, v[46:47], off
	s_branch .LBB123_91
.LBB123_94:                             ;   in Loop: Header=BB123_29 Depth=1
	s_or_b64 exec, exec, s[22:23]
.LBB123_95:                             ;   in Loop: Header=BB123_29 Depth=1
	s_or_b64 exec, exec, s[8:9]
	s_branch .LBB123_77
.LBB123_96:                             ;   in Loop: Header=BB123_29 Depth=1
	s_mul_hi_u32 s2, s1, s93
	s_mul_i32 s2, s2, s70
	s_sub_i32 s2, s1, s2
	s_sub_i32 s3, s2, s70
	s_cmp_ge_u32 s2, s70
	s_cselect_b32 s2, s3, s2
	s_sub_i32 s3, s2, s70
	s_cmp_ge_u32 s2, s70
	s_cselect_b32 s2, s3, s2
	s_sub_i32 s20, s1, s2
	v_mov_b32_e32 v10, v11
	v_cmp_gt_u32_e32 vcc, s20, v15
	v_mov_b64_e32 v[4:5], v[10:11]
	v_mov_b64_e32 v[2:3], v[10:11]
	s_and_saveexec_b64 s[74:75], vcc
	s_cbranch_execz .LBB123_100
; %bb.97:                               ;   in Loop: Header=BB123_29 Depth=1
	s_mov_b32 s88, 0
	s_mov_b64 s[76:77], 0
	v_mov_b32_e32 v10, v36
	v_mov_b32_e32 v19, v15
	s_mov_b32 s89, s88
	s_mov_b32 s8, s88
	;; [unrolled: 1-line block ×3, first 2 shown]
.LBB123_98:                             ;   Parent Loop BB123_29 Depth=1
                                        ; =>  This Inner Loop Header: Depth=2
	ds_read_b128 v[2:5], v10
	v_add_u32_e32 v19, s70, v19
	v_cmp_le_u32_e32 vcc, s20, v19
	v_add_u32_e32 v10, s87, v10
	s_waitcnt lgkmcnt(0)
	v_cmp_lt_i32_e64 s[2:3], -1, v3
	v_cmp_o_f32_e64 s[22:23], v4, v4
	s_nop 0
	v_cndmask_b32_e64 v20, -1, v38, s[2:3]
	v_cmp_lt_i32_e64 s[2:3], -1, v2
	v_cmp_o_f32_e64 s[26:27], v5, v5
	v_cmp_o_f32_e64 s[28:29], v3, v3
	v_cndmask_b32_e64 v43, -1, v38, s[2:3]
	v_cmp_lt_i32_e64 s[2:3], -1, v5
	v_xor_b32_e32 v43, v43, v2
	s_nop 0
	v_cndmask_b32_e64 v45, -1, v38, s[2:3]
	v_cmp_lt_i32_e64 s[2:3], -1, v4
	s_nop 1
	v_cndmask_b32_e64 v46, -1, v38, s[2:3]
	v_cmp_o_f32_e64 s[2:3], v2, v2
	v_xor_b32_e32 v2, v46, v4
	v_xor_b32_e32 v4, v45, v5
	v_xor_b32_e32 v5, v20, v3
	v_cndmask_b32_e64 v3, -1, v5, s[28:29]
	v_cndmask_b32_e64 v5, -1, v43, s[2:3]
	v_and_b32_e32 v20, v5, v41
	v_lshrrev_b32_e32 v5, v39, v5
	v_cndmask_b32_e64 v2, -1, v2, s[22:23]
	v_and_b32_e32 v43, v3, v41
	v_lshrrev_b32_e32 v3, v39, v3
	v_and_b32_e32 v5, 3, v5
	v_and_b32_e32 v45, v2, v41
	v_lshrrev_b32_e32 v2, v39, v2
	v_cmp_eq_u32_e64 s[2:3], v20, v32
	v_and_b32_e32 v3, 3, v3
	v_cmp_eq_u32_e64 s[30:31], 0, v5
	v_cndmask_b32_e64 v4, -1, v4, s[26:27]
	v_cmp_eq_u32_e64 s[22:23], v43, v32
	v_and_b32_e32 v2, 3, v2
	v_cmp_eq_u32_e64 s[34:35], 0, v3
	s_and_b64 s[30:31], s[2:3], s[30:31]
	v_and_b32_e32 v46, v4, v41
	v_lshrrev_b32_e32 v4, v39, v4
	v_cmp_eq_u32_e64 s[36:37], 1, v5
	v_cmp_eq_u32_e64 s[48:49], 0, v2
	;; [unrolled: 1-line block ×5, first 2 shown]
	v_cndmask_b32_e64 v2, 0, 1, s[30:31]
	s_and_b64 s[30:31], s[22:23], s[34:35]
	v_and_b32_e32 v4, 3, v4
	v_cmp_eq_u32_e64 s[38:39], 1, v3
	v_cmp_eq_u32_e64 s[42:43], 2, v3
	;; [unrolled: 1-line block ×3, first 2 shown]
	v_cndmask_b32_e64 v3, 0, 1, s[30:31]
	s_and_b64 s[30:31], s[2:3], s[36:37]
	v_cmp_eq_u32_e64 s[40:41], 2, v5
	v_cmp_eq_u32_e64 s[50:51], 0, v4
	;; [unrolled: 1-line block ×5, first 2 shown]
	v_cndmask_b32_e64 v4, 0, 1, s[30:31]
	s_and_b64 s[30:31], s[22:23], s[38:39]
	v_cmp_eq_u32_e64 s[46:47], 3, v5
	v_cndmask_b32_e64 v5, 0, 1, s[30:31]
	s_and_b64 s[30:31], s[2:3], s[40:41]
	v_cmp_eq_u32_e64 s[26:27], v45, v32
	v_cndmask_b32_e64 v20, 0, 1, s[30:31]
	s_and_b64 s[30:31], s[22:23], s[42:43]
	v_cmp_eq_u32_e64 s[28:29], v46, v32
	v_cndmask_b32_e64 v43, 0, 1, s[30:31]
	s_and_b64 s[30:31], s[26:27], s[48:49]
	v_cndmask_b32_e64 v45, 0, 1, s[30:31]
	s_and_b64 s[30:31], s[28:29], s[50:51]
	;; [unrolled: 2-line block ×3, first 2 shown]
	s_and_b64 s[2:3], s[2:3], s[46:47]
	v_cndmask_b32_e64 v47, 0, 1, s[30:31]
	s_and_b64 s[30:31], s[28:29], s[54:55]
	v_cndmask_b32_e64 v51, 0, 1, s[2:3]
	;; [unrolled: 2-line block ×7, first 2 shown]
	v_cndmask_b32_e64 v54, 0, 1, s[2:3]
	v_cmp_ne_u32_e64 s[2:3], 0, v2
	v_cmp_ne_u32_e64 s[22:23], 0, v3
	;; [unrolled: 1-line block ×9, first 2 shown]
	s_bcnt1_i32_b64 s2, s[2:3]
	s_bcnt1_i32_b64 s3, s[22:23]
	;; [unrolled: 1-line block ×6, first 2 shown]
	v_cmp_ne_u32_e64 s[40:41], 0, v47
	v_cmp_ne_u32_e64 s[44:45], 0, v49
	;; [unrolled: 1-line block ×3, first 2 shown]
	s_bcnt1_i32_b64 s22, s[28:29]
	s_bcnt1_i32_b64 s27, s[36:37]
	;; [unrolled: 1-line block ×3, first 2 shown]
	s_add_i32 s2, s88, s2
	s_add_i32 s21, s89, s21
	;; [unrolled: 1-line block ×4, first 2 shown]
	v_cmp_ne_u32_e64 s[38:39], 0, v46
	v_cmp_ne_u32_e64 s[42:43], 0, v48
	;; [unrolled: 1-line block ×4, first 2 shown]
	s_bcnt1_i32_b64 s29, s[40:41]
	s_bcnt1_i32_b64 s31, s[44:45]
	;; [unrolled: 1-line block ×3, first 2 shown]
	s_add_i32 s21, s21, s22
	s_add_i32 s2, s2, s3
	;; [unrolled: 1-line block ×4, first 2 shown]
	s_bcnt1_i32_b64 s28, s[38:39]
	s_bcnt1_i32_b64 s30, s[42:43]
	;; [unrolled: 1-line block ×4, first 2 shown]
	s_add_i32 s2, s2, s27
	s_add_i32 s9, s21, s29
	;; [unrolled: 1-line block ×8, first 2 shown]
	s_or_b64 s[76:77], vcc, s[76:77]
	v_mov_b64_e32 v[2:3], s[88:89]
	v_mov_b64_e32 v[4:5], s[8:9]
	s_andn2_b64 exec, exec, s[76:77]
	s_cbranch_execnz .LBB123_98
; %bb.99:                               ;   in Loop: Header=BB123_29 Depth=1
	s_or_b64 exec, exec, s[76:77]
.LBB123_100:                            ;   in Loop: Header=BB123_29 Depth=1
	s_or_b64 exec, exec, s[74:75]
	v_add_u32_e32 v10, s20, v0
	v_cmp_gt_u32_e32 vcc, s1, v10
	s_and_saveexec_b64 s[8:9], vcc
	s_cbranch_execz .LBB123_104
; %bb.101:                              ;   in Loop: Header=BB123_29 Depth=1
	v_lshlrev_b32_e32 v19, 2, v10
	s_mov_b64 s[34:35], 0
.LBB123_102:                            ;   Parent Loop BB123_29 Depth=1
                                        ; =>  This Inner Loop Header: Depth=2
	ds_read_b32 v20, v19
	v_add_u32_e32 v10, s67, v10
	v_cmp_le_u32_e32 vcc, s1, v10
	v_add_u32_e32 v19, s70, v19
	s_waitcnt lgkmcnt(0)
	v_cmp_lt_i32_e64 s[2:3], -1, v20
	s_nop 1
	v_cndmask_b32_e64 v43, -1, v38, s[2:3]
	v_xor_b32_e32 v43, v43, v20
	v_cmp_o_f32_e64 s[2:3], v20, v20
	s_nop 1
	v_cndmask_b32_e64 v20, -1, v43, s[2:3]
	v_and_b32_e32 v43, v20, v41
	v_bfe_u32 v20, v20, v39, 2
	v_cmp_eq_u32_e64 s[2:3], v43, v32
	v_cmp_eq_u32_e64 s[22:23], 0, v20
	v_cmp_eq_u32_e64 s[26:27], 1, v20
	s_and_b64 s[20:21], s[2:3], s[22:23]
	v_cmp_eq_u32_e64 s[28:29], 2, v20
	v_cmp_eq_u32_e64 s[30:31], 3, v20
	v_cndmask_b32_e64 v20, 0, 1, s[20:21]
	s_and_b64 s[20:21], s[2:3], s[26:27]
	v_cndmask_b32_e64 v43, 0, 1, s[20:21]
	s_and_b64 s[20:21], s[2:3], s[28:29]
	s_and_b64 s[2:3], s[2:3], s[30:31]
	v_cndmask_b32_e64 v45, 0, 1, s[20:21]
	v_cndmask_b32_e64 v46, 0, 1, s[2:3]
	v_cmp_ne_u32_e64 s[2:3], 0, v20
	v_cmp_ne_u32_e64 s[22:23], 0, v43
	v_cmp_ne_u32_e64 s[26:27], 0, v45
	v_cmp_ne_u32_e64 s[28:29], 0, v46
	s_bcnt1_i32_b64 s2, s[2:3]
	s_bcnt1_i32_b64 s3, s[22:23]
	;; [unrolled: 1-line block ×4, first 2 shown]
	v_add_u32_e32 v3, s3, v3
	v_add_u32_e32 v2, s2, v2
	;; [unrolled: 1-line block ×3, first 2 shown]
	s_or_b64 s[34:35], vcc, s[34:35]
	v_add_u32_e32 v4, s20, v4
	s_andn2_b64 exec, exec, s[34:35]
	s_cbranch_execnz .LBB123_102
; %bb.103:                              ;   in Loop: Header=BB123_29 Depth=1
	s_or_b64 exec, exec, s[34:35]
.LBB123_104:                            ;   in Loop: Header=BB123_29 Depth=1
	s_or_b64 exec, exec, s[8:9]
	s_lshl_b32 s1, s0, 6
	s_and_saveexec_b64 s[2:3], s[4:5]
	s_cbranch_execnz .LBB123_78
	s_branch .LBB123_79
.LBB123_105:                            ;   in Loop: Header=BB123_29 Depth=1
	v_mov_b32_e32 v2, 0
	s_mov_b32 s20, 0
	s_cbranch_execnz .LBB123_110
	s_branch .LBB123_112
.LBB123_106:                            ;   in Loop: Header=BB123_29 Depth=1
	v_mov_b32_e32 v10, v11
	s_mov_b32 s8, 0
	v_mov_b64_e32 v[2:3], v[10:11]
	s_mov_b32 s9, 1
.LBB123_107:                            ;   in Loop: Header=BB123_29 Depth=1
	v_readlane_b32 s20, v70, 24
	v_readlane_b32 s21, v70, 25
	s_andn2_b64 vcc, exec, s[20:21]
	v_readlane_b32 s20, v70, 23
	s_cbranch_vccnz .LBB123_109
.LBB123_108:                            ;   Parent Loop BB123_29 Depth=1
                                        ; =>  This Inner Loop Header: Depth=2
	v_lshl_add_u32 v10, s8, 4, v5
	v_lshl_add_u32 v19, s9, 4, v5
	ds_read_b32 v19, v19
	ds_read_b32 v10, v10
	s_add_i32 s9, s9, 2
	s_add_i32 s8, s8, 2
	s_add_i32 s20, s20, -1
	s_cmp_lg_u32 s20, 0
	s_waitcnt lgkmcnt(1)
	v_add_u32_e32 v3, v19, v3
	s_waitcnt lgkmcnt(0)
	v_add_u32_e32 v2, v10, v2
	s_cbranch_scc1 .LBB123_108
.LBB123_109:                            ;   in Loop: Header=BB123_29 Depth=1
	v_readlane_b32 s8, v70, 28
	v_add_u32_e32 v2, v2, v3
	v_readlane_b32 s20, v70, 27
	v_readlane_b32 s9, v70, 29
	s_and_b64 vcc, exec, s[8:9]
	s_cbranch_vccz .LBB123_112
.LBB123_110:                            ;   in Loop: Header=BB123_29 Depth=1
	s_lshl_b32 s8, s0, 8
	s_lshl_b32 s9, s20, 4
	s_add_i32 s8, s8, s9
	v_add_u32_e32 v3, s8, v37
	v_readlane_b32 s8, v70, 26
	s_sub_i32 s8, s8, s20
.LBB123_111:                            ;   Parent Loop BB123_29 Depth=1
                                        ; =>  This Inner Loop Header: Depth=2
	ds_read_b32 v5, v3
	s_add_i32 s8, s8, -1
	v_add_u32_e32 v3, 16, v3
	s_cmp_eq_u32 s8, 0
	s_waitcnt lgkmcnt(0)
	v_add_u32_e32 v2, v5, v2
	s_cbranch_scc0 .LBB123_111
.LBB123_112:                            ;   in Loop: Header=BB123_29 Depth=1
	v_lshlrev_b32_e32 v3, 2, v4
	ds_write_b32 v3, v2 offset:3072
.LBB123_113:                            ;   in Loop: Header=BB123_29 Depth=1
	s_or_b64 exec, exec, s[2:3]
	s_lshl_b32 s1, s1, 2
	v_mov_b32_e32 v2, s1
	s_waitcnt lgkmcnt(0)
	s_barrier
	ds_read_b128 v[2:5], v2 offset:3072
	v_cmp_eq_u32_e32 vcc, 1, v42
	s_mov_b64 s[22:23], -1
	s_mov_b64 s[30:31], -1
                                        ; implicit-def: $sgpr28_sgpr29
                                        ; implicit-def: $sgpr8_sgpr9
	s_waitcnt lgkmcnt(0)
	v_readfirstlane_b32 s44, v2
	s_cmp_eq_u32 s44, 1
	v_lshlrev_b32_e64 v2, v39, 3
	s_cselect_b64 s[2:3], -1, 0
	v_readfirstlane_b32 s48, v3
	v_readfirstlane_b32 s56, v4
	;; [unrolled: 1-line block ×3, first 2 shown]
	v_not_b32_e32 v4, v2
	s_and_b64 s[26:27], s[2:3], vcc
	s_and_saveexec_b64 s[2:3], s[26:27]
	s_cbranch_execz .LBB123_141
; %bb.114:                              ;   in Loop: Header=BB123_29 Depth=1
	ds_read_b32 v3, v11 offset:4104
	s_waitcnt lgkmcnt(0)
	s_barrier
	v_readfirstlane_b32 s20, v3
	s_and_saveexec_b64 s[8:9], s[6:7]
; %bb.115:                              ;   in Loop: Header=BB123_29 Depth=1
	ds_write_b32 v23, v11
; %bb.116:                              ;   in Loop: Header=BB123_29 Depth=1
	s_or_b64 exec, exec, s[8:9]
	v_and_b32_e32 v32, v32, v4
	v_or_b32_e32 v41, v41, v2
	s_mov_b64 s[8:9], -1
	s_mov_b64 s[28:29], 0
	s_cmp_eq_u32 s20, 0
	s_mov_b64 s[30:31], 0
	s_mov_b64 s[34:35], -1
	s_waitcnt lgkmcnt(0)
	s_barrier
                                        ; implicit-def: $vgpr21
	s_cbranch_scc1 .LBB123_128
; %bb.117:                              ;   in Loop: Header=BB123_29 Depth=1
	s_add_i32 s21, s20, s90
	s_mul_hi_u32 s30, s21, s85
	s_mul_i32 s30, s30, s67
	s_sub_i32 s30, s21, s30
	s_sub_i32 s31, s30, s67
	s_cmp_ge_u32 s30, s67
	s_cselect_b32 s30, s31, s30
	s_sub_i32 s31, s30, s67
	s_cmp_ge_u32 s30, s67
	s_cselect_b32 s30, s31, s30
	s_sub_i32 s21, s21, s30
	v_cmp_gt_u32_e32 vcc, s21, v0
	s_mov_b64 s[34:35], 0
	s_mov_b64 s[30:31], 0
                                        ; implicit-def: $vgpr21
	s_and_saveexec_b64 s[36:37], vcc
	s_cbranch_execz .LBB123_127
; %bb.118:                              ;   in Loop: Header=BB123_29 Depth=1
	v_mov_b32_e32 v3, v15
	v_mov_b32_e32 v5, v0
                                        ; implicit-def: $sgpr38_sgpr39
	s_branch .LBB123_122
.LBB123_119:                            ;   in Loop: Header=BB123_122 Depth=2
	s_or_b64 exec, exec, s[40:41]
	s_waitcnt lgkmcnt(0)
	s_barrier
	ds_read_b64 v[20:21], v11 offset:3072
	s_waitcnt lgkmcnt(0)
	s_barrier
	v_cmp_neq_f32_e32 vcc, 0, v20
	s_cbranch_vccnz .LBB123_125
; %bb.120:                              ;   in Loop: Header=BB123_122 Depth=2
	v_add_u32_e32 v5, s67, v5
	v_cmp_le_u32_e32 vcc, s21, v5
	v_add_u32_e32 v3, s70, v3
	s_mov_b64 s[40:41], 0
	s_orn2_b64 s[42:43], vcc, exec
.LBB123_121:                            ;   in Loop: Header=BB123_122 Depth=2
	s_and_b64 s[42:43], exec, s[42:43]
	s_or_b64 s[30:31], s[42:43], s[30:31]
	s_andn2_b64 s[38:39], s[38:39], exec
	s_and_b64 s[40:41], s[40:41], exec
	s_or_b64 s[38:39], s[38:39], s[40:41]
	s_andn2_b64 exec, exec, s[30:31]
	s_cbranch_execz .LBB123_126
.LBB123_122:                            ;   Parent Loop BB123_29 Depth=1
                                        ; =>  This Inner Loop Header: Depth=2
	v_cmp_gt_u32_e32 vcc, s20, v5
	s_and_saveexec_b64 s[40:41], vcc
	s_cbranch_execz .LBB123_119
; %bb.123:                              ;   in Loop: Header=BB123_122 Depth=2
	ds_read_b32 v19, v3
	s_waitcnt lgkmcnt(0)
	v_cmp_lt_i32_e32 vcc, -1, v19
	s_nop 1
	v_cndmask_b32_e32 v10, -1, v38, vcc
	v_xor_b32_e32 v10, v10, v19
	v_cmp_o_f32_e32 vcc, v19, v19
	s_nop 1
	v_cndmask_b32_e32 v10, -1, v10, vcc
	v_and_b32_e32 v10, v10, v41
	v_cmp_eq_u32_e32 vcc, v10, v32
	s_and_b64 exec, exec, vcc
	s_cbranch_execz .LBB123_119
; %bb.124:                              ;   in Loop: Header=BB123_122 Depth=2
	ds_write_b64 v11, v[18:19] offset:3072
	s_branch .LBB123_119
.LBB123_125:                            ;   in Loop: Header=BB123_122 Depth=2
	s_mov_b64 s[42:43], -1
                                        ; implicit-def: $vgpr5
                                        ; implicit-def: $vgpr3
	s_mov_b64 s[40:41], -1
	s_branch .LBB123_121
.LBB123_126:                            ;   in Loop: Header=BB123_29 Depth=1
	s_or_b64 exec, exec, s[30:31]
	s_and_b64 s[30:31], s[38:39], exec
.LBB123_127:                            ;   in Loop: Header=BB123_29 Depth=1
	s_or_b64 exec, exec, s[36:37]
.LBB123_128:                            ;   in Loop: Header=BB123_29 Depth=1
	s_and_b64 vcc, exec, s[34:35]
	s_cbranch_vccz .LBB123_140
; %bb.129:                              ;   in Loop: Header=BB123_29 Depth=1
                                        ; implicit-def: $vgpr21
	s_mov_b64 s[8:9], exec
	v_readlane_b32 s20, v70, 30
	v_readlane_b32 s21, v70, 31
	s_and_b64 s[20:21], s[8:9], s[20:21]
	s_mov_b64 exec, s[20:21]
	s_cbranch_execz .LBB123_139
; %bb.130:                              ;   in Loop: Header=BB123_29 Depth=1
	s_mov_b64 s[28:29], 0
	v_mov_b32_e32 v10, v8
	v_mov_b32_e32 v3, v0
                                        ; implicit-def: $sgpr34_sgpr35
	s_branch .LBB123_134
.LBB123_131:                            ;   in Loop: Header=BB123_134 Depth=2
	s_or_b64 exec, exec, s[36:37]
	s_waitcnt lgkmcnt(0)
	s_barrier
	ds_read_b64 v[20:21], v11 offset:3072
	s_waitcnt lgkmcnt(0)
	s_barrier
	v_cmp_neq_f32_e32 vcc, 0, v20
	s_cbranch_vccnz .LBB123_137
; %bb.132:                              ;   in Loop: Header=BB123_134 Depth=2
	v_add_u32_e32 v3, s67, v3
	v_cmp_le_u32_e32 vcc, s91, v3
	v_add_u32_e32 v10, s68, v10
	s_mov_b64 s[36:37], 0
	s_orn2_b64 s[38:39], vcc, exec
.LBB123_133:                            ;   in Loop: Header=BB123_134 Depth=2
	s_and_b64 s[20:21], exec, s[38:39]
	s_or_b64 s[28:29], s[20:21], s[28:29]
	s_andn2_b64 s[20:21], s[34:35], exec
	s_and_b64 s[34:35], s[36:37], exec
	s_or_b64 s[34:35], s[20:21], s[34:35]
	s_andn2_b64 exec, exec, s[28:29]
	s_cbranch_execz .LBB123_138
.LBB123_134:                            ;   Parent Loop BB123_29 Depth=1
                                        ; =>  This Inner Loop Header: Depth=2
	v_cmp_gt_u32_e32 vcc, s64, v3
	s_and_saveexec_b64 s[36:37], vcc
	s_cbranch_execz .LBB123_131
; %bb.135:                              ;   in Loop: Header=BB123_134 Depth=2
	v_lshl_add_u64 v[20:21], v[10:11], 2, v[6:7]
	global_load_dword v19, v[20:21], off
	s_waitcnt vmcnt(0)
	v_cmp_lt_i32_e32 vcc, -1, v19
	s_nop 1
	v_cndmask_b32_e32 v5, -1, v38, vcc
	v_xor_b32_e32 v5, v5, v19
	v_cmp_o_f32_e32 vcc, v19, v19
	s_nop 1
	v_cndmask_b32_e32 v5, -1, v5, vcc
	v_and_b32_e32 v5, v5, v41
	v_cmp_eq_u32_e32 vcc, v5, v32
	s_and_b64 exec, exec, vcc
	s_cbranch_execz .LBB123_131
; %bb.136:                              ;   in Loop: Header=BB123_134 Depth=2
	ds_write_b64 v11, v[18:19] offset:3072
	s_branch .LBB123_131
.LBB123_137:                            ;   in Loop: Header=BB123_134 Depth=2
	s_mov_b64 s[38:39], -1
                                        ; implicit-def: $vgpr3
	s_mov_b64 s[36:37], -1
	s_branch .LBB123_133
.LBB123_138:                            ;   in Loop: Header=BB123_29 Depth=1
	s_or_b64 exec, exec, s[28:29]
	s_andn2_b64 s[20:21], s[30:31], exec
	s_and_b64 s[28:29], s[34:35], exec
	s_or_b64 s[30:31], s[20:21], s[28:29]
.LBB123_139:                            ;   in Loop: Header=BB123_29 Depth=1
	s_or_b64 exec, exec, s[8:9]
	s_mov_b64 s[8:9], 0
	s_mov_b64 s[28:29], -1
.LBB123_140:                            ;   in Loop: Header=BB123_29 Depth=1
	s_orn2_b64 s[30:31], s[30:31], exec
.LBB123_141:                            ;   in Loop: Header=BB123_29 Depth=1
	s_or_b64 exec, exec, s[2:3]
	s_andn2_b64 s[2:3], s[14:15], exec
	s_and_b64 s[14:15], s[28:29], exec
	s_or_b64 s[14:15], s[2:3], s[14:15]
	s_andn2_b64 s[2:3], s[12:13], exec
	s_and_b64 s[8:9], s[8:9], exec
	v_readfirstlane_b32 s20, v0
	s_andn2_b64 s[10:11], s[10:11], exec
	s_or_b64 s[12:13], s[2:3], s[8:9]
                                        ; implicit-def: $vgpr5
	s_and_saveexec_b64 s[2:3], s[30:31]
	s_cbranch_execz .LBB123_28
; %bb.142:                              ;   in Loop: Header=BB123_29 Depth=1
	s_xor_b64 s[20:21], s[26:27], -1
	s_mov_b64 s[26:27], 0
	v_mov_b32_e32 v5, 1
	v_mov_b32_e32 v3, 1
	s_and_saveexec_b64 s[8:9], s[20:21]
	s_cbranch_execz .LBB123_151
; %bb.143:                              ;   in Loop: Header=BB123_29 Depth=1
	v_cmp_ge_u32_e32 vcc, s44, v42
	s_and_saveexec_b64 s[20:21], vcc
	s_xor_b64 s[22:23], exec, s[20:21]
	s_cbranch_execz .LBB123_148
; %bb.144:                              ;   in Loop: Header=BB123_29 Depth=1
	ds_read_b32 v3, v11 offset:4104
	v_and_b32_e32 v32, v32, v4
	v_or_b32_e32 v41, v41, v2
	s_waitcnt lgkmcnt(0)
	v_cmp_ne_u32_e32 vcc, 0, v3
	s_cbranch_vccnz .LBB123_148
; %bb.145:                              ;   in Loop: Header=BB123_29 Depth=1
	s_and_saveexec_b64 s[26:27], s[24:25]
; %bb.146:                              ;   in Loop: Header=BB123_29 Depth=1
	v_mov_b32_e32 v3, s44
	ds_write_b32 v11, v3 offset:4108
; %bb.147:                              ;   in Loop: Header=BB123_29 Depth=1
	s_or_b64 exec, exec, s[26:27]
	s_waitcnt lgkmcnt(0)
	s_barrier
.LBB123_148:                            ;   in Loop: Header=BB123_29 Depth=1
	s_or_saveexec_b64 s[22:23], s[22:23]
	s_mov_b64 s[26:27], 0
	v_mov_b32_e32 v3, 8
	s_xor_b64 exec, exec, s[22:23]
; %bb.149:                              ;   in Loop: Header=BB123_29 Depth=1
	s_mov_b64 s[26:27], exec
	v_subrev_u32_e32 v42, s44, v42
	v_mov_b32_e32 v3, 0
; %bb.150:                              ;   in Loop: Header=BB123_29 Depth=1
	s_or_b64 exec, exec, s[22:23]
	s_and_b64 s[26:27], s[26:27], exec
	v_mov_b32_e32 v5, v42
.LBB123_151:                            ;   in Loop: Header=BB123_29 Depth=1
	s_or_b64 exec, exec, s[8:9]
	s_mov_b64 s[22:23], -1
	s_mov_b64 s[8:9], -1
                                        ; implicit-def: $sgpr28_sgpr29
                                        ; implicit-def: $sgpr30_sgpr31
	s_and_saveexec_b64 s[20:21], s[26:27]
	s_xor_b64 s[26:27], exec, s[20:21]
	s_cbranch_execz .LBB123_274
; %bb.152:                              ;   in Loop: Header=BB123_29 Depth=1
	s_cmp_eq_u32 s48, 1
	s_cselect_b64 s[8:9], -1, 0
	v_cmp_eq_u32_e32 vcc, 1, v5
	s_and_b64 s[8:9], s[8:9], vcc
	s_mov_b64 s[36:37], -1
                                        ; implicit-def: $sgpr30_sgpr31
                                        ; implicit-def: $sgpr28_sgpr29
	s_and_saveexec_b64 s[34:35], s[8:9]
	s_cbranch_execz .LBB123_180
; %bb.153:                              ;   in Loop: Header=BB123_29 Depth=1
	ds_read_b32 v10, v11 offset:4104
	s_waitcnt lgkmcnt(0)
	s_barrier
	v_readfirstlane_b32 s20, v10
	s_and_saveexec_b64 s[28:29], s[6:7]
; %bb.154:                              ;   in Loop: Header=BB123_29 Depth=1
	ds_write_b32 v23, v11
; %bb.155:                              ;   in Loop: Header=BB123_29 Depth=1
	s_or_b64 exec, exec, s[28:29]
	v_and_b32_e32 v10, v32, v4
	v_lshl_or_b32 v32, 1, v39, v10
	v_or_b32_e32 v41, v41, v2
	s_mov_b64 s[28:29], -1
	s_mov_b64 s[30:31], 0
	s_cmp_eq_u32 s20, 0
	s_mov_b64 s[36:37], 0
	s_mov_b64 s[38:39], -1
	s_waitcnt lgkmcnt(0)
	s_barrier
                                        ; implicit-def: $vgpr21
	s_cbranch_scc1 .LBB123_167
; %bb.156:                              ;   in Loop: Header=BB123_29 Depth=1
	s_add_i32 s21, s20, s90
	s_mul_hi_u32 s36, s21, s85
	s_mul_i32 s36, s36, s67
	s_sub_i32 s36, s21, s36
	s_sub_i32 s37, s36, s67
	s_cmp_ge_u32 s36, s67
	s_cselect_b32 s36, s37, s36
	s_sub_i32 s37, s36, s67
	s_cmp_ge_u32 s36, s67
	s_cselect_b32 s36, s37, s36
	s_sub_i32 s21, s21, s36
	v_cmp_gt_u32_e32 vcc, s21, v0
	s_mov_b64 s[38:39], 0
	s_mov_b64 s[36:37], 0
                                        ; implicit-def: $vgpr21
	s_and_saveexec_b64 s[40:41], vcc
	s_cbranch_execz .LBB123_166
; %bb.157:                              ;   in Loop: Header=BB123_29 Depth=1
	v_mov_b32_e32 v10, v15
	v_mov_b32_e32 v42, v0
                                        ; implicit-def: $sgpr42_sgpr43
	s_branch .LBB123_161
.LBB123_158:                            ;   in Loop: Header=BB123_161 Depth=2
	s_or_b64 exec, exec, s[44:45]
	s_waitcnt lgkmcnt(0)
	s_barrier
	ds_read_b64 v[20:21], v11 offset:3072
	s_waitcnt lgkmcnt(0)
	s_barrier
	v_cmp_neq_f32_e32 vcc, 0, v20
	s_cbranch_vccnz .LBB123_164
; %bb.159:                              ;   in Loop: Header=BB123_161 Depth=2
	v_add_u32_e32 v42, s67, v42
	v_cmp_le_u32_e32 vcc, s21, v42
	v_add_u32_e32 v10, s70, v10
	s_mov_b64 s[44:45], 0
	s_orn2_b64 s[46:47], vcc, exec
.LBB123_160:                            ;   in Loop: Header=BB123_161 Depth=2
	s_and_b64 s[46:47], exec, s[46:47]
	s_or_b64 s[36:37], s[46:47], s[36:37]
	s_andn2_b64 s[42:43], s[42:43], exec
	s_and_b64 s[44:45], s[44:45], exec
	s_or_b64 s[42:43], s[42:43], s[44:45]
	s_andn2_b64 exec, exec, s[36:37]
	s_cbranch_execz .LBB123_165
.LBB123_161:                            ;   Parent Loop BB123_29 Depth=1
                                        ; =>  This Inner Loop Header: Depth=2
	v_cmp_gt_u32_e32 vcc, s20, v42
	s_and_saveexec_b64 s[44:45], vcc
	s_cbranch_execz .LBB123_158
; %bb.162:                              ;   in Loop: Header=BB123_161 Depth=2
	ds_read_b32 v19, v10
	s_waitcnt lgkmcnt(0)
	v_cmp_lt_i32_e32 vcc, -1, v19
	s_nop 1
	v_cndmask_b32_e32 v20, -1, v38, vcc
	v_xor_b32_e32 v20, v20, v19
	v_cmp_o_f32_e32 vcc, v19, v19
	s_nop 1
	v_cndmask_b32_e32 v20, -1, v20, vcc
	v_and_b32_e32 v20, v20, v41
	v_cmp_eq_u32_e32 vcc, v20, v32
	s_and_b64 exec, exec, vcc
	s_cbranch_execz .LBB123_158
; %bb.163:                              ;   in Loop: Header=BB123_161 Depth=2
	ds_write_b64 v11, v[18:19] offset:3072
	s_branch .LBB123_158
.LBB123_164:                            ;   in Loop: Header=BB123_161 Depth=2
	s_mov_b64 s[46:47], -1
                                        ; implicit-def: $vgpr42
                                        ; implicit-def: $vgpr10
	s_mov_b64 s[44:45], -1
	s_branch .LBB123_160
.LBB123_165:                            ;   in Loop: Header=BB123_29 Depth=1
	s_or_b64 exec, exec, s[36:37]
	s_and_b64 s[36:37], s[42:43], exec
.LBB123_166:                            ;   in Loop: Header=BB123_29 Depth=1
	s_or_b64 exec, exec, s[40:41]
.LBB123_167:                            ;   in Loop: Header=BB123_29 Depth=1
	s_and_b64 vcc, exec, s[38:39]
	s_cbranch_vccz .LBB123_179
; %bb.168:                              ;   in Loop: Header=BB123_29 Depth=1
                                        ; implicit-def: $vgpr21
	s_mov_b64 s[28:29], exec
	v_readlane_b32 s20, v70, 30
	v_readlane_b32 s21, v70, 31
	s_and_b64 s[20:21], s[28:29], s[20:21]
	s_mov_b64 exec, s[20:21]
	s_cbranch_execz .LBB123_178
; %bb.169:                              ;   in Loop: Header=BB123_29 Depth=1
	s_mov_b64 s[30:31], 0
	v_mov_b32_e32 v10, v8
	v_mov_b32_e32 v42, v0
                                        ; implicit-def: $sgpr38_sgpr39
	s_branch .LBB123_173
.LBB123_170:                            ;   in Loop: Header=BB123_173 Depth=2
	s_or_b64 exec, exec, s[40:41]
	s_waitcnt lgkmcnt(0)
	s_barrier
	ds_read_b64 v[20:21], v11 offset:3072
	s_waitcnt lgkmcnt(0)
	s_barrier
	v_cmp_eq_f32_e32 vcc, 0, v20
	s_cbranch_vccz .LBB123_176
; %bb.171:                              ;   in Loop: Header=BB123_173 Depth=2
	v_add_u32_e32 v42, s67, v42
	v_cmp_le_u32_e32 vcc, s91, v42
	v_add_u32_e32 v10, s68, v10
	s_mov_b64 s[40:41], 0
	s_orn2_b64 s[42:43], vcc, exec
.LBB123_172:                            ;   in Loop: Header=BB123_173 Depth=2
	s_and_b64 s[20:21], exec, s[42:43]
	s_or_b64 s[30:31], s[20:21], s[30:31]
	s_andn2_b64 s[20:21], s[38:39], exec
	s_and_b64 s[38:39], s[40:41], exec
	s_or_b64 s[38:39], s[20:21], s[38:39]
	s_andn2_b64 exec, exec, s[30:31]
	s_cbranch_execz .LBB123_177
.LBB123_173:                            ;   Parent Loop BB123_29 Depth=1
                                        ; =>  This Inner Loop Header: Depth=2
	v_cmp_gt_u32_e32 vcc, s64, v42
	s_and_saveexec_b64 s[40:41], vcc
	s_cbranch_execz .LBB123_170
; %bb.174:                              ;   in Loop: Header=BB123_173 Depth=2
	v_lshl_add_u64 v[20:21], v[10:11], 2, v[6:7]
	global_load_dword v19, v[20:21], off
	s_waitcnt vmcnt(0)
	v_cmp_lt_i32_e32 vcc, -1, v19
	s_nop 1
	v_cndmask_b32_e32 v20, -1, v38, vcc
	v_xor_b32_e32 v20, v20, v19
	v_cmp_o_f32_e32 vcc, v19, v19
	s_nop 1
	v_cndmask_b32_e32 v20, -1, v20, vcc
	v_and_b32_e32 v20, v20, v41
	v_cmp_eq_u32_e32 vcc, v20, v32
	s_and_b64 exec, exec, vcc
	s_cbranch_execz .LBB123_170
; %bb.175:                              ;   in Loop: Header=BB123_173 Depth=2
	ds_write_b64 v11, v[18:19] offset:3072
	s_branch .LBB123_170
.LBB123_176:                            ;   in Loop: Header=BB123_173 Depth=2
	s_mov_b64 s[42:43], -1
                                        ; implicit-def: $vgpr42
	s_mov_b64 s[40:41], -1
	s_branch .LBB123_172
.LBB123_177:                            ;   in Loop: Header=BB123_29 Depth=1
	s_or_b64 exec, exec, s[30:31]
	s_andn2_b64 s[20:21], s[36:37], exec
	s_and_b64 s[30:31], s[38:39], exec
	s_or_b64 s[36:37], s[20:21], s[30:31]
.LBB123_178:                            ;   in Loop: Header=BB123_29 Depth=1
	s_or_b64 exec, exec, s[28:29]
	s_mov_b64 s[28:29], 0
	s_mov_b64 s[30:31], -1
.LBB123_179:                            ;   in Loop: Header=BB123_29 Depth=1
	s_orn2_b64 s[36:37], s[36:37], exec
.LBB123_180:                            ;   in Loop: Header=BB123_29 Depth=1
	s_or_b64 exec, exec, s[34:35]
	s_mov_b64 s[38:39], 0
	s_and_saveexec_b64 s[34:35], s[36:37]
	s_cbranch_execz .LBB123_273
; %bb.181:                              ;   in Loop: Header=BB123_29 Depth=1
	s_xor_b64 s[20:21], s[8:9], -1
	s_mov_b64 s[42:43], 0
	v_mov_b32_e32 v42, 1
	v_mov_b32_e32 v3, 1
	s_and_saveexec_b64 s[8:9], s[20:21]
	s_cbranch_execz .LBB123_190
; %bb.182:                              ;   in Loop: Header=BB123_29 Depth=1
	v_cmp_ge_u32_e32 vcc, s48, v5
	s_and_saveexec_b64 s[20:21], vcc
	s_xor_b64 s[36:37], exec, s[20:21]
	s_cbranch_execz .LBB123_187
; %bb.183:                              ;   in Loop: Header=BB123_29 Depth=1
	ds_read_b32 v3, v11 offset:4104
	v_and_b32_e32 v10, v32, v4
	v_lshl_or_b32 v32, 1, v39, v10
	v_or_b32_e32 v41, v41, v2
	s_waitcnt lgkmcnt(0)
	v_cmp_ne_u32_e32 vcc, 0, v3
	s_cbranch_vccnz .LBB123_187
; %bb.184:                              ;   in Loop: Header=BB123_29 Depth=1
	s_and_saveexec_b64 s[38:39], s[24:25]
; %bb.185:                              ;   in Loop: Header=BB123_29 Depth=1
	v_mov_b32_e32 v3, s48
	ds_write_b32 v11, v3 offset:4108
; %bb.186:                              ;   in Loop: Header=BB123_29 Depth=1
	s_or_b64 exec, exec, s[38:39]
	s_waitcnt lgkmcnt(0)
	s_barrier
.LBB123_187:                            ;   in Loop: Header=BB123_29 Depth=1
	s_or_saveexec_b64 s[36:37], s[36:37]
	s_mov_b64 s[38:39], 0
	v_mov_b32_e32 v3, 8
	s_xor_b64 exec, exec, s[36:37]
; %bb.188:                              ;   in Loop: Header=BB123_29 Depth=1
	s_mov_b64 s[38:39], exec
	v_subrev_u32_e32 v5, s48, v5
	v_mov_b32_e32 v3, 0
; %bb.189:                              ;   in Loop: Header=BB123_29 Depth=1
	s_or_b64 exec, exec, s[36:37]
	s_and_b64 s[42:43], s[38:39], exec
	v_mov_b32_e32 v42, v5
.LBB123_190:                            ;   in Loop: Header=BB123_29 Depth=1
	s_or_b64 exec, exec, s[8:9]
	s_mov_b64 s[8:9], -1
                                        ; implicit-def: $sgpr38_sgpr39
                                        ; implicit-def: $sgpr40_sgpr41
	s_and_saveexec_b64 s[36:37], s[42:43]
	s_cbranch_execz .LBB123_272
; %bb.191:                              ;   in Loop: Header=BB123_29 Depth=1
	s_cmp_eq_u32 s56, 1
	s_cselect_b64 s[8:9], -1, 0
	v_cmp_eq_u32_e32 vcc, 1, v42
	s_and_b64 s[8:9], s[8:9], vcc
	s_mov_b64 s[44:45], -1
                                        ; implicit-def: $sgpr40_sgpr41
                                        ; implicit-def: $sgpr38_sgpr39
	s_and_saveexec_b64 s[42:43], s[8:9]
	s_cbranch_execz .LBB123_219
; %bb.192:                              ;   in Loop: Header=BB123_29 Depth=1
	ds_read_b32 v5, v11 offset:4104
	s_waitcnt lgkmcnt(0)
	s_barrier
	v_readfirstlane_b32 s20, v5
	s_and_saveexec_b64 s[38:39], s[6:7]
; %bb.193:                              ;   in Loop: Header=BB123_29 Depth=1
	ds_write_b32 v23, v11
; %bb.194:                              ;   in Loop: Header=BB123_29 Depth=1
	s_or_b64 exec, exec, s[38:39]
	v_and_b32_e32 v5, v32, v4
	v_lshl_or_b32 v32, 2, v39, v5
	v_or_b32_e32 v41, v41, v2
	s_mov_b64 s[38:39], -1
	s_mov_b64 s[40:41], 0
	s_cmp_eq_u32 s20, 0
	s_mov_b64 s[44:45], 0
	s_mov_b64 s[46:47], -1
	s_waitcnt lgkmcnt(0)
	s_barrier
                                        ; implicit-def: $vgpr21
	s_cbranch_scc1 .LBB123_206
; %bb.195:                              ;   in Loop: Header=BB123_29 Depth=1
	s_add_i32 s21, s20, s90
	s_mul_hi_u32 s44, s21, s85
	s_mul_i32 s44, s44, s67
	s_sub_i32 s44, s21, s44
	s_sub_i32 s45, s44, s67
	s_cmp_ge_u32 s44, s67
	s_cselect_b32 s44, s45, s44
	s_sub_i32 s45, s44, s67
	s_cmp_ge_u32 s44, s67
	s_cselect_b32 s44, s45, s44
	s_sub_i32 s21, s21, s44
	v_cmp_gt_u32_e32 vcc, s21, v0
	s_mov_b64 s[46:47], 0
	s_mov_b64 s[44:45], 0
                                        ; implicit-def: $vgpr21
	s_and_saveexec_b64 s[48:49], vcc
	s_cbranch_execz .LBB123_205
; %bb.196:                              ;   in Loop: Header=BB123_29 Depth=1
	v_mov_b32_e32 v5, v15
	v_mov_b32_e32 v10, v0
                                        ; implicit-def: $sgpr50_sgpr51
	s_branch .LBB123_200
.LBB123_197:                            ;   in Loop: Header=BB123_200 Depth=2
	s_or_b64 exec, exec, s[52:53]
	s_waitcnt lgkmcnt(0)
	s_barrier
	ds_read_b64 v[20:21], v11 offset:3072
	s_waitcnt lgkmcnt(0)
	s_barrier
	v_cmp_neq_f32_e32 vcc, 0, v20
	s_cbranch_vccnz .LBB123_203
; %bb.198:                              ;   in Loop: Header=BB123_200 Depth=2
	v_add_u32_e32 v10, s67, v10
	v_cmp_le_u32_e32 vcc, s21, v10
	v_add_u32_e32 v5, s70, v5
	s_mov_b64 s[52:53], 0
	s_orn2_b64 s[54:55], vcc, exec
.LBB123_199:                            ;   in Loop: Header=BB123_200 Depth=2
	s_and_b64 s[54:55], exec, s[54:55]
	s_or_b64 s[44:45], s[54:55], s[44:45]
	s_andn2_b64 s[50:51], s[50:51], exec
	s_and_b64 s[52:53], s[52:53], exec
	s_or_b64 s[50:51], s[50:51], s[52:53]
	s_andn2_b64 exec, exec, s[44:45]
	s_cbranch_execz .LBB123_204
.LBB123_200:                            ;   Parent Loop BB123_29 Depth=1
                                        ; =>  This Inner Loop Header: Depth=2
	v_cmp_gt_u32_e32 vcc, s20, v10
	s_and_saveexec_b64 s[52:53], vcc
	s_cbranch_execz .LBB123_197
; %bb.201:                              ;   in Loop: Header=BB123_200 Depth=2
	ds_read_b32 v19, v5
	s_waitcnt lgkmcnt(0)
	v_cmp_lt_i32_e32 vcc, -1, v19
	s_nop 1
	v_cndmask_b32_e32 v20, -1, v38, vcc
	v_xor_b32_e32 v20, v20, v19
	v_cmp_o_f32_e32 vcc, v19, v19
	s_nop 1
	v_cndmask_b32_e32 v20, -1, v20, vcc
	v_and_b32_e32 v20, v20, v41
	v_cmp_eq_u32_e32 vcc, v20, v32
	s_and_b64 exec, exec, vcc
	s_cbranch_execz .LBB123_197
; %bb.202:                              ;   in Loop: Header=BB123_200 Depth=2
	ds_write_b64 v11, v[18:19] offset:3072
	s_branch .LBB123_197
.LBB123_203:                            ;   in Loop: Header=BB123_200 Depth=2
	s_mov_b64 s[54:55], -1
                                        ; implicit-def: $vgpr10
                                        ; implicit-def: $vgpr5
	s_mov_b64 s[52:53], -1
	s_branch .LBB123_199
.LBB123_204:                            ;   in Loop: Header=BB123_29 Depth=1
	s_or_b64 exec, exec, s[44:45]
	s_and_b64 s[44:45], s[50:51], exec
.LBB123_205:                            ;   in Loop: Header=BB123_29 Depth=1
	s_or_b64 exec, exec, s[48:49]
.LBB123_206:                            ;   in Loop: Header=BB123_29 Depth=1
	s_and_b64 vcc, exec, s[46:47]
	s_cbranch_vccz .LBB123_218
; %bb.207:                              ;   in Loop: Header=BB123_29 Depth=1
                                        ; implicit-def: $vgpr21
	s_mov_b64 s[38:39], exec
	v_readlane_b32 s20, v70, 30
	v_readlane_b32 s21, v70, 31
	s_and_b64 s[20:21], s[38:39], s[20:21]
	s_mov_b64 exec, s[20:21]
	s_cbranch_execz .LBB123_217
; %bb.208:                              ;   in Loop: Header=BB123_29 Depth=1
	s_mov_b64 s[40:41], 0
	v_mov_b32_e32 v10, v8
	v_mov_b32_e32 v5, v0
                                        ; implicit-def: $sgpr46_sgpr47
	s_branch .LBB123_212
.LBB123_209:                            ;   in Loop: Header=BB123_212 Depth=2
	s_or_b64 exec, exec, s[48:49]
	s_waitcnt lgkmcnt(0)
	s_barrier
	ds_read_b64 v[20:21], v11 offset:3072
	s_waitcnt lgkmcnt(0)
	s_barrier
	v_cmp_eq_f32_e32 vcc, 0, v20
	s_cbranch_vccz .LBB123_215
; %bb.210:                              ;   in Loop: Header=BB123_212 Depth=2
	v_add_u32_e32 v5, s67, v5
	v_cmp_le_u32_e32 vcc, s91, v5
	v_add_u32_e32 v10, s68, v10
	s_mov_b64 s[48:49], 0
	s_orn2_b64 s[50:51], vcc, exec
.LBB123_211:                            ;   in Loop: Header=BB123_212 Depth=2
	s_and_b64 s[20:21], exec, s[50:51]
	s_or_b64 s[40:41], s[20:21], s[40:41]
	s_andn2_b64 s[20:21], s[46:47], exec
	s_and_b64 s[46:47], s[48:49], exec
	s_or_b64 s[46:47], s[20:21], s[46:47]
	s_andn2_b64 exec, exec, s[40:41]
	s_cbranch_execz .LBB123_216
.LBB123_212:                            ;   Parent Loop BB123_29 Depth=1
                                        ; =>  This Inner Loop Header: Depth=2
	v_cmp_gt_u32_e32 vcc, s64, v5
	s_and_saveexec_b64 s[48:49], vcc
	s_cbranch_execz .LBB123_209
; %bb.213:                              ;   in Loop: Header=BB123_212 Depth=2
	v_lshl_add_u64 v[20:21], v[10:11], 2, v[6:7]
	global_load_dword v19, v[20:21], off
	s_waitcnt vmcnt(0)
	v_cmp_lt_i32_e32 vcc, -1, v19
	s_nop 1
	v_cndmask_b32_e32 v20, -1, v38, vcc
	v_xor_b32_e32 v20, v20, v19
	v_cmp_o_f32_e32 vcc, v19, v19
	s_nop 1
	v_cndmask_b32_e32 v20, -1, v20, vcc
	v_and_b32_e32 v20, v20, v41
	v_cmp_eq_u32_e32 vcc, v20, v32
	s_and_b64 exec, exec, vcc
	s_cbranch_execz .LBB123_209
; %bb.214:                              ;   in Loop: Header=BB123_212 Depth=2
	ds_write_b64 v11, v[18:19] offset:3072
	s_branch .LBB123_209
.LBB123_215:                            ;   in Loop: Header=BB123_212 Depth=2
	s_mov_b64 s[50:51], -1
                                        ; implicit-def: $vgpr5
	s_mov_b64 s[48:49], -1
	s_branch .LBB123_211
.LBB123_216:                            ;   in Loop: Header=BB123_29 Depth=1
	s_or_b64 exec, exec, s[40:41]
	s_andn2_b64 s[20:21], s[44:45], exec
	s_and_b64 s[40:41], s[46:47], exec
	s_or_b64 s[44:45], s[20:21], s[40:41]
.LBB123_217:                            ;   in Loop: Header=BB123_29 Depth=1
	s_or_b64 exec, exec, s[38:39]
	s_mov_b64 s[38:39], 0
	s_mov_b64 s[40:41], -1
.LBB123_218:                            ;   in Loop: Header=BB123_29 Depth=1
	s_orn2_b64 s[44:45], s[44:45], exec
.LBB123_219:                            ;   in Loop: Header=BB123_29 Depth=1
	s_or_b64 exec, exec, s[42:43]
	s_mov_b64 s[46:47], 0
	s_and_saveexec_b64 s[42:43], s[44:45]
	s_cbranch_execz .LBB123_271
; %bb.220:                              ;   in Loop: Header=BB123_29 Depth=1
	s_xor_b64 s[20:21], s[8:9], -1
	s_mov_b64 s[50:51], 0
	v_mov_b32_e32 v5, 1
	v_mov_b32_e32 v3, 1
	s_and_saveexec_b64 s[8:9], s[20:21]
	s_cbranch_execz .LBB123_229
; %bb.221:                              ;   in Loop: Header=BB123_29 Depth=1
	v_cmp_ge_u32_e32 vcc, s56, v42
	s_and_saveexec_b64 s[20:21], vcc
	s_xor_b64 s[44:45], exec, s[20:21]
	s_cbranch_execz .LBB123_226
; %bb.222:                              ;   in Loop: Header=BB123_29 Depth=1
	ds_read_b32 v3, v11 offset:4104
	v_and_b32_e32 v4, v32, v4
	v_lshl_or_b32 v32, 2, v39, v4
	v_or_b32_e32 v41, v41, v2
	s_waitcnt lgkmcnt(0)
	v_cmp_ne_u32_e32 vcc, 0, v3
	s_cbranch_vccnz .LBB123_226
; %bb.223:                              ;   in Loop: Header=BB123_29 Depth=1
	s_and_saveexec_b64 s[46:47], s[24:25]
; %bb.224:                              ;   in Loop: Header=BB123_29 Depth=1
	v_mov_b32_e32 v3, s56
	ds_write_b32 v11, v3 offset:4108
; %bb.225:                              ;   in Loop: Header=BB123_29 Depth=1
	s_or_b64 exec, exec, s[46:47]
	s_waitcnt lgkmcnt(0)
	s_barrier
.LBB123_226:                            ;   in Loop: Header=BB123_29 Depth=1
	s_or_saveexec_b64 s[44:45], s[44:45]
	s_mov_b64 s[46:47], 0
	v_mov_b32_e32 v3, 8
	s_xor_b64 exec, exec, s[44:45]
; %bb.227:                              ;   in Loop: Header=BB123_29 Depth=1
	s_mov_b64 s[46:47], exec
	v_subrev_u32_e32 v42, s56, v42
	v_mov_b32_e32 v3, 0
; %bb.228:                              ;   in Loop: Header=BB123_29 Depth=1
	s_or_b64 exec, exec, s[44:45]
	s_and_b64 s[50:51], s[46:47], exec
	v_mov_b32_e32 v5, v42
.LBB123_229:                            ;   in Loop: Header=BB123_29 Depth=1
	s_or_b64 exec, exec, s[8:9]
	s_mov_b64 s[48:49], -1
                                        ; implicit-def: $sgpr46_sgpr47
                                        ; implicit-def: $sgpr8_sgpr9
	s_and_saveexec_b64 s[44:45], s[50:51]
	s_cbranch_execz .LBB123_270
; %bb.230:                              ;   in Loop: Header=BB123_29 Depth=1
	s_cmp_eq_u32 s1, 1
	s_cselect_b64 s[8:9], -1, 0
	v_cmp_eq_u32_e32 vcc, 1, v5
	s_and_b64 s[48:49], s[8:9], vcc
	s_mov_b64 s[52:53], -1
                                        ; implicit-def: $sgpr46_sgpr47
                                        ; implicit-def: $sgpr8_sgpr9
	s_and_saveexec_b64 s[50:51], s[48:49]
	s_cbranch_execz .LBB123_258
; %bb.231:                              ;   in Loop: Header=BB123_29 Depth=1
	ds_read_b32 v4, v11 offset:4104
	s_waitcnt lgkmcnt(0)
	s_barrier
	v_readfirstlane_b32 s20, v4
	s_and_saveexec_b64 s[8:9], s[6:7]
; %bb.232:                              ;   in Loop: Header=BB123_29 Depth=1
	ds_write_b32 v23, v11
; %bb.233:                              ;   in Loop: Header=BB123_29 Depth=1
	s_or_b64 exec, exec, s[8:9]
	v_or_b32_e32 v32, v32, v2
	v_or_b32_e32 v41, v41, v2
	s_mov_b64 s[8:9], -1
	s_mov_b64 s[46:47], 0
	s_cmp_eq_u32 s20, 0
	s_mov_b64 s[52:53], 0
	s_mov_b64 s[54:55], -1
	s_waitcnt lgkmcnt(0)
	s_barrier
                                        ; implicit-def: $vgpr21
	s_cbranch_scc1 .LBB123_245
; %bb.234:                              ;   in Loop: Header=BB123_29 Depth=1
	s_add_i32 s21, s20, s90
	s_mul_hi_u32 s52, s21, s85
	s_mul_i32 s52, s52, s67
	s_sub_i32 s52, s21, s52
	s_sub_i32 s53, s52, s67
	s_cmp_ge_u32 s52, s67
	s_cselect_b32 s52, s53, s52
	s_sub_i32 s53, s52, s67
	s_cmp_ge_u32 s52, s67
	s_cselect_b32 s52, s53, s52
	s_sub_i32 s21, s21, s52
	v_cmp_gt_u32_e32 vcc, s21, v0
	s_mov_b64 s[54:55], 0
	s_mov_b64 s[52:53], 0
                                        ; implicit-def: $vgpr21
	s_and_saveexec_b64 s[56:57], vcc
	s_cbranch_execz .LBB123_244
; %bb.235:                              ;   in Loop: Header=BB123_29 Depth=1
	v_mov_b32_e32 v4, v15
	v_mov_b32_e32 v10, v0
                                        ; implicit-def: $sgpr58_sgpr59
	s_branch .LBB123_239
.LBB123_236:                            ;   in Loop: Header=BB123_239 Depth=2
	s_or_b64 exec, exec, s[60:61]
	s_waitcnt lgkmcnt(0)
	s_barrier
	ds_read_b64 v[20:21], v11 offset:3072
	s_waitcnt lgkmcnt(0)
	s_barrier
	v_cmp_neq_f32_e32 vcc, 0, v20
	s_cbranch_vccnz .LBB123_242
; %bb.237:                              ;   in Loop: Header=BB123_239 Depth=2
	v_add_u32_e32 v10, s67, v10
	v_cmp_le_u32_e32 vcc, s21, v10
	v_add_u32_e32 v4, s70, v4
	s_mov_b64 s[60:61], 0
	s_orn2_b64 s[62:63], vcc, exec
.LBB123_238:                            ;   in Loop: Header=BB123_239 Depth=2
	s_and_b64 s[62:63], exec, s[62:63]
	s_or_b64 s[52:53], s[62:63], s[52:53]
	s_andn2_b64 s[58:59], s[58:59], exec
	s_and_b64 s[60:61], s[60:61], exec
	s_or_b64 s[58:59], s[58:59], s[60:61]
	s_andn2_b64 exec, exec, s[52:53]
	s_cbranch_execz .LBB123_243
.LBB123_239:                            ;   Parent Loop BB123_29 Depth=1
                                        ; =>  This Inner Loop Header: Depth=2
	v_cmp_gt_u32_e32 vcc, s20, v10
	s_and_saveexec_b64 s[60:61], vcc
	s_cbranch_execz .LBB123_236
; %bb.240:                              ;   in Loop: Header=BB123_239 Depth=2
	ds_read_b32 v19, v4
	s_waitcnt lgkmcnt(0)
	v_cmp_lt_i32_e32 vcc, -1, v19
	s_nop 1
	v_cndmask_b32_e32 v20, -1, v38, vcc
	v_xor_b32_e32 v20, v20, v19
	v_cmp_o_f32_e32 vcc, v19, v19
	s_nop 1
	v_cndmask_b32_e32 v20, -1, v20, vcc
	v_and_b32_e32 v20, v20, v41
	v_cmp_eq_u32_e32 vcc, v20, v32
	s_and_b64 exec, exec, vcc
	s_cbranch_execz .LBB123_236
; %bb.241:                              ;   in Loop: Header=BB123_239 Depth=2
	ds_write_b64 v11, v[18:19] offset:3072
	s_branch .LBB123_236
.LBB123_242:                            ;   in Loop: Header=BB123_239 Depth=2
	s_mov_b64 s[62:63], -1
                                        ; implicit-def: $vgpr10
                                        ; implicit-def: $vgpr4
	s_mov_b64 s[60:61], -1
	s_branch .LBB123_238
.LBB123_243:                            ;   in Loop: Header=BB123_29 Depth=1
	s_or_b64 exec, exec, s[52:53]
	s_and_b64 s[52:53], s[58:59], exec
.LBB123_244:                            ;   in Loop: Header=BB123_29 Depth=1
	s_or_b64 exec, exec, s[56:57]
.LBB123_245:                            ;   in Loop: Header=BB123_29 Depth=1
	s_and_b64 vcc, exec, s[54:55]
	s_cbranch_vccz .LBB123_257
; %bb.246:                              ;   in Loop: Header=BB123_29 Depth=1
                                        ; implicit-def: $vgpr21
	s_mov_b64 s[8:9], exec
	v_readlane_b32 s20, v70, 30
	v_readlane_b32 s21, v70, 31
	s_and_b64 s[20:21], s[8:9], s[20:21]
	s_mov_b64 exec, s[20:21]
	s_cbranch_execz .LBB123_256
; %bb.247:                              ;   in Loop: Header=BB123_29 Depth=1
	s_mov_b64 s[46:47], 0
	v_mov_b32_e32 v10, v8
	v_mov_b32_e32 v4, v0
                                        ; implicit-def: $sgpr54_sgpr55
	s_branch .LBB123_251
.LBB123_248:                            ;   in Loop: Header=BB123_251 Depth=2
	s_or_b64 exec, exec, s[56:57]
	s_waitcnt lgkmcnt(0)
	s_barrier
	ds_read_b64 v[20:21], v11 offset:3072
	s_waitcnt lgkmcnt(0)
	s_barrier
	v_cmp_eq_f32_e32 vcc, 0, v20
	s_cbranch_vccz .LBB123_254
; %bb.249:                              ;   in Loop: Header=BB123_251 Depth=2
	v_add_u32_e32 v4, s67, v4
	v_cmp_le_u32_e32 vcc, s91, v4
	v_add_u32_e32 v10, s68, v10
	s_mov_b64 s[56:57], 0
	s_orn2_b64 s[58:59], vcc, exec
.LBB123_250:                            ;   in Loop: Header=BB123_251 Depth=2
	s_and_b64 s[20:21], exec, s[58:59]
	s_or_b64 s[46:47], s[20:21], s[46:47]
	s_andn2_b64 s[20:21], s[54:55], exec
	s_and_b64 s[54:55], s[56:57], exec
	s_or_b64 s[54:55], s[20:21], s[54:55]
	s_andn2_b64 exec, exec, s[46:47]
	s_cbranch_execz .LBB123_255
.LBB123_251:                            ;   Parent Loop BB123_29 Depth=1
                                        ; =>  This Inner Loop Header: Depth=2
	v_cmp_gt_u32_e32 vcc, s64, v4
	s_and_saveexec_b64 s[56:57], vcc
	s_cbranch_execz .LBB123_248
; %bb.252:                              ;   in Loop: Header=BB123_251 Depth=2
	v_lshl_add_u64 v[20:21], v[10:11], 2, v[6:7]
	global_load_dword v19, v[20:21], off
	s_waitcnt vmcnt(0)
	v_cmp_lt_i32_e32 vcc, -1, v19
	s_nop 1
	v_cndmask_b32_e32 v20, -1, v38, vcc
	v_xor_b32_e32 v20, v20, v19
	v_cmp_o_f32_e32 vcc, v19, v19
	s_nop 1
	v_cndmask_b32_e32 v20, -1, v20, vcc
	v_and_b32_e32 v20, v20, v41
	v_cmp_eq_u32_e32 vcc, v20, v32
	s_and_b64 exec, exec, vcc
	s_cbranch_execz .LBB123_248
; %bb.253:                              ;   in Loop: Header=BB123_251 Depth=2
	ds_write_b64 v11, v[18:19] offset:3072
	s_branch .LBB123_248
.LBB123_254:                            ;   in Loop: Header=BB123_251 Depth=2
	s_mov_b64 s[58:59], -1
                                        ; implicit-def: $vgpr4
	s_mov_b64 s[56:57], -1
	s_branch .LBB123_250
.LBB123_255:                            ;   in Loop: Header=BB123_29 Depth=1
	s_or_b64 exec, exec, s[46:47]
	s_andn2_b64 s[20:21], s[52:53], exec
	s_and_b64 s[46:47], s[54:55], exec
	s_or_b64 s[52:53], s[20:21], s[46:47]
.LBB123_256:                            ;   in Loop: Header=BB123_29 Depth=1
	s_or_b64 exec, exec, s[8:9]
	s_mov_b64 s[8:9], 0
	s_mov_b64 s[46:47], -1
.LBB123_257:                            ;   in Loop: Header=BB123_29 Depth=1
	s_orn2_b64 s[52:53], s[52:53], exec
.LBB123_258:                            ;   in Loop: Header=BB123_29 Depth=1
	s_or_b64 exec, exec, s[50:51]
	s_mov_b64 s[54:55], 0
	s_and_saveexec_b64 s[50:51], s[52:53]
	s_cbranch_execz .LBB123_269
; %bb.259:                              ;   in Loop: Header=BB123_29 Depth=1
	s_xor_b64 s[20:21], s[48:49], -1
	v_mov_b32_e32 v3, 1
	v_mov_b32_e32 v4, 1
	s_and_saveexec_b64 s[48:49], s[20:21]
	s_cbranch_execz .LBB123_268
; %bb.260:                              ;   in Loop: Header=BB123_29 Depth=1
	v_cmp_ge_u32_e32 vcc, s1, v5
	s_and_saveexec_b64 s[20:21], vcc
	s_xor_b64 s[52:53], exec, s[20:21]
	s_cbranch_execz .LBB123_265
; %bb.261:                              ;   in Loop: Header=BB123_29 Depth=1
	ds_read_b32 v3, v11 offset:4104
	v_or_b32_e32 v32, v32, v2
	v_or_b32_e32 v41, v41, v2
	s_waitcnt lgkmcnt(0)
	v_cmp_ne_u32_e32 vcc, 0, v3
	s_cbranch_vccnz .LBB123_265
; %bb.262:                              ;   in Loop: Header=BB123_29 Depth=1
	s_and_saveexec_b64 s[54:55], s[24:25]
; %bb.263:                              ;   in Loop: Header=BB123_29 Depth=1
	v_mov_b32_e32 v2, s1
	ds_write_b32 v11, v2 offset:4108
; %bb.264:                              ;   in Loop: Header=BB123_29 Depth=1
	s_or_b64 exec, exec, s[54:55]
	s_waitcnt lgkmcnt(0)
	s_barrier
.LBB123_265:                            ;   in Loop: Header=BB123_29 Depth=1
	s_andn2_saveexec_b64 s[52:53], s[52:53]
; %bb.266:                              ;   in Loop: Header=BB123_29 Depth=1
	v_subrev_u32_e32 v5, s1, v5
; %bb.267:                              ;   in Loop: Header=BB123_29 Depth=1
	s_or_b64 exec, exec, s[52:53]
	v_mov_b32_e32 v3, 8
	v_mov_b32_e32 v4, v5
.LBB123_268:                            ;   in Loop: Header=BB123_29 Depth=1
	s_or_b64 exec, exec, s[48:49]
	s_mov_b64 s[54:55], exec
	v_mov_b32_e32 v5, v4
.LBB123_269:                            ;   in Loop: Header=BB123_29 Depth=1
	s_or_b64 exec, exec, s[50:51]
	s_orn2_b64 s[48:49], s[54:55], exec
.LBB123_270:                            ;   in Loop: Header=BB123_29 Depth=1
	s_or_b64 exec, exec, s[44:45]
	s_andn2_b64 s[20:21], s[40:41], exec
	s_and_b64 s[40:41], s[46:47], exec
	s_or_b64 s[40:41], s[20:21], s[40:41]
	s_andn2_b64 s[20:21], s[38:39], exec
	s_and_b64 s[8:9], s[8:9], exec
	s_or_b64 s[38:39], s[20:21], s[8:9]
	s_and_b64 s[46:47], s[48:49], exec
	v_mov_b32_e32 v42, v5
.LBB123_271:                            ;   in Loop: Header=BB123_29 Depth=1
	s_or_b64 exec, exec, s[42:43]
	s_orn2_b64 s[8:9], s[46:47], exec
.LBB123_272:                            ;   in Loop: Header=BB123_29 Depth=1
	s_or_b64 exec, exec, s[36:37]
	s_andn2_b64 s[20:21], s[30:31], exec
	s_and_b64 s[30:31], s[40:41], exec
	s_or_b64 s[30:31], s[20:21], s[30:31]
	s_andn2_b64 s[20:21], s[28:29], exec
	s_and_b64 s[28:29], s[38:39], exec
	s_or_b64 s[28:29], s[20:21], s[28:29]
	s_and_b64 s[38:39], s[8:9], exec
	v_mov_b32_e32 v5, v42
.LBB123_273:                            ;   in Loop: Header=BB123_29 Depth=1
	s_or_b64 exec, exec, s[34:35]
	s_orn2_b64 s[8:9], s[38:39], exec
.LBB123_274:                            ;   in Loop: Header=BB123_29 Depth=1
	s_or_b64 exec, exec, s[26:27]
	s_mov_b64 s[26:27], 0
                                        ; implicit-def: $sgpr20
	s_and_saveexec_b64 s[34:35], s[8:9]
	s_xor_b64 s[8:9], exec, s[34:35]
	s_cbranch_execz .LBB123_27
; %bb.275:                              ;   in Loop: Header=BB123_29 Depth=1
	v_and_b32_e32 v2, 7, v3
	v_cmp_eq_u32_e32 vcc, 0, v2
	s_mov_b64 s[22:23], -1
	s_mov_b64 s[26:27], -1
                                        ; implicit-def: $sgpr20
	s_and_saveexec_b64 s[34:35], vcc
	s_cbranch_execz .LBB123_26
; %bb.276:                              ;   in Loop: Header=BB123_29 Depth=1
	v_add_u32_e32 v2, -2, v39
	v_cmp_eq_u32_e32 vcc, 0, v39
	s_xor_b32 s20, s0, 1
	s_xor_b64 s[26:27], exec, -1
	s_orn2_b64 s[22:23], vcc, exec
	v_mov_b32_e32 v39, v2
	s_branch .LBB123_26
.LBB123_277:
	s_or_b64 exec, exec, s[94:95]
	s_xor_b64 s[8:9], s[72:73], -1
	s_xor_b64 s[0:1], s[96:97], -1
	;; [unrolled: 1-line block ×3, first 2 shown]
	s_mov_b64 s[4:5], 0
	s_and_saveexec_b64 s[2:3], s[0:1]
	s_xor_b64 s[2:3], exec, s[2:3]
	s_cbranch_execnz .LBB123_282
; %bb.278:
	s_andn2_saveexec_b64 s[0:1], s[2:3]
	s_cbranch_execnz .LBB123_295
.LBB123_279:
	s_or_b64 exec, exec, s[0:1]
	s_and_saveexec_b64 s[0:1], s[4:5]
.LBB123_280:
	; divergent unreachable
.LBB123_281:
	s_endpgm
.LBB123_282:
	s_and_saveexec_b64 s[0:1], s[8:9]
	s_xor_b64 s[4:5], exec, s[0:1]
	s_cbranch_execz .LBB123_293
; %bb.283:
	s_and_saveexec_b64 s[0:1], s[6:7]
	s_xor_b64 s[6:7], exec, s[0:1]
; %bb.284:
	v_bfrev_b32_e32 v1, 1
	v_cmp_lt_i32_e32 vcc, -1, v32
	s_nop 1
	v_cndmask_b32_e64 v1, v1, -1, vcc
	v_xor_b32_e32 v21, v1, v32
; %bb.285:
	s_or_b64 exec, exec, s[6:7]
	v_readlane_b32 s0, v70, 0
	s_mul_i32 s0, s0, s33
	s_add_i32 s0, s0, s69
	s_mov_b32 s1, 0
	s_lshl_b64 s[0:1], s[0:1], 2
	v_readlane_b32 s6, v70, 2
	v_readlane_b32 s7, v70, 3
	s_add_u32 s0, s6, s0
	s_addc_u32 s1, s7, s1
	v_mov_b32_e32 v9, 0
	global_store_dword v9, v21, s[0:1]
	s_mov_b64 s[6:7], exec
	v_readlane_b32 s0, v70, 6
	v_readlane_b32 s1, v70, 7
	s_and_b64 s[0:1], s[6:7], s[0:1]
	s_mov_b64 exec, s[0:1]
	s_cbranch_execz .LBB123_292
; %bb.286:
	v_cmp_u_f32_e32 vcc, v21, v21
	s_mov_b64 s[8:9], 0
	s_xor_b64 s[12:13], vcc, -1
                                        ; implicit-def: $sgpr10_sgpr11
                                        ; implicit-def: $sgpr16_sgpr17
                                        ; implicit-def: $sgpr14_sgpr15
	s_branch .LBB123_288
.LBB123_287:                            ;   in Loop: Header=BB123_288 Depth=1
	s_or_b64 exec, exec, s[0:1]
	s_and_b64 s[0:1], exec, s[16:17]
	s_or_b64 s[8:9], s[0:1], s[8:9]
	s_andn2_b64 s[0:1], s[10:11], exec
	s_and_b64 s[10:11], s[14:15], exec
	s_or_b64 s[10:11], s[0:1], s[10:11]
	s_andn2_b64 exec, exec, s[8:9]
	s_cbranch_execz .LBB123_290
.LBB123_288:                            ; =>This Inner Loop Header: Depth=1
	v_lshl_add_u64 v[2:3], v[8:9], 2, v[6:7]
	global_load_dword v1, v[2:3], off
	v_mov_b32_e32 v2, v0
	s_or_b64 s[14:15], s[14:15], exec
	s_or_b64 s[16:17], s[16:17], exec
                                        ; implicit-def: $vgpr0
	s_waitcnt vmcnt(0)
	v_cmp_o_f32_e64 s[0:1], v1, v1
	v_cmp_neq_f32_e32 vcc, v1, v21
	s_or_b64 s[0:1], s[0:1], s[12:13]
	s_and_b64 s[18:19], vcc, s[0:1]
	s_and_saveexec_b64 s[0:1], s[18:19]
	s_cbranch_execz .LBB123_287
; %bb.289:                              ;   in Loop: Header=BB123_288 Depth=1
	v_add_u32_e32 v0, s67, v2
	v_cmp_le_u32_e32 vcc, s64, v0
	s_andn2_b64 s[16:17], s[16:17], exec
	s_and_b64 s[18:19], vcc, exec
	v_add_u32_e32 v8, s68, v8
	s_andn2_b64 s[14:15], s[14:15], exec
	s_or_b64 s[16:17], s[16:17], s[18:19]
	s_branch .LBB123_287
.LBB123_290:
	s_or_b64 exec, exec, s[8:9]
	s_and_saveexec_b64 s[0:1], s[10:11]
	s_xor_b64 s[0:1], exec, s[0:1]
	s_cbranch_execz .LBB123_292
; %bb.291:
	v_readlane_b32 s0, v70, 1
	s_mul_i32 s0, s0, s65
	s_add_i32 s0, s0, s71
	s_mov_b32 s1, 0
	s_lshl_b64 s[0:1], s[0:1], 3
	v_readlane_b32 s8, v70, 4
	v_readlane_b32 s9, v70, 5
	s_add_u32 s0, s8, s0
	s_addc_u32 s1, s9, s1
	v_mov_b32_e32 v3, 0
	global_store_dwordx2 v3, v[2:3], s[0:1]
.LBB123_292:
	s_or_b64 exec, exec, s[6:7]
.LBB123_293:
	s_or_saveexec_b64 s[0:1], s[4:5]
	s_mov_b64 s[4:5], 0
	s_xor_b64 exec, exec, s[0:1]
	s_cbranch_execnz .LBB123_296
.LBB123_294:
	s_or_b64 exec, exec, s[0:1]
	s_and_b64 s[4:5], s[4:5], exec
	s_andn2_saveexec_b64 s[0:1], s[2:3]
	s_cbranch_execz .LBB123_279
.LBB123_295:
	s_or_b64 s[4:5], s[4:5], exec
	s_trap 2
	s_or_b64 exec, exec, s[0:1]
	s_and_saveexec_b64 s[0:1], s[4:5]
	s_cbranch_execnz .LBB123_280
	s_branch .LBB123_281
.LBB123_296:
	s_mov_b64 s[4:5], exec
	s_trap 2
	s_branch .LBB123_294
	.section	.rodata,"a",@progbits
	.p2align	6, 0x0
	.amdhsa_kernel _ZN2at6native12_GLOBAL__N_112gatherMedianIfjLin1EEEvNS_4cuda6detail10TensorInfoIT_T0_EENS5_IlS7_EENS5_IKS6_S7_EES7_S7_S7_b
		.amdhsa_group_segment_fixed_size 4120
		.amdhsa_private_segment_fixed_size 0
		.amdhsa_kernarg_size 920
		.amdhsa_user_sgpr_count 2
		.amdhsa_user_sgpr_dispatch_ptr 0
		.amdhsa_user_sgpr_queue_ptr 0
		.amdhsa_user_sgpr_kernarg_segment_ptr 1
		.amdhsa_user_sgpr_dispatch_id 0
		.amdhsa_user_sgpr_kernarg_preload_length 0
		.amdhsa_user_sgpr_kernarg_preload_offset 0
		.amdhsa_user_sgpr_private_segment_size 0
		.amdhsa_uses_dynamic_stack 0
		.amdhsa_enable_private_segment 0
		.amdhsa_system_sgpr_workgroup_id_x 1
		.amdhsa_system_sgpr_workgroup_id_y 1
		.amdhsa_system_sgpr_workgroup_id_z 1
		.amdhsa_system_sgpr_workgroup_info 0
		.amdhsa_system_vgpr_workitem_id 0
		.amdhsa_next_free_vgpr 71
		.amdhsa_next_free_sgpr 100
		.amdhsa_accum_offset 72
		.amdhsa_reserve_vcc 1
		.amdhsa_float_round_mode_32 0
		.amdhsa_float_round_mode_16_64 0
		.amdhsa_float_denorm_mode_32 3
		.amdhsa_float_denorm_mode_16_64 3
		.amdhsa_dx10_clamp 1
		.amdhsa_ieee_mode 1
		.amdhsa_fp16_overflow 0
		.amdhsa_tg_split 0
		.amdhsa_exception_fp_ieee_invalid_op 0
		.amdhsa_exception_fp_denorm_src 0
		.amdhsa_exception_fp_ieee_div_zero 0
		.amdhsa_exception_fp_ieee_overflow 0
		.amdhsa_exception_fp_ieee_underflow 0
		.amdhsa_exception_fp_ieee_inexact 0
		.amdhsa_exception_int_div_zero 0
	.end_amdhsa_kernel
	.section	.text._ZN2at6native12_GLOBAL__N_112gatherMedianIfjLin1EEEvNS_4cuda6detail10TensorInfoIT_T0_EENS5_IlS7_EENS5_IKS6_S7_EES7_S7_S7_b,"axG",@progbits,_ZN2at6native12_GLOBAL__N_112gatherMedianIfjLin1EEEvNS_4cuda6detail10TensorInfoIT_T0_EENS5_IlS7_EENS5_IKS6_S7_EES7_S7_S7_b,comdat
.Lfunc_end123:
	.size	_ZN2at6native12_GLOBAL__N_112gatherMedianIfjLin1EEEvNS_4cuda6detail10TensorInfoIT_T0_EENS5_IlS7_EENS5_IKS6_S7_EES7_S7_S7_b, .Lfunc_end123-_ZN2at6native12_GLOBAL__N_112gatherMedianIfjLin1EEEvNS_4cuda6detail10TensorInfoIT_T0_EENS5_IlS7_EENS5_IKS6_S7_EES7_S7_S7_b
                                        ; -- End function
	.set _ZN2at6native12_GLOBAL__N_112gatherMedianIfjLin1EEEvNS_4cuda6detail10TensorInfoIT_T0_EENS5_IlS7_EENS5_IKS6_S7_EES7_S7_S7_b.num_vgpr, 71
	.set _ZN2at6native12_GLOBAL__N_112gatherMedianIfjLin1EEEvNS_4cuda6detail10TensorInfoIT_T0_EENS5_IlS7_EENS5_IKS6_S7_EES7_S7_S7_b.num_agpr, 0
	.set _ZN2at6native12_GLOBAL__N_112gatherMedianIfjLin1EEEvNS_4cuda6detail10TensorInfoIT_T0_EENS5_IlS7_EENS5_IKS6_S7_EES7_S7_S7_b.numbered_sgpr, 100
	.set _ZN2at6native12_GLOBAL__N_112gatherMedianIfjLin1EEEvNS_4cuda6detail10TensorInfoIT_T0_EENS5_IlS7_EENS5_IKS6_S7_EES7_S7_S7_b.num_named_barrier, 0
	.set _ZN2at6native12_GLOBAL__N_112gatherMedianIfjLin1EEEvNS_4cuda6detail10TensorInfoIT_T0_EENS5_IlS7_EENS5_IKS6_S7_EES7_S7_S7_b.private_seg_size, 0
	.set _ZN2at6native12_GLOBAL__N_112gatherMedianIfjLin1EEEvNS_4cuda6detail10TensorInfoIT_T0_EENS5_IlS7_EENS5_IKS6_S7_EES7_S7_S7_b.uses_vcc, 1
	.set _ZN2at6native12_GLOBAL__N_112gatherMedianIfjLin1EEEvNS_4cuda6detail10TensorInfoIT_T0_EENS5_IlS7_EENS5_IKS6_S7_EES7_S7_S7_b.uses_flat_scratch, 0
	.set _ZN2at6native12_GLOBAL__N_112gatherMedianIfjLin1EEEvNS_4cuda6detail10TensorInfoIT_T0_EENS5_IlS7_EENS5_IKS6_S7_EES7_S7_S7_b.has_dyn_sized_stack, 0
	.set _ZN2at6native12_GLOBAL__N_112gatherMedianIfjLin1EEEvNS_4cuda6detail10TensorInfoIT_T0_EENS5_IlS7_EENS5_IKS6_S7_EES7_S7_S7_b.has_recursion, 0
	.set _ZN2at6native12_GLOBAL__N_112gatherMedianIfjLin1EEEvNS_4cuda6detail10TensorInfoIT_T0_EENS5_IlS7_EENS5_IKS6_S7_EES7_S7_S7_b.has_indirect_call, 0
	.section	.AMDGPU.csdata,"",@progbits
; Kernel info:
; codeLenInByte = 11600
; TotalNumSgprs: 106
; NumVgprs: 71
; NumAgprs: 0
; TotalNumVgprs: 71
; ScratchSize: 0
; MemoryBound: 0
; FloatMode: 240
; IeeeMode: 1
; LDSByteSize: 4120 bytes/workgroup (compile time only)
; SGPRBlocks: 13
; VGPRBlocks: 8
; NumSGPRsForWavesPerEU: 106
; NumVGPRsForWavesPerEU: 71
; AccumOffset: 72
; Occupancy: 7
; WaveLimiterHint : 1
; COMPUTE_PGM_RSRC2:SCRATCH_EN: 0
; COMPUTE_PGM_RSRC2:USER_SGPR: 2
; COMPUTE_PGM_RSRC2:TRAP_HANDLER: 0
; COMPUTE_PGM_RSRC2:TGID_X_EN: 1
; COMPUTE_PGM_RSRC2:TGID_Y_EN: 1
; COMPUTE_PGM_RSRC2:TGID_Z_EN: 1
; COMPUTE_PGM_RSRC2:TIDIG_COMP_CNT: 0
; COMPUTE_PGM_RSRC3_GFX90A:ACCUM_OFFSET: 17
; COMPUTE_PGM_RSRC3_GFX90A:TG_SPLIT: 0
	.section	.text._ZN2at6native12_GLOBAL__N_112gatherMedianIfmLi1EEEvNS_4cuda6detail10TensorInfoIT_T0_EENS5_IlS7_EENS5_IKS6_S7_EES7_S7_S7_b,"axG",@progbits,_ZN2at6native12_GLOBAL__N_112gatherMedianIfmLi1EEEvNS_4cuda6detail10TensorInfoIT_T0_EENS5_IlS7_EENS5_IKS6_S7_EES7_S7_S7_b,comdat
	.globl	_ZN2at6native12_GLOBAL__N_112gatherMedianIfmLi1EEEvNS_4cuda6detail10TensorInfoIT_T0_EENS5_IlS7_EENS5_IKS6_S7_EES7_S7_S7_b ; -- Begin function _ZN2at6native12_GLOBAL__N_112gatherMedianIfmLi1EEEvNS_4cuda6detail10TensorInfoIT_T0_EENS5_IlS7_EENS5_IKS6_S7_EES7_S7_S7_b
	.p2align	8
	.type	_ZN2at6native12_GLOBAL__N_112gatherMedianIfmLi1EEEvNS_4cuda6detail10TensorInfoIT_T0_EENS5_IlS7_EENS5_IKS6_S7_EES7_S7_S7_b,@function
_ZN2at6native12_GLOBAL__N_112gatherMedianIfmLi1EEEvNS_4cuda6detail10TensorInfoIT_T0_EENS5_IlS7_EENS5_IKS6_S7_EES7_S7_S7_b: ; @_ZN2at6native12_GLOBAL__N_112gatherMedianIfmLi1EEEvNS_4cuda6detail10TensorInfoIT_T0_EENS5_IlS7_EENS5_IKS6_S7_EES7_S7_S7_b
; %bb.0:
	s_load_dwordx2 s[8:9], s[0:1], 0x500
	s_load_dwordx4 s[56:59], s[0:1], 0x4e0
	s_add_u32 s10, s0, 0x500
	s_addc_u32 s11, s1, 0
	s_mov_b32 s5, 0
	s_waitcnt lgkmcnt(0)
	s_mul_i32 s4, s9, s4
	s_add_i32 s3, s4, s3
	s_mul_i32 s3, s3, s8
	s_add_i32 s4, s3, s2
	v_mov_b64_e32 v[2:3], s[4:5]
	v_cmp_le_u64_e32 vcc, s[58:59], v[2:3]
	s_cbranch_vccnz .LBB124_294
; %bb.1:
	s_load_dwordx2 s[68:69], s[0:1], 0x4f0
	s_load_dwordx2 s[6:7], s[0:1], 0x410
	s_mov_b32 s14, s4
	s_load_dwordx2 s[4:5], s[0:1], 0x340
	s_load_dwordx2 s[12:13], s[0:1], 0x270
                                        ; implicit-def: $vgpr62 : SGPR spill to VGPR lane
	v_mov_b32_e32 v1, 0
	v_mov_b64_e32 v[2:3], 0
	s_waitcnt lgkmcnt(0)
	s_mul_i32 s3, s7, s14
	s_mul_hi_u32 s7, s6, s14
	v_writelane_b32 v62, s12, 0
	s_add_i32 s7, s7, s3
	s_mul_i32 s6, s6, s14
	v_writelane_b32 v62, s13, 1
	s_load_dwordx2 s[12:13], s[0:1], 0x1a0
	s_waitcnt lgkmcnt(0)
	v_writelane_b32 v62, s12, 2
	s_nop 1
	v_writelane_b32 v62, s13, 3
	s_load_dwordx2 s[12:13], s[0:1], 0xd0
	s_waitcnt lgkmcnt(0)
	v_writelane_b32 v62, s12, 4
	s_nop 1
	;; [unrolled: 5-line block ×3, first 2 shown]
	v_writelane_b32 v62, s13, 7
	s_mov_b32 s12, s14
	v_writelane_b32 v62, s12, 8
	v_cmp_gt_u64_e64 s[14:15], s[56:57], v[0:1]
	s_nop 0
	v_writelane_b32 v62, s13, 9
	s_mov_b64 s[12:13], exec
	v_writelane_b32 v62, s14, 10
	s_nop 1
	v_writelane_b32 v62, s15, 11
	s_and_b64 s[14:15], s[12:13], s[14:15]
	s_mov_b64 exec, s[14:15]
	s_cbranch_execz .LBB124_5
; %bb.2:
	s_load_dword s3, s[10:11], 0xc
	v_mad_u64_u32 v[2:3], s[16:17], s68, v0, 0
	v_mov_b32_e32 v4, v3
	v_mad_u64_u32 v[4:5], s[16:17], s69, v0, v[4:5]
	s_waitcnt lgkmcnt(0)
	s_and_b32 s14, s3, 0xffff
	s_lshl_b64 s[16:17], s[6:7], 2
	s_add_u32 s16, s4, s16
	v_mov_b32_e32 v3, v4
	s_addc_u32 s17, s5, s17
	s_mul_i32 s3, s69, s14
	s_mul_hi_u32 s9, s68, s14
	v_lshl_add_u64 v[4:5], v[2:3], 2, s[16:17]
	s_add_i32 s17, s9, s3
	s_mul_i32 s16, s68, s14
	s_mov_b32 s15, 0
	s_lshl_b64 s[18:19], s[16:17], 2
	s_mov_b64 s[16:17], 0
	v_mov_b64_e32 v[2:3], 0
	v_mov_b64_e32 v[6:7], v[0:1]
.LBB124_3:                              ; =>This Inner Loop Header: Depth=1
	global_load_dword v8, v[4:5], off
	v_lshl_add_u64 v[6:7], v[6:7], 0, s[14:15]
	v_cmp_le_u64_e32 vcc, s[56:57], v[6:7]
	s_or_b64 s[16:17], vcc, s[16:17]
	v_mov_b32_e32 v9, s15
	v_lshl_add_u64 v[4:5], v[4:5], 0, s[18:19]
	s_waitcnt vmcnt(0)
	v_cmp_u_f32_e32 vcc, v8, v8
	s_nop 1
	v_cndmask_b32_e64 v8, 0, 1, vcc
	v_lshl_add_u64 v[2:3], v[2:3], 0, v[8:9]
	s_andn2_b64 exec, exec, s[16:17]
	s_cbranch_execnz .LBB124_3
; %bb.4:
	s_or_b64 exec, exec, s[16:17]
.LBB124_5:
	s_or_b64 exec, exec, s[12:13]
	v_cmp_eq_u32_e64 s[14:15], 0, v0
	s_mov_b64 s[12:13], exec
	s_nop 0
	v_writelane_b32 v62, s14, 12
	s_nop 1
	v_writelane_b32 v62, s15, 13
	s_and_b64 s[14:15], s[12:13], s[14:15]
	s_mov_b64 exec, s[14:15]
; %bb.6:
	v_mov_b32_e32 v4, 0
	v_mov_b32_e32 v5, v4
	ds_write_b64 v4, v[4:5] offset:5136
; %bb.7:
	s_or_b64 exec, exec, s[12:13]
	s_mov_b64 s[14:15], 0
	v_cmp_ne_u64_e32 vcc, 0, v[2:3]
	s_waitcnt lgkmcnt(0)
	s_barrier
	s_and_saveexec_b64 s[12:13], vcc
	s_cbranch_execz .LBB124_12
; %bb.8:
	s_mov_b64 s[16:17], exec
.LBB124_9:                              ; =>This Inner Loop Header: Depth=1
	s_ff1_i32_b64 s3, s[16:17]
	v_readlane_b32 s18, v2, s3
	v_readlane_b32 s9, v3, s3
	s_add_u32 s14, s14, s18
	s_addc_u32 s15, s15, s9
	s_lshl_b64 s[18:19], 1, s3
	s_andn2_b64 s[16:17], s[16:17], s[18:19]
	s_cmp_lg_u64 s[16:17], 0
	s_cbranch_scc1 .LBB124_9
; %bb.10:
	v_mbcnt_lo_u32_b32 v2, exec_lo, 0
	v_mbcnt_hi_u32_b32 v2, exec_hi, v2
	v_cmp_eq_u32_e32 vcc, 0, v2
	s_and_saveexec_b64 s[16:17], vcc
	s_xor_b64 s[16:17], exec, s[16:17]
; %bb.11:
	v_mov_b32_e32 v2, 0
	v_mov_b64_e32 v[4:5], s[14:15]
	ds_add_u64 v2, v[4:5] offset:5136
.LBB124_12:
	s_or_b64 exec, exec, s[12:13]
	v_mov_b32_e32 v3, 0
	s_waitcnt lgkmcnt(0)
	s_barrier
	ds_read_b64 v[4:5], v3 offset:5136
	s_waitcnt lgkmcnt(0)
	v_readfirstlane_b32 s12, v4
	v_readfirstlane_b32 s13, v5
	s_mov_b64 s[14:15], exec
	v_readlane_b32 s16, v62, 12
	v_readlane_b32 s17, v62, 13
	s_and_b64 s[16:17], s[14:15], s[16:17]
	s_mov_b64 exec, s[16:17]
	s_cbranch_execz .LBB124_14
; %bb.13:
	v_mov_b32_e32 v4, 0
	v_mov_b32_e32 v6, s56
	;; [unrolled: 1-line block ×4, first 2 shown]
	ds_write_b32 v4, v4 offset:5144
	ds_write_b128 v4, v[4:7] offset:5120
.LBB124_14:
	s_or_b64 exec, exec, s[14:15]
	s_load_dword s3, s[0:1], 0x4f8
	v_cmp_lt_i64_e64 s[0:1], s[12:13], 1
	v_mbcnt_lo_u32_b32 v2, -1, 0
	v_mbcnt_hi_u32_b32 v38, -1, v2
	v_cmp_gt_u32_e32 vcc, 64, v0
	s_waitcnt lgkmcnt(0)
	s_bitcmp1_b32 s3, 0
	s_cselect_b64 s[14:15], -1, 0
	s_not_b64 s[12:13], s[12:13]
	s_or_b64 s[0:1], s[14:15], s[0:1]
	s_add_u32 s12, s56, s12
	s_addc_u32 s13, s57, s13
	s_lshr_b64 s[12:13], s[12:13], 1
	s_add_u32 s3, s12, 1
	s_addc_u32 s9, s13, 0
	s_and_b64 s[0:1], s[0:1], exec
	s_cselect_b32 s13, s9, s57
	s_cselect_b32 s12, s3, s56
	s_lshl_b64 s[0:1], s[6:7], 2
	s_add_u32 s60, s4, s0
	s_addc_u32 s61, s5, s1
	v_cmp_gt_i32_e64 s[0:1], 4, v38
	s_and_b64 s[72:73], vcc, s[0:1]
	v_cmp_gt_u32_e64 s[0:1], 2, v0
	v_mov_b64_e32 v[4:5], 0x300
	s_nop 0
	v_writelane_b32 v62, s0, 14
	s_barrier
	s_nop 0
	v_writelane_b32 v62, s1, 15
	v_cmp_gt_u64_e64 s[0:1], s[56:57], v[4:5]
	v_mov_b32_e32 v9, -1
	v_not_b32_e32 v8, v0
	v_writelane_b32 v62, s0, 16
	s_mov_b32 s77, 0
	v_lshlrev_b32_e32 v14, 2, v0
	v_writelane_b32 v62, s1, 17
	v_mad_u64_u32 v[4:5], s[0:1], s68, v0, 0
	v_mov_b32_e32 v2, v5
	v_mad_u64_u32 v[6:7], s[0:1], s69, v0, v[2:3]
	s_load_dword s0, s[10:11], 0xc
	v_lshlrev_b32_e32 v2, 2, v38
	v_and_b32_e32 v40, 0x100, v2
	v_lshrrev_b32_e32 v2, 1, v0
	v_and_b32_e32 v2, 0x1e0, v2
	s_waitcnt lgkmcnt(0)
	s_and_b32 s70, s0, 0xffff
	s_bfe_u32 s0, s0, 0xa0006
	v_mov_b32_e32 v5, v6
	v_lshlrev_b64 v[6:7], v38, -1
	s_cmp_gt_u32 s70, 63
	v_or_b32_e32 v41, 0xc00, v2
	v_add_u32_e32 v2, 2, v0
	v_not_b32_e32 v16, v6
	s_cselect_b64 s[6:7], -1, 0
	s_add_u32 s3, s70, -1
	v_mov_b32_e32 v6, s57
	v_cmp_gt_u64_e32 vcc, s[56:57], v[2:3]
	v_not_b32_e32 v17, v7
	v_writelane_b32 v62, s6, 18
	s_addc_u32 s1, 0, -1
	v_cndmask_b32_e32 v7, 0, v6, vcc
	v_mov_b32_e32 v6, s56
	v_writelane_b32 v62, s7, 19
	s_add_u32 s33, s3, s56
	v_cndmask_b32_e32 v6, v2, v6, vcc
	v_writelane_b32 v62, s3, 20
	s_addc_u32 s83, s1, s57
	v_lshl_add_u64 v[6:7], v[6:7], 0, v[8:9]
	v_writelane_b32 v62, s1, 21
	s_cmp_lt_u32 s2, s8
	v_cmp_lt_u64_e64 s[2:3], 1, v[6:7]
	s_cselect_b32 s1, 12, 18
	v_and_b32_e32 v18, -2, v6
	v_writelane_b32 v62, s2, 22
	v_mov_b32_e32 v19, v7
	s_add_u32 s80, s10, s1
	v_writelane_b32 v62, s3, 23
	v_cmp_ne_u64_e64 s[2:3], v[6:7], v[18:19]
	s_addc_u32 s81, s11, 0
	s_add_i32 s1, s0, -1
	v_writelane_b32 v62, s2, 24
	s_and_b32 s1, s1, 0xffff
	v_lshlrev_b32_e32 v8, 4, v0
	v_writelane_b32 v62, s3, 25
	s_bfe_u32 s2, s70, 0x30006
	s_cmp_gt_u32 s1, 6
	s_cselect_b64 s[8:9], -1, 0
	v_writelane_b32 v62, s8, 26
	s_and_b32 s7, s0, 0x3f8
	s_cmp_lg_u32 s2, 0
	v_writelane_b32 v62, s9, 27
	v_writelane_b32 v62, s2, 28
	s_cselect_b64 s[0:1], -1, 0
	v_writelane_b32 v62, s0, 29
	v_or_b32_e32 v6, 12, v8
	v_cmp_eq_u32_e64 s[4:5], 0, v38
	v_writelane_b32 v62, s1, 30
	s_lshl_b64 s[0:1], s[68:69], 2
	v_writelane_b32 v62, s0, 31
	v_add_u32_e32 v39, 0xc00, v14
	v_lshl_add_u64 v[12:13], v[4:5], 2, s[60:61]
	v_writelane_b32 v62, s1, 32
	v_mad_u64_u32 v[22:23], s[0:1], s68, v6, 0
	v_mov_b32_e32 v2, v23
	v_mad_u64_u32 v[6:7], s[0:1], s69, v6, v[2:3]
	v_mov_b32_e32 v23, v6
	v_or_b32_e32 v6, 8, v8
	v_mad_u64_u32 v[24:25], s[0:1], s68, v6, 0
	v_mov_b32_e32 v2, v25
	v_mad_u64_u32 v[6:7], s[0:1], s69, v6, v[2:3]
	v_mov_b32_e32 v25, v6
	v_or_b32_e32 v6, 4, v8
	v_mad_u64_u32 v[26:27], s[0:1], s68, v6, 0
	v_mov_b32_e32 v2, v27
	v_mad_u64_u32 v[6:7], s[0:1], s69, v6, v[2:3]
	s_mul_i32 s0, s69, s70
	s_mul_hi_u32 s1, s68, s70
	v_writelane_b32 v62, s72, 33
	v_mov_b32_e32 v2, 0xc00
	s_add_i32 s1, s1, s0
	s_mul_i32 s0, s68, s70
	v_writelane_b32 v62, s73, 34
	v_mov_b32_e32 v15, v3
	s_mov_b32 s71, s77
	v_lshl_add_u64 v[20:21], v[18:19], 0, v[0:1]
	s_mov_b32 s6, s68
	s_mov_b32 s55, s69
	s_lshl_b64 s[92:93], s[68:69], 4
	v_mov_b32_e32 v27, v6
	v_lshlrev_b64 v[28:29], 4, v[4:5]
	v_lshlrev_b32_e32 v42, 4, v0
	v_lshl_or_b32 v44, v38, 3, v2
	s_lshl_b32 s78, s70, 2
	s_lshl_b64 s[74:75], s[0:1], 2
	s_mov_b32 s79, 30
	s_mov_b64 s[94:95], 0
	v_mov_b64_e32 v[34:35], s[12:13]
	v_mov_b64_e32 v[48:49], s[56:57]
	v_mov_b32_e32 v30, 1.0
	v_bfrev_b32_e32 v45, 1
	v_mov_b32_e32 v46, 0x4f800000
	v_mov_b32_e32 v33, 0
	s_mov_b32 s84, 0
	v_mov_b32_e32 v43, 0
	v_mov_b32_e32 v47, 0
	v_writelane_b32 v62, s80, 35
	s_mov_b32 s85, s69
                                        ; implicit-def: $sgpr96_sgpr97
                                        ; implicit-def: $sgpr58_sgpr59
                                        ; implicit-def: $sgpr98_sgpr99
                                        ; implicit-def: $sgpr64_sgpr65
                                        ; implicit-def: $sgpr66_sgpr67
                                        ; implicit-def: $sgpr62_sgpr63
	s_nop 0
	v_writelane_b32 v62, s81, 36
	s_branch .LBB124_18
.LBB124_15:                             ;   in Loop: Header=BB124_18 Depth=1
	s_or_b64 exec, exec, s[12:13]
	s_and_b64 s[10:11], s[10:11], exec
	s_andn2_b64 s[26:27], s[26:27], exec
	s_andn2_b64 s[0:1], s[0:1], exec
	s_orn2_b64 s[18:19], s[8:9], exec
.LBB124_16:                             ;   in Loop: Header=BB124_18 Depth=1
	s_or_b64 exec, exec, s[2:3]
	s_andn2_b64 s[2:3], s[62:63], exec
	s_and_b64 s[8:9], s[10:11], exec
	s_or_b64 s[62:63], s[2:3], s[8:9]
	s_andn2_b64 s[2:3], s[66:67], exec
	s_and_b64 s[8:9], s[26:27], exec
	s_or_b64 s[66:67], s[2:3], s[8:9]
	;; [unrolled: 3-line block ×3, first 2 shown]
	s_orn2_b64 s[0:1], s[18:19], exec
.LBB124_17:                             ;   in Loop: Header=BB124_18 Depth=1
	s_or_b64 exec, exec, s[16:17]
	s_and_b64 s[0:1], exec, s[0:1]
	s_or_b64 s[94:95], s[0:1], s[94:95]
	s_andn2_b64 s[0:1], s[98:99], exec
	s_and_b64 s[2:3], s[62:63], exec
	s_or_b64 s[98:99], s[0:1], s[2:3]
	s_andn2_b64 s[0:1], s[58:59], exec
	s_and_b64 s[2:3], s[66:67], exec
	s_or_b64 s[58:59], s[0:1], s[2:3]
	s_andn2_b64 s[0:1], s[96:97], exec
	s_and_b64 s[2:3], s[64:65], exec
	s_or_b64 s[96:97], s[0:1], s[2:3]
	v_mov_b64_e32 v[34:35], v[8:9]
	s_andn2_b64 exec, exec, s[94:95]
	s_cbranch_execz .LBB124_290
.LBB124_18:                             ; =>This Loop Header: Depth=1
                                        ;     Child Loop BB124_24 Depth 2
                                        ;     Child Loop BB124_38 Depth 2
                                        ;     Child Loop BB124_42 Depth 2
                                        ;     Child Loop BB124_77 Depth 2
                                        ;     Child Loop BB124_81 Depth 2
                                        ;     Child Loop BB124_66 Depth 2
                                        ;     Child Loop BB124_71 Depth 2
                                        ;     Child Loop BB124_59 Depth 2
                                        ;     Child Loop BB124_88 Depth 2
                                        ;     Child Loop BB124_102 Depth 2
                                        ;     Child Loop BB124_117 Depth 2
                                        ;     Child Loop BB124_147 Depth 2
                                        ;     Child Loop BB124_167 Depth 2
                                        ;     Child Loop BB124_198 Depth 2
                                        ;     Child Loop BB124_215 Depth 2
                                        ;     Child Loop BB124_245 Depth 2
                                        ;     Child Loop BB124_262 Depth 2
	ds_read_b128 v[4:7], v3 offset:5120
	s_waitcnt lgkmcnt(0)
	v_readfirstlane_b32 s13, v5
	v_readfirstlane_b32 s12, v4
	s_cmp_lg_u64 s[12:13], 0
	s_cbranch_scc1 .LBB124_51
; %bb.19:                               ;   in Loop: Header=BB124_18 Depth=1
	v_readlane_b32 s0, v62, 16
	v_readlane_b32 s1, v62, 17
	s_and_b64 vcc, exec, s[0:1]
	s_cbranch_vccz .LBB124_32
; %bb.20:                               ;   in Loop: Header=BB124_18 Depth=1
	s_mov_b64 s[0:1], 0x301
	v_cmp_gt_u64_e32 vcc, s[0:1], v[6:7]
	s_mov_b64 s[8:9], 0
	s_mov_b64 s[0:1], 0
	s_cbranch_vccz .LBB124_33
; %bb.21:                               ;   in Loop: Header=BB124_18 Depth=1
	s_mov_b64 s[10:11], exec
	v_readlane_b32 s0, v62, 10
	v_readlane_b32 s1, v62, 11
	s_and_b64 s[0:1], s[10:11], s[0:1]
	s_mov_b64 exec, s[0:1]
	s_cbranch_execz .LBB124_152
; %bb.22:                               ;   in Loop: Header=BB124_18 Depth=1
	global_load_ushort v6, v3, s[80:81]
	global_load_dword v8, v[12:13], off
	v_readlane_b32 s16, v62, 31
	v_mov_b64_e32 v[4:5], s[60:61]
	v_readlane_b32 s17, v62, 32
	s_mov_b64 s[12:13], 0
	s_waitcnt vmcnt(1)
	v_readfirstlane_b32 s0, v6
	s_and_b32 s0, 0xffff, s0
	s_nop 0
	v_add_u32_e32 v7, s0, v0
	s_mul_i32 s2, s17, s0
	s_mul_hi_u32 s3, s16, s0
	s_mul_i32 s14, s16, s0
	v_mad_u64_u32 v[4:5], s[0:1], s16, v7, v[4:5]
	v_and_b32_e32 v2, 0xffff, v6
	v_mov_b32_e32 v6, v5
	v_mad_u64_u32 v[6:7], s[0:1], s17, v7, v[6:7]
	s_add_i32 s15, s3, s2
	v_mov_b32_e32 v5, v6
	v_mov_b64_e32 v[6:7], v[0:1]
	s_branch .LBB124_24
.LBB124_23:                             ;   in Loop: Header=BB124_24 Depth=2
	s_or_b64 exec, exec, s[2:3]
	v_lshl_add_u64 v[4:5], v[4:5], 0, s[14:15]
	v_mov_b32_e32 v8, v9
	s_andn2_b64 exec, exec, s[12:13]
	s_cbranch_execz .LBB124_152
.LBB124_24:                             ;   Parent Loop BB124_18 Depth=1
                                        ; =>  This Inner Loop Header: Depth=2
	v_lshl_add_u64 v[6:7], v[6:7], 0, v[2:3]
	v_cmp_gt_u64_e64 s[0:1], s[56:57], v[6:7]
	v_cmp_le_u64_e32 vcc, s[56:57], v[6:7]
	s_waitcnt lgkmcnt(0)
	v_mov_b32_e32 v10, 0
	v_mov_b32_e32 v9, 0
	s_and_saveexec_b64 s[2:3], s[0:1]
	s_cbranch_execz .LBB124_26
; %bb.25:                               ;   in Loop: Header=BB124_24 Depth=2
	global_load_dword v9, v[4:5], off
.LBB124_26:                             ;   in Loop: Header=BB124_24 Depth=2
	s_or_b64 exec, exec, s[2:3]
	s_waitcnt vmcnt(0)
	v_cmp_lt_i32_e64 s[0:1], -1, v8
	s_nop 1
	v_cndmask_b32_e64 v11, -1, v45, s[0:1]
	v_xor_b32_e32 v11, v11, v8
	v_cmp_o_f32_e64 s[0:1], v8, v8
	s_nop 1
	v_cndmask_b32_e64 v11, -1, v11, s[0:1]
	v_and_b32_e32 v11, v11, v47
	v_cmp_eq_u32_e64 s[0:1], v11, v43
	s_cmp_lg_u64 s[0:1], 0
	s_cselect_b64 s[2:3], -1, 0
	s_and_b64 s[2:3], s[4:5], s[2:3]
	s_and_saveexec_b64 s[16:17], s[2:3]
	s_cbranch_execz .LBB124_30
; %bb.27:                               ;   in Loop: Header=BB124_24 Depth=2
	s_mov_b64 s[20:21], exec
	v_mbcnt_lo_u32_b32 v10, s20, 0
	v_mbcnt_hi_u32_b32 v10, s21, v10
	s_bcnt1_i32_b64 s22, s[0:1]
	v_cmp_eq_u32_e64 s[2:3], 0, v10
                                        ; implicit-def: $vgpr11
	s_and_saveexec_b64 s[18:19], s[2:3]
; %bb.28:                               ;   in Loop: Header=BB124_24 Depth=2
	s_bcnt1_i32_b64 s2, s[20:21]
	s_mul_i32 s2, s22, s2
	v_mov_b32_e32 v11, s2
	ds_add_rtn_u32 v11, v3, v11 offset:5144
; %bb.29:                               ;   in Loop: Header=BB124_24 Depth=2
	s_or_b64 exec, exec, s[18:19]
	s_waitcnt lgkmcnt(0)
	v_readfirstlane_b32 s2, v11
	s_nop 1
	v_mov_b32_e32 v11, s2
	v_mad_u32_u24 v10, s22, v10, v11
.LBB124_30:                             ;   in Loop: Header=BB124_24 Depth=2
	s_or_b64 exec, exec, s[16:17]
	ds_bpermute_b32 v10, v40, v10
	s_and_b64 s[2:3], exec, vcc
	s_or_b64 s[12:13], s[2:3], s[12:13]
	s_and_saveexec_b64 s[2:3], s[0:1]
	s_cbranch_execz .LBB124_23
; %bb.31:                               ;   in Loop: Header=BB124_24 Depth=2
	v_and_b32_e32 v31, s0, v16
	v_and_b32_e32 v11, s1, v17
	v_bcnt_u32_b32 v31, v31, 0
	v_bcnt_u32_b32 v11, v11, v31
	v_lshlrev_b32_e32 v11, 2, v11
	s_waitcnt lgkmcnt(0)
	v_lshl_add_u32 v10, v10, 2, v11
	ds_write_b32 v10, v8
	s_branch .LBB124_23
.LBB124_32:                             ;   in Loop: Header=BB124_18 Depth=1
	s_mov_b64 s[8:9], -1
	s_mov_b64 s[0:1], 0
.LBB124_33:                             ;   in Loop: Header=BB124_18 Depth=1
	s_and_b64 vcc, exec, s[8:9]
	s_cbranch_vccz .LBB124_49
.LBB124_34:                             ;   in Loop: Header=BB124_18 Depth=1
	s_mov_b64 s[0:1], exec
	v_readlane_b32 s2, v62, 10
	v_readlane_b32 s3, v62, 11
	s_and_b64 s[2:3], s[0:1], s[2:3]
	s_mov_b64 exec, s[2:3]
	s_cbranch_execz .LBB124_46
; %bb.35:                               ;   in Loop: Header=BB124_18 Depth=1
	global_load_ushort v2, v3, s[80:81]
	global_load_dword v10, v[12:13], off
	v_mov_b32_e32 v8, v0
	s_waitcnt vmcnt(1)
	v_readfirstlane_b32 s8, v2
	v_add_u32_sdwa v2, v2, v0 dst_sel:DWORD dst_unused:UNUSED_PAD src0_sel:WORD_0 src1_sel:DWORD
	v_cmp_gt_u64_e32 vcc, s[56:57], v[2:3]
	s_and_saveexec_b64 s[2:3], vcc
	s_cbranch_execz .LBB124_45
; %bb.36:                               ;   in Loop: Header=BB124_18 Depth=1
	s_and_b32 s76, s8, 0xffff
	s_cmp_eq_u32 s76, 1
	v_readlane_b32 s10, v62, 22
	s_cselect_b64 s[8:9], -1, 0
	v_readlane_b32 s11, v62, 23
	s_and_b64 s[12:13], s[10:11], s[8:9]
	s_mov_b64 s[10:11], -1
	v_mov_b64_e32 v[6:7], v[0:1]
	v_mov_b64_e32 v[4:5], v[2:3]
                                        ; implicit-def: $vgpr11
                                        ; implicit-def: $vgpr8_vgpr9
	s_and_saveexec_b64 s[8:9], s[12:13]
	s_cbranch_execz .LBB124_40
; %bb.37:                               ;   in Loop: Header=BB124_18 Depth=1
	v_lshl_add_u64 v[4:5], v[2:3], 0, 1
	v_mov_b64_e32 v[6:7], v[4:5]
	s_mov_b64 s[10:11], 0
	v_mov_b64_e32 v[8:9], v[18:19]
	v_mov_b32_e32 v31, v14
	v_mov_b64_e32 v[4:5], v[2:3]
.LBB124_38:                             ;   Parent Loop BB124_18 Depth=1
                                        ; =>  This Inner Loop Header: Depth=2
	v_mul_lo_u32 v52, v5, s68
	v_mul_lo_u32 v53, v4, s69
	v_mad_u64_u32 v[50:51], s[12:13], v4, s68, 0
	v_mul_lo_u32 v11, v7, s6
	v_mul_lo_u32 v32, v6, s55
	v_mad_u64_u32 v[36:37], s[12:13], v6, s6, 0
	v_add3_u32 v51, v51, v53, v52
	v_add3_u32 v37, v37, v32, v11
	v_lshl_add_u64 v[50:51], v[50:51], 2, s[60:61]
	v_lshl_add_u64 v[36:37], v[36:37], 2, s[60:61]
	global_load_dword v32, v[50:51], off
	global_load_dword v11, v[36:37], off
	v_lshl_add_u64 v[8:9], v[8:9], 0, -2
	v_cmp_eq_u64_e32 vcc, 0, v[8:9]
	v_lshl_add_u64 v[6:7], v[6:7], 0, 2
	v_lshl_add_u64 v[4:5], v[4:5], 0, 2
	s_or_b64 s[10:11], vcc, s[10:11]
	s_waitcnt vmcnt(1)
	ds_write2_b32 v31, v10, v32 offset1:1
	v_add_u32_e32 v31, 8, v31
	s_waitcnt vmcnt(0)
	v_mov_b32_e32 v10, v11
	s_andn2_b64 exec, exec, s[10:11]
	s_cbranch_execnz .LBB124_38
; %bb.39:                               ;   in Loop: Header=BB124_18 Depth=1
	s_or_b64 exec, exec, s[10:11]
	v_readlane_b32 s10, v62, 24
	v_lshl_add_u64 v[4:5], v[2:3], 0, v[18:19]
	v_readlane_b32 s11, v62, 25
	v_lshl_add_u64 v[8:9], v[4:5], 0, -1
	s_orn2_b64 s[10:11], s[10:11], exec
	v_mov_b32_e32 v10, v11
	v_mov_b64_e32 v[6:7], v[20:21]
.LBB124_40:                             ;   in Loop: Header=BB124_18 Depth=1
	s_or_b64 exec, exec, s[8:9]
	s_and_saveexec_b64 s[8:9], s[10:11]
	s_cbranch_execz .LBB124_44
; %bb.41:                               ;   in Loop: Header=BB124_18 Depth=1
	v_mov_b64_e32 v[8:9], s[60:61]
	v_readlane_b32 s16, v62, 31
	v_readlane_b32 s17, v62, 32
	s_sub_u32 s10, 0, s76
	v_mad_u64_u32 v[8:9], s[14:15], s16, v4, v[8:9]
	v_mul_lo_u32 v2, s16, v5
	v_mul_lo_u32 v7, s17, v4
	s_mul_i32 s14, s17, s76
	s_mul_hi_u32 s15, s16, s76
	s_mov_b64 s[12:13], 0
	s_subb_u32 s11, 0, 0
	v_add3_u32 v9, v7, v9, v2
	s_add_i32 s15, s15, s14
	s_mul_i32 s14, s16, s76
.LBB124_42:                             ;   Parent Loop BB124_18 Depth=1
                                        ; =>  This Inner Loop Header: Depth=2
	global_load_dword v11, v[8:9], off
	v_mov_b64_e32 v[36:37], v[4:5]
	v_lshl_add_u64 v[4:5], v[36:37], 0, s[76:77]
	v_lshlrev_b32_e32 v2, 2, v6
	v_cmp_le_u64_e32 vcc, s[56:57], v[4:5]
	v_lshl_add_u64 v[8:9], v[8:9], 0, s[14:15]
	s_waitcnt vmcnt(1)
	ds_write_b32 v2, v10
	v_mov_b64_e32 v[6:7], v[36:37]
	s_or_b64 s[12:13], vcc, s[12:13]
	s_waitcnt vmcnt(0)
	v_mov_b32_e32 v10, v11
	s_andn2_b64 exec, exec, s[12:13]
	s_cbranch_execnz .LBB124_42
; %bb.43:                               ;   in Loop: Header=BB124_18 Depth=1
	s_or_b64 exec, exec, s[12:13]
	v_lshl_add_u64 v[8:9], s[10:11], 0, v[4:5]
.LBB124_44:                             ;   in Loop: Header=BB124_18 Depth=1
	s_or_b64 exec, exec, s[8:9]
	s_waitcnt vmcnt(0)
	v_mov_b32_e32 v10, v11
.LBB124_45:                             ;   in Loop: Header=BB124_18 Depth=1
	s_or_b64 exec, exec, s[2:3]
	v_lshlrev_b32_e32 v2, 2, v8
	s_waitcnt vmcnt(0)
	ds_write_b32 v2, v10
.LBB124_46:                             ;   in Loop: Header=BB124_18 Depth=1
	s_or_b64 exec, exec, s[0:1]
	s_waitcnt lgkmcnt(0)
	s_barrier
	s_mov_b64 s[0:1], exec
	v_readlane_b32 s2, v62, 12
	v_readlane_b32 s3, v62, 13
	s_and_b64 s[2:3], s[0:1], s[2:3]
	s_mov_b64 exec, s[2:3]
; %bb.47:                               ;   in Loop: Header=BB124_18 Depth=1
	ds_write_b64 v3, v[48:49] offset:5120
; %bb.48:                               ;   in Loop: Header=BB124_18 Depth=1
	s_or_b64 exec, exec, s[0:1]
	s_mov_b64 s[0:1], -1
	s_waitcnt lgkmcnt(0)
	s_barrier
.LBB124_49:                             ;   in Loop: Header=BB124_18 Depth=1
	s_mov_b64 s[12:13], 0
	s_and_b64 vcc, exec, s[0:1]
	s_cbranch_vccz .LBB124_51
; %bb.50:                               ;   in Loop: Header=BB124_18 Depth=1
	ds_read_b64 v[4:5], v3 offset:5120
	s_waitcnt lgkmcnt(0)
	v_readfirstlane_b32 s12, v4
.LBB124_51:                             ;   in Loop: Header=BB124_18 Depth=1
	s_cmp_lt_i32 s12, 1
	s_mov_b64 s[0:1], -1
                                        ; implicit-def: $vgpr4_vgpr5
                                        ; implicit-def: $vgpr8_vgpr9
	s_cbranch_scc1 .LBB124_61
; %bb.52:                               ;   in Loop: Header=BB124_18 Depth=1
	s_and_b64 vcc, exec, s[0:1]
	s_cbranch_vccnz .LBB124_75
.LBB124_53:                             ;   in Loop: Header=BB124_18 Depth=1
	s_lshl_b32 s2, s84, 6
	s_and_saveexec_b64 s[0:1], s[4:5]
	s_cbranch_execz .LBB124_55
.LBB124_54:                             ;   in Loop: Header=BB124_18 Depth=1
	v_lshl_add_u32 v2, s2, 3, v41
	ds_write_b128 v2, v[4:7]
	ds_write_b128 v2, v[8:11] offset:16
.LBB124_55:                             ;   in Loop: Header=BB124_18 Depth=1
	s_or_b64 exec, exec, s[0:1]
	s_waitcnt lgkmcnt(0)
	s_barrier
	s_and_saveexec_b64 s[0:1], s[72:73]
	s_cbranch_execz .LBB124_90
; %bb.56:                               ;   in Loop: Header=BB124_18 Depth=1
	v_readlane_b32 s8, v62, 18
	v_readlane_b32 s9, v62, 19
	s_andn2_b64 vcc, exec, s[8:9]
	v_mov_b64_e32 v[4:5], 0
	s_cbranch_vccnz .LBB124_89
; %bb.57:                               ;   in Loop: Header=BB124_18 Depth=1
	v_readlane_b32 s8, v62, 26
	v_readlane_b32 s9, v62, 27
	s_andn2_b64 vcc, exec, s[8:9]
	s_cbranch_vccnz .LBB124_85
; %bb.58:                               ;   in Loop: Header=BB124_18 Depth=1
	v_lshl_add_u32 v2, s84, 9, v44
	v_mov_b64_e32 v[4:5], 0
	s_mov_b32 s3, 0
.LBB124_59:                             ;   Parent Loop BB124_18 Depth=1
                                        ; =>  This Inner Loop Header: Depth=2
	ds_read2_b64 v[6:9], v2 offset1:4
	ds_read2_b64 v[50:53], v2 offset0:8 offset1:12
	ds_read2_b64 v[54:57], v2 offset0:16 offset1:20
	;; [unrolled: 1-line block ×3, first 2 shown]
	s_add_i32 s3, s3, 8
	s_waitcnt lgkmcnt(3)
	v_lshl_add_u64 v[4:5], v[6:7], 0, v[4:5]
	v_lshl_add_u64 v[4:5], v[8:9], 0, v[4:5]
	s_waitcnt lgkmcnt(2)
	v_lshl_add_u64 v[4:5], v[50:51], 0, v[4:5]
	v_lshl_add_u64 v[4:5], v[52:53], 0, v[4:5]
	s_waitcnt lgkmcnt(1)
	v_lshl_add_u64 v[4:5], v[54:55], 0, v[4:5]
	v_lshl_add_u64 v[4:5], v[56:57], 0, v[4:5]
	s_waitcnt lgkmcnt(0)
	v_lshl_add_u64 v[4:5], v[58:59], 0, v[4:5]
	v_add_u32_e32 v2, 0x100, v2
	s_cmp_eq_u32 s7, s3
	v_lshl_add_u64 v[4:5], v[60:61], 0, v[4:5]
	s_cbranch_scc0 .LBB124_59
; %bb.60:                               ;   in Loop: Header=BB124_18 Depth=1
	s_mov_b32 s3, s7
	s_branch .LBB124_86
.LBB124_61:                             ;   in Loop: Header=BB124_18 Depth=1
	global_load_ushort v2, v3, s[80:81]
	s_mov_b32 s0, s77
	s_waitcnt vmcnt(0)
	v_readfirstlane_b32 s1, v2
	s_and_b32 s10, s1, 0xffff
	s_lshl_b32 s76, s10, 2
	s_mov_b32 s1, s57
	s_cmp_lg_u64 s[0:1], 0
	s_cbranch_scc0 .LBB124_84
; %bb.62:                               ;   in Loop: Header=BB124_18 Depth=1
	v_cvt_f32_u32_e32 v2, s76
	s_sub_u32 s2, 0, s76
	s_subb_u32 s3, 0, 0
	v_fmac_f32_e32 v2, 0, v46
	v_rcp_f32_e32 v2, v2
	s_nop 0
	v_mul_f32_e32 v2, 0x5f7ffffc, v2
	v_mul_f32_e32 v4, 0x2f800000, v2
	v_trunc_f32_e32 v4, v4
	v_fmac_f32_e32 v2, 0xcf800000, v4
	v_cvt_u32_f32_e32 v4, v4
	v_cvt_u32_f32_e32 v2, v2
	v_readfirstlane_b32 s8, v4
	v_readfirstlane_b32 s0, v2
	s_mul_i32 s1, s2, s8
	s_mul_hi_u32 s11, s2, s0
	s_mul_i32 s9, s3, s0
	s_add_i32 s1, s11, s1
	s_mul_i32 s13, s2, s0
	s_add_i32 s1, s1, s9
	s_mul_hi_u32 s11, s0, s13
	s_mul_i32 s14, s0, s1
	s_mul_hi_u32 s9, s0, s1
	s_add_u32 s11, s11, s14
	s_addc_u32 s9, 0, s9
	s_mul_hi_u32 s15, s8, s13
	s_mul_i32 s13, s8, s13
	s_add_u32 s11, s11, s13
	s_mul_hi_u32 s14, s8, s1
	s_addc_u32 s9, s9, s15
	s_addc_u32 s11, s14, 0
	s_mul_i32 s1, s8, s1
	s_add_u32 s1, s9, s1
	s_addc_u32 s9, 0, s11
	s_add_u32 s11, s0, s1
	s_cselect_b64 s[0:1], -1, 0
	s_cmp_lg_u64 s[0:1], 0
	s_addc_u32 s8, s8, s9
	s_mul_i32 s0, s2, s8
	s_mul_hi_u32 s1, s2, s11
	s_add_i32 s0, s1, s0
	s_mul_i32 s3, s3, s11
	s_add_i32 s0, s0, s3
	s_mul_i32 s2, s2, s11
	s_mul_hi_u32 s3, s8, s2
	s_mul_i32 s9, s8, s2
	s_mul_i32 s14, s11, s0
	s_mul_hi_u32 s2, s11, s2
	s_mul_hi_u32 s13, s11, s0
	s_add_u32 s2, s2, s14
	s_addc_u32 s13, 0, s13
	s_add_u32 s2, s2, s9
	s_mul_hi_u32 s1, s8, s0
	s_addc_u32 s2, s13, s3
	s_addc_u32 s1, s1, 0
	s_mul_i32 s0, s8, s0
	s_add_u32 s0, s2, s0
	s_addc_u32 s2, 0, s1
	s_add_u32 s3, s11, s0
	s_cselect_b64 s[0:1], -1, 0
	s_cmp_lg_u64 s[0:1], 0
	s_addc_u32 s0, s8, s2
	s_mul_i32 s2, s56, s0
	s_mul_hi_u32 s8, s56, s3
	s_mul_hi_u32 s1, s56, s0
	s_add_u32 s2, s8, s2
	s_addc_u32 s1, 0, s1
	s_mul_hi_u32 s9, s57, s3
	s_mul_i32 s3, s57, s3
	s_add_u32 s2, s2, s3
	s_mul_hi_u32 s8, s57, s0
	s_addc_u32 s1, s1, s9
	s_addc_u32 s2, s8, 0
	s_mul_i32 s0, s57, s0
	s_add_u32 s0, s1, s0
	s_addc_u32 s1, 0, s2
	s_mul_i32 s1, s76, s1
	s_mul_hi_u32 s2, s76, s0
	s_add_i32 s2, s2, s1
	s_mul_i32 s0, s76, s0
	s_sub_u32 s3, s56, s0
	s_cselect_b64 s[0:1], -1, 0
	s_cmp_lg_u64 s[0:1], 0
	s_subb_u32 s2, s57, s2
	s_sub_u32 s8, s3, s76
	s_cselect_b64 s[0:1], -1, 0
	s_cmp_lg_u64 s[0:1], 0
	s_subb_u32 s9, s2, 0
	;; [unrolled: 4-line block ×3, first 2 shown]
	s_cmp_ge_u32 s8, s76
	s_cselect_b32 s1, -1, 0
	s_cmp_eq_u32 s9, 0
	s_cselect_b32 s1, s1, -1
	s_cmp_lg_u32 s1, 0
	s_cselect_b32 s0, s0, s9
	s_cselect_b32 s8, s11, s8
	s_cmp_ge_u32 s3, s76
	s_cselect_b32 s1, -1, 0
	s_cmp_eq_u32 s2, 0
	s_cselect_b32 s1, s1, -1
	s_cmp_lg_u32 s1, 0
	s_cselect_b32 s1, s0, s2
	s_cselect_b32 s0, s8, s3
	s_cbranch_execnz .LBB124_64
.LBB124_63:                             ;   in Loop: Header=BB124_18 Depth=1
	v_cvt_f32_u32_e32 v2, s76
	s_sub_i32 s0, 0, s76
	v_rcp_iflag_f32_e32 v2, v2
	s_nop 0
	v_mul_f32_e32 v2, 0x4f7ffffe, v2
	v_cvt_u32_f32_e32 v2, v2
	s_nop 0
	v_readfirstlane_b32 s1, v2
	s_mul_i32 s0, s0, s1
	s_mul_hi_u32 s0, s1, s0
	s_add_i32 s1, s1, s0
	s_mul_hi_u32 s0, s56, s1
	s_mul_i32 s0, s0, s76
	s_sub_i32 s0, s56, s0
	s_sub_i32 s1, s0, s76
	s_cmp_ge_u32 s0, s76
	s_cselect_b32 s0, s1, s0
	s_sub_i32 s1, s0, s76
	s_cmp_ge_u32 s0, s76
	s_cselect_b32 s0, s1, s0
	s_mov_b32 s1, s77
.LBB124_64:                             ;   in Loop: Header=BB124_18 Depth=1
	s_sub_u32 s86, s56, s0
	s_subb_u32 s87, s57, s1
	s_mov_b32 s11, s77
	v_cmp_gt_u64_e32 vcc, s[86:87], v[14:15]
	v_mov_b64_e32 v[4:5], 0
	v_mov_b64_e32 v[6:7], 0
	;; [unrolled: 1-line block ×4, first 2 shown]
	s_and_saveexec_b64 s[88:89], vcc
	s_cbranch_execz .LBB124_68
; %bb.65:                               ;   in Loop: Header=BB124_18 Depth=1
	s_mul_i32 s0, s93, s10
	s_mul_hi_u32 s1, s92, s10
	s_add_i32 s13, s1, s0
	s_mov_b64 s[14:15], 0
	s_mov_b64 s[72:73], s[60:61]
	;; [unrolled: 1-line block ×6, first 2 shown]
	v_mov_b64_e32 v[36:37], v[14:15]
.LBB124_66:                             ;   Parent Loop BB124_18 Depth=1
                                        ; =>  This Inner Loop Header: Depth=2
	v_lshl_add_u64 v[4:5], s[72:73], 0, v[28:29]
	v_lshl_add_u64 v[6:7], s[72:73], 0, v[26:27]
	;; [unrolled: 1-line block ×4, first 2 shown]
	global_load_dword v2, v[4:5], off
	s_nop 0
	global_load_dword v4, v[6:7], off
	global_load_dword v5, v[8:9], off
	s_nop 0
	global_load_dword v6, v[10:11], off
	s_mul_i32 s82, s92, s10
	v_lshl_add_u64 v[36:37], v[36:37], 0, s[76:77]
	v_cmp_le_u64_e32 vcc, s[86:87], v[36:37]
	s_waitcnt vmcnt(3)
	v_cmp_lt_i32_e64 s[0:1], -1, v2
	s_nop 1
	v_cndmask_b32_e64 v7, -1, v45, s[0:1]
	s_waitcnt vmcnt(2)
	v_cmp_lt_i32_e64 s[0:1], -1, v4
	s_waitcnt vmcnt(1)
	v_cmp_o_f32_e64 s[2:3], v5, v5
	s_waitcnt vmcnt(0)
	v_cmp_o_f32_e64 s[16:17], v6, v6
	v_cndmask_b32_e64 v8, -1, v45, s[0:1]
	v_cmp_lt_i32_e64 s[0:1], -1, v5
	v_xor_b32_e32 v8, v8, v4
	v_cmp_o_f32_e64 s[18:19], v2, v2
	v_cndmask_b32_e64 v9, -1, v45, s[0:1]
	v_cmp_lt_i32_e64 s[0:1], -1, v6
	s_nop 1
	v_cndmask_b32_e64 v10, -1, v45, s[0:1]
	v_cmp_o_f32_e64 s[0:1], v4, v4
	v_xor_b32_e32 v4, v9, v5
	v_xor_b32_e32 v5, v10, v6
	;; [unrolled: 1-line block ×3, first 2 shown]
	v_cndmask_b32_e64 v2, -1, v6, s[18:19]
	v_cndmask_b32_e64 v6, -1, v8, s[0:1]
	v_and_b32_e32 v7, v2, v47
	v_bfe_u32 v2, v2, s79, 2
	v_cndmask_b32_e64 v4, -1, v4, s[2:3]
	v_and_b32_e32 v8, v6, v47
	v_bfe_u32 v6, v6, s79, 2
	v_cmp_eq_u32_e64 s[0:1], v7, v43
	v_cmp_eq_u32_e64 s[20:21], 0, v2
	v_cndmask_b32_e64 v5, -1, v5, s[16:17]
	v_and_b32_e32 v9, v4, v47
	v_bfe_u32 v4, v4, s79, 2
	v_cmp_eq_u32_e64 s[2:3], v8, v43
	v_cmp_eq_u32_e64 s[24:25], 0, v6
	s_and_b64 s[20:21], s[0:1], s[20:21]
	v_and_b32_e32 v10, v5, v47
	v_bfe_u32 v5, v5, s79, 2
	v_cmp_eq_u32_e64 s[16:17], v9, v43
	v_cmp_eq_u32_e64 s[26:27], 0, v4
	;; [unrolled: 1-line block ×5, first 2 shown]
	v_cndmask_b32_e64 v2, 0, 1, s[20:21]
	s_and_b64 s[20:21], s[2:3], s[24:25]
	v_cmp_eq_u32_e64 s[18:19], v10, v43
	v_cmp_eq_u32_e64 s[28:29], 0, v5
	v_cmp_eq_u32_e64 s[36:37], 1, v4
	v_cmp_eq_u32_e64 s[44:45], 2, v4
	v_cmp_eq_u32_e64 s[52:53], 3, v4
	v_cndmask_b32_e64 v4, 0, 1, s[20:21]
	s_and_b64 s[20:21], s[16:17], s[26:27]
	v_cmp_eq_u32_e64 s[38:39], 1, v5
	v_cmp_eq_u32_e64 s[46:47], 2, v5
	;; [unrolled: 1-line block ×3, first 2 shown]
	v_cndmask_b32_e64 v5, 0, 1, s[20:21]
	s_and_b64 s[20:21], s[18:19], s[28:29]
	v_cmp_eq_u32_e64 s[34:35], 1, v6
	v_cmp_eq_u32_e64 s[42:43], 2, v6
	;; [unrolled: 1-line block ×3, first 2 shown]
	v_cndmask_b32_e64 v6, 0, 1, s[20:21]
	v_cmp_ne_u32_e64 s[20:21], 0, v2
	v_cmp_ne_u32_e64 s[24:25], 0, v4
	v_cmp_ne_u32_e64 s[26:27], 0, v5
	v_cmp_ne_u32_e64 s[28:29], 0, v6
	s_bcnt1_i32_b64 s20, s[20:21]
	s_bcnt1_i32_b64 s21, s[24:25]
	s_bcnt1_i32_b64 s24, s[26:27]
	s_bcnt1_i32_b64 s25, s[28:29]
	s_add_u32 s20, s20, s80
	s_addc_u32 s26, 0, s81
	s_add_u32 s20, s20, s21
	s_addc_u32 s21, s26, 0
	s_add_u32 s20, s20, s24
	s_addc_u32 s21, s21, 0
	s_add_u32 s80, s20, s25
	s_addc_u32 s81, s21, 0
	s_and_b64 s[20:21], s[0:1], s[30:31]
	v_cndmask_b32_e64 v2, 0, 1, s[20:21]
	s_and_b64 s[20:21], s[2:3], s[34:35]
	v_cndmask_b32_e64 v6, 0, 1, s[20:21]
	s_and_b64 s[20:21], s[16:17], s[36:37]
	v_cndmask_b32_e64 v7, 0, 1, s[20:21]
	s_and_b64 s[20:21], s[18:19], s[38:39]
	v_cndmask_b32_e64 v8, 0, 1, s[20:21]
	v_cmp_ne_u32_e64 s[20:21], 0, v2
	v_cmp_ne_u32_e64 s[24:25], 0, v6
	v_cmp_ne_u32_e64 s[26:27], 0, v7
	v_cmp_ne_u32_e64 s[28:29], 0, v8
	s_bcnt1_i32_b64 s20, s[20:21]
	s_bcnt1_i32_b64 s21, s[24:25]
	s_bcnt1_i32_b64 s24, s[26:27]
	s_bcnt1_i32_b64 s25, s[28:29]
	s_add_u32 s20, s20, s22
	s_addc_u32 s22, 0, s23
	s_add_u32 s20, s20, s21
	s_addc_u32 s21, s22, 0
	s_add_u32 s20, s20, s24
	s_addc_u32 s21, s21, 0
	s_add_u32 s22, s20, s25
	s_addc_u32 s23, s21, 0
	s_and_b64 s[20:21], s[0:1], s[40:41]
	v_cndmask_b32_e64 v2, 0, 1, s[20:21]
	s_and_b64 s[20:21], s[2:3], s[42:43]
	v_cndmask_b32_e64 v8, 0, 1, s[20:21]
	s_and_b64 s[20:21], s[16:17], s[44:45]
	v_cndmask_b32_e64 v9, 0, 1, s[20:21]
	s_and_b64 s[20:21], s[18:19], s[46:47]
	;; [unrolled: 24-line block ×3, first 2 shown]
	v_cndmask_b32_e64 v31, 0, 1, s[0:1]
	v_cmp_ne_u32_e64 s[0:1], 0, v2
	v_cmp_ne_u32_e64 s[2:3], 0, v10
	;; [unrolled: 1-line block ×4, first 2 shown]
	s_bcnt1_i32_b64 s0, s[0:1]
	s_bcnt1_i32_b64 s1, s[2:3]
	;; [unrolled: 1-line block ×4, first 2 shown]
	s_add_u32 s0, s0, s8
	s_addc_u32 s8, 0, s9
	s_add_u32 s0, s0, s1
	s_addc_u32 s1, s8, 0
	;; [unrolled: 2-line block ×5, first 2 shown]
	v_mov_b64_e32 v[4:5], s[80:81]
	v_mov_b64_e32 v[6:7], s[22:23]
	;; [unrolled: 1-line block ×3, first 2 shown]
	s_or_b64 s[14:15], vcc, s[14:15]
	v_mov_b64_e32 v[10:11], s[8:9]
	s_andn2_b64 exec, exec, s[14:15]
	s_cbranch_execnz .LBB124_66
; %bb.67:                               ;   in Loop: Header=BB124_18 Depth=1
	s_or_b64 exec, exec, s[14:15]
	v_readlane_b32 s72, v62, 33
	v_readlane_b32 s80, v62, 35
	;; [unrolled: 1-line block ×4, first 2 shown]
	s_mov_b32 s55, s85
.LBB124_68:                             ;   in Loop: Header=BB124_18 Depth=1
	s_or_b64 exec, exec, s[88:89]
	v_lshl_add_u64 v[36:37], s[86:87], 0, v[0:1]
	v_cmp_gt_u64_e32 vcc, s[56:57], v[36:37]
	s_and_saveexec_b64 s[2:3], vcc
	s_cbranch_execz .LBB124_74
; %bb.69:                               ;   in Loop: Header=BB124_18 Depth=1
	v_mul_lo_u32 v2, v37, s68
	v_mul_lo_u32 v31, v36, s69
	v_mad_u64_u32 v[50:51], s[0:1], v36, s68, 0
	v_add3_u32 v51, v51, v31, v2
	v_lshl_add_u64 v[50:51], v[50:51], 2, s[60:61]
	global_load_dword v31, v[50:51], off
	s_mov_b64 s[8:9], 0
	s_branch .LBB124_71
.LBB124_70:                             ;   in Loop: Header=BB124_71 Depth=2
	s_or_b64 exec, exec, s[14:15]
	s_and_b64 s[0:1], exec, vcc
	s_waitcnt vmcnt(0)
	v_cmp_lt_i32_e32 vcc, -1, v31
	s_or_b64 s[8:9], s[0:1], s[8:9]
	s_nop 0
	v_cndmask_b32_e32 v32, -1, v45, vcc
	v_xor_b32_e32 v32, v32, v31
	v_cmp_o_f32_e32 vcc, v31, v31
	s_nop 1
	v_cndmask_b32_e32 v31, -1, v32, vcc
	v_and_b32_e32 v32, v31, v47
	v_bfe_u32 v31, v31, s79, 2
	v_cmp_eq_u32_e32 vcc, v32, v43
	v_cmp_eq_u32_e64 s[0:1], 0, v31
	s_and_b64 s[0:1], vcc, s[0:1]
	s_nop 0
	v_cndmask_b32_e64 v32, 0, 1, s[0:1]
	v_cmp_ne_u32_e64 s[0:1], 0, v32
	s_bcnt1_i32_b64 s76, s[0:1]
	v_cmp_eq_u32_e64 s[0:1], 1, v31
	s_and_b64 s[0:1], vcc, s[0:1]
	v_lshl_add_u64 v[4:5], s[76:77], 0, v[4:5]
	v_cndmask_b32_e64 v32, 0, 1, s[0:1]
	v_cmp_ne_u32_e64 s[0:1], 0, v32
	s_bcnt1_i32_b64 s76, s[0:1]
	v_cmp_eq_u32_e64 s[0:1], 2, v31
	s_and_b64 s[0:1], vcc, s[0:1]
	v_lshl_add_u64 v[6:7], s[76:77], 0, v[6:7]
	v_cndmask_b32_e64 v32, 0, 1, s[0:1]
	v_cmp_ne_u32_e64 s[0:1], 0, v32
	s_bcnt1_i32_b64 s76, s[0:1]
	v_cmp_eq_u32_e64 s[0:1], 3, v31
	s_and_b64 s[0:1], vcc, s[0:1]
	v_lshl_add_u64 v[8:9], s[76:77], 0, v[8:9]
	v_cndmask_b32_e64 v31, 0, 1, s[0:1]
	v_cmp_ne_u32_e32 vcc, 0, v31
	s_bcnt1_i32_b64 s76, vcc
	v_lshl_add_u64 v[10:11], s[76:77], 0, v[10:11]
	v_mov_b32_e32 v31, v2
	s_andn2_b64 exec, exec, s[8:9]
	s_cbranch_execz .LBB124_73
.LBB124_71:                             ;   Parent Loop BB124_18 Depth=1
                                        ; =>  This Inner Loop Header: Depth=2
	v_lshl_add_u64 v[36:37], v[36:37], 0, s[10:11]
	v_cmp_gt_u64_e64 s[0:1], s[56:57], v[36:37]
	v_cmp_le_u64_e32 vcc, s[56:57], v[36:37]
	v_mov_b32_e32 v2, 0
	s_and_saveexec_b64 s[14:15], s[0:1]
	s_cbranch_execz .LBB124_70
; %bb.72:                               ;   in Loop: Header=BB124_71 Depth=2
	v_mul_lo_u32 v2, v37, s68
	v_mul_lo_u32 v32, v36, s69
	v_mad_u64_u32 v[50:51], s[0:1], v36, s68, 0
	v_add3_u32 v51, v51, v32, v2
	v_lshl_add_u64 v[50:51], v[50:51], 2, s[60:61]
	global_load_dword v2, v[50:51], off
	s_branch .LBB124_70
.LBB124_73:                             ;   in Loop: Header=BB124_18 Depth=1
	s_or_b64 exec, exec, s[8:9]
.LBB124_74:                             ;   in Loop: Header=BB124_18 Depth=1
	s_or_b64 exec, exec, s[2:3]
	s_branch .LBB124_53
.LBB124_75:                             ;   in Loop: Header=BB124_18 Depth=1
	global_load_ushort v2, v3, s[80:81]
	v_mov_b64_e32 v[8:9], 0
	s_waitcnt vmcnt(0)
	v_readfirstlane_b32 s0, v2
	s_and_b32 s0, 0xffff, s0
	s_lshl_b32 s10, s0, 2
	v_cvt_f32_u32_e32 v4, s10
	s_sub_i32 s1, 0, s10
	v_rcp_iflag_f32_e32 v6, v4
	v_mov_b64_e32 v[4:5], 0
	v_mul_f32_e32 v6, 0x4f7ffffe, v6
	v_cvt_u32_f32_e32 v10, v6
	v_mov_b64_e32 v[6:7], 0
	v_readfirstlane_b32 s2, v10
	s_mul_i32 s1, s1, s2
	s_mul_hi_u32 s1, s2, s1
	s_add_i32 s2, s2, s1
	s_mul_hi_u32 s1, s12, s2
	s_mul_i32 s2, s1, s10
	s_sub_i32 s2, s12, s2
	s_add_i32 s3, s1, 1
	s_sub_i32 s8, s2, s10
	s_cmp_ge_u32 s2, s10
	s_cselect_b32 s1, s3, s1
	s_cselect_b32 s2, s8, s2
	s_add_i32 s3, s1, 1
	s_cmp_ge_u32 s2, s10
	s_cselect_b32 s1, s3, s1
	s_mul_hi_u32 s9, s0, s1
	s_mul_i32 s8, s0, s1
	s_lshl_b64 s[14:15], s[8:9], 2
	v_cmp_gt_u64_e32 vcc, s[14:15], v[14:15]
	v_mov_b64_e32 v[10:11], 0
	s_and_saveexec_b64 s[22:23], vcc
	s_cbranch_execz .LBB124_79
; %bb.76:                               ;   in Loop: Header=BB124_18 Depth=1
	s_mov_b32 s11, s77
	s_mov_b32 s9, s79
	s_lshl_b32 s13, s0, 4
	s_mov_b64 s[72:73], 0
	v_mov_b32_e32 v31, v42
	s_mov_b64 s[80:81], 0
	s_mov_b64 s[90:91], 0
	;; [unrolled: 1-line block ×4, first 2 shown]
	v_mov_b64_e32 v[36:37], v[14:15]
.LBB124_77:                             ;   Parent Loop BB124_18 Depth=1
                                        ; =>  This Inner Loop Header: Depth=2
	ds_read_b128 v[4:7], v31
	v_lshl_add_u64 v[36:37], v[36:37], 0, s[10:11]
	v_cmp_le_u64_e32 vcc, s[14:15], v[36:37]
	v_add_u32_e32 v31, s13, v31
	s_waitcnt lgkmcnt(0)
	v_cmp_lt_i32_e64 s[0:1], -1, v5
	v_cmp_o_f32_e64 s[2:3], v6, v6
	s_nop 0
	v_cndmask_b32_e64 v8, -1, v45, s[0:1]
	v_cmp_lt_i32_e64 s[0:1], -1, v4
	v_cmp_o_f32_e64 s[16:17], v7, v7
	v_cmp_o_f32_e64 s[18:19], v5, v5
	v_cndmask_b32_e64 v9, -1, v45, s[0:1]
	v_cmp_lt_i32_e64 s[0:1], -1, v7
	v_xor_b32_e32 v9, v9, v4
	s_nop 0
	v_cndmask_b32_e64 v10, -1, v45, s[0:1]
	v_cmp_lt_i32_e64 s[0:1], -1, v6
	s_nop 1
	v_cndmask_b32_e64 v11, -1, v45, s[0:1]
	v_cmp_o_f32_e64 s[0:1], v4, v4
	v_xor_b32_e32 v4, v11, v6
	v_xor_b32_e32 v6, v10, v7
	;; [unrolled: 1-line block ×3, first 2 shown]
	v_cndmask_b32_e64 v5, -1, v7, s[18:19]
	v_cndmask_b32_e64 v7, -1, v9, s[0:1]
	v_and_b32_e32 v8, v7, v47
	v_lshrrev_b32_e32 v7, s79, v7
	v_cndmask_b32_e64 v4, -1, v4, s[2:3]
	v_and_b32_e32 v9, v5, v47
	v_lshrrev_b32_e32 v5, s9, v5
	v_and_b32_e32 v7, 3, v7
	v_and_b32_e32 v10, v4, v47
	v_lshrrev_b32_e32 v4, s79, v4
	v_cmp_eq_u32_e64 s[2:3], v8, v43
	v_and_b32_e32 v5, 3, v5
	v_cmp_eq_u32_e64 s[26:27], 0, v7
	v_cmp_eq_u32_e64 s[24:25], v9, v43
	v_and_b32_e32 v4, 3, v4
	v_cmp_eq_u32_e64 s[28:29], 0, v5
	s_and_b64 s[26:27], s[2:3], s[26:27]
	v_cmp_eq_u32_e64 s[44:45], 0, v4
	v_cmp_eq_u32_e64 s[48:49], 1, v4
	;; [unrolled: 1-line block ×4, first 2 shown]
	v_cndmask_b32_e64 v4, 0, 1, s[26:27]
	s_and_b64 s[26:27], s[24:25], s[28:29]
	v_cmp_eq_u32_e64 s[34:35], 1, v5
	v_cmp_eq_u32_e64 s[38:39], 2, v5
	v_cmp_eq_u32_e64 s[40:41], 3, v5
	v_cndmask_b32_e64 v5, 0, 1, s[26:27]
	v_cmp_ne_u32_e64 s[26:27], 0, v4
	v_cmp_ne_u32_e64 s[28:29], 0, v5
	s_bcnt1_i32_b64 s26, s[26:27]
	s_bcnt1_i32_b64 s27, s[28:29]
	s_add_u32 s26, s26, s86
	s_addc_u32 s28, 0, s87
	v_cmp_eq_u32_e64 s[30:31], 1, v7
	s_add_u32 s76, s26, s27
	s_addc_u32 s82, s28, 0
	s_and_b64 s[26:27], s[2:3], s[30:31]
	v_cndmask_b32_e64 v4, 0, 1, s[26:27]
	s_and_b64 s[26:27], s[24:25], s[34:35]
	v_cndmask_b32_e64 v5, 0, 1, s[26:27]
	v_cmp_ne_u32_e64 s[26:27], 0, v4
	v_cmp_ne_u32_e64 s[28:29], 0, v5
	s_bcnt1_i32_b64 s26, s[26:27]
	s_bcnt1_i32_b64 s27, s[28:29]
	s_add_u32 s26, s26, s88
	s_addc_u32 s28, 0, s89
	v_cmp_eq_u32_e64 s[36:37], 2, v7
	s_add_u32 s30, s26, s27
	s_addc_u32 s31, s28, 0
	s_and_b64 s[26:27], s[2:3], s[36:37]
	v_cndmask_b32_e64 v4, 0, 1, s[26:27]
	s_and_b64 s[26:27], s[24:25], s[38:39]
	v_cndmask_b32_e64 v5, 0, 1, s[26:27]
	v_cmp_ne_u32_e64 s[26:27], 0, v4
	v_cmp_ne_u32_e64 s[28:29], 0, v5
	s_bcnt1_i32_b64 s26, s[26:27]
	s_bcnt1_i32_b64 s27, s[28:29]
	v_cndmask_b32_e64 v6, -1, v6, s[16:17]
	s_add_u32 s26, s26, s90
	v_and_b32_e32 v11, v6, v47
	v_lshrrev_b32_e32 v6, s9, v6
	s_addc_u32 s28, 0, s91
	v_cmp_eq_u32_e64 s[16:17], v10, v43
	v_and_b32_e32 v6, 3, v6
	s_add_u32 s34, s26, s27
	v_cmp_eq_u32_e64 s[0:1], v11, v43
	v_cmp_eq_u32_e64 s[42:43], 3, v7
	;; [unrolled: 1-line block ×3, first 2 shown]
	s_addc_u32 s35, s28, 0
	s_and_b64 s[26:27], s[16:17], s[44:45]
	v_cndmask_b32_e64 v4, 0, 1, s[26:27]
	s_and_b64 s[26:27], s[0:1], s[46:47]
	s_and_b64 s[2:3], s[2:3], s[42:43]
	v_cmp_eq_u32_e64 s[50:51], 1, v6
	v_cmp_eq_u32_e64 s[54:55], 2, v6
	;; [unrolled: 1-line block ×3, first 2 shown]
	v_cndmask_b32_e64 v5, 0, 1, s[26:27]
	v_cndmask_b32_e64 v6, 0, 1, s[2:3]
	s_and_b64 s[2:3], s[24:25], s[40:41]
	v_cndmask_b32_e64 v7, 0, 1, s[2:3]
	v_cmp_ne_u32_e64 s[2:3], 0, v4
	v_cmp_ne_u32_e64 s[24:25], 0, v5
	s_bcnt1_i32_b64 s2, s[2:3]
	s_bcnt1_i32_b64 s3, s[24:25]
	s_add_u32 s2, s76, s2
	s_addc_u32 s24, s82, 0
	s_add_u32 s86, s2, s3
	s_addc_u32 s87, s24, 0
	s_and_b64 s[2:3], s[16:17], s[48:49]
	v_cmp_ne_u32_e64 s[26:27], 0, v6
	v_cndmask_b32_e64 v6, 0, 1, s[2:3]
	s_and_b64 s[2:3], s[0:1], s[50:51]
	v_cmp_ne_u32_e64 s[28:29], 0, v7
	v_cndmask_b32_e64 v7, 0, 1, s[2:3]
	v_cmp_ne_u32_e64 s[2:3], 0, v6
	v_cmp_ne_u32_e64 s[24:25], 0, v7
	s_bcnt1_i32_b64 s2, s[2:3]
	s_bcnt1_i32_b64 s3, s[24:25]
	s_add_u32 s2, s30, s2
	s_addc_u32 s24, s31, 0
	s_add_u32 s88, s2, s3
	s_addc_u32 s89, s24, 0
	s_and_b64 s[2:3], s[16:17], s[52:53]
	v_cndmask_b32_e64 v8, 0, 1, s[2:3]
	s_and_b64 s[2:3], s[0:1], s[54:55]
	v_cndmask_b32_e64 v9, 0, 1, s[2:3]
	v_cmp_ne_u32_e64 s[2:3], 0, v8
	v_cmp_ne_u32_e64 s[24:25], 0, v9
	s_bcnt1_i32_b64 s2, s[2:3]
	s_bcnt1_i32_b64 s3, s[24:25]
	s_add_u32 s2, s34, s2
	s_addc_u32 s24, s35, 0
	s_add_u32 s90, s2, s3
	s_addc_u32 s91, s24, 0
	s_and_b64 s[2:3], s[16:17], s[20:21]
	s_and_b64 s[0:1], s[0:1], s[18:19]
	v_cndmask_b32_e64 v10, 0, 1, s[2:3]
	v_cndmask_b32_e64 v11, 0, 1, s[0:1]
	v_cmp_ne_u32_e64 s[0:1], 0, v10
	v_cmp_ne_u32_e64 s[2:3], 0, v11
	s_bcnt1_i32_b64 s24, s[26:27]
	s_bcnt1_i32_b64 s25, s[28:29]
	;; [unrolled: 1-line block ×4, first 2 shown]
	s_add_u32 s2, s24, s80
	s_addc_u32 s3, 0, s81
	s_add_u32 s2, s2, s25
	s_addc_u32 s3, s3, 0
	;; [unrolled: 2-line block ×4, first 2 shown]
	v_mov_b64_e32 v[4:5], s[86:87]
	v_mov_b64_e32 v[6:7], s[88:89]
	;; [unrolled: 1-line block ×3, first 2 shown]
	s_or_b64 s[72:73], vcc, s[72:73]
	v_mov_b64_e32 v[10:11], s[80:81]
	s_andn2_b64 exec, exec, s[72:73]
	s_cbranch_execnz .LBB124_77
; %bb.78:                               ;   in Loop: Header=BB124_18 Depth=1
	s_or_b64 exec, exec, s[72:73]
	v_readlane_b32 s72, v62, 33
	v_readlane_b32 s80, v62, 35
	;; [unrolled: 1-line block ×4, first 2 shown]
	s_mov_b32 s55, s85
.LBB124_79:                             ;   in Loop: Header=BB124_18 Depth=1
	s_or_b64 exec, exec, s[22:23]
	s_bitset0_b32 s12, 31
	s_mov_b32 s13, s77
	v_lshl_add_u64 v[36:37], s[14:15], 0, v[0:1]
	v_and_b32_e32 v2, 0xffff, v2
	v_cmp_gt_u64_e32 vcc, s[12:13], v[36:37]
	s_and_saveexec_b64 s[14:15], vcc
	s_cbranch_execz .LBB124_83
; %bb.80:                               ;   in Loop: Header=BB124_18 Depth=1
	v_lshl_add_u32 v31, s8, 4, v14
	s_mov_b64 s[8:9], 0
.LBB124_81:                             ;   Parent Loop BB124_18 Depth=1
                                        ; =>  This Inner Loop Header: Depth=2
	ds_read_b32 v32, v31
	v_lshl_add_u64 v[36:37], v[36:37], 0, v[2:3]
	v_cmp_le_u64_e32 vcc, s[12:13], v[36:37]
	v_add_u32_e32 v31, s10, v31
	s_waitcnt lgkmcnt(0)
	v_cmp_lt_i32_e64 s[0:1], -1, v32
	s_nop 1
	v_cndmask_b32_e64 v50, -1, v45, s[0:1]
	v_xor_b32_e32 v50, v50, v32
	v_cmp_o_f32_e64 s[0:1], v32, v32
	s_nop 1
	v_cndmask_b32_e64 v32, -1, v50, s[0:1]
	v_and_b32_e32 v50, v32, v47
	v_bfe_u32 v32, v32, s79, 2
	v_cmp_eq_u32_e64 s[0:1], v50, v43
	v_cmp_eq_u32_e64 s[2:3], 0, v32
	v_cmp_eq_u32_e64 s[16:17], 1, v32
	s_and_b64 s[2:3], s[0:1], s[2:3]
	v_cmp_eq_u32_e64 s[18:19], 2, v32
	v_cmp_eq_u32_e64 s[20:21], 3, v32
	v_cndmask_b32_e64 v32, 0, 1, s[2:3]
	s_and_b64 s[2:3], s[0:1], s[16:17]
	v_cndmask_b32_e64 v50, 0, 1, s[2:3]
	s_and_b64 s[2:3], s[0:1], s[18:19]
	s_and_b64 s[0:1], s[0:1], s[20:21]
	v_cndmask_b32_e64 v52, 0, 1, s[0:1]
	v_cmp_ne_u32_e64 s[0:1], 0, v32
	v_cndmask_b32_e64 v51, 0, 1, s[2:3]
	v_cmp_ne_u32_e64 s[2:3], 0, v50
	s_bcnt1_i32_b64 s76, s[0:1]
	v_cmp_ne_u32_e64 s[16:17], 0, v51
	v_lshl_add_u64 v[4:5], s[76:77], 0, v[4:5]
	s_bcnt1_i32_b64 s76, s[2:3]
	v_cmp_ne_u32_e64 s[18:19], 0, v52
	v_lshl_add_u64 v[6:7], s[76:77], 0, v[6:7]
	s_bcnt1_i32_b64 s76, s[16:17]
	v_lshl_add_u64 v[8:9], s[76:77], 0, v[8:9]
	s_bcnt1_i32_b64 s76, s[18:19]
	s_or_b64 s[8:9], vcc, s[8:9]
	v_lshl_add_u64 v[10:11], s[76:77], 0, v[10:11]
	s_andn2_b64 exec, exec, s[8:9]
	s_cbranch_execnz .LBB124_81
; %bb.82:                               ;   in Loop: Header=BB124_18 Depth=1
	s_or_b64 exec, exec, s[8:9]
.LBB124_83:                             ;   in Loop: Header=BB124_18 Depth=1
	s_or_b64 exec, exec, s[14:15]
	s_lshl_b32 s2, s84, 6
	s_and_saveexec_b64 s[0:1], s[4:5]
	s_cbranch_execnz .LBB124_54
	s_branch .LBB124_55
.LBB124_84:                             ;   in Loop: Header=BB124_18 Depth=1
                                        ; implicit-def: $sgpr0_sgpr1
	s_branch .LBB124_63
.LBB124_85:                             ;   in Loop: Header=BB124_18 Depth=1
	s_mov_b32 s3, 0
	v_mov_b64_e32 v[4:5], 0
.LBB124_86:                             ;   in Loop: Header=BB124_18 Depth=1
	v_readlane_b32 s8, v62, 29
	v_readlane_b32 s9, v62, 30
	s_andn2_b64 vcc, exec, s[8:9]
	s_cbranch_vccnz .LBB124_89
; %bb.87:                               ;   in Loop: Header=BB124_18 Depth=1
	s_lshl_b32 s8, s84, 9
	s_lshl_b32 s3, s3, 5
	s_add_i32 s8, s8, s3
	v_add_u32_e32 v2, s8, v44
	v_readlane_b32 s3, v62, 28
.LBB124_88:                             ;   Parent Loop BB124_18 Depth=1
                                        ; =>  This Inner Loop Header: Depth=2
	ds_read_b64 v[6:7], v2
	s_add_i32 s3, s3, -1
	v_add_u32_e32 v2, 32, v2
	s_cmp_lg_u32 s3, 0
	s_waitcnt lgkmcnt(0)
	v_lshl_add_u64 v[4:5], v[6:7], 0, v[4:5]
	s_cbranch_scc1 .LBB124_88
.LBB124_89:                             ;   in Loop: Header=BB124_18 Depth=1
	v_add_lshl_u32 v2, s2, v38, 3
	ds_write_b64 v2, v[4:5] offset:3072
.LBB124_90:                             ;   in Loop: Header=BB124_18 Depth=1
	s_or_b64 exec, exec, s[0:1]
	s_lshl_b32 s0, s2, 3
	v_mov_b32_e32 v2, s0
	s_waitcnt lgkmcnt(0)
	s_barrier
	ds_read_b128 v[8:11], v2 offset:3088
	ds_read_b128 v[4:7], v2 offset:3072
	s_lshl_b32 s54, 3, s79
	v_cmp_eq_u64_e64 s[0:1], 1, v[34:35]
	s_not_b32 s48, s54
	s_waitcnt lgkmcnt(1)
	v_readfirstlane_b32 s24, v8
	s_waitcnt lgkmcnt(0)
	v_cmp_eq_u64_e32 vcc, 1, v[4:5]
	v_readfirstlane_b32 s25, v9
	v_readfirstlane_b32 s2, v10
	;; [unrolled: 1-line block ×3, first 2 shown]
	s_and_b64 s[10:11], vcc, s[0:1]
	s_mov_b64 s[0:1], -1
	s_mov_b64 s[18:19], -1
                                        ; implicit-def: $sgpr14_sgpr15
                                        ; implicit-def: $sgpr8_sgpr9
	s_and_saveexec_b64 s[12:13], s[10:11]
	s_cbranch_execz .LBB124_124
; %bb.91:                               ;   in Loop: Header=BB124_18 Depth=1
	ds_read_b64 v[8:9], v3 offset:5120
	s_waitcnt lgkmcnt(0)
	s_barrier
	v_readfirstlane_b32 s18, v8
	v_readfirstlane_b32 s19, v9
	s_mov_b64 s[8:9], exec
	v_readlane_b32 s14, v62, 14
	v_readlane_b32 s15, v62, 15
	s_and_b64 s[14:15], s[8:9], s[14:15]
	s_mov_b64 exec, s[14:15]
; %bb.92:                               ;   in Loop: Header=BB124_18 Depth=1
	ds_write_b32 v39, v3
; %bb.93:                               ;   in Loop: Header=BB124_18 Depth=1
	s_or_b64 exec, exec, s[8:9]
	v_and_b32_e32 v43, s48, v43
	v_or_b32_e32 v47, s54, v47
	s_mov_b64 s[8:9], -1
	s_mov_b64 s[14:15], 0
	s_cmp_eq_u64 s[18:19], 0
	s_mov_b64 s[16:17], 0
	s_mov_b64 s[20:21], -1
	s_waitcnt lgkmcnt(0)
	s_barrier
                                        ; implicit-def: $vgpr33
	s_cbranch_scc1 .LBB124_108
; %bb.94:                               ;   in Loop: Header=BB124_18 Depth=1
	v_readlane_b32 s16, v62, 20
	s_add_u32 s26, s18, s16
	v_readlane_b32 s16, v62, 21
	s_addc_u32 s17, s19, s16
	s_mov_b32 s16, s77
	s_cmp_lg_u64 s[16:17], 0
	s_cbranch_scc0 .LBB124_151
; %bb.95:                               ;   in Loop: Header=BB124_18 Depth=1
	v_cvt_f32_u32_e32 v2, s70
	s_sub_u32 s16, 0, s70
	s_subb_u32 s22, 0, 0
	v_fmac_f32_e32 v2, 0, v46
	v_rcp_f32_e32 v2, v2
	s_nop 0
	v_mul_f32_e32 v2, 0x5f7ffffc, v2
	v_mul_f32_e32 v8, 0x2f800000, v2
	v_trunc_f32_e32 v8, v8
	v_fmac_f32_e32 v2, 0xcf800000, v8
	v_cvt_u32_f32_e32 v8, v8
	v_cvt_u32_f32_e32 v2, v2
	v_readfirstlane_b32 s23, v8
	v_readfirstlane_b32 s20, v2
	s_mul_i32 s21, s16, s23
	s_mul_hi_u32 s28, s16, s20
	s_mul_i32 s27, s22, s20
	s_add_i32 s21, s28, s21
	s_mul_i32 s29, s16, s20
	s_add_i32 s21, s21, s27
	s_mul_hi_u32 s28, s20, s29
	s_mul_i32 s30, s20, s21
	s_mul_hi_u32 s27, s20, s21
	s_add_u32 s28, s28, s30
	s_addc_u32 s27, 0, s27
	s_mul_hi_u32 s31, s23, s29
	s_mul_i32 s29, s23, s29
	s_add_u32 s28, s28, s29
	s_mul_hi_u32 s30, s23, s21
	s_addc_u32 s27, s27, s31
	s_addc_u32 s28, s30, 0
	s_mul_i32 s21, s23, s21
	s_add_u32 s21, s27, s21
	s_addc_u32 s27, 0, s28
	s_add_u32 s28, s20, s21
	s_cselect_b64 s[20:21], -1, 0
	s_cmp_lg_u64 s[20:21], 0
	s_addc_u32 s23, s23, s27
	s_mul_i32 s20, s16, s23
	s_mul_hi_u32 s21, s16, s28
	s_add_i32 s20, s21, s20
	s_mul_i32 s22, s22, s28
	s_add_i32 s20, s20, s22
	s_mul_i32 s16, s16, s28
	s_mul_hi_u32 s22, s23, s16
	s_mul_i32 s27, s23, s16
	s_mul_i32 s30, s28, s20
	s_mul_hi_u32 s16, s28, s16
	s_mul_hi_u32 s29, s28, s20
	s_add_u32 s16, s16, s30
	s_addc_u32 s29, 0, s29
	s_add_u32 s16, s16, s27
	s_mul_hi_u32 s21, s23, s20
	s_addc_u32 s16, s29, s22
	s_addc_u32 s21, s21, 0
	s_mul_i32 s20, s23, s20
	s_add_u32 s16, s16, s20
	s_addc_u32 s22, 0, s21
	s_add_u32 s16, s28, s16
	s_cselect_b64 s[20:21], -1, 0
	s_cmp_lg_u64 s[20:21], 0
	s_addc_u32 s20, s23, s22
	s_mul_i32 s22, s26, s20
	s_mul_hi_u32 s23, s26, s16
	s_mul_hi_u32 s21, s26, s20
	s_add_u32 s22, s23, s22
	s_addc_u32 s21, 0, s21
	s_mul_hi_u32 s27, s17, s16
	s_mul_i32 s16, s17, s16
	s_add_u32 s16, s22, s16
	s_mul_hi_u32 s23, s17, s20
	s_addc_u32 s16, s21, s27
	s_addc_u32 s21, s23, 0
	s_mul_i32 s20, s17, s20
	s_add_u32 s16, s16, s20
	s_addc_u32 s20, 0, s21
	s_mul_i32 s20, s70, s20
	s_mul_hi_u32 s21, s70, s16
	s_add_i32 s22, s21, s20
	s_mul_i32 s16, s70, s16
	s_sub_u32 s16, s26, s16
	s_cselect_b64 s[20:21], -1, 0
	s_cmp_lg_u64 s[20:21], 0
	s_subb_u32 s22, s17, s22
	s_sub_u32 s23, s16, s70
	s_cselect_b64 s[20:21], -1, 0
	s_cmp_lg_u64 s[20:21], 0
	s_subb_u32 s27, s22, 0
	;; [unrolled: 4-line block ×3, first 2 shown]
	s_cmp_ge_u32 s23, s70
	s_cselect_b32 s21, -1, 0
	s_cmp_eq_u32 s27, 0
	s_cselect_b32 s21, s21, -1
	s_cmp_lg_u32 s21, 0
	s_cselect_b32 s20, s20, s27
	s_cselect_b32 s23, s28, s23
	s_cmp_ge_u32 s16, s70
	s_cselect_b32 s21, -1, 0
	s_cmp_eq_u32 s22, 0
	s_cselect_b32 s21, s21, -1
	s_cmp_lg_u32 s21, 0
	s_cselect_b32 s21, s20, s22
	s_cselect_b32 s20, s23, s16
	s_cbranch_execnz .LBB124_97
.LBB124_96:                             ;   in Loop: Header=BB124_18 Depth=1
	v_cvt_f32_u32_e32 v2, s70
	s_sub_i32 s16, 0, s70
	v_rcp_iflag_f32_e32 v2, v2
	s_nop 0
	v_mul_f32_e32 v2, 0x4f7ffffe, v2
	v_cvt_u32_f32_e32 v2, v2
	s_nop 0
	v_readfirstlane_b32 s20, v2
	s_mul_i32 s16, s16, s20
	s_mul_hi_u32 s16, s20, s16
	s_add_i32 s20, s20, s16
	s_mul_hi_u32 s16, s26, s20
	s_mul_i32 s16, s16, s70
	s_sub_i32 s16, s26, s16
	s_sub_i32 s20, s16, s70
	s_cmp_ge_u32 s16, s70
	s_cselect_b32 s16, s20, s16
	s_sub_i32 s20, s16, s70
	s_cmp_ge_u32 s16, s70
	s_cselect_b32 s76, s20, s16
	s_mov_b64 s[20:21], s[76:77]
.LBB124_97:                             ;   in Loop: Header=BB124_18 Depth=1
	s_sub_u32 s26, s26, s20
	s_subb_u32 s27, s17, s21
	v_cmp_gt_u64_e32 vcc, s[26:27], v[0:1]
	s_mov_b64 s[20:21], 0
	s_mov_b64 s[16:17], 0
                                        ; implicit-def: $vgpr33
	s_and_saveexec_b64 s[22:23], vcc
	s_cbranch_execz .LBB124_107
; %bb.98:                               ;   in Loop: Header=BB124_18 Depth=1
	v_mov_b32_e32 v2, v14
	v_mov_b64_e32 v[8:9], v[0:1]
                                        ; implicit-def: $sgpr28_sgpr29
	s_branch .LBB124_102
.LBB124_99:                             ;   in Loop: Header=BB124_102 Depth=2
	s_or_b64 exec, exec, s[30:31]
	s_waitcnt lgkmcnt(0)
	s_barrier
	ds_read_b64 v[32:33], v3 offset:3072
	s_waitcnt lgkmcnt(0)
	s_barrier
	v_cmp_neq_f32_e32 vcc, 0, v32
	s_cbranch_vccnz .LBB124_105
; %bb.100:                              ;   in Loop: Header=BB124_102 Depth=2
	v_lshl_add_u64 v[8:9], v[8:9], 0, s[70:71]
	v_cmp_le_u64_e32 vcc, s[26:27], v[8:9]
	v_add_u32_e32 v2, s78, v2
	s_mov_b64 s[30:31], 0
	s_orn2_b64 s[34:35], vcc, exec
.LBB124_101:                            ;   in Loop: Header=BB124_102 Depth=2
	s_and_b64 s[34:35], exec, s[34:35]
	s_or_b64 s[16:17], s[34:35], s[16:17]
	s_andn2_b64 s[28:29], s[28:29], exec
	s_and_b64 s[30:31], s[30:31], exec
	s_or_b64 s[28:29], s[28:29], s[30:31]
	s_andn2_b64 exec, exec, s[16:17]
	s_cbranch_execz .LBB124_106
.LBB124_102:                            ;   Parent Loop BB124_18 Depth=1
                                        ; =>  This Inner Loop Header: Depth=2
	v_cmp_gt_u64_e32 vcc, s[18:19], v[8:9]
	s_and_saveexec_b64 s[30:31], vcc
	s_cbranch_execz .LBB124_99
; %bb.103:                              ;   in Loop: Header=BB124_102 Depth=2
	ds_read_b32 v31, v2
	s_waitcnt lgkmcnt(0)
	v_cmp_lt_i32_e32 vcc, -1, v31
	s_nop 1
	v_cndmask_b32_e32 v10, -1, v45, vcc
	v_xor_b32_e32 v10, v10, v31
	v_cmp_o_f32_e32 vcc, v31, v31
	s_nop 1
	v_cndmask_b32_e32 v10, -1, v10, vcc
	v_and_b32_e32 v10, v10, v47
	v_cmp_eq_u32_e32 vcc, v10, v43
	s_and_b64 exec, exec, vcc
	s_cbranch_execz .LBB124_99
; %bb.104:                              ;   in Loop: Header=BB124_102 Depth=2
	ds_write_b64 v3, v[30:31] offset:3072
	s_branch .LBB124_99
.LBB124_105:                            ;   in Loop: Header=BB124_102 Depth=2
	s_mov_b64 s[34:35], -1
                                        ; implicit-def: $vgpr8_vgpr9
                                        ; implicit-def: $vgpr2
	s_mov_b64 s[30:31], -1
	s_branch .LBB124_101
.LBB124_106:                            ;   in Loop: Header=BB124_18 Depth=1
	s_or_b64 exec, exec, s[16:17]
	s_and_b64 s[16:17], s[28:29], exec
.LBB124_107:                            ;   in Loop: Header=BB124_18 Depth=1
	s_or_b64 exec, exec, s[22:23]
.LBB124_108:                            ;   in Loop: Header=BB124_18 Depth=1
	s_and_b64 vcc, exec, s[20:21]
	s_cbranch_vccz .LBB124_123
; %bb.109:                              ;   in Loop: Header=BB124_18 Depth=1
	s_mov_b32 s82, s77
	s_cmp_lg_u64 s[82:83], 0
	s_cbranch_scc0 .LBB124_155
; %bb.110:                              ;   in Loop: Header=BB124_18 Depth=1
	v_cvt_f32_u32_e32 v2, s70
	s_sub_u32 s14, 0, s70
	s_subb_u32 s15, 0, 0
	v_fmac_f32_e32 v2, 0, v46
	v_rcp_f32_e32 v2, v2
	s_nop 0
	v_mul_f32_e32 v2, 0x5f7ffffc, v2
	v_mul_f32_e32 v8, 0x2f800000, v2
	v_trunc_f32_e32 v8, v8
	v_fmac_f32_e32 v2, 0xcf800000, v8
	v_cvt_u32_f32_e32 v8, v8
	v_cvt_u32_f32_e32 v2, v2
	v_readfirstlane_b32 s18, v8
	v_readfirstlane_b32 s8, v2
	s_mul_i32 s9, s14, s18
	s_mul_hi_u32 s20, s14, s8
	s_mul_i32 s19, s15, s8
	s_add_i32 s9, s20, s9
	s_mul_i32 s21, s14, s8
	s_add_i32 s9, s9, s19
	s_mul_hi_u32 s20, s8, s21
	s_mul_i32 s22, s8, s9
	s_mul_hi_u32 s19, s8, s9
	s_add_u32 s20, s20, s22
	s_addc_u32 s19, 0, s19
	s_mul_hi_u32 s23, s18, s21
	s_mul_i32 s21, s18, s21
	s_add_u32 s20, s20, s21
	s_mul_hi_u32 s22, s18, s9
	s_addc_u32 s19, s19, s23
	s_addc_u32 s20, s22, 0
	s_mul_i32 s9, s18, s9
	s_add_u32 s9, s19, s9
	s_addc_u32 s19, 0, s20
	s_add_u32 s20, s8, s9
	s_cselect_b64 s[8:9], -1, 0
	s_cmp_lg_u64 s[8:9], 0
	s_addc_u32 s18, s18, s19
	s_mul_i32 s8, s14, s18
	s_mul_hi_u32 s9, s14, s20
	s_add_i32 s8, s9, s8
	s_mul_i32 s15, s15, s20
	s_add_i32 s8, s8, s15
	s_mul_i32 s14, s14, s20
	s_mul_hi_u32 s15, s18, s14
	s_mul_i32 s19, s18, s14
	s_mul_i32 s22, s20, s8
	s_mul_hi_u32 s14, s20, s14
	s_mul_hi_u32 s21, s20, s8
	s_add_u32 s14, s14, s22
	s_addc_u32 s21, 0, s21
	s_add_u32 s14, s14, s19
	s_mul_hi_u32 s9, s18, s8
	s_addc_u32 s14, s21, s15
	s_addc_u32 s9, s9, 0
	s_mul_i32 s8, s18, s8
	s_add_u32 s8, s14, s8
	s_addc_u32 s14, 0, s9
	s_add_u32 s15, s20, s8
	s_cselect_b64 s[8:9], -1, 0
	s_cmp_lg_u64 s[8:9], 0
	s_addc_u32 s8, s18, s14
	s_mul_i32 s14, s33, s8
	s_mul_hi_u32 s18, s33, s15
	s_mul_hi_u32 s9, s33, s8
	s_add_u32 s14, s18, s14
	s_addc_u32 s9, 0, s9
	s_mul_hi_u32 s19, s83, s15
	s_mul_i32 s15, s83, s15
	s_add_u32 s14, s14, s15
	s_mul_hi_u32 s18, s83, s8
	s_addc_u32 s9, s9, s19
	s_addc_u32 s14, s18, 0
	s_mul_i32 s8, s83, s8
	s_add_u32 s8, s9, s8
	s_addc_u32 s9, 0, s14
	s_mul_i32 s9, s70, s9
	s_mul_hi_u32 s14, s70, s8
	s_add_i32 s14, s14, s9
	s_mul_i32 s8, s70, s8
	s_sub_u32 s15, s33, s8
	s_cselect_b64 s[8:9], -1, 0
	s_cmp_lg_u64 s[8:9], 0
	s_subb_u32 s14, s83, s14
	s_sub_u32 s18, s15, s70
	s_cselect_b64 s[8:9], -1, 0
	s_cmp_lg_u64 s[8:9], 0
	s_subb_u32 s19, s14, 0
	;; [unrolled: 4-line block ×3, first 2 shown]
	s_cmp_ge_u32 s18, s70
	s_cselect_b32 s9, -1, 0
	s_cmp_eq_u32 s19, 0
	s_cselect_b32 s9, s9, -1
	s_cmp_lg_u32 s9, 0
	s_cselect_b32 s8, s8, s19
	s_cselect_b32 s18, s20, s18
	s_cmp_ge_u32 s15, s70
	s_cselect_b32 s9, -1, 0
	s_cmp_eq_u32 s14, 0
	s_cselect_b32 s9, s9, -1
	s_cmp_lg_u32 s9, 0
	s_cselect_b32 s9, s8, s14
	s_cselect_b32 s8, s18, s15
	s_cbranch_execnz .LBB124_112
.LBB124_111:                            ;   in Loop: Header=BB124_18 Depth=1
	v_cvt_f32_u32_e32 v2, s70
	s_sub_i32 s8, 0, s70
	v_rcp_iflag_f32_e32 v2, v2
	s_nop 0
	v_mul_f32_e32 v2, 0x4f7ffffe, v2
	v_cvt_u32_f32_e32 v2, v2
	s_nop 0
	v_readfirstlane_b32 s9, v2
	s_mul_i32 s8, s8, s9
	s_mul_hi_u32 s8, s9, s8
	s_add_i32 s9, s9, s8
	s_mul_hi_u32 s8, s33, s9
	s_mul_i32 s8, s8, s70
	s_sub_i32 s8, s33, s8
	s_sub_i32 s9, s8, s70
	s_cmp_ge_u32 s8, s70
	s_cselect_b32 s8, s9, s8
	s_sub_i32 s9, s8, s70
	s_cmp_ge_u32 s8, s70
	s_cselect_b32 s76, s9, s8
	s_mov_b64 s[8:9], s[76:77]
.LBB124_112:                            ;   in Loop: Header=BB124_18 Depth=1
	s_sub_u32 s14, s33, s8
	s_subb_u32 s15, s83, s9
	v_cmp_gt_u64_e32 vcc, s[14:15], v[0:1]
                                        ; implicit-def: $vgpr33
	s_and_saveexec_b64 s[8:9], vcc
	s_cbranch_execz .LBB124_122
; %bb.113:                              ;   in Loop: Header=BB124_18 Depth=1
	s_mov_b64 s[18:19], 0
	v_mov_b64_e32 v[8:9], v[12:13]
	v_mov_b64_e32 v[10:11], v[0:1]
                                        ; implicit-def: $sgpr20_sgpr21
	s_branch .LBB124_117
.LBB124_114:                            ;   in Loop: Header=BB124_117 Depth=2
	s_or_b64 exec, exec, s[22:23]
	s_waitcnt lgkmcnt(0)
	s_barrier
	ds_read_b64 v[32:33], v3 offset:3072
	s_waitcnt lgkmcnt(0)
	s_barrier
	v_cmp_neq_f32_e32 vcc, 0, v32
	s_cbranch_vccnz .LBB124_120
; %bb.115:                              ;   in Loop: Header=BB124_117 Depth=2
	v_lshl_add_u64 v[10:11], v[10:11], 0, s[70:71]
	v_cmp_le_u64_e32 vcc, s[14:15], v[10:11]
	v_lshl_add_u64 v[8:9], v[8:9], 0, s[74:75]
	s_mov_b64 s[22:23], 0
	s_orn2_b64 s[26:27], vcc, exec
.LBB124_116:                            ;   in Loop: Header=BB124_117 Depth=2
	s_and_b64 s[26:27], exec, s[26:27]
	s_or_b64 s[18:19], s[26:27], s[18:19]
	s_andn2_b64 s[20:21], s[20:21], exec
	s_and_b64 s[22:23], s[22:23], exec
	s_or_b64 s[20:21], s[20:21], s[22:23]
	s_andn2_b64 exec, exec, s[18:19]
	s_cbranch_execz .LBB124_121
.LBB124_117:                            ;   Parent Loop BB124_18 Depth=1
                                        ; =>  This Inner Loop Header: Depth=2
	v_cmp_gt_u64_e32 vcc, s[56:57], v[10:11]
	s_and_saveexec_b64 s[22:23], vcc
	s_cbranch_execz .LBB124_114
; %bb.118:                              ;   in Loop: Header=BB124_117 Depth=2
	global_load_dword v31, v[8:9], off
	s_waitcnt vmcnt(0)
	v_cmp_lt_i32_e32 vcc, -1, v31
	s_nop 1
	v_cndmask_b32_e32 v2, -1, v45, vcc
	v_xor_b32_e32 v2, v2, v31
	v_cmp_o_f32_e32 vcc, v31, v31
	s_nop 1
	v_cndmask_b32_e32 v2, -1, v2, vcc
	v_and_b32_e32 v2, v2, v47
	v_cmp_eq_u32_e32 vcc, v2, v43
	s_and_b64 exec, exec, vcc
	s_cbranch_execz .LBB124_114
; %bb.119:                              ;   in Loop: Header=BB124_117 Depth=2
	ds_write_b64 v3, v[30:31] offset:3072
	s_branch .LBB124_114
.LBB124_120:                            ;   in Loop: Header=BB124_117 Depth=2
	s_mov_b64 s[26:27], -1
                                        ; implicit-def: $vgpr10_vgpr11
                                        ; implicit-def: $vgpr8_vgpr9
	s_mov_b64 s[22:23], -1
	s_branch .LBB124_116
.LBB124_121:                            ;   in Loop: Header=BB124_18 Depth=1
	s_or_b64 exec, exec, s[18:19]
	s_andn2_b64 s[14:15], s[16:17], exec
	s_and_b64 s[16:17], s[20:21], exec
	s_or_b64 s[16:17], s[14:15], s[16:17]
.LBB124_122:                            ;   in Loop: Header=BB124_18 Depth=1
	s_or_b64 exec, exec, s[8:9]
	s_mov_b64 s[8:9], 0
	s_mov_b64 s[14:15], -1
.LBB124_123:                            ;   in Loop: Header=BB124_18 Depth=1
	s_orn2_b64 s[18:19], s[16:17], exec
.LBB124_124:                            ;   in Loop: Header=BB124_18 Depth=1
	s_or_b64 exec, exec, s[12:13]
	s_andn2_b64 s[12:13], s[66:67], exec
	s_and_b64 s[14:15], s[14:15], exec
	s_or_b64 s[66:67], s[12:13], s[14:15]
	s_andn2_b64 s[12:13], s[64:65], exec
	s_and_b64 s[8:9], s[8:9], exec
	s_andn2_b64 s[62:63], s[62:63], exec
	s_or_b64 s[64:65], s[12:13], s[8:9]
                                        ; implicit-def: $vgpr8_vgpr9
	s_and_saveexec_b64 s[16:17], s[18:19]
	s_cbranch_execz .LBB124_17
; %bb.125:                              ;   in Loop: Header=BB124_18 Depth=1
	s_xor_b64 s[8:9], s[10:11], -1
	v_mov_b32_e32 v2, 1
	s_mov_b64 s[10:11], 0
	v_mov_b64_e32 v[8:9], 1
	s_and_saveexec_b64 s[0:1], s[8:9]
	s_cbranch_execz .LBB124_134
; %bb.126:                              ;   in Loop: Header=BB124_18 Depth=1
	v_cmp_le_u64_e32 vcc, v[34:35], v[4:5]
	s_and_saveexec_b64 s[8:9], vcc
	s_xor_b64 s[8:9], exec, s[8:9]
	s_cbranch_execz .LBB124_131
; %bb.127:                              ;   in Loop: Header=BB124_18 Depth=1
	ds_read_b64 v[8:9], v3 offset:5120
	v_and_b32_e32 v43, s48, v43
	v_or_b32_e32 v47, s54, v47
	s_waitcnt lgkmcnt(0)
	v_cmp_ne_u64_e32 vcc, 0, v[8:9]
	s_cbranch_vccnz .LBB124_131
; %bb.128:                              ;   in Loop: Header=BB124_18 Depth=1
	s_mov_b64 s[10:11], exec
	v_readlane_b32 s12, v62, 12
	v_readlane_b32 s13, v62, 13
	s_and_b64 s[12:13], s[10:11], s[12:13]
	s_mov_b64 exec, s[12:13]
; %bb.129:                              ;   in Loop: Header=BB124_18 Depth=1
	ds_write_b64 v3, v[4:5] offset:5128
; %bb.130:                              ;   in Loop: Header=BB124_18 Depth=1
	s_or_b64 exec, exec, s[10:11]
	s_waitcnt lgkmcnt(0)
	s_barrier
.LBB124_131:                            ;   in Loop: Header=BB124_18 Depth=1
	s_or_saveexec_b64 s[8:9], s[8:9]
	s_mov_b64 s[10:11], 0
	v_mov_b32_e32 v2, 8
	s_xor_b64 exec, exec, s[8:9]
; %bb.132:                              ;   in Loop: Header=BB124_18 Depth=1
	v_sub_co_u32_e32 v34, vcc, v34, v4
	s_mov_b64 s[10:11], exec
	s_nop 0
	v_subb_co_u32_e32 v35, vcc, v35, v5, vcc
	v_mov_b32_e32 v2, 0
; %bb.133:                              ;   in Loop: Header=BB124_18 Depth=1
	s_or_b64 exec, exec, s[8:9]
	s_and_b64 s[10:11], s[10:11], exec
	v_mov_b64_e32 v[8:9], v[34:35]
.LBB124_134:                            ;   in Loop: Header=BB124_18 Depth=1
	s_or_b64 exec, exec, s[0:1]
	s_mov_b64 s[18:19], -1
	s_mov_b64 s[8:9], -1
                                        ; implicit-def: $sgpr0_sgpr1
                                        ; implicit-def: $sgpr26_sgpr27
	s_and_saveexec_b64 s[12:13], s[10:11]
	s_xor_b64 s[20:21], exec, s[12:13]
	s_cbranch_execz .LBB124_285
; %bb.135:                              ;   in Loop: Header=BB124_18 Depth=1
	v_cmp_eq_u64_e32 vcc, 1, v[6:7]
	v_cmp_eq_u64_e64 s[0:1], 1, v[8:9]
	s_and_b64 s[10:11], vcc, s[0:1]
                                        ; implicit-def: $sgpr26_sgpr27
                                        ; implicit-def: $sgpr0_sgpr1
	s_and_saveexec_b64 s[12:13], s[10:11]
	s_cbranch_execz .LBB124_174
; %bb.136:                              ;   in Loop: Header=BB124_18 Depth=1
	ds_read_b64 v[4:5], v3 offset:5120
	s_waitcnt lgkmcnt(0)
	s_barrier
	v_readfirstlane_b32 s14, v4
	v_readfirstlane_b32 s15, v5
	s_mov_b64 s[0:1], exec
	v_readlane_b32 s8, v62, 14
	v_readlane_b32 s9, v62, 15
	s_and_b64 s[8:9], s[0:1], s[8:9]
	s_mov_b64 exec, s[8:9]
; %bb.137:                              ;   in Loop: Header=BB124_18 Depth=1
	ds_write_b32 v39, v3
; %bb.138:                              ;   in Loop: Header=BB124_18 Depth=1
	s_or_b64 exec, exec, s[0:1]
	v_and_b32_e32 v4, s48, v43
	v_lshl_or_b32 v43, 1, s79, v4
	v_or_b32_e32 v47, s54, v47
	s_mov_b64 s[0:1], -1
	s_mov_b64 s[26:27], 0
	s_cmp_eq_u64 s[14:15], 0
	s_mov_b64 s[8:9], 0
	s_mov_b64 s[22:23], -1
	s_waitcnt lgkmcnt(0)
	s_barrier
                                        ; implicit-def: $vgpr33
	s_cbranch_scc1 .LBB124_158
; %bb.139:                              ;   in Loop: Header=BB124_18 Depth=1
	v_readlane_b32 s8, v62, 20
	s_add_u32 s30, s14, s8
	v_readlane_b32 s8, v62, 21
	s_addc_u32 s9, s15, s8
	s_mov_b32 s8, s77
	s_cmp_lg_u64 s[8:9], 0
	s_cbranch_scc0 .LBB124_202
; %bb.140:                              ;   in Loop: Header=BB124_18 Depth=1
	v_cvt_f32_u32_e32 v4, s70
	s_sub_u32 s8, 0, s70
	s_subb_u32 s28, 0, 0
	v_fmac_f32_e32 v4, 0, v46
	v_rcp_f32_e32 v4, v4
	s_nop 0
	v_mul_f32_e32 v4, 0x5f7ffffc, v4
	v_mul_f32_e32 v5, 0x2f800000, v4
	v_trunc_f32_e32 v5, v5
	v_fmac_f32_e32 v4, 0xcf800000, v5
	v_cvt_u32_f32_e32 v5, v5
	v_cvt_u32_f32_e32 v4, v4
	v_readfirstlane_b32 s29, v5
	v_readfirstlane_b32 s22, v4
	s_mul_i32 s23, s8, s29
	s_mul_hi_u32 s34, s8, s22
	s_mul_i32 s31, s28, s22
	s_add_i32 s23, s34, s23
	s_mul_i32 s35, s8, s22
	s_add_i32 s23, s23, s31
	s_mul_hi_u32 s34, s22, s35
	s_mul_i32 s36, s22, s23
	s_mul_hi_u32 s31, s22, s23
	s_add_u32 s34, s34, s36
	s_addc_u32 s31, 0, s31
	s_mul_hi_u32 s37, s29, s35
	s_mul_i32 s35, s29, s35
	s_add_u32 s34, s34, s35
	s_mul_hi_u32 s36, s29, s23
	s_addc_u32 s31, s31, s37
	s_addc_u32 s34, s36, 0
	s_mul_i32 s23, s29, s23
	s_add_u32 s23, s31, s23
	s_addc_u32 s31, 0, s34
	s_add_u32 s34, s22, s23
	s_cselect_b64 s[22:23], -1, 0
	s_cmp_lg_u64 s[22:23], 0
	s_addc_u32 s29, s29, s31
	s_mul_i32 s22, s8, s29
	s_mul_hi_u32 s23, s8, s34
	s_add_i32 s22, s23, s22
	s_mul_i32 s28, s28, s34
	s_add_i32 s22, s22, s28
	s_mul_i32 s8, s8, s34
	s_mul_hi_u32 s28, s29, s8
	s_mul_i32 s31, s29, s8
	s_mul_i32 s36, s34, s22
	s_mul_hi_u32 s8, s34, s8
	s_mul_hi_u32 s35, s34, s22
	s_add_u32 s8, s8, s36
	s_addc_u32 s35, 0, s35
	s_add_u32 s8, s8, s31
	s_mul_hi_u32 s23, s29, s22
	s_addc_u32 s8, s35, s28
	s_addc_u32 s23, s23, 0
	s_mul_i32 s22, s29, s22
	s_add_u32 s8, s8, s22
	s_addc_u32 s28, 0, s23
	s_add_u32 s8, s34, s8
	s_cselect_b64 s[22:23], -1, 0
	s_cmp_lg_u64 s[22:23], 0
	s_addc_u32 s22, s29, s28
	s_mul_i32 s28, s30, s22
	s_mul_hi_u32 s29, s30, s8
	s_mul_hi_u32 s23, s30, s22
	s_add_u32 s28, s29, s28
	s_addc_u32 s23, 0, s23
	s_mul_hi_u32 s31, s9, s8
	s_mul_i32 s8, s9, s8
	s_add_u32 s8, s28, s8
	s_mul_hi_u32 s29, s9, s22
	s_addc_u32 s8, s23, s31
	s_addc_u32 s23, s29, 0
	s_mul_i32 s22, s9, s22
	s_add_u32 s8, s8, s22
	s_addc_u32 s22, 0, s23
	s_mul_i32 s22, s70, s22
	s_mul_hi_u32 s23, s70, s8
	s_add_i32 s28, s23, s22
	s_mul_i32 s8, s70, s8
	s_sub_u32 s8, s30, s8
	s_cselect_b64 s[22:23], -1, 0
	s_cmp_lg_u64 s[22:23], 0
	s_subb_u32 s28, s9, s28
	s_sub_u32 s29, s8, s70
	s_cselect_b64 s[22:23], -1, 0
	s_cmp_lg_u64 s[22:23], 0
	s_subb_u32 s31, s28, 0
	;; [unrolled: 4-line block ×3, first 2 shown]
	s_cmp_ge_u32 s29, s70
	s_cselect_b32 s23, -1, 0
	s_cmp_eq_u32 s31, 0
	s_cselect_b32 s23, s23, -1
	s_cmp_lg_u32 s23, 0
	s_cselect_b32 s22, s22, s31
	s_cselect_b32 s29, s34, s29
	s_cmp_ge_u32 s8, s70
	s_cselect_b32 s23, -1, 0
	s_cmp_eq_u32 s28, 0
	s_cselect_b32 s23, s23, -1
	s_cmp_lg_u32 s23, 0
	s_cselect_b32 s23, s22, s28
	s_cselect_b32 s22, s29, s8
	s_cbranch_execnz .LBB124_142
.LBB124_141:                            ;   in Loop: Header=BB124_18 Depth=1
	v_cvt_f32_u32_e32 v4, s70
	s_sub_i32 s8, 0, s70
	v_rcp_iflag_f32_e32 v4, v4
	s_nop 0
	v_mul_f32_e32 v4, 0x4f7ffffe, v4
	v_cvt_u32_f32_e32 v4, v4
	s_nop 0
	v_readfirstlane_b32 s22, v4
	s_mul_i32 s8, s8, s22
	s_mul_hi_u32 s8, s22, s8
	s_add_i32 s22, s22, s8
	s_mul_hi_u32 s8, s30, s22
	s_mul_i32 s8, s8, s70
	s_sub_i32 s8, s30, s8
	s_sub_i32 s22, s8, s70
	s_cmp_ge_u32 s8, s70
	s_cselect_b32 s8, s22, s8
	s_sub_i32 s22, s8, s70
	s_cmp_ge_u32 s8, s70
	s_cselect_b32 s76, s22, s8
	s_mov_b64 s[22:23], s[76:77]
.LBB124_142:                            ;   in Loop: Header=BB124_18 Depth=1
	s_sub_u32 s30, s30, s22
	s_subb_u32 s31, s9, s23
	v_cmp_gt_u64_e32 vcc, s[30:31], v[0:1]
	s_mov_b64 s[22:23], 0
	s_mov_b64 s[8:9], 0
                                        ; implicit-def: $vgpr33
	s_and_saveexec_b64 s[28:29], vcc
	s_cbranch_execz .LBB124_157
; %bb.143:                              ;   in Loop: Header=BB124_18 Depth=1
	v_mov_b32_e32 v10, v14
	v_mov_b64_e32 v[4:5], v[0:1]
                                        ; implicit-def: $sgpr34_sgpr35
	s_branch .LBB124_147
.LBB124_144:                            ;   in Loop: Header=BB124_147 Depth=2
	s_or_b64 exec, exec, s[36:37]
	s_waitcnt lgkmcnt(0)
	s_barrier
	ds_read_b64 v[32:33], v3 offset:3072
	s_waitcnt lgkmcnt(0)
	s_barrier
	v_cmp_neq_f32_e32 vcc, 0, v32
	s_cbranch_vccnz .LBB124_150
; %bb.145:                              ;   in Loop: Header=BB124_147 Depth=2
	v_lshl_add_u64 v[4:5], v[4:5], 0, s[70:71]
	v_cmp_le_u64_e32 vcc, s[30:31], v[4:5]
	v_add_u32_e32 v10, s78, v10
	s_mov_b64 s[36:37], 0
	s_orn2_b64 s[38:39], vcc, exec
.LBB124_146:                            ;   in Loop: Header=BB124_147 Depth=2
	s_and_b64 s[38:39], exec, s[38:39]
	s_or_b64 s[8:9], s[38:39], s[8:9]
	s_andn2_b64 s[34:35], s[34:35], exec
	s_and_b64 s[36:37], s[36:37], exec
	s_or_b64 s[34:35], s[34:35], s[36:37]
	s_andn2_b64 exec, exec, s[8:9]
	s_cbranch_execz .LBB124_156
.LBB124_147:                            ;   Parent Loop BB124_18 Depth=1
                                        ; =>  This Inner Loop Header: Depth=2
	v_cmp_gt_u64_e32 vcc, s[14:15], v[4:5]
	s_and_saveexec_b64 s[36:37], vcc
	s_cbranch_execz .LBB124_144
; %bb.148:                              ;   in Loop: Header=BB124_147 Depth=2
	ds_read_b32 v31, v10
	s_waitcnt lgkmcnt(0)
	v_cmp_lt_i32_e32 vcc, -1, v31
	s_nop 1
	v_cndmask_b32_e32 v11, -1, v45, vcc
	v_xor_b32_e32 v11, v11, v31
	v_cmp_o_f32_e32 vcc, v31, v31
	s_nop 1
	v_cndmask_b32_e32 v11, -1, v11, vcc
	v_and_b32_e32 v11, v11, v47
	v_cmp_eq_u32_e32 vcc, v11, v43
	s_and_b64 exec, exec, vcc
	s_cbranch_execz .LBB124_144
; %bb.149:                              ;   in Loop: Header=BB124_147 Depth=2
	ds_write_b64 v3, v[30:31] offset:3072
	s_branch .LBB124_144
.LBB124_150:                            ;   in Loop: Header=BB124_147 Depth=2
	s_mov_b64 s[38:39], -1
                                        ; implicit-def: $vgpr4_vgpr5
                                        ; implicit-def: $vgpr10
	s_mov_b64 s[36:37], -1
	s_branch .LBB124_146
.LBB124_151:                            ;   in Loop: Header=BB124_18 Depth=1
                                        ; implicit-def: $sgpr20_sgpr21
	s_branch .LBB124_96
.LBB124_152:                            ;   in Loop: Header=BB124_18 Depth=1
	s_or_b64 exec, exec, s[10:11]
	s_waitcnt lgkmcnt(0)
	s_barrier
	s_mov_b64 s[0:1], exec
	v_readlane_b32 s2, v62, 12
	v_readlane_b32 s3, v62, 13
	s_and_b64 s[2:3], s[0:1], s[2:3]
	s_mov_b64 exec, s[2:3]
	s_cbranch_execz .LBB124_154
; %bb.153:                              ;   in Loop: Header=BB124_18 Depth=1
	ds_read_b32 v4, v3 offset:5144
	s_waitcnt lgkmcnt(0)
	v_ashrrev_i32_e32 v5, 31, v4
	ds_write_b64 v3, v[4:5] offset:5120
.LBB124_154:                            ;   in Loop: Header=BB124_18 Depth=1
	s_or_b64 exec, exec, s[0:1]
	s_waitcnt lgkmcnt(0)
	s_barrier
	s_mov_b64 s[0:1], -1
	s_and_b64 vcc, exec, s[8:9]
	s_cbranch_vccnz .LBB124_34
	s_branch .LBB124_49
.LBB124_155:                            ;   in Loop: Header=BB124_18 Depth=1
                                        ; implicit-def: $sgpr8_sgpr9
	s_branch .LBB124_111
.LBB124_156:                            ;   in Loop: Header=BB124_18 Depth=1
	s_or_b64 exec, exec, s[8:9]
	s_and_b64 s[8:9], s[34:35], exec
.LBB124_157:                            ;   in Loop: Header=BB124_18 Depth=1
	s_or_b64 exec, exec, s[28:29]
.LBB124_158:                            ;   in Loop: Header=BB124_18 Depth=1
	s_and_b64 vcc, exec, s[22:23]
	s_cbranch_vccz .LBB124_173
; %bb.159:                              ;   in Loop: Header=BB124_18 Depth=1
	s_mov_b32 s82, s77
	s_cmp_lg_u64 s[82:83], 0
	s_cbranch_scc0 .LBB124_203
; %bb.160:                              ;   in Loop: Header=BB124_18 Depth=1
	v_cvt_f32_u32_e32 v4, s70
	s_sub_u32 s14, 0, s70
	s_subb_u32 s15, 0, 0
	v_fmac_f32_e32 v4, 0, v46
	v_rcp_f32_e32 v4, v4
	s_nop 0
	v_mul_f32_e32 v4, 0x5f7ffffc, v4
	v_mul_f32_e32 v5, 0x2f800000, v4
	v_trunc_f32_e32 v5, v5
	v_fmac_f32_e32 v4, 0xcf800000, v5
	v_cvt_u32_f32_e32 v5, v5
	v_cvt_u32_f32_e32 v4, v4
	v_readfirstlane_b32 s22, v5
	v_readfirstlane_b32 s0, v4
	s_mul_i32 s1, s14, s22
	s_mul_hi_u32 s26, s14, s0
	s_mul_i32 s23, s15, s0
	s_add_i32 s1, s26, s1
	s_mul_i32 s27, s14, s0
	s_add_i32 s1, s1, s23
	s_mul_hi_u32 s26, s0, s27
	s_mul_i32 s28, s0, s1
	s_mul_hi_u32 s23, s0, s1
	s_add_u32 s26, s26, s28
	s_addc_u32 s23, 0, s23
	s_mul_hi_u32 s29, s22, s27
	s_mul_i32 s27, s22, s27
	s_add_u32 s26, s26, s27
	s_mul_hi_u32 s28, s22, s1
	s_addc_u32 s23, s23, s29
	s_addc_u32 s26, s28, 0
	s_mul_i32 s1, s22, s1
	s_add_u32 s1, s23, s1
	s_addc_u32 s23, 0, s26
	s_add_u32 s26, s0, s1
	s_cselect_b64 s[0:1], -1, 0
	s_cmp_lg_u64 s[0:1], 0
	s_addc_u32 s22, s22, s23
	s_mul_i32 s0, s14, s22
	s_mul_hi_u32 s1, s14, s26
	s_add_i32 s0, s1, s0
	s_mul_i32 s15, s15, s26
	s_add_i32 s0, s0, s15
	s_mul_i32 s14, s14, s26
	s_mul_hi_u32 s15, s22, s14
	s_mul_i32 s23, s22, s14
	s_mul_i32 s28, s26, s0
	s_mul_hi_u32 s14, s26, s14
	s_mul_hi_u32 s27, s26, s0
	s_add_u32 s14, s14, s28
	s_addc_u32 s27, 0, s27
	s_add_u32 s14, s14, s23
	s_mul_hi_u32 s1, s22, s0
	s_addc_u32 s14, s27, s15
	s_addc_u32 s1, s1, 0
	s_mul_i32 s0, s22, s0
	s_add_u32 s0, s14, s0
	s_addc_u32 s14, 0, s1
	s_add_u32 s15, s26, s0
	s_cselect_b64 s[0:1], -1, 0
	s_cmp_lg_u64 s[0:1], 0
	s_addc_u32 s0, s22, s14
	s_mul_i32 s14, s33, s0
	s_mul_hi_u32 s22, s33, s15
	s_mul_hi_u32 s1, s33, s0
	s_add_u32 s14, s22, s14
	s_addc_u32 s1, 0, s1
	s_mul_hi_u32 s23, s83, s15
	s_mul_i32 s15, s83, s15
	s_add_u32 s14, s14, s15
	s_mul_hi_u32 s22, s83, s0
	s_addc_u32 s1, s1, s23
	s_addc_u32 s14, s22, 0
	s_mul_i32 s0, s83, s0
	s_add_u32 s0, s1, s0
	s_addc_u32 s1, 0, s14
	s_mul_i32 s1, s70, s1
	s_mul_hi_u32 s14, s70, s0
	s_add_i32 s14, s14, s1
	s_mul_i32 s0, s70, s0
	s_sub_u32 s15, s33, s0
	s_cselect_b64 s[0:1], -1, 0
	s_cmp_lg_u64 s[0:1], 0
	s_subb_u32 s14, s83, s14
	s_sub_u32 s22, s15, s70
	s_cselect_b64 s[0:1], -1, 0
	s_cmp_lg_u64 s[0:1], 0
	s_subb_u32 s23, s14, 0
	;; [unrolled: 4-line block ×3, first 2 shown]
	s_cmp_ge_u32 s22, s70
	s_cselect_b32 s1, -1, 0
	s_cmp_eq_u32 s23, 0
	s_cselect_b32 s1, s1, -1
	s_cmp_lg_u32 s1, 0
	s_cselect_b32 s0, s0, s23
	s_cselect_b32 s22, s26, s22
	s_cmp_ge_u32 s15, s70
	s_cselect_b32 s1, -1, 0
	s_cmp_eq_u32 s14, 0
	s_cselect_b32 s1, s1, -1
	s_cmp_lg_u32 s1, 0
	s_cselect_b32 s1, s0, s14
	s_cselect_b32 s0, s22, s15
	s_cbranch_execnz .LBB124_162
.LBB124_161:                            ;   in Loop: Header=BB124_18 Depth=1
	v_cvt_f32_u32_e32 v4, s70
	s_sub_i32 s0, 0, s70
	v_rcp_iflag_f32_e32 v4, v4
	s_nop 0
	v_mul_f32_e32 v4, 0x4f7ffffe, v4
	v_cvt_u32_f32_e32 v4, v4
	s_nop 0
	v_readfirstlane_b32 s1, v4
	s_mul_i32 s0, s0, s1
	s_mul_hi_u32 s0, s1, s0
	s_add_i32 s1, s1, s0
	s_mul_hi_u32 s0, s33, s1
	s_mul_i32 s0, s0, s70
	s_sub_i32 s0, s33, s0
	s_sub_i32 s1, s0, s70
	s_cmp_ge_u32 s0, s70
	s_cselect_b32 s0, s1, s0
	s_sub_i32 s1, s0, s70
	s_cmp_ge_u32 s0, s70
	s_cselect_b32 s76, s1, s0
	s_mov_b64 s[0:1], s[76:77]
.LBB124_162:                            ;   in Loop: Header=BB124_18 Depth=1
	s_sub_u32 s14, s33, s0
	s_subb_u32 s15, s83, s1
	v_cmp_gt_u64_e32 vcc, s[14:15], v[0:1]
                                        ; implicit-def: $vgpr33
	s_and_saveexec_b64 s[0:1], vcc
	s_cbranch_execz .LBB124_172
; %bb.163:                              ;   in Loop: Header=BB124_18 Depth=1
	s_mov_b64 s[22:23], 0
	v_mov_b64_e32 v[4:5], v[12:13]
	v_mov_b64_e32 v[10:11], v[0:1]
                                        ; implicit-def: $sgpr26_sgpr27
	s_branch .LBB124_167
.LBB124_164:                            ;   in Loop: Header=BB124_167 Depth=2
	s_or_b64 exec, exec, s[28:29]
	s_waitcnt lgkmcnt(0)
	s_barrier
	ds_read_b64 v[32:33], v3 offset:3072
	s_waitcnt lgkmcnt(0)
	s_barrier
	v_cmp_eq_f32_e32 vcc, 0, v32
	s_cbranch_vccz .LBB124_170
; %bb.165:                              ;   in Loop: Header=BB124_167 Depth=2
	v_lshl_add_u64 v[10:11], v[10:11], 0, s[70:71]
	v_cmp_le_u64_e32 vcc, s[14:15], v[10:11]
	v_lshl_add_u64 v[4:5], v[4:5], 0, s[74:75]
	s_mov_b64 s[28:29], 0
	s_orn2_b64 s[30:31], vcc, exec
.LBB124_166:                            ;   in Loop: Header=BB124_167 Depth=2
	s_and_b64 s[30:31], exec, s[30:31]
	s_or_b64 s[22:23], s[30:31], s[22:23]
	s_andn2_b64 s[26:27], s[26:27], exec
	s_and_b64 s[28:29], s[28:29], exec
	s_or_b64 s[26:27], s[26:27], s[28:29]
	s_andn2_b64 exec, exec, s[22:23]
	s_cbranch_execz .LBB124_171
.LBB124_167:                            ;   Parent Loop BB124_18 Depth=1
                                        ; =>  This Inner Loop Header: Depth=2
	v_cmp_gt_u64_e32 vcc, s[56:57], v[10:11]
	s_and_saveexec_b64 s[28:29], vcc
	s_cbranch_execz .LBB124_164
; %bb.168:                              ;   in Loop: Header=BB124_167 Depth=2
	global_load_dword v31, v[4:5], off
	s_waitcnt vmcnt(0)
	v_cmp_lt_i32_e32 vcc, -1, v31
	s_nop 1
	v_cndmask_b32_e32 v32, -1, v45, vcc
	v_xor_b32_e32 v32, v32, v31
	v_cmp_o_f32_e32 vcc, v31, v31
	s_nop 1
	v_cndmask_b32_e32 v32, -1, v32, vcc
	v_and_b32_e32 v32, v32, v47
	v_cmp_eq_u32_e32 vcc, v32, v43
	s_and_b64 exec, exec, vcc
	s_cbranch_execz .LBB124_164
; %bb.169:                              ;   in Loop: Header=BB124_167 Depth=2
	ds_write_b64 v3, v[30:31] offset:3072
	s_branch .LBB124_164
.LBB124_170:                            ;   in Loop: Header=BB124_167 Depth=2
	s_mov_b64 s[30:31], -1
                                        ; implicit-def: $vgpr10_vgpr11
                                        ; implicit-def: $vgpr4_vgpr5
	s_mov_b64 s[28:29], -1
	s_branch .LBB124_166
.LBB124_171:                            ;   in Loop: Header=BB124_18 Depth=1
	s_or_b64 exec, exec, s[22:23]
	s_andn2_b64 s[8:9], s[8:9], exec
	s_and_b64 s[14:15], s[26:27], exec
	s_or_b64 s[8:9], s[8:9], s[14:15]
.LBB124_172:                            ;   in Loop: Header=BB124_18 Depth=1
	s_or_b64 exec, exec, s[0:1]
	s_mov_b64 s[0:1], 0
	s_mov_b64 s[26:27], -1
.LBB124_173:                            ;   in Loop: Header=BB124_18 Depth=1
	s_orn2_b64 s[8:9], s[8:9], exec
.LBB124_174:                            ;   in Loop: Header=BB124_18 Depth=1
	s_or_b64 exec, exec, s[12:13]
	s_mov_b64 s[12:13], 0
	s_and_saveexec_b64 s[28:29], s[8:9]
	s_cbranch_execz .LBB124_284
; %bb.175:                              ;   in Loop: Header=BB124_18 Depth=1
	s_xor_b64 s[12:13], s[10:11], -1
	v_mov_b32_e32 v2, 1
	s_mov_b64 s[10:11], 0
	v_mov_b64_e32 v[4:5], 1
	s_and_saveexec_b64 s[8:9], s[12:13]
	s_cbranch_execz .LBB124_185
; %bb.176:                              ;   in Loop: Header=BB124_18 Depth=1
	v_cmp_le_u64_e32 vcc, v[8:9], v[6:7]
	s_and_saveexec_b64 s[10:11], vcc
	s_xor_b64 s[10:11], exec, s[10:11]
	s_cbranch_execz .LBB124_182
; %bb.177:                              ;   in Loop: Header=BB124_18 Depth=1
	ds_read_b64 v[4:5], v3 offset:5120
	v_and_b32_e32 v2, s48, v43
	v_lshl_or_b32 v43, 1, s79, v2
	v_or_b32_e32 v47, s54, v47
	s_waitcnt lgkmcnt(0)
	v_cmp_ne_u64_e32 vcc, 0, v[4:5]
	s_cbranch_vccnz .LBB124_181
; %bb.178:                              ;   in Loop: Header=BB124_18 Depth=1
	s_mov_b64 s[12:13], exec
	v_readlane_b32 s14, v62, 12
	v_readlane_b32 s15, v62, 13
	s_and_b64 s[14:15], s[12:13], s[14:15]
	s_mov_b64 exec, s[14:15]
; %bb.179:                              ;   in Loop: Header=BB124_18 Depth=1
	ds_write_b64 v3, v[6:7] offset:5128
; %bb.180:                              ;   in Loop: Header=BB124_18 Depth=1
	s_or_b64 exec, exec, s[12:13]
	s_waitcnt lgkmcnt(0)
	s_barrier
.LBB124_181:                            ;   in Loop: Header=BB124_18 Depth=1
                                        ; implicit-def: $vgpr4_vgpr5_vgpr6_vgpr7
.LBB124_182:                            ;   in Loop: Header=BB124_18 Depth=1
	s_or_saveexec_b64 s[10:11], s[10:11]
	s_mov_b64 s[12:13], 0
	v_mov_b32_e32 v2, 8
	s_xor_b64 exec, exec, s[10:11]
; %bb.183:                              ;   in Loop: Header=BB124_18 Depth=1
	v_sub_co_u32_e32 v8, vcc, v8, v6
	s_mov_b64 s[12:13], exec
	s_nop 0
	v_subb_co_u32_e32 v9, vcc, v9, v7, vcc
	v_mov_b32_e32 v2, 0
; %bb.184:                              ;   in Loop: Header=BB124_18 Depth=1
	s_or_b64 exec, exec, s[10:11]
	s_and_b64 s[10:11], s[12:13], exec
	v_mov_b64_e32 v[4:5], v[8:9]
.LBB124_185:                            ;   in Loop: Header=BB124_18 Depth=1
	s_or_b64 exec, exec, s[8:9]
	s_mov_b64 s[8:9], -1
                                        ; implicit-def: $sgpr12_sgpr13
                                        ; implicit-def: $sgpr34_sgpr35
	s_and_saveexec_b64 s[30:31], s[10:11]
	s_cbranch_execz .LBB124_283
; %bb.186:                              ;   in Loop: Header=BB124_18 Depth=1
	s_cmp_eq_u64 s[24:25], 1
	s_cselect_b64 s[8:9], -1, 0
	v_cmp_eq_u64_e32 vcc, 1, v[4:5]
	s_and_b64 s[10:11], s[8:9], vcc
	s_mov_b64 s[8:9], -1
                                        ; implicit-def: $sgpr34_sgpr35
                                        ; implicit-def: $sgpr12_sgpr13
	s_and_saveexec_b64 s[36:37], s[10:11]
	s_cbranch_execz .LBB124_222
; %bb.187:                              ;   in Loop: Header=BB124_18 Depth=1
	ds_read_b64 v[6:7], v3 offset:5120
	s_waitcnt lgkmcnt(0)
	s_barrier
	v_readfirstlane_b32 s14, v6
	v_readfirstlane_b32 s15, v7
	s_mov_b64 s[8:9], exec
	v_readlane_b32 s12, v62, 14
	v_readlane_b32 s13, v62, 15
	s_and_b64 s[12:13], s[8:9], s[12:13]
	s_mov_b64 exec, s[12:13]
; %bb.188:                              ;   in Loop: Header=BB124_18 Depth=1
	ds_write_b32 v39, v3
; %bb.189:                              ;   in Loop: Header=BB124_18 Depth=1
	s_or_b64 exec, exec, s[8:9]
	v_and_b32_e32 v6, s48, v43
	v_lshl_or_b32 v43, 2, s79, v6
	v_or_b32_e32 v47, s54, v47
	s_mov_b64 s[12:13], -1
	s_mov_b64 s[34:35], 0
	s_cmp_eq_u64 s[14:15], 0
	s_mov_b64 s[8:9], 0
	s_mov_b64 s[22:23], -1
	s_waitcnt lgkmcnt(0)
	s_barrier
                                        ; implicit-def: $vgpr33
	s_cbranch_scc1 .LBB124_206
; %bb.190:                              ;   in Loop: Header=BB124_18 Depth=1
	v_readlane_b32 s8, v62, 20
	s_add_u32 s40, s14, s8
	v_readlane_b32 s8, v62, 21
	s_addc_u32 s9, s15, s8
	s_mov_b32 s8, s77
	s_cmp_lg_u64 s[8:9], 0
	s_cbranch_scc0 .LBB124_249
; %bb.191:                              ;   in Loop: Header=BB124_18 Depth=1
	v_cvt_f32_u32_e32 v6, s70
	s_sub_u32 s8, 0, s70
	s_subb_u32 s38, 0, 0
	v_fmac_f32_e32 v6, 0, v46
	v_rcp_f32_e32 v6, v6
	s_nop 0
	v_mul_f32_e32 v6, 0x5f7ffffc, v6
	v_mul_f32_e32 v7, 0x2f800000, v6
	v_trunc_f32_e32 v7, v7
	v_fmac_f32_e32 v6, 0xcf800000, v7
	v_cvt_u32_f32_e32 v7, v7
	v_cvt_u32_f32_e32 v6, v6
	v_readfirstlane_b32 s39, v7
	v_readfirstlane_b32 s22, v6
	s_mul_i32 s23, s8, s39
	s_mul_hi_u32 s42, s8, s22
	s_mul_i32 s41, s38, s22
	s_add_i32 s23, s42, s23
	s_mul_i32 s43, s8, s22
	s_add_i32 s23, s23, s41
	s_mul_hi_u32 s42, s22, s43
	s_mul_i32 s44, s22, s23
	s_mul_hi_u32 s41, s22, s23
	s_add_u32 s42, s42, s44
	s_addc_u32 s41, 0, s41
	s_mul_hi_u32 s45, s39, s43
	s_mul_i32 s43, s39, s43
	s_add_u32 s42, s42, s43
	s_mul_hi_u32 s44, s39, s23
	s_addc_u32 s41, s41, s45
	s_addc_u32 s42, s44, 0
	s_mul_i32 s23, s39, s23
	s_add_u32 s23, s41, s23
	s_addc_u32 s41, 0, s42
	s_add_u32 s42, s22, s23
	s_cselect_b64 s[22:23], -1, 0
	s_cmp_lg_u64 s[22:23], 0
	s_addc_u32 s39, s39, s41
	s_mul_i32 s22, s8, s39
	s_mul_hi_u32 s23, s8, s42
	s_add_i32 s22, s23, s22
	s_mul_i32 s38, s38, s42
	s_add_i32 s22, s22, s38
	s_mul_i32 s8, s8, s42
	s_mul_hi_u32 s38, s39, s8
	s_mul_i32 s41, s39, s8
	s_mul_i32 s44, s42, s22
	s_mul_hi_u32 s8, s42, s8
	s_mul_hi_u32 s43, s42, s22
	s_add_u32 s8, s8, s44
	s_addc_u32 s43, 0, s43
	s_add_u32 s8, s8, s41
	s_mul_hi_u32 s23, s39, s22
	s_addc_u32 s8, s43, s38
	s_addc_u32 s23, s23, 0
	s_mul_i32 s22, s39, s22
	s_add_u32 s8, s8, s22
	s_addc_u32 s38, 0, s23
	s_add_u32 s8, s42, s8
	s_cselect_b64 s[22:23], -1, 0
	s_cmp_lg_u64 s[22:23], 0
	s_addc_u32 s22, s39, s38
	s_mul_i32 s38, s40, s22
	s_mul_hi_u32 s39, s40, s8
	s_mul_hi_u32 s23, s40, s22
	s_add_u32 s38, s39, s38
	s_addc_u32 s23, 0, s23
	s_mul_hi_u32 s41, s9, s8
	s_mul_i32 s8, s9, s8
	s_add_u32 s8, s38, s8
	s_mul_hi_u32 s39, s9, s22
	s_addc_u32 s8, s23, s41
	s_addc_u32 s23, s39, 0
	s_mul_i32 s22, s9, s22
	s_add_u32 s8, s8, s22
	s_addc_u32 s22, 0, s23
	s_mul_i32 s22, s70, s22
	s_mul_hi_u32 s23, s70, s8
	s_add_i32 s38, s23, s22
	s_mul_i32 s8, s70, s8
	s_sub_u32 s8, s40, s8
	s_cselect_b64 s[22:23], -1, 0
	s_cmp_lg_u64 s[22:23], 0
	s_subb_u32 s38, s9, s38
	s_sub_u32 s39, s8, s70
	s_cselect_b64 s[22:23], -1, 0
	s_cmp_lg_u64 s[22:23], 0
	s_subb_u32 s41, s38, 0
	;; [unrolled: 4-line block ×3, first 2 shown]
	s_cmp_ge_u32 s39, s70
	s_cselect_b32 s23, -1, 0
	s_cmp_eq_u32 s41, 0
	s_cselect_b32 s23, s23, -1
	s_cmp_lg_u32 s23, 0
	s_cselect_b32 s22, s22, s41
	s_cselect_b32 s39, s42, s39
	s_cmp_ge_u32 s8, s70
	s_cselect_b32 s23, -1, 0
	s_cmp_eq_u32 s38, 0
	s_cselect_b32 s23, s23, -1
	s_cmp_lg_u32 s23, 0
	s_cselect_b32 s23, s22, s38
	s_cselect_b32 s22, s39, s8
	s_cbranch_execnz .LBB124_193
.LBB124_192:                            ;   in Loop: Header=BB124_18 Depth=1
	v_cvt_f32_u32_e32 v6, s70
	s_sub_i32 s8, 0, s70
	v_rcp_iflag_f32_e32 v6, v6
	s_nop 0
	v_mul_f32_e32 v6, 0x4f7ffffe, v6
	v_cvt_u32_f32_e32 v6, v6
	s_nop 0
	v_readfirstlane_b32 s22, v6
	s_mul_i32 s8, s8, s22
	s_mul_hi_u32 s8, s22, s8
	s_add_i32 s22, s22, s8
	s_mul_hi_u32 s8, s40, s22
	s_mul_i32 s8, s8, s70
	s_sub_i32 s8, s40, s8
	s_sub_i32 s22, s8, s70
	s_cmp_ge_u32 s8, s70
	s_cselect_b32 s8, s22, s8
	s_sub_i32 s22, s8, s70
	s_cmp_ge_u32 s8, s70
	s_cselect_b32 s76, s22, s8
	s_mov_b64 s[22:23], s[76:77]
.LBB124_193:                            ;   in Loop: Header=BB124_18 Depth=1
	s_sub_u32 s40, s40, s22
	s_subb_u32 s41, s9, s23
	v_cmp_gt_u64_e32 vcc, s[40:41], v[0:1]
	s_mov_b64 s[22:23], 0
	s_mov_b64 s[8:9], 0
                                        ; implicit-def: $vgpr33
	s_and_saveexec_b64 s[38:39], vcc
	s_cbranch_execz .LBB124_205
; %bb.194:                              ;   in Loop: Header=BB124_18 Depth=1
	v_mov_b32_e32 v8, v14
	v_mov_b64_e32 v[6:7], v[0:1]
                                        ; implicit-def: $sgpr42_sgpr43
	s_branch .LBB124_198
.LBB124_195:                            ;   in Loop: Header=BB124_198 Depth=2
	s_or_b64 exec, exec, s[44:45]
	s_waitcnt lgkmcnt(0)
	s_barrier
	ds_read_b64 v[32:33], v3 offset:3072
	s_waitcnt lgkmcnt(0)
	s_barrier
	v_cmp_neq_f32_e32 vcc, 0, v32
	s_cbranch_vccnz .LBB124_201
; %bb.196:                              ;   in Loop: Header=BB124_198 Depth=2
	v_lshl_add_u64 v[6:7], v[6:7], 0, s[70:71]
	v_cmp_le_u64_e32 vcc, s[40:41], v[6:7]
	v_add_u32_e32 v8, s78, v8
	s_mov_b64 s[44:45], 0
	s_orn2_b64 s[46:47], vcc, exec
.LBB124_197:                            ;   in Loop: Header=BB124_198 Depth=2
	s_and_b64 s[46:47], exec, s[46:47]
	s_or_b64 s[8:9], s[46:47], s[8:9]
	s_andn2_b64 s[42:43], s[42:43], exec
	s_and_b64 s[44:45], s[44:45], exec
	s_or_b64 s[42:43], s[42:43], s[44:45]
	s_andn2_b64 exec, exec, s[8:9]
	s_cbranch_execz .LBB124_204
.LBB124_198:                            ;   Parent Loop BB124_18 Depth=1
                                        ; =>  This Inner Loop Header: Depth=2
	v_cmp_gt_u64_e32 vcc, s[14:15], v[6:7]
	s_and_saveexec_b64 s[44:45], vcc
	s_cbranch_execz .LBB124_195
; %bb.199:                              ;   in Loop: Header=BB124_198 Depth=2
	ds_read_b32 v31, v8
	s_waitcnt lgkmcnt(0)
	v_cmp_lt_i32_e32 vcc, -1, v31
	s_nop 1
	v_cndmask_b32_e32 v9, -1, v45, vcc
	v_xor_b32_e32 v9, v9, v31
	v_cmp_o_f32_e32 vcc, v31, v31
	s_nop 1
	v_cndmask_b32_e32 v9, -1, v9, vcc
	v_and_b32_e32 v9, v9, v47
	v_cmp_eq_u32_e32 vcc, v9, v43
	s_and_b64 exec, exec, vcc
	s_cbranch_execz .LBB124_195
; %bb.200:                              ;   in Loop: Header=BB124_198 Depth=2
	ds_write_b64 v3, v[30:31] offset:3072
	s_branch .LBB124_195
.LBB124_201:                            ;   in Loop: Header=BB124_198 Depth=2
	s_mov_b64 s[46:47], -1
                                        ; implicit-def: $vgpr6_vgpr7
                                        ; implicit-def: $vgpr8
	s_mov_b64 s[44:45], -1
	s_branch .LBB124_197
.LBB124_202:                            ;   in Loop: Header=BB124_18 Depth=1
                                        ; implicit-def: $sgpr22_sgpr23
	s_branch .LBB124_141
.LBB124_203:                            ;   in Loop: Header=BB124_18 Depth=1
                                        ; implicit-def: $sgpr0_sgpr1
	s_branch .LBB124_161
.LBB124_204:                            ;   in Loop: Header=BB124_18 Depth=1
	s_or_b64 exec, exec, s[8:9]
	s_and_b64 s[8:9], s[42:43], exec
.LBB124_205:                            ;   in Loop: Header=BB124_18 Depth=1
	s_or_b64 exec, exec, s[38:39]
.LBB124_206:                            ;   in Loop: Header=BB124_18 Depth=1
	s_and_b64 vcc, exec, s[22:23]
	s_cbranch_vccz .LBB124_221
; %bb.207:                              ;   in Loop: Header=BB124_18 Depth=1
	s_mov_b32 s82, s77
	s_cmp_lg_u64 s[82:83], 0
	s_cbranch_scc0 .LBB124_250
; %bb.208:                              ;   in Loop: Header=BB124_18 Depth=1
	v_cvt_f32_u32_e32 v6, s70
	s_sub_u32 s14, 0, s70
	s_subb_u32 s15, 0, 0
	v_fmac_f32_e32 v6, 0, v46
	v_rcp_f32_e32 v6, v6
	s_nop 0
	v_mul_f32_e32 v6, 0x5f7ffffc, v6
	v_mul_f32_e32 v7, 0x2f800000, v6
	v_trunc_f32_e32 v7, v7
	v_fmac_f32_e32 v6, 0xcf800000, v7
	v_cvt_u32_f32_e32 v7, v7
	v_cvt_u32_f32_e32 v6, v6
	v_readfirstlane_b32 s22, v7
	v_readfirstlane_b32 s12, v6
	s_mul_i32 s13, s14, s22
	s_mul_hi_u32 s34, s14, s12
	s_mul_i32 s23, s15, s12
	s_add_i32 s13, s34, s13
	s_mul_i32 s35, s14, s12
	s_add_i32 s13, s13, s23
	s_mul_hi_u32 s34, s12, s35
	s_mul_i32 s38, s12, s13
	s_mul_hi_u32 s23, s12, s13
	s_add_u32 s34, s34, s38
	s_addc_u32 s23, 0, s23
	s_mul_hi_u32 s39, s22, s35
	s_mul_i32 s35, s22, s35
	s_add_u32 s34, s34, s35
	s_mul_hi_u32 s38, s22, s13
	s_addc_u32 s23, s23, s39
	s_addc_u32 s34, s38, 0
	s_mul_i32 s13, s22, s13
	s_add_u32 s13, s23, s13
	s_addc_u32 s23, 0, s34
	s_add_u32 s34, s12, s13
	s_cselect_b64 s[12:13], -1, 0
	s_cmp_lg_u64 s[12:13], 0
	s_addc_u32 s22, s22, s23
	s_mul_i32 s12, s14, s22
	s_mul_hi_u32 s13, s14, s34
	s_add_i32 s12, s13, s12
	s_mul_i32 s15, s15, s34
	s_add_i32 s12, s12, s15
	s_mul_i32 s14, s14, s34
	s_mul_hi_u32 s15, s22, s14
	s_mul_i32 s23, s22, s14
	s_mul_i32 s38, s34, s12
	s_mul_hi_u32 s14, s34, s14
	s_mul_hi_u32 s35, s34, s12
	s_add_u32 s14, s14, s38
	s_addc_u32 s35, 0, s35
	s_add_u32 s14, s14, s23
	s_mul_hi_u32 s13, s22, s12
	s_addc_u32 s14, s35, s15
	s_addc_u32 s13, s13, 0
	s_mul_i32 s12, s22, s12
	s_add_u32 s12, s14, s12
	s_addc_u32 s14, 0, s13
	s_add_u32 s15, s34, s12
	s_cselect_b64 s[12:13], -1, 0
	s_cmp_lg_u64 s[12:13], 0
	s_addc_u32 s12, s22, s14
	s_mul_i32 s14, s33, s12
	s_mul_hi_u32 s22, s33, s15
	s_mul_hi_u32 s13, s33, s12
	s_add_u32 s14, s22, s14
	s_addc_u32 s13, 0, s13
	s_mul_hi_u32 s23, s83, s15
	s_mul_i32 s15, s83, s15
	s_add_u32 s14, s14, s15
	s_mul_hi_u32 s22, s83, s12
	s_addc_u32 s13, s13, s23
	s_addc_u32 s14, s22, 0
	s_mul_i32 s12, s83, s12
	s_add_u32 s12, s13, s12
	s_addc_u32 s13, 0, s14
	s_mul_i32 s13, s70, s13
	s_mul_hi_u32 s14, s70, s12
	s_add_i32 s14, s14, s13
	s_mul_i32 s12, s70, s12
	s_sub_u32 s15, s33, s12
	s_cselect_b64 s[12:13], -1, 0
	s_cmp_lg_u64 s[12:13], 0
	s_subb_u32 s14, s83, s14
	s_sub_u32 s22, s15, s70
	s_cselect_b64 s[12:13], -1, 0
	s_cmp_lg_u64 s[12:13], 0
	s_subb_u32 s23, s14, 0
	;; [unrolled: 4-line block ×3, first 2 shown]
	s_cmp_ge_u32 s22, s70
	s_cselect_b32 s13, -1, 0
	s_cmp_eq_u32 s23, 0
	s_cselect_b32 s13, s13, -1
	s_cmp_lg_u32 s13, 0
	s_cselect_b32 s12, s12, s23
	s_cselect_b32 s22, s34, s22
	s_cmp_ge_u32 s15, s70
	s_cselect_b32 s13, -1, 0
	s_cmp_eq_u32 s14, 0
	s_cselect_b32 s13, s13, -1
	s_cmp_lg_u32 s13, 0
	s_cselect_b32 s13, s12, s14
	s_cselect_b32 s12, s22, s15
	s_cbranch_execnz .LBB124_210
.LBB124_209:                            ;   in Loop: Header=BB124_18 Depth=1
	v_cvt_f32_u32_e32 v6, s70
	s_sub_i32 s12, 0, s70
	v_rcp_iflag_f32_e32 v6, v6
	s_nop 0
	v_mul_f32_e32 v6, 0x4f7ffffe, v6
	v_cvt_u32_f32_e32 v6, v6
	s_nop 0
	v_readfirstlane_b32 s13, v6
	s_mul_i32 s12, s12, s13
	s_mul_hi_u32 s12, s13, s12
	s_add_i32 s13, s13, s12
	s_mul_hi_u32 s12, s33, s13
	s_mul_i32 s12, s12, s70
	s_sub_i32 s12, s33, s12
	s_sub_i32 s13, s12, s70
	s_cmp_ge_u32 s12, s70
	s_cselect_b32 s12, s13, s12
	s_sub_i32 s13, s12, s70
	s_cmp_ge_u32 s12, s70
	s_cselect_b32 s76, s13, s12
	s_mov_b64 s[12:13], s[76:77]
.LBB124_210:                            ;   in Loop: Header=BB124_18 Depth=1
	s_sub_u32 s14, s33, s12
	s_subb_u32 s15, s83, s13
	v_cmp_gt_u64_e32 vcc, s[14:15], v[0:1]
                                        ; implicit-def: $vgpr33
	s_and_saveexec_b64 s[12:13], vcc
	s_cbranch_execz .LBB124_220
; %bb.211:                              ;   in Loop: Header=BB124_18 Depth=1
	s_mov_b64 s[22:23], 0
	v_mov_b64_e32 v[6:7], v[12:13]
	v_mov_b64_e32 v[8:9], v[0:1]
                                        ; implicit-def: $sgpr34_sgpr35
	s_branch .LBB124_215
.LBB124_212:                            ;   in Loop: Header=BB124_215 Depth=2
	s_or_b64 exec, exec, s[38:39]
	s_waitcnt lgkmcnt(0)
	s_barrier
	ds_read_b64 v[32:33], v3 offset:3072
	s_waitcnt lgkmcnt(0)
	s_barrier
	v_cmp_eq_f32_e32 vcc, 0, v32
	s_cbranch_vccz .LBB124_218
; %bb.213:                              ;   in Loop: Header=BB124_215 Depth=2
	v_lshl_add_u64 v[8:9], v[8:9], 0, s[70:71]
	v_cmp_le_u64_e32 vcc, s[14:15], v[8:9]
	v_lshl_add_u64 v[6:7], v[6:7], 0, s[74:75]
	s_mov_b64 s[38:39], 0
	s_orn2_b64 s[40:41], vcc, exec
.LBB124_214:                            ;   in Loop: Header=BB124_215 Depth=2
	s_and_b64 s[40:41], exec, s[40:41]
	s_or_b64 s[22:23], s[40:41], s[22:23]
	s_andn2_b64 s[34:35], s[34:35], exec
	s_and_b64 s[38:39], s[38:39], exec
	s_or_b64 s[34:35], s[34:35], s[38:39]
	s_andn2_b64 exec, exec, s[22:23]
	s_cbranch_execz .LBB124_219
.LBB124_215:                            ;   Parent Loop BB124_18 Depth=1
                                        ; =>  This Inner Loop Header: Depth=2
	v_cmp_gt_u64_e32 vcc, s[56:57], v[8:9]
	s_and_saveexec_b64 s[38:39], vcc
	s_cbranch_execz .LBB124_212
; %bb.216:                              ;   in Loop: Header=BB124_215 Depth=2
	global_load_dword v31, v[6:7], off
	s_waitcnt vmcnt(0)
	v_cmp_lt_i32_e32 vcc, -1, v31
	s_nop 1
	v_cndmask_b32_e32 v10, -1, v45, vcc
	v_xor_b32_e32 v10, v10, v31
	v_cmp_o_f32_e32 vcc, v31, v31
	s_nop 1
	v_cndmask_b32_e32 v10, -1, v10, vcc
	v_and_b32_e32 v10, v10, v47
	v_cmp_eq_u32_e32 vcc, v10, v43
	s_and_b64 exec, exec, vcc
	s_cbranch_execz .LBB124_212
; %bb.217:                              ;   in Loop: Header=BB124_215 Depth=2
	ds_write_b64 v3, v[30:31] offset:3072
	s_branch .LBB124_212
.LBB124_218:                            ;   in Loop: Header=BB124_215 Depth=2
	s_mov_b64 s[40:41], -1
                                        ; implicit-def: $vgpr8_vgpr9
                                        ; implicit-def: $vgpr6_vgpr7
	s_mov_b64 s[38:39], -1
	s_branch .LBB124_214
.LBB124_219:                            ;   in Loop: Header=BB124_18 Depth=1
	s_or_b64 exec, exec, s[22:23]
	s_andn2_b64 s[8:9], s[8:9], exec
	s_and_b64 s[14:15], s[34:35], exec
	s_or_b64 s[8:9], s[8:9], s[14:15]
.LBB124_220:                            ;   in Loop: Header=BB124_18 Depth=1
	s_or_b64 exec, exec, s[12:13]
	s_mov_b64 s[12:13], 0
	s_mov_b64 s[34:35], -1
.LBB124_221:                            ;   in Loop: Header=BB124_18 Depth=1
	s_orn2_b64 s[8:9], s[8:9], exec
.LBB124_222:                            ;   in Loop: Header=BB124_18 Depth=1
	s_or_b64 exec, exec, s[36:37]
	s_mov_b64 s[14:15], 0
	s_and_saveexec_b64 s[36:37], s[8:9]
	s_cbranch_execz .LBB124_282
; %bb.223:                              ;   in Loop: Header=BB124_18 Depth=1
	s_xor_b64 s[10:11], s[10:11], -1
	v_mov_b32_e32 v2, 1
	s_mov_b64 s[38:39], 0
	v_mov_b64_e32 v[6:7], 1
	s_and_saveexec_b64 s[8:9], s[10:11]
	s_cbranch_execz .LBB124_232
; %bb.224:                              ;   in Loop: Header=BB124_18 Depth=1
	v_cmp_ge_u64_e32 vcc, s[24:25], v[4:5]
	s_and_saveexec_b64 s[10:11], vcc
	s_xor_b64 s[10:11], exec, s[10:11]
	s_cbranch_execz .LBB124_229
; %bb.225:                              ;   in Loop: Header=BB124_18 Depth=1
	ds_read_b64 v[6:7], v3 offset:5120
	v_and_b32_e32 v2, s48, v43
	v_lshl_or_b32 v43, 2, s79, v2
	v_or_b32_e32 v47, s54, v47
	s_waitcnt lgkmcnt(0)
	v_cmp_ne_u64_e32 vcc, 0, v[6:7]
	s_cbranch_vccnz .LBB124_229
; %bb.226:                              ;   in Loop: Header=BB124_18 Depth=1
	s_mov_b64 s[14:15], exec
	v_readlane_b32 s22, v62, 12
	v_readlane_b32 s23, v62, 13
	s_and_b64 s[22:23], s[14:15], s[22:23]
	s_mov_b64 exec, s[22:23]
; %bb.227:                              ;   in Loop: Header=BB124_18 Depth=1
	v_mov_b64_e32 v[6:7], s[24:25]
	ds_write_b64 v3, v[6:7] offset:5128
; %bb.228:                              ;   in Loop: Header=BB124_18 Depth=1
	s_or_b64 exec, exec, s[14:15]
	s_waitcnt lgkmcnt(0)
	s_barrier
.LBB124_229:                            ;   in Loop: Header=BB124_18 Depth=1
	s_or_saveexec_b64 s[10:11], s[10:11]
	s_mov_b64 s[14:15], 0
	v_mov_b32_e32 v2, 8
	s_xor_b64 exec, exec, s[10:11]
; %bb.230:                              ;   in Loop: Header=BB124_18 Depth=1
	v_mov_b32_e32 v2, s25
	v_subrev_co_u32_e32 v4, vcc, s24, v4
	s_mov_b64 s[14:15], exec
	s_nop 0
	v_subb_co_u32_e32 v5, vcc, v5, v2, vcc
	v_mov_b32_e32 v2, 0
; %bb.231:                              ;   in Loop: Header=BB124_18 Depth=1
	s_or_b64 exec, exec, s[10:11]
	s_and_b64 s[38:39], s[14:15], exec
	v_mov_b64_e32 v[6:7], v[4:5]
.LBB124_232:                            ;   in Loop: Header=BB124_18 Depth=1
	s_or_b64 exec, exec, s[8:9]
	s_mov_b64 s[22:23], -1
                                        ; implicit-def: $sgpr14_sgpr15
                                        ; implicit-def: $sgpr8_sgpr9
	s_and_saveexec_b64 s[10:11], s[38:39]
	s_cbranch_execz .LBB124_281
; %bb.233:                              ;   in Loop: Header=BB124_18 Depth=1
	s_cmp_eq_u64 s[2:3], 1
	s_cselect_b64 s[8:9], -1, 0
	v_cmp_eq_u64_e32 vcc, 1, v[6:7]
	s_and_b64 s[24:25], s[8:9], vcc
	s_mov_b64 s[40:41], -1
                                        ; implicit-def: $sgpr14_sgpr15
                                        ; implicit-def: $sgpr8_sgpr9
	s_and_saveexec_b64 s[38:39], s[24:25]
	s_cbranch_execz .LBB124_269
; %bb.234:                              ;   in Loop: Header=BB124_18 Depth=1
	ds_read_b64 v[4:5], v3 offset:5120
	s_waitcnt lgkmcnt(0)
	s_barrier
	v_readfirstlane_b32 s40, v4
	v_readfirstlane_b32 s41, v5
	s_mov_b64 s[8:9], exec
	v_readlane_b32 s14, v62, 14
	v_readlane_b32 s15, v62, 15
	s_and_b64 s[14:15], s[8:9], s[14:15]
	s_mov_b64 exec, s[14:15]
; %bb.235:                              ;   in Loop: Header=BB124_18 Depth=1
	ds_write_b32 v39, v3
; %bb.236:                              ;   in Loop: Header=BB124_18 Depth=1
	s_or_b64 exec, exec, s[8:9]
	v_or_b32_e32 v43, s54, v43
	v_or_b32_e32 v47, s54, v47
	s_mov_b64 s[8:9], -1
	s_mov_b64 s[14:15], 0
	s_cmp_eq_u64 s[40:41], 0
	s_mov_b64 s[22:23], 0
	s_mov_b64 s[42:43], -1
	s_waitcnt lgkmcnt(0)
	s_barrier
                                        ; implicit-def: $vgpr33
	s_cbranch_scc1 .LBB124_253
; %bb.237:                              ;   in Loop: Header=BB124_18 Depth=1
	v_readlane_b32 s22, v62, 20
	s_add_u32 s46, s40, s22
	v_readlane_b32 s22, v62, 21
	s_addc_u32 s23, s41, s22
	s_mov_b32 s22, s77
	s_cmp_lg_u64 s[22:23], 0
	s_cbranch_scc0 .LBB124_288
; %bb.238:                              ;   in Loop: Header=BB124_18 Depth=1
	v_cvt_f32_u32_e32 v4, s70
	s_sub_u32 s22, 0, s70
	s_subb_u32 s44, 0, 0
	v_fmac_f32_e32 v4, 0, v46
	v_rcp_f32_e32 v4, v4
	s_nop 0
	v_mul_f32_e32 v4, 0x5f7ffffc, v4
	v_mul_f32_e32 v5, 0x2f800000, v4
	v_trunc_f32_e32 v5, v5
	v_fmac_f32_e32 v4, 0xcf800000, v5
	v_cvt_u32_f32_e32 v5, v5
	v_cvt_u32_f32_e32 v4, v4
	v_readfirstlane_b32 s45, v5
	v_readfirstlane_b32 s42, v4
	s_mul_i32 s43, s22, s45
	s_mul_hi_u32 s48, s22, s42
	s_mul_i32 s47, s44, s42
	s_add_i32 s43, s48, s43
	s_mul_i32 s49, s22, s42
	s_add_i32 s43, s43, s47
	s_mul_hi_u32 s48, s42, s49
	s_mul_i32 s50, s42, s43
	s_mul_hi_u32 s47, s42, s43
	s_add_u32 s48, s48, s50
	s_addc_u32 s47, 0, s47
	s_mul_hi_u32 s51, s45, s49
	s_mul_i32 s49, s45, s49
	s_add_u32 s48, s48, s49
	s_mul_hi_u32 s50, s45, s43
	s_addc_u32 s47, s47, s51
	s_addc_u32 s48, s50, 0
	s_mul_i32 s43, s45, s43
	s_add_u32 s43, s47, s43
	s_addc_u32 s47, 0, s48
	s_add_u32 s48, s42, s43
	s_cselect_b64 s[42:43], -1, 0
	s_cmp_lg_u64 s[42:43], 0
	s_addc_u32 s45, s45, s47
	s_mul_i32 s42, s22, s45
	s_mul_hi_u32 s43, s22, s48
	s_add_i32 s42, s43, s42
	s_mul_i32 s44, s44, s48
	s_add_i32 s42, s42, s44
	s_mul_i32 s22, s22, s48
	s_mul_hi_u32 s44, s45, s22
	s_mul_i32 s47, s45, s22
	s_mul_i32 s50, s48, s42
	s_mul_hi_u32 s22, s48, s22
	s_mul_hi_u32 s49, s48, s42
	s_add_u32 s22, s22, s50
	s_addc_u32 s49, 0, s49
	s_add_u32 s22, s22, s47
	s_mul_hi_u32 s43, s45, s42
	s_addc_u32 s22, s49, s44
	s_addc_u32 s43, s43, 0
	s_mul_i32 s42, s45, s42
	s_add_u32 s22, s22, s42
	s_addc_u32 s44, 0, s43
	s_add_u32 s22, s48, s22
	s_cselect_b64 s[42:43], -1, 0
	s_cmp_lg_u64 s[42:43], 0
	s_addc_u32 s42, s45, s44
	s_mul_i32 s44, s46, s42
	s_mul_hi_u32 s45, s46, s22
	s_mul_hi_u32 s43, s46, s42
	s_add_u32 s44, s45, s44
	s_addc_u32 s43, 0, s43
	s_mul_hi_u32 s47, s23, s22
	s_mul_i32 s22, s23, s22
	s_add_u32 s22, s44, s22
	s_mul_hi_u32 s45, s23, s42
	s_addc_u32 s22, s43, s47
	s_addc_u32 s43, s45, 0
	s_mul_i32 s42, s23, s42
	s_add_u32 s22, s22, s42
	s_addc_u32 s42, 0, s43
	s_mul_i32 s42, s70, s42
	s_mul_hi_u32 s43, s70, s22
	s_add_i32 s44, s43, s42
	s_mul_i32 s22, s70, s22
	s_sub_u32 s22, s46, s22
	s_cselect_b64 s[42:43], -1, 0
	s_cmp_lg_u64 s[42:43], 0
	s_subb_u32 s44, s23, s44
	s_sub_u32 s45, s22, s70
	s_cselect_b64 s[42:43], -1, 0
	s_cmp_lg_u64 s[42:43], 0
	s_subb_u32 s47, s44, 0
	;; [unrolled: 4-line block ×3, first 2 shown]
	s_cmp_ge_u32 s45, s70
	s_cselect_b32 s43, -1, 0
	s_cmp_eq_u32 s47, 0
	s_cselect_b32 s43, s43, -1
	s_cmp_lg_u32 s43, 0
	s_cselect_b32 s42, s42, s47
	s_cselect_b32 s45, s48, s45
	s_cmp_ge_u32 s22, s70
	s_cselect_b32 s43, -1, 0
	s_cmp_eq_u32 s44, 0
	s_cselect_b32 s43, s43, -1
	s_cmp_lg_u32 s43, 0
	s_cselect_b32 s43, s42, s44
	s_cselect_b32 s42, s45, s22
	s_cbranch_execnz .LBB124_240
.LBB124_239:                            ;   in Loop: Header=BB124_18 Depth=1
	v_cvt_f32_u32_e32 v4, s70
	s_sub_i32 s22, 0, s70
	v_rcp_iflag_f32_e32 v4, v4
	s_nop 0
	v_mul_f32_e32 v4, 0x4f7ffffe, v4
	v_cvt_u32_f32_e32 v4, v4
	s_nop 0
	v_readfirstlane_b32 s42, v4
	s_mul_i32 s22, s22, s42
	s_mul_hi_u32 s22, s42, s22
	s_add_i32 s42, s42, s22
	s_mul_hi_u32 s22, s46, s42
	s_mul_i32 s22, s22, s70
	s_sub_i32 s22, s46, s22
	s_sub_i32 s42, s22, s70
	s_cmp_ge_u32 s22, s70
	s_cselect_b32 s22, s42, s22
	s_sub_i32 s42, s22, s70
	s_cmp_ge_u32 s22, s70
	s_cselect_b32 s76, s42, s22
	s_mov_b64 s[42:43], s[76:77]
.LBB124_240:                            ;   in Loop: Header=BB124_18 Depth=1
	s_sub_u32 s46, s46, s42
	s_subb_u32 s47, s23, s43
	v_cmp_gt_u64_e32 vcc, s[46:47], v[0:1]
	s_mov_b64 s[42:43], 0
	s_mov_b64 s[22:23], 0
                                        ; implicit-def: $vgpr33
	s_and_saveexec_b64 s[44:45], vcc
	s_cbranch_execz .LBB124_252
; %bb.241:                              ;   in Loop: Header=BB124_18 Depth=1
	v_mov_b32_e32 v8, v14
	v_mov_b64_e32 v[4:5], v[0:1]
                                        ; implicit-def: $sgpr48_sgpr49
	s_branch .LBB124_245
.LBB124_242:                            ;   in Loop: Header=BB124_245 Depth=2
	s_or_b64 exec, exec, s[50:51]
	s_waitcnt lgkmcnt(0)
	s_barrier
	ds_read_b64 v[32:33], v3 offset:3072
	s_waitcnt lgkmcnt(0)
	s_barrier
	v_cmp_neq_f32_e32 vcc, 0, v32
	s_cbranch_vccnz .LBB124_248
; %bb.243:                              ;   in Loop: Header=BB124_245 Depth=2
	v_lshl_add_u64 v[4:5], v[4:5], 0, s[70:71]
	v_cmp_le_u64_e32 vcc, s[46:47], v[4:5]
	v_add_u32_e32 v8, s78, v8
	s_mov_b64 s[50:51], 0
	s_orn2_b64 s[52:53], vcc, exec
.LBB124_244:                            ;   in Loop: Header=BB124_245 Depth=2
	s_and_b64 s[52:53], exec, s[52:53]
	s_or_b64 s[22:23], s[52:53], s[22:23]
	s_andn2_b64 s[48:49], s[48:49], exec
	s_and_b64 s[50:51], s[50:51], exec
	s_or_b64 s[48:49], s[48:49], s[50:51]
	s_andn2_b64 exec, exec, s[22:23]
	s_cbranch_execz .LBB124_251
.LBB124_245:                            ;   Parent Loop BB124_18 Depth=1
                                        ; =>  This Inner Loop Header: Depth=2
	v_cmp_gt_u64_e32 vcc, s[40:41], v[4:5]
	s_and_saveexec_b64 s[50:51], vcc
	s_cbranch_execz .LBB124_242
; %bb.246:                              ;   in Loop: Header=BB124_245 Depth=2
	ds_read_b32 v31, v8
	s_waitcnt lgkmcnt(0)
	v_cmp_lt_i32_e32 vcc, -1, v31
	s_nop 1
	v_cndmask_b32_e32 v9, -1, v45, vcc
	v_xor_b32_e32 v9, v9, v31
	v_cmp_o_f32_e32 vcc, v31, v31
	s_nop 1
	v_cndmask_b32_e32 v9, -1, v9, vcc
	v_and_b32_e32 v9, v9, v47
	v_cmp_eq_u32_e32 vcc, v9, v43
	s_and_b64 exec, exec, vcc
	s_cbranch_execz .LBB124_242
; %bb.247:                              ;   in Loop: Header=BB124_245 Depth=2
	ds_write_b64 v3, v[30:31] offset:3072
	s_branch .LBB124_242
.LBB124_248:                            ;   in Loop: Header=BB124_245 Depth=2
	s_mov_b64 s[52:53], -1
                                        ; implicit-def: $vgpr4_vgpr5
                                        ; implicit-def: $vgpr8
	s_mov_b64 s[50:51], -1
	s_branch .LBB124_244
.LBB124_249:                            ;   in Loop: Header=BB124_18 Depth=1
                                        ; implicit-def: $sgpr22_sgpr23
	s_branch .LBB124_192
.LBB124_250:                            ;   in Loop: Header=BB124_18 Depth=1
                                        ; implicit-def: $sgpr12_sgpr13
	s_branch .LBB124_209
.LBB124_251:                            ;   in Loop: Header=BB124_18 Depth=1
	s_or_b64 exec, exec, s[22:23]
	s_and_b64 s[22:23], s[48:49], exec
.LBB124_252:                            ;   in Loop: Header=BB124_18 Depth=1
	s_or_b64 exec, exec, s[44:45]
.LBB124_253:                            ;   in Loop: Header=BB124_18 Depth=1
	s_and_b64 vcc, exec, s[42:43]
	s_cbranch_vccz .LBB124_268
; %bb.254:                              ;   in Loop: Header=BB124_18 Depth=1
	s_mov_b32 s82, s77
	s_cmp_lg_u64 s[82:83], 0
	s_cbranch_scc0 .LBB124_289
; %bb.255:                              ;   in Loop: Header=BB124_18 Depth=1
	v_cvt_f32_u32_e32 v4, s70
	s_sub_u32 s14, 0, s70
	s_subb_u32 s15, 0, 0
	v_fmac_f32_e32 v4, 0, v46
	v_rcp_f32_e32 v4, v4
	s_nop 0
	v_mul_f32_e32 v4, 0x5f7ffffc, v4
	v_mul_f32_e32 v5, 0x2f800000, v4
	v_trunc_f32_e32 v5, v5
	v_fmac_f32_e32 v4, 0xcf800000, v5
	v_cvt_u32_f32_e32 v5, v5
	v_cvt_u32_f32_e32 v4, v4
	v_readfirstlane_b32 s40, v5
	v_readfirstlane_b32 s8, v4
	s_mul_i32 s9, s14, s40
	s_mul_hi_u32 s42, s14, s8
	s_mul_i32 s41, s15, s8
	s_add_i32 s9, s42, s9
	s_mul_i32 s43, s14, s8
	s_add_i32 s9, s9, s41
	s_mul_hi_u32 s42, s8, s43
	s_mul_i32 s44, s8, s9
	s_mul_hi_u32 s41, s8, s9
	s_add_u32 s42, s42, s44
	s_addc_u32 s41, 0, s41
	s_mul_hi_u32 s45, s40, s43
	s_mul_i32 s43, s40, s43
	s_add_u32 s42, s42, s43
	s_mul_hi_u32 s44, s40, s9
	s_addc_u32 s41, s41, s45
	s_addc_u32 s42, s44, 0
	s_mul_i32 s9, s40, s9
	s_add_u32 s9, s41, s9
	s_addc_u32 s41, 0, s42
	s_add_u32 s42, s8, s9
	s_cselect_b64 s[8:9], -1, 0
	s_cmp_lg_u64 s[8:9], 0
	s_addc_u32 s40, s40, s41
	s_mul_i32 s8, s14, s40
	s_mul_hi_u32 s9, s14, s42
	s_add_i32 s8, s9, s8
	s_mul_i32 s15, s15, s42
	s_add_i32 s8, s8, s15
	s_mul_i32 s14, s14, s42
	s_mul_hi_u32 s15, s40, s14
	s_mul_i32 s41, s40, s14
	s_mul_i32 s44, s42, s8
	s_mul_hi_u32 s14, s42, s14
	s_mul_hi_u32 s43, s42, s8
	s_add_u32 s14, s14, s44
	s_addc_u32 s43, 0, s43
	s_add_u32 s14, s14, s41
	s_mul_hi_u32 s9, s40, s8
	s_addc_u32 s14, s43, s15
	s_addc_u32 s9, s9, 0
	s_mul_i32 s8, s40, s8
	s_add_u32 s8, s14, s8
	s_addc_u32 s14, 0, s9
	s_add_u32 s15, s42, s8
	s_cselect_b64 s[8:9], -1, 0
	s_cmp_lg_u64 s[8:9], 0
	s_addc_u32 s8, s40, s14
	s_mul_i32 s14, s33, s8
	s_mul_hi_u32 s40, s33, s15
	s_mul_hi_u32 s9, s33, s8
	s_add_u32 s14, s40, s14
	s_addc_u32 s9, 0, s9
	s_mul_hi_u32 s41, s83, s15
	s_mul_i32 s15, s83, s15
	s_add_u32 s14, s14, s15
	s_mul_hi_u32 s40, s83, s8
	s_addc_u32 s9, s9, s41
	s_addc_u32 s14, s40, 0
	s_mul_i32 s8, s83, s8
	s_add_u32 s8, s9, s8
	s_addc_u32 s9, 0, s14
	s_mul_i32 s9, s70, s9
	s_mul_hi_u32 s14, s70, s8
	s_add_i32 s14, s14, s9
	s_mul_i32 s8, s70, s8
	s_sub_u32 s15, s33, s8
	s_cselect_b64 s[8:9], -1, 0
	s_cmp_lg_u64 s[8:9], 0
	s_subb_u32 s14, s83, s14
	s_sub_u32 s40, s15, s70
	s_cselect_b64 s[8:9], -1, 0
	s_cmp_lg_u64 s[8:9], 0
	s_subb_u32 s41, s14, 0
	;; [unrolled: 4-line block ×3, first 2 shown]
	s_cmp_ge_u32 s40, s70
	s_cselect_b32 s9, -1, 0
	s_cmp_eq_u32 s41, 0
	s_cselect_b32 s9, s9, -1
	s_cmp_lg_u32 s9, 0
	s_cselect_b32 s8, s8, s41
	s_cselect_b32 s40, s42, s40
	s_cmp_ge_u32 s15, s70
	s_cselect_b32 s9, -1, 0
	s_cmp_eq_u32 s14, 0
	s_cselect_b32 s9, s9, -1
	s_cmp_lg_u32 s9, 0
	s_cselect_b32 s9, s8, s14
	s_cselect_b32 s8, s40, s15
	s_cbranch_execnz .LBB124_257
.LBB124_256:                            ;   in Loop: Header=BB124_18 Depth=1
	v_cvt_f32_u32_e32 v4, s70
	s_sub_i32 s8, 0, s70
	v_rcp_iflag_f32_e32 v4, v4
	s_nop 0
	v_mul_f32_e32 v4, 0x4f7ffffe, v4
	v_cvt_u32_f32_e32 v4, v4
	s_nop 0
	v_readfirstlane_b32 s9, v4
	s_mul_i32 s8, s8, s9
	s_mul_hi_u32 s8, s9, s8
	s_add_i32 s9, s9, s8
	s_mul_hi_u32 s8, s33, s9
	s_mul_i32 s8, s8, s70
	s_sub_i32 s8, s33, s8
	s_sub_i32 s9, s8, s70
	s_cmp_ge_u32 s8, s70
	s_cselect_b32 s8, s9, s8
	s_sub_i32 s9, s8, s70
	s_cmp_ge_u32 s8, s70
	s_cselect_b32 s76, s9, s8
	s_mov_b64 s[8:9], s[76:77]
.LBB124_257:                            ;   in Loop: Header=BB124_18 Depth=1
	s_sub_u32 s14, s33, s8
	s_subb_u32 s15, s83, s9
	v_cmp_gt_u64_e32 vcc, s[14:15], v[0:1]
                                        ; implicit-def: $vgpr33
	s_and_saveexec_b64 s[8:9], vcc
	s_cbranch_execz .LBB124_267
; %bb.258:                              ;   in Loop: Header=BB124_18 Depth=1
	s_mov_b64 s[40:41], 0
	v_mov_b64_e32 v[4:5], v[12:13]
	v_mov_b64_e32 v[8:9], v[0:1]
                                        ; implicit-def: $sgpr42_sgpr43
	s_branch .LBB124_262
.LBB124_259:                            ;   in Loop: Header=BB124_262 Depth=2
	s_or_b64 exec, exec, s[44:45]
	s_waitcnt lgkmcnt(0)
	s_barrier
	ds_read_b64 v[32:33], v3 offset:3072
	s_waitcnt lgkmcnt(0)
	s_barrier
	v_cmp_eq_f32_e32 vcc, 0, v32
	s_cbranch_vccz .LBB124_265
; %bb.260:                              ;   in Loop: Header=BB124_262 Depth=2
	v_lshl_add_u64 v[8:9], v[8:9], 0, s[70:71]
	v_cmp_le_u64_e32 vcc, s[14:15], v[8:9]
	v_lshl_add_u64 v[4:5], v[4:5], 0, s[74:75]
	s_mov_b64 s[44:45], 0
	s_orn2_b64 s[46:47], vcc, exec
.LBB124_261:                            ;   in Loop: Header=BB124_262 Depth=2
	s_and_b64 s[46:47], exec, s[46:47]
	s_or_b64 s[40:41], s[46:47], s[40:41]
	s_andn2_b64 s[42:43], s[42:43], exec
	s_and_b64 s[44:45], s[44:45], exec
	s_or_b64 s[42:43], s[42:43], s[44:45]
	s_andn2_b64 exec, exec, s[40:41]
	s_cbranch_execz .LBB124_266
.LBB124_262:                            ;   Parent Loop BB124_18 Depth=1
                                        ; =>  This Inner Loop Header: Depth=2
	v_cmp_gt_u64_e32 vcc, s[56:57], v[8:9]
	s_and_saveexec_b64 s[44:45], vcc
	s_cbranch_execz .LBB124_259
; %bb.263:                              ;   in Loop: Header=BB124_262 Depth=2
	global_load_dword v31, v[4:5], off
	s_waitcnt vmcnt(0)
	v_cmp_lt_i32_e32 vcc, -1, v31
	s_nop 1
	v_cndmask_b32_e32 v10, -1, v45, vcc
	v_xor_b32_e32 v10, v10, v31
	v_cmp_o_f32_e32 vcc, v31, v31
	s_nop 1
	v_cndmask_b32_e32 v10, -1, v10, vcc
	v_and_b32_e32 v10, v10, v47
	v_cmp_eq_u32_e32 vcc, v10, v43
	s_and_b64 exec, exec, vcc
	s_cbranch_execz .LBB124_259
; %bb.264:                              ;   in Loop: Header=BB124_262 Depth=2
	ds_write_b64 v3, v[30:31] offset:3072
	s_branch .LBB124_259
.LBB124_265:                            ;   in Loop: Header=BB124_262 Depth=2
	s_mov_b64 s[46:47], -1
                                        ; implicit-def: $vgpr8_vgpr9
                                        ; implicit-def: $vgpr4_vgpr5
	s_mov_b64 s[44:45], -1
	s_branch .LBB124_261
.LBB124_266:                            ;   in Loop: Header=BB124_18 Depth=1
	s_or_b64 exec, exec, s[40:41]
	s_andn2_b64 s[14:15], s[22:23], exec
	s_and_b64 s[22:23], s[42:43], exec
	s_or_b64 s[22:23], s[14:15], s[22:23]
.LBB124_267:                            ;   in Loop: Header=BB124_18 Depth=1
	s_or_b64 exec, exec, s[8:9]
	s_mov_b64 s[8:9], 0
	s_mov_b64 s[14:15], -1
.LBB124_268:                            ;   in Loop: Header=BB124_18 Depth=1
	s_orn2_b64 s[40:41], s[22:23], exec
.LBB124_269:                            ;   in Loop: Header=BB124_18 Depth=1
	s_or_b64 exec, exec, s[38:39]
	s_mov_b64 s[38:39], 0
	s_and_saveexec_b64 s[22:23], s[40:41]
	s_cbranch_execz .LBB124_280
; %bb.270:                              ;   in Loop: Header=BB124_18 Depth=1
	s_xor_b64 s[38:39], s[24:25], -1
	v_mov_b64_e32 v[4:5], 1
	v_mov_b32_e32 v2, 1
	s_and_saveexec_b64 s[24:25], s[38:39]
	s_cbranch_execz .LBB124_279
; %bb.271:                              ;   in Loop: Header=BB124_18 Depth=1
	v_cmp_ge_u64_e32 vcc, s[2:3], v[6:7]
	s_and_saveexec_b64 s[38:39], vcc
	s_xor_b64 s[38:39], exec, s[38:39]
	s_cbranch_execz .LBB124_276
; %bb.272:                              ;   in Loop: Header=BB124_18 Depth=1
	ds_read_b64 v[4:5], v3 offset:5120
	v_or_b32_e32 v43, s54, v43
	v_or_b32_e32 v47, s54, v47
	s_waitcnt lgkmcnt(0)
	v_cmp_ne_u64_e32 vcc, 0, v[4:5]
	s_cbranch_vccnz .LBB124_276
; %bb.273:                              ;   in Loop: Header=BB124_18 Depth=1
	s_mov_b64 s[40:41], exec
	v_readlane_b32 s42, v62, 12
	v_readlane_b32 s43, v62, 13
	s_and_b64 s[42:43], s[40:41], s[42:43]
	s_mov_b64 exec, s[42:43]
; %bb.274:                              ;   in Loop: Header=BB124_18 Depth=1
	v_mov_b64_e32 v[4:5], s[2:3]
	ds_write_b64 v3, v[4:5] offset:5128
; %bb.275:                              ;   in Loop: Header=BB124_18 Depth=1
	s_or_b64 exec, exec, s[40:41]
	s_waitcnt lgkmcnt(0)
	s_barrier
.LBB124_276:                            ;   in Loop: Header=BB124_18 Depth=1
	s_andn2_saveexec_b64 s[38:39], s[38:39]
; %bb.277:                              ;   in Loop: Header=BB124_18 Depth=1
	v_mov_b32_e32 v2, s3
	v_subrev_co_u32_e32 v6, vcc, s2, v6
	s_nop 1
	v_subb_co_u32_e32 v7, vcc, v7, v2, vcc
; %bb.278:                              ;   in Loop: Header=BB124_18 Depth=1
	s_or_b64 exec, exec, s[38:39]
	v_mov_b32_e32 v2, 8
	v_mov_b64_e32 v[4:5], v[6:7]
.LBB124_279:                            ;   in Loop: Header=BB124_18 Depth=1
	s_or_b64 exec, exec, s[24:25]
	s_mov_b64 s[38:39], exec
	v_mov_b64_e32 v[6:7], v[4:5]
.LBB124_280:                            ;   in Loop: Header=BB124_18 Depth=1
	s_or_b64 exec, exec, s[22:23]
	s_orn2_b64 s[22:23], s[38:39], exec
.LBB124_281:                            ;   in Loop: Header=BB124_18 Depth=1
	s_or_b64 exec, exec, s[10:11]
	s_andn2_b64 s[2:3], s[34:35], exec
	s_and_b64 s[10:11], s[14:15], exec
	s_or_b64 s[34:35], s[2:3], s[10:11]
	s_andn2_b64 s[2:3], s[12:13], exec
	s_and_b64 s[8:9], s[8:9], exec
	s_or_b64 s[12:13], s[2:3], s[8:9]
	s_and_b64 s[14:15], s[22:23], exec
	v_mov_b64_e32 v[4:5], v[6:7]
.LBB124_282:                            ;   in Loop: Header=BB124_18 Depth=1
	s_or_b64 exec, exec, s[36:37]
	s_orn2_b64 s[8:9], s[14:15], exec
.LBB124_283:                            ;   in Loop: Header=BB124_18 Depth=1
	s_or_b64 exec, exec, s[30:31]
	s_andn2_b64 s[2:3], s[26:27], exec
	s_and_b64 s[10:11], s[34:35], exec
	s_or_b64 s[26:27], s[2:3], s[10:11]
	s_andn2_b64 s[0:1], s[0:1], exec
	s_and_b64 s[2:3], s[12:13], exec
	s_or_b64 s[0:1], s[0:1], s[2:3]
	s_and_b64 s[12:13], s[8:9], exec
	v_mov_b64_e32 v[8:9], v[4:5]
.LBB124_284:                            ;   in Loop: Header=BB124_18 Depth=1
	s_or_b64 exec, exec, s[28:29]
	s_orn2_b64 s[8:9], s[12:13], exec
.LBB124_285:                            ;   in Loop: Header=BB124_18 Depth=1
	s_or_b64 exec, exec, s[20:21]
	s_mov_b64 s[10:11], 0
	s_and_saveexec_b64 s[2:3], s[8:9]
	s_xor_b64 s[2:3], exec, s[2:3]
	s_cbranch_execz .LBB124_16
; %bb.286:                              ;   in Loop: Header=BB124_18 Depth=1
	v_and_b32_e32 v2, 7, v2
	v_cmp_eq_u32_e32 vcc, 0, v2
	s_mov_b64 s[8:9], -1
	s_mov_b64 s[10:11], -1
	s_and_saveexec_b64 s[12:13], vcc
	s_cbranch_execz .LBB124_15
; %bb.287:                              ;   in Loop: Header=BB124_18 Depth=1
	s_xor_b32 s84, s84, 1
	s_add_i32 s14, s79, -2
	s_cmp_eq_u32 s79, 0
	s_cselect_b64 s[8:9], -1, 0
	s_xor_b64 s[10:11], exec, -1
	s_orn2_b64 s[8:9], s[8:9], exec
	s_mov_b32 s79, s14
	s_branch .LBB124_15
.LBB124_288:                            ;   in Loop: Header=BB124_18 Depth=1
                                        ; implicit-def: $sgpr42_sgpr43
	s_branch .LBB124_239
.LBB124_289:                            ;   in Loop: Header=BB124_18 Depth=1
                                        ; implicit-def: $sgpr8_sgpr9
	s_branch .LBB124_256
.LBB124_290:
	s_or_b64 exec, exec, s[94:95]
	s_xor_b64 s[4:5], s[58:59], -1
	s_xor_b64 s[2:3], s[96:97], -1
	;; [unrolled: 1-line block ×3, first 2 shown]
	s_mov_b64 s[0:1], 0
	s_and_saveexec_b64 s[8:9], s[2:3]
	s_xor_b64 s[2:3], exec, s[8:9]
	s_cbranch_execnz .LBB124_295
; %bb.291:
	s_andn2_saveexec_b64 s[2:3], s[2:3]
	s_cbranch_execnz .LBB124_308
.LBB124_292:
	s_or_b64 exec, exec, s[2:3]
	s_and_saveexec_b64 s[2:3], s[0:1]
.LBB124_293:
	; divergent unreachable
.LBB124_294:
	s_endpgm
.LBB124_295:
	s_and_saveexec_b64 s[0:1], s[4:5]
	s_xor_b64 s[4:5], exec, s[0:1]
	s_cbranch_execz .LBB124_306
; %bb.296:
	s_and_saveexec_b64 s[0:1], s[6:7]
	s_xor_b64 s[0:1], exec, s[0:1]
; %bb.297:
	v_bfrev_b32_e32 v2, 1
	v_cmp_lt_i32_e32 vcc, -1, v43
	s_nop 1
	v_cndmask_b32_e64 v2, v2, -1, vcc
	v_xor_b32_e32 v33, v2, v43
; %bb.298:
	s_or_b64 exec, exec, s[0:1]
	v_readlane_b32 s0, v62, 8
	v_readlane_b32 s8, v62, 4
	;; [unrolled: 1-line block ×3, first 2 shown]
	s_mov_b32 s6, s0
	v_readlane_b32 s9, v62, 5
	s_mul_i32 s0, s9, s0
	s_mul_hi_u32 s1, s8, s6
	s_add_i32 s1, s1, s0
	s_mul_i32 s0, s8, s6
	s_lshl_b64 s[0:1], s[0:1], 2
	v_readlane_b32 s6, v62, 6
	v_readlane_b32 s7, v62, 7
	s_add_u32 s0, s6, s0
	s_addc_u32 s1, s7, s1
	v_mov_b32_e32 v2, 0
	global_store_dword v2, v33, s[0:1]
	s_mov_b64 s[6:7], exec
	v_readlane_b32 s0, v62, 10
	v_readlane_b32 s1, v62, 11
	s_and_b64 s[0:1], s[6:7], s[0:1]
	s_mov_b64 exec, s[0:1]
	s_cbranch_execz .LBB124_305
; %bb.299:
	v_cmp_u_f32_e32 vcc, v33, v33
	s_mov_b64 s[8:9], 0
	s_xor_b64 s[12:13], vcc, -1
                                        ; implicit-def: $sgpr10_sgpr11
                                        ; implicit-def: $sgpr16_sgpr17
                                        ; implicit-def: $sgpr14_sgpr15
	s_branch .LBB124_301
.LBB124_300:                            ;   in Loop: Header=BB124_301 Depth=1
	s_or_b64 exec, exec, s[0:1]
	s_and_b64 s[0:1], exec, s[16:17]
	s_or_b64 s[8:9], s[0:1], s[8:9]
	s_andn2_b64 s[0:1], s[10:11], exec
	s_and_b64 s[10:11], s[14:15], exec
	s_or_b64 s[10:11], s[0:1], s[10:11]
	s_andn2_b64 exec, exec, s[8:9]
	s_cbranch_execz .LBB124_303
.LBB124_301:                            ; =>This Inner Loop Header: Depth=1
	global_load_dword v4, v[12:13], off
	v_mov_b64_e32 v[2:3], v[0:1]
	s_or_b64 s[14:15], s[14:15], exec
	s_or_b64 s[16:17], s[16:17], exec
                                        ; implicit-def: $vgpr0_vgpr1
	s_waitcnt vmcnt(0)
	v_cmp_o_f32_e64 s[0:1], v4, v4
	v_cmp_neq_f32_e32 vcc, v4, v33
	s_or_b64 s[0:1], s[0:1], s[12:13]
	s_and_b64 s[18:19], vcc, s[0:1]
	s_and_saveexec_b64 s[0:1], s[18:19]
	s_cbranch_execz .LBB124_300
; %bb.302:                              ;   in Loop: Header=BB124_301 Depth=1
	v_lshl_add_u64 v[0:1], v[2:3], 0, s[70:71]
	v_cmp_le_u64_e32 vcc, s[56:57], v[0:1]
	s_andn2_b64 s[16:17], s[16:17], exec
	s_and_b64 s[18:19], vcc, exec
	v_lshl_add_u64 v[12:13], v[12:13], 0, s[74:75]
	s_andn2_b64 s[14:15], s[14:15], exec
	s_or_b64 s[16:17], s[16:17], s[18:19]
	s_branch .LBB124_300
.LBB124_303:
	s_or_b64 exec, exec, s[8:9]
	s_and_saveexec_b64 s[0:1], s[10:11]
	s_xor_b64 s[0:1], exec, s[0:1]
	s_cbranch_execz .LBB124_305
; %bb.304:
	v_readlane_b32 s0, v62, 8
	v_readlane_b32 s10, v62, 0
	;; [unrolled: 1-line block ×3, first 2 shown]
	s_mov_b32 s8, s0
	v_readlane_b32 s11, v62, 1
	s_mul_i32 s0, s11, s0
	s_mul_hi_u32 s1, s10, s8
	s_add_i32 s1, s1, s0
	s_mul_i32 s0, s10, s8
	s_lshl_b64 s[0:1], s[0:1], 3
	v_readlane_b32 s8, v62, 2
	v_readlane_b32 s9, v62, 3
	s_add_u32 s0, s8, s0
	s_addc_u32 s1, s9, s1
	v_mov_b32_e32 v0, 0
	global_store_dwordx2 v0, v[2:3], s[0:1]
.LBB124_305:
	s_or_b64 exec, exec, s[6:7]
.LBB124_306:
	s_or_saveexec_b64 s[0:1], s[4:5]
	s_mov_b64 s[4:5], 0
	s_xor_b64 exec, exec, s[0:1]
	s_cbranch_execnz .LBB124_309
.LBB124_307:
	s_or_b64 exec, exec, s[0:1]
	s_and_b64 s[0:1], s[4:5], exec
	s_andn2_saveexec_b64 s[2:3], s[2:3]
	s_cbranch_execz .LBB124_292
.LBB124_308:
	s_or_b64 s[0:1], s[0:1], exec
	s_trap 2
	s_or_b64 exec, exec, s[2:3]
	s_and_saveexec_b64 s[2:3], s[0:1]
	s_cbranch_execnz .LBB124_293
	s_branch .LBB124_294
.LBB124_309:
	s_mov_b64 s[4:5], exec
	s_trap 2
	s_branch .LBB124_307
	.section	.rodata,"a",@progbits
	.p2align	6, 0x0
	.amdhsa_kernel _ZN2at6native12_GLOBAL__N_112gatherMedianIfmLi1EEEvNS_4cuda6detail10TensorInfoIT_T0_EENS5_IlS7_EENS5_IKS6_S7_EES7_S7_S7_b
		.amdhsa_group_segment_fixed_size 5152
		.amdhsa_private_segment_fixed_size 0
		.amdhsa_kernarg_size 1536
		.amdhsa_user_sgpr_count 2
		.amdhsa_user_sgpr_dispatch_ptr 0
		.amdhsa_user_sgpr_queue_ptr 0
		.amdhsa_user_sgpr_kernarg_segment_ptr 1
		.amdhsa_user_sgpr_dispatch_id 0
		.amdhsa_user_sgpr_kernarg_preload_length 0
		.amdhsa_user_sgpr_kernarg_preload_offset 0
		.amdhsa_user_sgpr_private_segment_size 0
		.amdhsa_uses_dynamic_stack 0
		.amdhsa_enable_private_segment 0
		.amdhsa_system_sgpr_workgroup_id_x 1
		.amdhsa_system_sgpr_workgroup_id_y 1
		.amdhsa_system_sgpr_workgroup_id_z 1
		.amdhsa_system_sgpr_workgroup_info 0
		.amdhsa_system_vgpr_workitem_id 0
		.amdhsa_next_free_vgpr 63
		.amdhsa_next_free_sgpr 100
		.amdhsa_accum_offset 64
		.amdhsa_reserve_vcc 1
		.amdhsa_float_round_mode_32 0
		.amdhsa_float_round_mode_16_64 0
		.amdhsa_float_denorm_mode_32 3
		.amdhsa_float_denorm_mode_16_64 3
		.amdhsa_dx10_clamp 1
		.amdhsa_ieee_mode 1
		.amdhsa_fp16_overflow 0
		.amdhsa_tg_split 0
		.amdhsa_exception_fp_ieee_invalid_op 0
		.amdhsa_exception_fp_denorm_src 0
		.amdhsa_exception_fp_ieee_div_zero 0
		.amdhsa_exception_fp_ieee_overflow 0
		.amdhsa_exception_fp_ieee_underflow 0
		.amdhsa_exception_fp_ieee_inexact 0
		.amdhsa_exception_int_div_zero 0
	.end_amdhsa_kernel
	.section	.text._ZN2at6native12_GLOBAL__N_112gatherMedianIfmLi1EEEvNS_4cuda6detail10TensorInfoIT_T0_EENS5_IlS7_EENS5_IKS6_S7_EES7_S7_S7_b,"axG",@progbits,_ZN2at6native12_GLOBAL__N_112gatherMedianIfmLi1EEEvNS_4cuda6detail10TensorInfoIT_T0_EENS5_IlS7_EENS5_IKS6_S7_EES7_S7_S7_b,comdat
.Lfunc_end124:
	.size	_ZN2at6native12_GLOBAL__N_112gatherMedianIfmLi1EEEvNS_4cuda6detail10TensorInfoIT_T0_EENS5_IlS7_EENS5_IKS6_S7_EES7_S7_S7_b, .Lfunc_end124-_ZN2at6native12_GLOBAL__N_112gatherMedianIfmLi1EEEvNS_4cuda6detail10TensorInfoIT_T0_EENS5_IlS7_EENS5_IKS6_S7_EES7_S7_S7_b
                                        ; -- End function
	.set _ZN2at6native12_GLOBAL__N_112gatherMedianIfmLi1EEEvNS_4cuda6detail10TensorInfoIT_T0_EENS5_IlS7_EENS5_IKS6_S7_EES7_S7_S7_b.num_vgpr, 63
	.set _ZN2at6native12_GLOBAL__N_112gatherMedianIfmLi1EEEvNS_4cuda6detail10TensorInfoIT_T0_EENS5_IlS7_EENS5_IKS6_S7_EES7_S7_S7_b.num_agpr, 0
	.set _ZN2at6native12_GLOBAL__N_112gatherMedianIfmLi1EEEvNS_4cuda6detail10TensorInfoIT_T0_EENS5_IlS7_EENS5_IKS6_S7_EES7_S7_S7_b.numbered_sgpr, 100
	.set _ZN2at6native12_GLOBAL__N_112gatherMedianIfmLi1EEEvNS_4cuda6detail10TensorInfoIT_T0_EENS5_IlS7_EENS5_IKS6_S7_EES7_S7_S7_b.num_named_barrier, 0
	.set _ZN2at6native12_GLOBAL__N_112gatherMedianIfmLi1EEEvNS_4cuda6detail10TensorInfoIT_T0_EENS5_IlS7_EENS5_IKS6_S7_EES7_S7_S7_b.private_seg_size, 0
	.set _ZN2at6native12_GLOBAL__N_112gatherMedianIfmLi1EEEvNS_4cuda6detail10TensorInfoIT_T0_EENS5_IlS7_EENS5_IKS6_S7_EES7_S7_S7_b.uses_vcc, 1
	.set _ZN2at6native12_GLOBAL__N_112gatherMedianIfmLi1EEEvNS_4cuda6detail10TensorInfoIT_T0_EENS5_IlS7_EENS5_IKS6_S7_EES7_S7_S7_b.uses_flat_scratch, 0
	.set _ZN2at6native12_GLOBAL__N_112gatherMedianIfmLi1EEEvNS_4cuda6detail10TensorInfoIT_T0_EENS5_IlS7_EENS5_IKS6_S7_EES7_S7_S7_b.has_dyn_sized_stack, 0
	.set _ZN2at6native12_GLOBAL__N_112gatherMedianIfmLi1EEEvNS_4cuda6detail10TensorInfoIT_T0_EENS5_IlS7_EENS5_IKS6_S7_EES7_S7_S7_b.has_recursion, 0
	.set _ZN2at6native12_GLOBAL__N_112gatherMedianIfmLi1EEEvNS_4cuda6detail10TensorInfoIT_T0_EENS5_IlS7_EENS5_IKS6_S7_EES7_S7_S7_b.has_indirect_call, 0
	.section	.AMDGPU.csdata,"",@progbits
; Kernel info:
; codeLenInByte = 15648
; TotalNumSgprs: 106
; NumVgprs: 63
; NumAgprs: 0
; TotalNumVgprs: 63
; ScratchSize: 0
; MemoryBound: 0
; FloatMode: 240
; IeeeMode: 1
; LDSByteSize: 5152 bytes/workgroup (compile time only)
; SGPRBlocks: 13
; VGPRBlocks: 7
; NumSGPRsForWavesPerEU: 106
; NumVGPRsForWavesPerEU: 63
; AccumOffset: 64
; Occupancy: 7
; WaveLimiterHint : 1
; COMPUTE_PGM_RSRC2:SCRATCH_EN: 0
; COMPUTE_PGM_RSRC2:USER_SGPR: 2
; COMPUTE_PGM_RSRC2:TRAP_HANDLER: 0
; COMPUTE_PGM_RSRC2:TGID_X_EN: 1
; COMPUTE_PGM_RSRC2:TGID_Y_EN: 1
; COMPUTE_PGM_RSRC2:TGID_Z_EN: 1
; COMPUTE_PGM_RSRC2:TIDIG_COMP_CNT: 0
; COMPUTE_PGM_RSRC3_GFX90A:ACCUM_OFFSET: 15
; COMPUTE_PGM_RSRC3_GFX90A:TG_SPLIT: 0
	.section	.text._ZN2at6native12_GLOBAL__N_112gatherMedianIfmLi2EEEvNS_4cuda6detail10TensorInfoIT_T0_EENS5_IlS7_EENS5_IKS6_S7_EES7_S7_S7_b,"axG",@progbits,_ZN2at6native12_GLOBAL__N_112gatherMedianIfmLi2EEEvNS_4cuda6detail10TensorInfoIT_T0_EENS5_IlS7_EENS5_IKS6_S7_EES7_S7_S7_b,comdat
	.globl	_ZN2at6native12_GLOBAL__N_112gatherMedianIfmLi2EEEvNS_4cuda6detail10TensorInfoIT_T0_EENS5_IlS7_EENS5_IKS6_S7_EES7_S7_S7_b ; -- Begin function _ZN2at6native12_GLOBAL__N_112gatherMedianIfmLi2EEEvNS_4cuda6detail10TensorInfoIT_T0_EENS5_IlS7_EENS5_IKS6_S7_EES7_S7_S7_b
	.p2align	8
	.type	_ZN2at6native12_GLOBAL__N_112gatherMedianIfmLi2EEEvNS_4cuda6detail10TensorInfoIT_T0_EENS5_IlS7_EENS5_IKS6_S7_EES7_S7_S7_b,@function
_ZN2at6native12_GLOBAL__N_112gatherMedianIfmLi2EEEvNS_4cuda6detail10TensorInfoIT_T0_EENS5_IlS7_EENS5_IKS6_S7_EES7_S7_S7_b: ; @_ZN2at6native12_GLOBAL__N_112gatherMedianIfmLi2EEEvNS_4cuda6detail10TensorInfoIT_T0_EENS5_IlS7_EENS5_IKS6_S7_EES7_S7_S7_b
; %bb.0:
	s_load_dwordx2 s[10:11], s[0:1], 0x500
	s_load_dwordx4 s[56:59], s[0:1], 0x4e0
	s_add_u32 s12, s0, 0x500
	s_addc_u32 s13, s1, 0
	s_mov_b32 s19, 0
	s_waitcnt lgkmcnt(0)
	s_mul_i32 s4, s11, s4
	s_add_i32 s3, s4, s3
	s_mul_i32 s3, s3, s10
	s_add_i32 s18, s3, s2
	v_mov_b64_e32 v[2:3], s[18:19]
	v_cmp_le_u64_e32 vcc, s[58:59], v[2:3]
	s_cbranch_vccnz .LBB125_300
; %bb.1:
	s_load_dwordx2 s[20:21], s[0:1], 0x10
	s_load_dwordx2 s[72:73], s[0:1], 0x4f0
	;; [unrolled: 1-line block ×4, first 2 shown]
                                        ; implicit-def: $vgpr54 : SGPR spill to VGPR lane
	s_waitcnt lgkmcnt(0)
	v_mov_b64_e32 v[2:3], s[20:21]
	v_cmp_lt_u64_e32 vcc, s[18:19], v[2:3]
	s_and_b64 vcc, exec, vcc
	v_writelane_b32 v54, s4, 0
	s_nop 1
	v_writelane_b32 v54, s5, 1
	s_mov_b64 s[4:5], 0
	v_writelane_b32 v54, s4, 2
	s_nop 1
	v_writelane_b32 v54, s5, 3
	s_mov_b64 s[4:5], 0
	s_cbranch_vccnz .LBB125_3
; %bb.2:
	v_cvt_f32_u32_e32 v1, s20
	s_sub_i32 s3, 0, s20
	v_rcp_iflag_f32_e32 v1, v1
	s_nop 0
	v_mul_f32_e32 v1, 0x4f7ffffe, v1
	v_cvt_u32_f32_e32 v1, v1
	s_nop 0
	v_readfirstlane_b32 s4, v1
	s_mul_i32 s3, s3, s4
	s_mul_hi_u32 s3, s4, s3
	s_add_i32 s4, s4, s3
	s_mul_hi_u32 s3, s18, s4
	s_mul_i32 s5, s3, s20
	s_sub_i32 s5, s18, s5
	s_add_i32 s4, s3, 1
	s_sub_i32 s6, s5, s20
	s_cmp_ge_u32 s5, s20
	s_cselect_b32 s3, s4, s3
	s_cselect_b32 s5, s6, s5
	s_add_i32 s4, s3, 1
	s_cmp_ge_u32 s5, s20
	s_cselect_b32 s4, s4, s3
.LBB125_3:
	v_writelane_b32 v54, s4, 4
	s_nop 1
	v_writelane_b32 v54, s5, 5
	s_load_dwordx2 s[14:15], s[0:1], 0x340
	s_load_dwordx2 s[4:5], s[0:1], 0x1b0
	s_waitcnt lgkmcnt(0)
	v_mov_b64_e32 v[2:3], s[4:5]
	v_cmp_lt_u64_e32 vcc, s[18:19], v[2:3]
	s_cbranch_vccnz .LBB125_5
; %bb.4:
	s_load_dwordx2 s[16:17], s[0:1], 0x1b0
	s_waitcnt lgkmcnt(0)
	v_cvt_f32_u32_e32 v1, s16
	s_sub_i32 s3, 0, s16
	v_rcp_iflag_f32_e32 v1, v1
	s_nop 0
	v_mul_f32_e32 v1, 0x4f7ffffe, v1
	v_cvt_u32_f32_e32 v1, v1
	s_nop 0
	v_readfirstlane_b32 s4, v1
	s_mul_i32 s3, s3, s4
	s_mul_hi_u32 s3, s4, s3
	s_add_i32 s4, s4, s3
	s_mul_hi_u32 s3, s18, s4
	s_mul_i32 s5, s3, s16
	s_sub_i32 s5, s18, s5
	s_add_i32 s4, s3, 1
	s_sub_i32 s6, s5, s16
	s_cmp_ge_u32 s5, s16
	s_cselect_b32 s3, s4, s3
	s_cselect_b32 s5, s6, s5
	s_add_i32 s4, s3, 1
	s_cmp_ge_u32 s5, s16
	s_cselect_b32 s4, s4, s3
	v_writelane_b32 v54, s4, 2
	s_nop 1
	v_writelane_b32 v54, s5, 3
.LBB125_5:
	s_load_dwordx4 s[4:7], s[0:1], 0x410
	v_mov_b64_e32 v[2:3], s[8:9]
	v_cmp_lt_u64_e32 vcc, s[18:19], v[2:3]
	v_writelane_b32 v54, s20, 6
	s_mov_b64 s[16:17], 0
	s_nop 0
	v_writelane_b32 v54, s21, 7
	s_cbranch_vccnz .LBB125_7
; %bb.6:
	v_cvt_f32_u32_e32 v1, s8
	s_sub_i32 s3, 0, s8
	v_rcp_iflag_f32_e32 v1, v1
	s_nop 0
	v_mul_f32_e32 v1, 0x4f7ffffe, v1
	v_cvt_u32_f32_e32 v1, v1
	s_nop 0
	v_readfirstlane_b32 s11, v1
	s_mul_i32 s3, s3, s11
	s_mul_hi_u32 s3, s11, s3
	s_add_i32 s11, s11, s3
	s_mul_hi_u32 s3, s18, s11
	s_mul_i32 s16, s3, s8
	s_sub_i32 s16, s18, s16
	s_add_i32 s11, s3, 1
	s_sub_i32 s17, s16, s8
	s_cmp_ge_u32 s16, s8
	s_cselect_b32 s3, s11, s3
	s_cselect_b32 s16, s17, s16
	s_add_i32 s11, s3, 1
	s_cmp_ge_u32 s16, s8
	s_cselect_b32 s16, s11, s3
.LBB125_7:
	s_load_dwordx2 s[20:21], s[0:1], 0x1a0
	s_mul_i32 s3, s16, s9
	s_mul_hi_u32 s9, s16, s8
	s_add_i32 s9, s9, s3
	s_mul_i32 s3, s16, s8
	s_waitcnt lgkmcnt(0)
	v_writelane_b32 v54, s20, 8
	s_mov_b32 s8, s18
	s_sub_u32 s3, s18, s3
	v_writelane_b32 v54, s21, 9
	s_load_dwordx2 s[20:21], s[0:1], 0x0
	s_mul_i32 s7, s3, s7
	v_mov_b32_e32 v1, 0
	v_mov_b64_e32 v[2:3], 0
	s_waitcnt lgkmcnt(0)
	v_writelane_b32 v54, s20, 10
	s_nop 1
	v_writelane_b32 v54, s21, 11
	v_writelane_b32 v54, s8, 12
	s_nop 1
	v_writelane_b32 v54, s9, 13
	s_subb_u32 s8, 0, s9
	s_mul_hi_u32 s9, s3, s6
	s_mul_i32 s8, s8, s6
	s_mul_i32 s6, s3, s6
	s_mul_i32 s3, s16, s5
	s_mul_hi_u32 s5, s16, s4
	s_add_i32 s7, s9, s7
	s_add_i32 s5, s5, s3
	s_mul_i32 s4, s16, s4
	s_add_i32 s7, s7, s8
	s_lshl_b64 s[4:5], s[4:5], 2
	s_add_u32 s3, s14, s4
	s_addc_u32 s8, s15, s5
	s_lshl_b64 s[4:5], s[6:7], 2
	s_add_u32 s80, s3, s4
	s_addc_u32 s81, s8, s5
	v_cmp_gt_u64_e64 s[6:7], s[56:57], v[0:1]
	s_mov_b64 s[4:5], exec
	s_nop 0
	v_writelane_b32 v54, s6, 14
	s_nop 1
	v_writelane_b32 v54, s7, 15
	s_and_b64 s[6:7], s[4:5], s[6:7]
	s_mov_b64 exec, s[6:7]
	s_cbranch_execz .LBB125_11
; %bb.8:
	s_load_dword s3, s[12:13], 0xc
	s_mov_b32 s7, 0
	s_mov_b64 s[8:9], 0
	v_mov_b64_e32 v[2:3], 0
	v_mov_b64_e32 v[4:5], v[0:1]
	s_waitcnt lgkmcnt(0)
	s_and_b32 s6, s3, 0xffff
.LBB125_9:                              ; =>This Inner Loop Header: Depth=1
	v_mul_lo_u32 v8, v5, s72
	v_mul_lo_u32 v9, v4, s73
	v_mad_u64_u32 v[6:7], s[14:15], v4, s72, 0
	v_add3_u32 v7, v7, v9, v8
	v_lshl_add_u64 v[6:7], v[6:7], 2, s[80:81]
	global_load_dword v6, v[6:7], off
	v_lshl_add_u64 v[4:5], v[4:5], 0, s[6:7]
	v_cmp_le_u64_e32 vcc, s[56:57], v[4:5]
	s_or_b64 s[8:9], vcc, s[8:9]
	v_mov_b32_e32 v7, s7
	s_waitcnt vmcnt(0)
	v_cmp_u_f32_e32 vcc, v6, v6
	s_nop 1
	v_cndmask_b32_e64 v6, 0, 1, vcc
	v_lshl_add_u64 v[2:3], v[2:3], 0, v[6:7]
	s_andn2_b64 exec, exec, s[8:9]
	s_cbranch_execnz .LBB125_9
; %bb.10:
	s_or_b64 exec, exec, s[8:9]
.LBB125_11:
	s_or_b64 exec, exec, s[4:5]
	s_load_dwordx4 s[4:7], s[0:1], 0x270
	s_waitcnt lgkmcnt(0)
	v_writelane_b32 v54, s4, 18
	s_nop 1
	v_writelane_b32 v54, s5, 19
	v_writelane_b32 v54, s6, 20
	;; [unrolled: 1-line block ×3, first 2 shown]
	s_load_dwordx4 s[4:7], s[0:1], 0xd0
	s_waitcnt lgkmcnt(0)
	v_writelane_b32 v54, s4, 22
	s_nop 1
	v_writelane_b32 v54, s5, 23
	v_writelane_b32 v54, s6, 24
	;; [unrolled: 1-line block ×3, first 2 shown]
	v_cmp_eq_u32_e64 s[6:7], 0, v0
	s_mov_b64 s[4:5], exec
	s_nop 0
	v_writelane_b32 v54, s6, 16
	s_nop 1
	v_writelane_b32 v54, s7, 17
	s_and_b64 s[6:7], s[4:5], s[6:7]
	s_mov_b64 exec, s[6:7]
; %bb.12:
	v_mov_b32_e32 v4, 0
	v_mov_b32_e32 v5, v4
	ds_write_b64 v4, v[4:5] offset:5136
; %bb.13:
	s_or_b64 exec, exec, s[4:5]
	s_mov_b64 s[6:7], 0
	v_cmp_ne_u64_e32 vcc, 0, v[2:3]
	s_waitcnt lgkmcnt(0)
	s_barrier
	s_and_saveexec_b64 s[4:5], vcc
	s_cbranch_execz .LBB125_18
; %bb.14:
	s_mov_b64 s[8:9], exec
.LBB125_15:                             ; =>This Inner Loop Header: Depth=1
	s_ff1_i32_b64 s3, s[8:9]
	v_readlane_b32 s14, v2, s3
	v_readlane_b32 s11, v3, s3
	s_add_u32 s6, s6, s14
	s_addc_u32 s7, s7, s11
	s_lshl_b64 s[14:15], 1, s3
	s_andn2_b64 s[8:9], s[8:9], s[14:15]
	s_cmp_lg_u64 s[8:9], 0
	s_cbranch_scc1 .LBB125_15
; %bb.16:
	v_mbcnt_lo_u32_b32 v2, exec_lo, 0
	v_mbcnt_hi_u32_b32 v2, exec_hi, v2
	v_cmp_eq_u32_e32 vcc, 0, v2
	s_and_saveexec_b64 s[8:9], vcc
	s_xor_b64 s[8:9], exec, s[8:9]
; %bb.17:
	v_mov_b32_e32 v2, 0
	v_mov_b64_e32 v[4:5], s[6:7]
	ds_add_u64 v2, v[4:5] offset:5136
.LBB125_18:
	s_or_b64 exec, exec, s[4:5]
	v_mov_b32_e32 v3, 0
	s_waitcnt lgkmcnt(0)
	s_barrier
	ds_read_b64 v[4:5], v3 offset:5136
	s_waitcnt lgkmcnt(0)
	v_readfirstlane_b32 s4, v4
	v_readfirstlane_b32 s5, v5
	s_mov_b64 s[6:7], exec
	v_readlane_b32 s8, v54, 16
	v_readlane_b32 s9, v54, 17
	s_and_b64 s[8:9], s[6:7], s[8:9]
	s_mov_b64 exec, s[8:9]
	s_cbranch_execz .LBB125_20
; %bb.19:
	v_mov_b32_e32 v4, 0
	v_mov_b32_e32 v6, s56
	;; [unrolled: 1-line block ×4, first 2 shown]
	ds_write_b32 v4, v4 offset:5144
	ds_write_b128 v4, v[4:7] offset:5120
.LBB125_20:
	s_or_b64 exec, exec, s[6:7]
	s_load_dword s3, s[0:1], 0x4f8
	v_cmp_lt_i64_e64 s[0:1], s[4:5], 1
	v_mbcnt_lo_u32_b32 v2, -1, 0
	v_mbcnt_hi_u32_b32 v30, -1, v2
	v_cmp_gt_u32_e32 vcc, 64, v0
	s_waitcnt lgkmcnt(0)
	s_bitcmp1_b32 s3, 0
	s_cselect_b64 s[6:7], -1, 0
	s_not_b64 s[4:5], s[4:5]
	s_or_b64 s[0:1], s[6:7], s[0:1]
	s_add_u32 s4, s56, s4
	s_addc_u32 s5, s57, s5
	s_lshr_b64 s[4:5], s[4:5], 1
	s_add_u32 s3, s4, 1
	s_addc_u32 s4, s5, 0
	s_and_b64 s[0:1], s[0:1], exec
	v_cmp_gt_i32_e64 s[0:1], 4, v30
	s_cselect_b32 s9, s4, s57
	s_cselect_b32 s8, s3, s56
	s_and_b64 s[88:89], vcc, s[0:1]
	v_cmp_gt_u32_e64 s[0:1], 2, v0
	v_mov_b64_e32 v[4:5], 0x300
	s_nop 0
	v_writelane_b32 v54, s0, 26
	s_barrier
	s_nop 0
	v_writelane_b32 v54, s1, 27
	v_cmp_gt_u64_e64 s[0:1], s[56:57], v[4:5]
	s_mov_b32 s87, 0
	v_lshlrev_b32_e32 v12, 2, v0
	v_writelane_b32 v54, s0, 28
	v_cmp_eq_u32_e64 s[4:5], 0, v30
	v_add_u32_e32 v31, 0xc00, v12
	v_writelane_b32 v54, s1, 29
	v_mad_u64_u32 v[4:5], s[0:1], s72, v0, 0
	v_mov_b32_e32 v2, v5
	v_mad_u64_u32 v[6:7], s[0:1], s73, v0, v[2:3]
	s_load_dword s0, s[12:13], 0xc
	v_lshlrev_b32_e32 v2, 2, v30
	v_and_b32_e32 v32, 0x100, v2
	v_lshrrev_b32_e32 v2, 1, v0
	v_mov_b32_e32 v5, v6
	s_waitcnt lgkmcnt(0)
	s_and_b32 s84, s0, 0xffff
	s_bfe_u32 s0, s0, 0xa0006
	v_and_b32_e32 v2, 0x1e0, v2
	v_lshl_add_u64 v[14:15], v[4:5], 2, s[80:81]
	v_lshlrev_b64 v[4:5], v30, -1
	s_cmp_gt_u32 s84, 63
	v_or_b32_e32 v33, 0xc00, v2
	v_add_u32_e32 v2, 2, v0
	v_not_b32_e32 v16, v4
	s_cselect_b64 s[6:7], -1, 0
	s_add_u32 s1, s84, -1
	v_mov_b32_e32 v4, s57
	v_cmp_gt_u64_e32 vcc, s[56:57], v[2:3]
	v_not_b32_e32 v17, v5
	v_writelane_b32 v54, s6, 30
	s_addc_u32 s3, 0, -1
	v_cndmask_b32_e32 v5, 0, v4, vcc
	v_mov_b32_e32 v4, s56
	v_writelane_b32 v54, s7, 31
	s_add_u32 s68, s1, s56
	v_cndmask_b32_e32 v4, v2, v4, vcc
	v_mov_b32_e32 v7, -1
	v_not_b32_e32 v6, v0
	v_writelane_b32 v54, s1, 32
	s_addc_u32 s93, s3, s57
	v_lshl_add_u64 v[4:5], v[4:5], 0, v[6:7]
	v_writelane_b32 v54, s3, 33
	s_cmp_lt_u32 s2, s10
	v_cmp_lt_u64_e64 s[2:3], 1, v[4:5]
	s_cselect_b32 s1, 12, 18
	v_and_b32_e32 v18, -2, v4
	v_writelane_b32 v54, s2, 34
	v_mov_b32_e32 v19, v5
	s_add_u32 s94, s12, s1
	v_writelane_b32 v54, s3, 35
	v_cmp_ne_u64_e64 s[2:3], v[4:5], v[18:19]
	s_addc_u32 s95, s13, 0
	s_add_i32 s1, s0, -1
	v_writelane_b32 v54, s2, 36
	s_and_b32 s1, s1, 0xffff
	v_mov_b32_e32 v2, 0xc00
	v_writelane_b32 v54, s3, 37
	s_bfe_u32 s2, s84, 0x30006
	s_cmp_gt_u32 s1, 6
	s_cselect_b64 s[6:7], -1, 0
	v_writelane_b32 v54, s6, 38
	s_and_b32 s90, s0, 0x3f8
	s_cmp_lg_u32 s2, 0
	v_writelane_b32 v54, s7, 39
	v_writelane_b32 v54, s2, 40
	s_cselect_b64 s[0:1], -1, 0
	v_mov_b32_e32 v13, v3
	s_mov_b32 s85, s87
	v_lshl_add_u64 v[20:21], v[18:19], 0, v[0:1]
	s_mov_b32 s33, s72
	s_mov_b32 s69, s73
	v_writelane_b32 v54, s0, 41
	v_lshlrev_b32_e32 v35, 4, v0
	v_lshl_or_b32 v36, v30, 3, v2
	s_lshl_b32 s91, s84, 2
	s_mov_b32 s6, 30
	s_mov_b64 s[74:75], 0
	v_mov_b64_e32 v[26:27], s[8:9]
	v_mov_b64_e32 v[40:41], s[56:57]
	v_mov_b32_e32 v22, 1.0
	v_bfrev_b32_e32 v37, 1
	v_mov_b32_e32 v38, 0x4f800000
	v_mov_b32_e32 v25, 0
	s_mov_b32 s7, 0
	v_mov_b32_e32 v34, 0
	v_mov_b32_e32 v39, 0
	v_writelane_b32 v54, s1, 42
                                        ; implicit-def: $sgpr60_sgpr61
                                        ; implicit-def: $sgpr82_sgpr83
                                        ; implicit-def: $sgpr62_sgpr63
                                        ; implicit-def: $sgpr12_sgpr13
                                        ; implicit-def: $sgpr10_sgpr11
                                        ; implicit-def: $sgpr70_sgpr71
	s_branch .LBB125_24
.LBB125_21:                             ;   in Loop: Header=BB125_24 Depth=1
	s_or_b64 exec, exec, s[18:19]
	s_and_b64 s[14:15], s[14:15], exec
	s_andn2_b64 s[24:25], s[24:25], exec
	s_andn2_b64 s[0:1], s[0:1], exec
	s_orn2_b64 s[18:19], s[8:9], exec
.LBB125_22:                             ;   in Loop: Header=BB125_24 Depth=1
	s_or_b64 exec, exec, s[2:3]
	s_andn2_b64 s[2:3], s[70:71], exec
	s_and_b64 s[8:9], s[14:15], exec
	s_or_b64 s[70:71], s[2:3], s[8:9]
	s_andn2_b64 s[2:3], s[10:11], exec
	s_and_b64 s[8:9], s[24:25], exec
	s_or_b64 s[10:11], s[2:3], s[8:9]
	;; [unrolled: 3-line block ×3, first 2 shown]
	s_orn2_b64 s[0:1], s[18:19], exec
.LBB125_23:                             ;   in Loop: Header=BB125_24 Depth=1
	s_or_b64 exec, exec, s[16:17]
	s_and_b64 s[0:1], exec, s[0:1]
	s_or_b64 s[74:75], s[0:1], s[74:75]
	s_andn2_b64 s[0:1], s[62:63], exec
	s_and_b64 s[2:3], s[70:71], exec
	s_or_b64 s[62:63], s[0:1], s[2:3]
	s_andn2_b64 s[0:1], s[82:83], exec
	s_and_b64 s[2:3], s[10:11], exec
	;; [unrolled: 3-line block ×3, first 2 shown]
	s_or_b64 s[60:61], s[0:1], s[2:3]
	v_mov_b64_e32 v[26:27], v[8:9]
	s_andn2_b64 exec, exec, s[74:75]
	s_cbranch_execz .LBB125_296
.LBB125_24:                             ; =>This Loop Header: Depth=1
                                        ;     Child Loop BB125_30 Depth 2
                                        ;     Child Loop BB125_44 Depth 2
	;; [unrolled: 1-line block ×17, first 2 shown]
	ds_read_b128 v[4:7], v3 offset:5120
	s_waitcnt lgkmcnt(0)
	v_readfirstlane_b32 s65, v5
	v_readfirstlane_b32 s64, v4
	s_cmp_lg_u64 s[64:65], 0
	s_cbranch_scc1 .LBB125_57
; %bb.25:                               ;   in Loop: Header=BB125_24 Depth=1
	v_readlane_b32 s0, v54, 28
	v_readlane_b32 s1, v54, 29
	s_and_b64 vcc, exec, s[0:1]
	s_cbranch_vccz .LBB125_38
; %bb.26:                               ;   in Loop: Header=BB125_24 Depth=1
	s_mov_b64 s[0:1], 0x301
	v_cmp_gt_u64_e32 vcc, s[0:1], v[6:7]
	s_mov_b64 s[8:9], 0
	s_mov_b64 s[0:1], 0
	s_cbranch_vccz .LBB125_39
; %bb.27:                               ;   in Loop: Header=BB125_24 Depth=1
	s_mov_b64 s[14:15], exec
	v_readlane_b32 s0, v54, 14
	v_readlane_b32 s1, v54, 15
	s_and_b64 s[0:1], s[14:15], s[0:1]
	s_mov_b64 exec, s[0:1]
	s_cbranch_execz .LBB125_158
; %bb.28:                               ;   in Loop: Header=BB125_24 Depth=1
	global_load_ushort v2, v3, s[94:95]
	global_load_dword v6, v[14:15], off
	s_mov_b64 s[16:17], 0
	v_mov_b64_e32 v[4:5], v[0:1]
	s_waitcnt vmcnt(1)
	v_and_b32_e32 v2, 0xffff, v2
	s_branch .LBB125_30
.LBB125_29:                             ;   in Loop: Header=BB125_30 Depth=2
	s_or_b64 exec, exec, s[2:3]
	v_mov_b32_e32 v6, v7
	s_andn2_b64 exec, exec, s[16:17]
	s_cbranch_execz .LBB125_158
.LBB125_30:                             ;   Parent Loop BB125_24 Depth=1
                                        ; =>  This Inner Loop Header: Depth=2
	v_lshl_add_u64 v[4:5], v[4:5], 0, v[2:3]
	v_cmp_gt_u64_e64 s[0:1], s[56:57], v[4:5]
	v_cmp_le_u64_e32 vcc, s[56:57], v[4:5]
	s_waitcnt lgkmcnt(0)
	v_mov_b32_e32 v8, 0
	v_mov_b32_e32 v7, 0
	s_and_saveexec_b64 s[2:3], s[0:1]
	s_cbranch_execz .LBB125_32
; %bb.31:                               ;   in Loop: Header=BB125_30 Depth=2
	v_mul_lo_u32 v7, v5, s72
	v_mul_lo_u32 v9, v4, s73
	v_mad_u64_u32 v[10:11], s[0:1], v4, s72, 0
	v_add3_u32 v11, v11, v9, v7
	v_lshl_add_u64 v[10:11], v[10:11], 2, s[80:81]
	global_load_dword v7, v[10:11], off
.LBB125_32:                             ;   in Loop: Header=BB125_30 Depth=2
	s_or_b64 exec, exec, s[2:3]
	s_waitcnt vmcnt(0)
	v_cmp_lt_i32_e64 s[0:1], -1, v6
	s_nop 1
	v_cndmask_b32_e64 v9, -1, v37, s[0:1]
	v_xor_b32_e32 v9, v9, v6
	v_cmp_o_f32_e64 s[0:1], v6, v6
	s_nop 1
	v_cndmask_b32_e64 v9, -1, v9, s[0:1]
	v_and_b32_e32 v9, v9, v39
	v_cmp_eq_u32_e64 s[0:1], v9, v34
	s_cmp_lg_u64 s[0:1], 0
	s_cselect_b64 s[2:3], -1, 0
	s_and_b64 s[2:3], s[4:5], s[2:3]
	s_and_saveexec_b64 s[18:19], s[2:3]
	s_cbranch_execz .LBB125_36
; %bb.33:                               ;   in Loop: Header=BB125_30 Depth=2
	s_mov_b64 s[22:23], exec
	v_mbcnt_lo_u32_b32 v8, s22, 0
	v_mbcnt_hi_u32_b32 v8, s23, v8
	s_bcnt1_i32_b64 s24, s[0:1]
	v_cmp_eq_u32_e64 s[2:3], 0, v8
                                        ; implicit-def: $vgpr9
	s_and_saveexec_b64 s[20:21], s[2:3]
; %bb.34:                               ;   in Loop: Header=BB125_30 Depth=2
	s_bcnt1_i32_b64 s2, s[22:23]
	s_mul_i32 s2, s24, s2
	v_mov_b32_e32 v9, s2
	ds_add_rtn_u32 v9, v3, v9 offset:5144
; %bb.35:                               ;   in Loop: Header=BB125_30 Depth=2
	s_or_b64 exec, exec, s[20:21]
	s_waitcnt lgkmcnt(0)
	v_readfirstlane_b32 s2, v9
	s_nop 1
	v_mov_b32_e32 v9, s2
	v_mad_u32_u24 v8, s24, v8, v9
.LBB125_36:                             ;   in Loop: Header=BB125_30 Depth=2
	s_or_b64 exec, exec, s[18:19]
	ds_bpermute_b32 v8, v32, v8
	s_and_b64 s[2:3], exec, vcc
	s_or_b64 s[16:17], s[2:3], s[16:17]
	s_and_saveexec_b64 s[2:3], s[0:1]
	s_cbranch_execz .LBB125_29
; %bb.37:                               ;   in Loop: Header=BB125_30 Depth=2
	v_and_b32_e32 v10, s0, v16
	v_and_b32_e32 v9, s1, v17
	v_bcnt_u32_b32 v10, v10, 0
	v_bcnt_u32_b32 v9, v9, v10
	v_lshlrev_b32_e32 v9, 2, v9
	s_waitcnt lgkmcnt(0)
	v_lshl_add_u32 v8, v8, 2, v9
	ds_write_b32 v8, v6
	s_branch .LBB125_29
.LBB125_38:                             ;   in Loop: Header=BB125_24 Depth=1
	s_mov_b64 s[8:9], -1
	s_mov_b64 s[0:1], 0
.LBB125_39:                             ;   in Loop: Header=BB125_24 Depth=1
	s_and_b64 vcc, exec, s[8:9]
	s_cbranch_vccz .LBB125_55
.LBB125_40:                             ;   in Loop: Header=BB125_24 Depth=1
	s_mov_b64 s[0:1], exec
	v_readlane_b32 s2, v54, 14
	v_readlane_b32 s3, v54, 15
	s_and_b64 s[2:3], s[0:1], s[2:3]
	s_mov_b64 exec, s[2:3]
	s_cbranch_execz .LBB125_52
; %bb.41:                               ;   in Loop: Header=BB125_24 Depth=1
	global_load_ushort v2, v3, s[94:95]
	global_load_dword v10, v[14:15], off
	v_mov_b32_e32 v6, v0
	s_waitcnt vmcnt(1)
	v_readfirstlane_b32 s8, v2
	v_add_u32_sdwa v2, v2, v0 dst_sel:DWORD dst_unused:UNUSED_PAD src0_sel:WORD_0 src1_sel:DWORD
	v_cmp_gt_u64_e32 vcc, s[56:57], v[2:3]
	s_and_saveexec_b64 s[2:3], vcc
	s_cbranch_execz .LBB125_51
; %bb.42:                               ;   in Loop: Header=BB125_24 Depth=1
	s_and_b32 s86, s8, 0xffff
	s_cmp_eq_u32 s86, 1
	v_readlane_b32 s14, v54, 34
	s_cselect_b64 s[8:9], -1, 0
	v_readlane_b32 s15, v54, 35
	s_and_b64 s[16:17], s[14:15], s[8:9]
	s_mov_b64 s[14:15], -1
	v_mov_b64_e32 v[8:9], v[0:1]
	v_mov_b64_e32 v[4:5], v[2:3]
                                        ; implicit-def: $vgpr11
                                        ; implicit-def: $vgpr6_vgpr7
	s_and_saveexec_b64 s[8:9], s[16:17]
	s_cbranch_execz .LBB125_46
; %bb.43:                               ;   in Loop: Header=BB125_24 Depth=1
	v_lshl_add_u64 v[4:5], v[2:3], 0, 1
	v_mov_b64_e32 v[6:7], v[4:5]
	s_mov_b64 s[14:15], 0
	v_mov_b64_e32 v[8:9], v[18:19]
	v_mov_b32_e32 v23, v12
	v_mov_b64_e32 v[4:5], v[2:3]
.LBB125_44:                             ;   Parent Loop BB125_24 Depth=1
                                        ; =>  This Inner Loop Header: Depth=2
	v_mul_lo_u32 v44, v5, s72
	v_mul_lo_u32 v45, v4, s73
	v_mad_u64_u32 v[42:43], s[16:17], v4, s72, 0
	v_mul_lo_u32 v11, v7, s33
	v_mul_lo_u32 v24, v6, s69
	v_mad_u64_u32 v[28:29], s[16:17], v6, s33, 0
	v_add3_u32 v43, v43, v45, v44
	v_add3_u32 v29, v29, v24, v11
	v_lshl_add_u64 v[42:43], v[42:43], 2, s[80:81]
	v_lshl_add_u64 v[28:29], v[28:29], 2, s[80:81]
	global_load_dword v24, v[42:43], off
	global_load_dword v11, v[28:29], off
	v_lshl_add_u64 v[8:9], v[8:9], 0, -2
	v_cmp_eq_u64_e32 vcc, 0, v[8:9]
	v_lshl_add_u64 v[6:7], v[6:7], 0, 2
	v_lshl_add_u64 v[4:5], v[4:5], 0, 2
	s_or_b64 s[14:15], vcc, s[14:15]
	s_waitcnt vmcnt(1)
	ds_write2_b32 v23, v10, v24 offset1:1
	v_add_u32_e32 v23, 8, v23
	s_waitcnt vmcnt(0)
	v_mov_b32_e32 v10, v11
	s_andn2_b64 exec, exec, s[14:15]
	s_cbranch_execnz .LBB125_44
; %bb.45:                               ;   in Loop: Header=BB125_24 Depth=1
	s_or_b64 exec, exec, s[14:15]
	v_readlane_b32 s14, v54, 36
	v_lshl_add_u64 v[4:5], v[2:3], 0, v[18:19]
	v_readlane_b32 s15, v54, 37
	v_lshl_add_u64 v[6:7], v[4:5], 0, -1
	s_orn2_b64 s[14:15], s[14:15], exec
	v_mov_b32_e32 v10, v11
	v_mov_b64_e32 v[8:9], v[20:21]
.LBB125_46:                             ;   in Loop: Header=BB125_24 Depth=1
	s_or_b64 exec, exec, s[8:9]
	s_and_saveexec_b64 s[8:9], s[14:15]
	s_cbranch_execz .LBB125_50
; %bb.47:                               ;   in Loop: Header=BB125_24 Depth=1
	s_sub_u32 s14, 0, s86
	s_mov_b64 s[16:17], 0
	s_subb_u32 s15, 0, 0
.LBB125_48:                             ;   Parent Loop BB125_24 Depth=1
                                        ; =>  This Inner Loop Header: Depth=2
	v_mov_b64_e32 v[6:7], v[4:5]
	v_mul_lo_u32 v2, v7, s72
	v_mul_lo_u32 v9, v6, s73
	v_mad_u64_u32 v[4:5], s[18:19], v6, s72, 0
	v_add3_u32 v5, v5, v9, v2
	v_lshl_add_u64 v[4:5], v[4:5], 2, s[80:81]
	global_load_dword v11, v[4:5], off
	v_lshl_add_u64 v[4:5], v[6:7], 0, s[86:87]
	v_lshlrev_b32_e32 v2, 2, v8
	v_cmp_le_u64_e32 vcc, s[56:57], v[4:5]
	s_waitcnt vmcnt(1)
	ds_write_b32 v2, v10
	v_mov_b64_e32 v[8:9], v[6:7]
	s_or_b64 s[16:17], vcc, s[16:17]
	s_waitcnt vmcnt(0)
	v_mov_b32_e32 v10, v11
	s_andn2_b64 exec, exec, s[16:17]
	s_cbranch_execnz .LBB125_48
; %bb.49:                               ;   in Loop: Header=BB125_24 Depth=1
	s_or_b64 exec, exec, s[16:17]
	v_lshl_add_u64 v[6:7], s[14:15], 0, v[4:5]
.LBB125_50:                             ;   in Loop: Header=BB125_24 Depth=1
	s_or_b64 exec, exec, s[8:9]
	s_waitcnt vmcnt(0)
	v_mov_b32_e32 v10, v11
.LBB125_51:                             ;   in Loop: Header=BB125_24 Depth=1
	s_or_b64 exec, exec, s[2:3]
	v_lshlrev_b32_e32 v2, 2, v6
	s_waitcnt vmcnt(0)
	ds_write_b32 v2, v10
.LBB125_52:                             ;   in Loop: Header=BB125_24 Depth=1
	s_or_b64 exec, exec, s[0:1]
	s_waitcnt lgkmcnt(0)
	s_barrier
	s_mov_b64 s[0:1], exec
	v_readlane_b32 s2, v54, 16
	v_readlane_b32 s3, v54, 17
	s_and_b64 s[2:3], s[0:1], s[2:3]
	s_mov_b64 exec, s[2:3]
; %bb.53:                               ;   in Loop: Header=BB125_24 Depth=1
	ds_write_b64 v3, v[40:41] offset:5120
; %bb.54:                               ;   in Loop: Header=BB125_24 Depth=1
	s_or_b64 exec, exec, s[0:1]
	s_mov_b64 s[0:1], -1
	s_waitcnt lgkmcnt(0)
	s_barrier
.LBB125_55:                             ;   in Loop: Header=BB125_24 Depth=1
	s_mov_b64 s[64:65], 0
	s_and_b64 vcc, exec, s[0:1]
	s_cbranch_vccz .LBB125_57
; %bb.56:                               ;   in Loop: Header=BB125_24 Depth=1
	ds_read_b64 v[4:5], v3 offset:5120
	s_waitcnt lgkmcnt(0)
	v_readfirstlane_b32 s64, v4
.LBB125_57:                             ;   in Loop: Header=BB125_24 Depth=1
	s_cmp_lt_i32 s64, 1
	s_mov_b64 s[0:1], -1
                                        ; implicit-def: $vgpr4_vgpr5
                                        ; implicit-def: $vgpr8_vgpr9
	s_cbranch_scc1 .LBB125_67
; %bb.58:                               ;   in Loop: Header=BB125_24 Depth=1
	s_and_b64 vcc, exec, s[0:1]
	s_cbranch_vccnz .LBB125_81
.LBB125_59:                             ;   in Loop: Header=BB125_24 Depth=1
	s_lshl_b32 s2, s7, 6
	s_and_saveexec_b64 s[0:1], s[4:5]
	s_cbranch_execz .LBB125_61
.LBB125_60:                             ;   in Loop: Header=BB125_24 Depth=1
	v_lshl_add_u32 v2, s2, 3, v33
	ds_write_b128 v2, v[4:7]
	ds_write_b128 v2, v[8:11] offset:16
.LBB125_61:                             ;   in Loop: Header=BB125_24 Depth=1
	s_or_b64 exec, exec, s[0:1]
	s_waitcnt lgkmcnt(0)
	s_barrier
	s_and_saveexec_b64 s[0:1], s[88:89]
	s_cbranch_execz .LBB125_96
; %bb.62:                               ;   in Loop: Header=BB125_24 Depth=1
	v_readlane_b32 s8, v54, 30
	v_readlane_b32 s9, v54, 31
	s_andn2_b64 vcc, exec, s[8:9]
	v_mov_b64_e32 v[4:5], 0
	s_cbranch_vccnz .LBB125_95
; %bb.63:                               ;   in Loop: Header=BB125_24 Depth=1
	v_readlane_b32 s8, v54, 38
	v_readlane_b32 s9, v54, 39
	s_andn2_b64 vcc, exec, s[8:9]
	s_cbranch_vccnz .LBB125_91
; %bb.64:                               ;   in Loop: Header=BB125_24 Depth=1
	v_lshl_add_u32 v2, s7, 9, v36
	v_mov_b64_e32 v[4:5], 0
	s_mov_b32 s3, 0
.LBB125_65:                             ;   Parent Loop BB125_24 Depth=1
                                        ; =>  This Inner Loop Header: Depth=2
	ds_read2_b64 v[6:9], v2 offset1:4
	ds_read2_b64 v[42:45], v2 offset0:8 offset1:12
	ds_read2_b64 v[46:49], v2 offset0:16 offset1:20
	;; [unrolled: 1-line block ×3, first 2 shown]
	s_add_i32 s3, s3, 8
	s_waitcnt lgkmcnt(3)
	v_lshl_add_u64 v[4:5], v[6:7], 0, v[4:5]
	v_lshl_add_u64 v[4:5], v[8:9], 0, v[4:5]
	s_waitcnt lgkmcnt(2)
	v_lshl_add_u64 v[4:5], v[42:43], 0, v[4:5]
	v_lshl_add_u64 v[4:5], v[44:45], 0, v[4:5]
	;; [unrolled: 3-line block ×3, first 2 shown]
	s_waitcnt lgkmcnt(0)
	v_lshl_add_u64 v[4:5], v[50:51], 0, v[4:5]
	v_add_u32_e32 v2, 0x100, v2
	s_cmp_eq_u32 s90, s3
	v_lshl_add_u64 v[4:5], v[52:53], 0, v[4:5]
	s_cbranch_scc0 .LBB125_65
; %bb.66:                               ;   in Loop: Header=BB125_24 Depth=1
	s_mov_b32 s3, s90
	s_branch .LBB125_92
.LBB125_67:                             ;   in Loop: Header=BB125_24 Depth=1
	global_load_ushort v2, v3, s[94:95]
	s_mov_b32 s0, s87
	s_waitcnt vmcnt(0)
	v_readfirstlane_b32 s1, v2
	s_and_b32 s1, 0xffff, s1
	s_lshl_b32 s86, s1, 2
	s_mov_b32 s1, s57
	s_cmp_lg_u64 s[0:1], 0
	s_cbranch_scc0 .LBB125_90
; %bb.68:                               ;   in Loop: Header=BB125_24 Depth=1
	v_cvt_f32_u32_e32 v4, s86
	s_sub_u32 s2, 0, s86
	s_subb_u32 s3, 0, 0
	v_fmac_f32_e32 v4, 0, v38
	v_rcp_f32_e32 v4, v4
	s_nop 0
	v_mul_f32_e32 v4, 0x5f7ffffc, v4
	v_mul_f32_e32 v5, 0x2f800000, v4
	v_trunc_f32_e32 v5, v5
	v_fmac_f32_e32 v4, 0xcf800000, v5
	v_cvt_u32_f32_e32 v5, v5
	v_cvt_u32_f32_e32 v4, v4
	v_readfirstlane_b32 s8, v5
	v_readfirstlane_b32 s0, v4
	s_mul_i32 s1, s2, s8
	s_mul_hi_u32 s14, s2, s0
	s_mul_i32 s9, s3, s0
	s_add_i32 s1, s14, s1
	s_mul_i32 s15, s2, s0
	s_add_i32 s1, s1, s9
	s_mul_hi_u32 s14, s0, s15
	s_mul_i32 s16, s0, s1
	s_mul_hi_u32 s9, s0, s1
	s_add_u32 s14, s14, s16
	s_addc_u32 s9, 0, s9
	s_mul_hi_u32 s17, s8, s15
	s_mul_i32 s15, s8, s15
	s_add_u32 s14, s14, s15
	s_mul_hi_u32 s16, s8, s1
	s_addc_u32 s9, s9, s17
	s_addc_u32 s14, s16, 0
	s_mul_i32 s1, s8, s1
	s_add_u32 s1, s9, s1
	s_addc_u32 s9, 0, s14
	s_add_u32 s14, s0, s1
	s_cselect_b64 s[0:1], -1, 0
	s_cmp_lg_u64 s[0:1], 0
	s_addc_u32 s8, s8, s9
	s_mul_i32 s0, s2, s8
	s_mul_hi_u32 s1, s2, s14
	s_add_i32 s0, s1, s0
	s_mul_i32 s3, s3, s14
	s_add_i32 s0, s0, s3
	s_mul_i32 s2, s2, s14
	s_mul_hi_u32 s3, s8, s2
	s_mul_i32 s9, s8, s2
	s_mul_i32 s16, s14, s0
	s_mul_hi_u32 s2, s14, s2
	s_mul_hi_u32 s15, s14, s0
	s_add_u32 s2, s2, s16
	s_addc_u32 s15, 0, s15
	s_add_u32 s2, s2, s9
	s_mul_hi_u32 s1, s8, s0
	s_addc_u32 s2, s15, s3
	s_addc_u32 s1, s1, 0
	s_mul_i32 s0, s8, s0
	s_add_u32 s0, s2, s0
	s_addc_u32 s2, 0, s1
	s_add_u32 s3, s14, s0
	s_cselect_b64 s[0:1], -1, 0
	s_cmp_lg_u64 s[0:1], 0
	s_addc_u32 s0, s8, s2
	s_mul_i32 s2, s56, s0
	s_mul_hi_u32 s8, s56, s3
	s_mul_hi_u32 s1, s56, s0
	s_add_u32 s2, s8, s2
	s_addc_u32 s1, 0, s1
	s_mul_hi_u32 s9, s57, s3
	s_mul_i32 s3, s57, s3
	s_add_u32 s2, s2, s3
	s_mul_hi_u32 s8, s57, s0
	s_addc_u32 s1, s1, s9
	s_addc_u32 s2, s8, 0
	s_mul_i32 s0, s57, s0
	s_add_u32 s0, s1, s0
	s_addc_u32 s1, 0, s2
	s_mul_i32 s1, s86, s1
	s_mul_hi_u32 s2, s86, s0
	s_add_i32 s2, s2, s1
	s_mul_i32 s0, s86, s0
	s_sub_u32 s3, s56, s0
	s_cselect_b64 s[0:1], -1, 0
	s_cmp_lg_u64 s[0:1], 0
	s_subb_u32 s2, s57, s2
	s_sub_u32 s8, s3, s86
	s_cselect_b64 s[0:1], -1, 0
	s_cmp_lg_u64 s[0:1], 0
	s_subb_u32 s9, s2, 0
	;; [unrolled: 4-line block ×3, first 2 shown]
	s_cmp_ge_u32 s8, s86
	s_cselect_b32 s1, -1, 0
	s_cmp_eq_u32 s9, 0
	s_cselect_b32 s1, s1, -1
	s_cmp_lg_u32 s1, 0
	s_cselect_b32 s0, s0, s9
	s_cselect_b32 s8, s14, s8
	s_cmp_ge_u32 s3, s86
	s_cselect_b32 s1, -1, 0
	s_cmp_eq_u32 s2, 0
	s_cselect_b32 s1, s1, -1
	s_cmp_lg_u32 s1, 0
	s_cselect_b32 s1, s0, s2
	s_cselect_b32 s0, s8, s3
	s_cbranch_execnz .LBB125_70
.LBB125_69:                             ;   in Loop: Header=BB125_24 Depth=1
	v_cvt_f32_u32_e32 v4, s86
	s_sub_i32 s0, 0, s86
	v_rcp_iflag_f32_e32 v4, v4
	s_nop 0
	v_mul_f32_e32 v4, 0x4f7ffffe, v4
	v_cvt_u32_f32_e32 v4, v4
	s_nop 0
	v_readfirstlane_b32 s1, v4
	s_mul_i32 s0, s0, s1
	s_mul_hi_u32 s0, s1, s0
	s_add_i32 s1, s1, s0
	s_mul_hi_u32 s0, s56, s1
	s_mul_i32 s0, s0, s86
	s_sub_i32 s0, s56, s0
	s_sub_i32 s1, s0, s86
	s_cmp_ge_u32 s0, s86
	s_cselect_b32 s0, s1, s0
	s_sub_i32 s1, s0, s86
	s_cmp_ge_u32 s0, s86
	s_cselect_b32 s0, s1, s0
	s_mov_b32 s1, s87
.LBB125_70:                             ;   in Loop: Header=BB125_24 Depth=1
	s_sub_u32 s54, s56, s0
	s_subb_u32 s55, s57, s1
	v_cmp_gt_u64_e32 vcc, s[54:55], v[12:13]
	v_mov_b64_e32 v[4:5], 0
	v_mov_b64_e32 v[6:7], 0
	;; [unrolled: 1-line block ×4, first 2 shown]
	s_and_saveexec_b64 s[66:67], vcc
	s_cbranch_execz .LBB125_74
; %bb.71:                               ;   in Loop: Header=BB125_24 Depth=1
	s_mov_b64 s[78:79], 0
	s_mov_b64 s[58:59], 0
	;; [unrolled: 1-line block ×5, first 2 shown]
	v_mov_b64_e32 v[28:29], v[12:13]
.LBB125_72:                             ;   Parent Loop BB125_24 Depth=1
                                        ; =>  This Inner Loop Header: Depth=2
	v_mul_lo_u32 v6, v29, s72
	v_mul_lo_u32 v7, v28, s73
	v_mad_u64_u32 v[4:5], s[0:1], v28, s72, 0
	v_add3_u32 v5, v5, v7, v6
	s_lshl_b64 s[0:1], s[72:73], 2
	v_lshl_add_u64 v[4:5], v[4:5], 2, s[80:81]
	global_load_dword v6, v[4:5], off
	v_lshl_add_u64 v[4:5], v[4:5], 0, s[0:1]
	global_load_dword v7, v[4:5], off
	;; [unrolled: 2-line block ×4, first 2 shown]
	v_lshl_add_u64 v[28:29], v[28:29], 0, s[86:87]
	v_cmp_le_u64_e32 vcc, s[54:55], v[28:29]
	s_waitcnt vmcnt(3)
	v_cmp_lt_i32_e64 s[0:1], -1, v6
	s_nop 1
	v_cndmask_b32_e64 v5, -1, v37, s[0:1]
	s_waitcnt vmcnt(2)
	v_cmp_lt_i32_e64 s[0:1], -1, v7
	v_xor_b32_e32 v5, v5, v6
	s_waitcnt vmcnt(0)
	v_cmp_o_f32_e64 s[16:17], v4, v4
	v_cndmask_b32_e64 v9, -1, v37, s[0:1]
	v_cmp_o_f32_e64 s[0:1], v6, v6
	v_xor_b32_e32 v6, v9, v7
	s_nop 0
	v_cndmask_b32_e64 v5, -1, v5, s[0:1]
	v_cmp_lt_i32_e64 s[0:1], -1, v8
	v_and_b32_e32 v10, v5, v39
	v_bfe_u32 v5, v5, s6, 2
	v_cndmask_b32_e64 v9, -1, v37, s[0:1]
	v_cmp_o_f32_e64 s[0:1], v7, v7
	v_xor_b32_e32 v7, v9, v8
	v_cmp_eq_u32_e64 s[2:3], 0, v5
	v_cndmask_b32_e64 v6, -1, v6, s[0:1]
	v_cmp_lt_i32_e64 s[0:1], -1, v4
	v_cmp_eq_u32_e64 s[34:35], 1, v5
	v_cmp_eq_u32_e64 s[36:37], 2, v5
	v_cndmask_b32_e64 v9, -1, v37, s[0:1]
	v_cmp_o_f32_e64 s[0:1], v8, v8
	v_xor_b32_e32 v8, v9, v4
	v_and_b32_e32 v9, v6, v39
	v_cndmask_b32_e64 v7, -1, v7, s[0:1]
	v_cmp_eq_u32_e64 s[0:1], v10, v34
	v_bfe_u32 v6, v6, s6, 2
	v_cmp_eq_u32_e64 s[18:19], 3, v5
	v_cndmask_b32_e64 v4, -1, v8, s[16:17]
	v_and_b32_e32 v5, v7, v39
	v_bfe_u32 v7, v7, s6, 2
	s_and_b64 s[2:3], s[0:1], s[2:3]
	v_cmp_eq_u32_e64 s[16:17], v9, v34
	v_cmp_eq_u32_e64 s[26:27], 0, v6
	v_cmp_eq_u32_e64 s[38:39], 1, v6
	v_cmp_eq_u32_e64 s[40:41], 2, v6
	v_cmp_eq_u32_e64 s[20:21], 3, v6
	v_cndmask_b32_e64 v6, 0, 1, s[2:3]
	v_cmp_eq_u32_e64 s[22:23], v5, v34
	v_and_b32_e32 v5, v4, v39
	v_bfe_u32 v4, v4, s6, 2
	v_cmp_eq_u32_e64 s[2:3], 0, v7
	s_and_b64 s[8:9], s[16:17], s[26:27]
	v_cmp_eq_u32_e64 s[26:27], v5, v34
	v_cmp_eq_u32_e64 s[48:49], 0, v4
	s_and_b64 s[2:3], s[22:23], s[2:3]
	v_cmp_ne_u32_e64 s[46:47], 0, v6
	v_cndmask_b32_e64 v6, 0, 1, s[8:9]
	v_cmp_eq_u32_e64 s[50:51], 1, v4
	v_cmp_eq_u32_e64 s[52:53], 2, v4
	;; [unrolled: 1-line block ×3, first 2 shown]
	v_cndmask_b32_e64 v4, 0, 1, s[2:3]
	s_and_b64 s[8:9], s[26:27], s[48:49]
	v_cmp_ne_u32_e64 s[2:3], 0, v4
	v_cndmask_b32_e64 v4, 0, 1, s[8:9]
	s_bcnt1_i32_b64 s14, s[46:47]
	v_cmp_ne_u32_e64 s[46:47], 0, v6
	s_bcnt1_i32_b64 s8, s[2:3]
	v_cmp_ne_u32_e64 s[2:3], 0, v4
	s_bcnt1_i32_b64 s15, s[46:47]
	s_bcnt1_i32_b64 s2, s[2:3]
	s_add_u32 s3, s14, s98
	s_addc_u32 s9, 0, s99
	s_add_u32 s3, s3, s15
	s_addc_u32 s9, s9, 0
	;; [unrolled: 2-line block ×4, first 2 shown]
	s_and_b64 s[2:3], s[0:1], s[34:35]
	v_cmp_eq_u32_e64 s[42:43], 1, v7
	v_cndmask_b32_e64 v6, 0, 1, s[2:3]
	s_and_b64 s[2:3], s[16:17], s[38:39]
	v_cmp_eq_u32_e64 s[44:45], 2, v7
	v_cmp_eq_u32_e64 s[24:25], 3, v7
	v_cndmask_b32_e64 v7, 0, 1, s[2:3]
	s_and_b64 s[2:3], s[22:23], s[42:43]
	v_cndmask_b32_e64 v8, 0, 1, s[2:3]
	s_and_b64 s[2:3], s[26:27], s[50:51]
	v_cndmask_b32_e64 v9, 0, 1, s[2:3]
	v_cmp_ne_u32_e64 s[2:3], 0, v6
	v_cmp_ne_u32_e64 s[34:35], 0, v7
	;; [unrolled: 1-line block ×4, first 2 shown]
	s_bcnt1_i32_b64 s2, s[2:3]
	s_bcnt1_i32_b64 s3, s[34:35]
	;; [unrolled: 1-line block ×4, first 2 shown]
	s_add_u32 s2, s2, s96
	s_addc_u32 s14, 0, s97
	s_add_u32 s2, s2, s3
	s_addc_u32 s3, s14, 0
	;; [unrolled: 2-line block ×4, first 2 shown]
	s_and_b64 s[2:3], s[0:1], s[36:37]
	v_cndmask_b32_e64 v8, 0, 1, s[2:3]
	s_and_b64 s[2:3], s[16:17], s[40:41]
	v_cndmask_b32_e64 v9, 0, 1, s[2:3]
	;; [unrolled: 2-line block ×4, first 2 shown]
	v_cmp_ne_u32_e64 s[2:3], 0, v8
	v_cmp_ne_u32_e64 s[34:35], 0, v9
	;; [unrolled: 1-line block ×4, first 2 shown]
	s_bcnt1_i32_b64 s2, s[2:3]
	s_bcnt1_i32_b64 s3, s[34:35]
	s_bcnt1_i32_b64 s8, s[36:37]
	s_bcnt1_i32_b64 s9, s[38:39]
	s_add_u32 s2, s2, s76
	s_addc_u32 s14, 0, s77
	s_add_u32 s2, s2, s3
	s_addc_u32 s3, s14, 0
	;; [unrolled: 2-line block ×4, first 2 shown]
	s_and_b64 s[0:1], s[0:1], s[18:19]
	v_cndmask_b32_e64 v10, 0, 1, s[0:1]
	s_and_b64 s[0:1], s[16:17], s[20:21]
	v_cndmask_b32_e64 v11, 0, 1, s[0:1]
	;; [unrolled: 2-line block ×4, first 2 shown]
	v_cmp_ne_u32_e64 s[0:1], 0, v10
	v_cmp_ne_u32_e64 s[2:3], 0, v11
	;; [unrolled: 1-line block ×4, first 2 shown]
	s_bcnt1_i32_b64 s0, s[0:1]
	s_bcnt1_i32_b64 s1, s[2:3]
	;; [unrolled: 1-line block ×4, first 2 shown]
	s_add_u32 s0, s0, s58
	s_addc_u32 s8, 0, s59
	s_add_u32 s0, s0, s1
	s_addc_u32 s1, s8, 0
	;; [unrolled: 2-line block ×4, first 2 shown]
	v_mov_b64_e32 v[4:5], s[98:99]
	v_mov_b64_e32 v[6:7], s[96:97]
	;; [unrolled: 1-line block ×3, first 2 shown]
	s_or_b64 s[78:79], vcc, s[78:79]
	v_mov_b64_e32 v[10:11], s[58:59]
	s_andn2_b64 exec, exec, s[78:79]
	s_cbranch_execnz .LBB125_72
; %bb.73:                               ;   in Loop: Header=BB125_24 Depth=1
	s_or_b64 exec, exec, s[78:79]
.LBB125_74:                             ;   in Loop: Header=BB125_24 Depth=1
	s_or_b64 exec, exec, s[66:67]
	v_lshl_add_u64 v[28:29], s[54:55], 0, v[0:1]
	v_and_b32_e32 v2, 0xffff, v2
	v_cmp_gt_u64_e32 vcc, s[56:57], v[28:29]
	s_and_saveexec_b64 s[2:3], vcc
	s_cbranch_execz .LBB125_80
; %bb.75:                               ;   in Loop: Header=BB125_24 Depth=1
	v_mul_lo_u32 v23, v29, s72
	v_mul_lo_u32 v24, v28, s73
	v_mad_u64_u32 v[42:43], s[0:1], v28, s72, 0
	v_add3_u32 v43, v43, v24, v23
	v_lshl_add_u64 v[42:43], v[42:43], 2, s[80:81]
	global_load_dword v24, v[42:43], off
	s_mov_b64 s[8:9], 0
	s_branch .LBB125_77
.LBB125_76:                             ;   in Loop: Header=BB125_77 Depth=2
	s_or_b64 exec, exec, s[14:15]
	s_and_b64 s[0:1], exec, vcc
	s_waitcnt vmcnt(0)
	v_cmp_lt_i32_e32 vcc, -1, v24
	s_or_b64 s[8:9], s[0:1], s[8:9]
	s_nop 0
	v_cndmask_b32_e32 v42, -1, v37, vcc
	v_xor_b32_e32 v42, v42, v24
	v_cmp_o_f32_e32 vcc, v24, v24
	s_nop 1
	v_cndmask_b32_e32 v24, -1, v42, vcc
	v_and_b32_e32 v42, v24, v39
	v_bfe_u32 v24, v24, s6, 2
	v_cmp_eq_u32_e32 vcc, v42, v34
	v_cmp_eq_u32_e64 s[0:1], 0, v24
	s_and_b64 s[0:1], vcc, s[0:1]
	s_nop 0
	v_cndmask_b32_e64 v42, 0, 1, s[0:1]
	v_cmp_ne_u32_e64 s[0:1], 0, v42
	s_bcnt1_i32_b64 s86, s[0:1]
	v_cmp_eq_u32_e64 s[0:1], 1, v24
	s_and_b64 s[0:1], vcc, s[0:1]
	v_lshl_add_u64 v[4:5], s[86:87], 0, v[4:5]
	v_cndmask_b32_e64 v42, 0, 1, s[0:1]
	v_cmp_ne_u32_e64 s[0:1], 0, v42
	s_bcnt1_i32_b64 s86, s[0:1]
	v_cmp_eq_u32_e64 s[0:1], 2, v24
	s_and_b64 s[0:1], vcc, s[0:1]
	v_lshl_add_u64 v[6:7], s[86:87], 0, v[6:7]
	;; [unrolled: 6-line block ×3, first 2 shown]
	v_cndmask_b32_e64 v24, 0, 1, s[0:1]
	v_cmp_ne_u32_e32 vcc, 0, v24
	s_bcnt1_i32_b64 s86, vcc
	v_lshl_add_u64 v[10:11], s[86:87], 0, v[10:11]
	v_mov_b32_e32 v24, v23
	s_andn2_b64 exec, exec, s[8:9]
	s_cbranch_execz .LBB125_79
.LBB125_77:                             ;   Parent Loop BB125_24 Depth=1
                                        ; =>  This Inner Loop Header: Depth=2
	v_lshl_add_u64 v[28:29], v[28:29], 0, v[2:3]
	v_cmp_gt_u64_e64 s[0:1], s[56:57], v[28:29]
	v_cmp_le_u64_e32 vcc, s[56:57], v[28:29]
	v_mov_b32_e32 v23, 0
	s_and_saveexec_b64 s[14:15], s[0:1]
	s_cbranch_execz .LBB125_76
; %bb.78:                               ;   in Loop: Header=BB125_77 Depth=2
	v_mul_lo_u32 v23, v29, s72
	v_mul_lo_u32 v44, v28, s73
	v_mad_u64_u32 v[42:43], s[0:1], v28, s72, 0
	v_add3_u32 v43, v43, v44, v23
	v_lshl_add_u64 v[42:43], v[42:43], 2, s[80:81]
	global_load_dword v23, v[42:43], off
	s_branch .LBB125_76
.LBB125_79:                             ;   in Loop: Header=BB125_24 Depth=1
	s_or_b64 exec, exec, s[8:9]
.LBB125_80:                             ;   in Loop: Header=BB125_24 Depth=1
	s_or_b64 exec, exec, s[2:3]
	s_branch .LBB125_59
.LBB125_81:                             ;   in Loop: Header=BB125_24 Depth=1
	global_load_ushort v2, v3, s[94:95]
	v_mov_b64_e32 v[8:9], 0
	s_waitcnt vmcnt(0)
	v_readfirstlane_b32 s0, v2
	s_and_b32 s0, 0xffff, s0
	s_lshl_b32 s66, s0, 2
	v_cvt_f32_u32_e32 v4, s66
	s_sub_i32 s1, 0, s66
	v_rcp_iflag_f32_e32 v6, v4
	v_mov_b64_e32 v[4:5], 0
	v_mul_f32_e32 v6, 0x4f7ffffe, v6
	v_cvt_u32_f32_e32 v10, v6
	v_mov_b64_e32 v[6:7], 0
	v_readfirstlane_b32 s2, v10
	s_mul_i32 s1, s1, s2
	s_mul_hi_u32 s1, s2, s1
	s_add_i32 s2, s2, s1
	s_mul_hi_u32 s1, s64, s2
	s_mul_i32 s2, s1, s66
	s_sub_i32 s2, s64, s2
	s_add_i32 s3, s1, 1
	s_sub_i32 s8, s2, s66
	s_cmp_ge_u32 s2, s66
	s_cselect_b32 s1, s3, s1
	s_cselect_b32 s2, s8, s2
	s_add_i32 s3, s1, 1
	s_cmp_ge_u32 s2, s66
	s_cselect_b32 s1, s3, s1
	s_mul_hi_u32 s79, s0, s1
	s_mul_i32 s78, s0, s1
	s_lshl_b64 s[58:59], s[78:79], 2
	v_cmp_gt_u64_e32 vcc, s[58:59], v[12:13]
	v_mov_b64_e32 v[10:11], 0
	s_and_saveexec_b64 s[76:77], vcc
	s_cbranch_execz .LBB125_85
; %bb.82:                               ;   in Loop: Header=BB125_24 Depth=1
	s_mov_b32 s67, s87
	s_mov_b32 s65, s6
	s_lshl_b32 s79, s0, 4
	s_mov_b64 s[96:97], 0
	v_mov_b32_e32 v23, v35
	s_mov_b64 s[98:99], 0
	s_mov_b64 s[30:31], 0
	;; [unrolled: 1-line block ×4, first 2 shown]
	v_mov_b64_e32 v[28:29], v[12:13]
.LBB125_83:                             ;   Parent Loop BB125_24 Depth=1
                                        ; =>  This Inner Loop Header: Depth=2
	ds_read_b128 v[4:7], v23
	v_lshl_add_u64 v[28:29], v[28:29], 0, s[66:67]
	v_cmp_le_u64_e32 vcc, s[58:59], v[28:29]
	v_add_u32_e32 v23, s79, v23
	s_waitcnt lgkmcnt(0)
	v_cmp_lt_i32_e64 s[0:1], -1, v5
	v_cmp_o_f32_e64 s[2:3], v6, v6
	s_nop 0
	v_cndmask_b32_e64 v8, -1, v37, s[0:1]
	v_cmp_lt_i32_e64 s[0:1], -1, v4
	v_cmp_o_f32_e64 s[16:17], v7, v7
	v_cmp_o_f32_e64 s[18:19], v5, v5
	v_cndmask_b32_e64 v9, -1, v37, s[0:1]
	v_cmp_lt_i32_e64 s[0:1], -1, v7
	v_xor_b32_e32 v9, v9, v4
	s_nop 0
	v_cndmask_b32_e64 v10, -1, v37, s[0:1]
	v_cmp_lt_i32_e64 s[0:1], -1, v6
	s_nop 1
	v_cndmask_b32_e64 v11, -1, v37, s[0:1]
	v_cmp_o_f32_e64 s[0:1], v4, v4
	v_xor_b32_e32 v4, v11, v6
	v_xor_b32_e32 v6, v10, v7
	;; [unrolled: 1-line block ×3, first 2 shown]
	v_cndmask_b32_e64 v5, -1, v7, s[18:19]
	v_cndmask_b32_e64 v7, -1, v9, s[0:1]
	v_and_b32_e32 v8, v7, v39
	v_lshrrev_b32_e32 v7, s6, v7
	v_cndmask_b32_e64 v4, -1, v4, s[2:3]
	v_and_b32_e32 v9, v5, v39
	v_lshrrev_b32_e32 v5, s65, v5
	v_and_b32_e32 v7, 3, v7
	v_and_b32_e32 v10, v4, v39
	v_lshrrev_b32_e32 v4, s6, v4
	v_cmp_eq_u32_e64 s[2:3], v8, v34
	v_and_b32_e32 v5, 3, v5
	v_cmp_eq_u32_e64 s[24:25], 0, v7
	v_cmp_eq_u32_e64 s[22:23], v9, v34
	v_and_b32_e32 v4, 3, v4
	v_cmp_eq_u32_e64 s[26:27], 0, v5
	s_and_b64 s[24:25], s[2:3], s[24:25]
	v_cmp_eq_u32_e64 s[44:45], 0, v4
	v_cmp_eq_u32_e64 s[48:49], 1, v4
	;; [unrolled: 1-line block ×4, first 2 shown]
	v_cndmask_b32_e64 v4, 0, 1, s[24:25]
	s_and_b64 s[24:25], s[22:23], s[26:27]
	v_cmp_eq_u32_e64 s[34:35], 1, v5
	v_cmp_eq_u32_e64 s[38:39], 2, v5
	;; [unrolled: 1-line block ×3, first 2 shown]
	v_cndmask_b32_e64 v5, 0, 1, s[24:25]
	v_cmp_ne_u32_e64 s[24:25], 0, v4
	v_cmp_ne_u32_e64 s[26:27], 0, v5
	s_bcnt1_i32_b64 s24, s[24:25]
	s_bcnt1_i32_b64 s25, s[26:27]
	s_add_u32 s14, s24, s14
	s_addc_u32 s15, 0, s15
	v_cmp_eq_u32_e64 s[28:29], 1, v7
	s_add_u32 s86, s14, s25
	s_addc_u32 s92, s15, 0
	s_and_b64 s[14:15], s[2:3], s[28:29]
	v_cndmask_b32_e64 v4, 0, 1, s[14:15]
	s_and_b64 s[14:15], s[22:23], s[34:35]
	v_cndmask_b32_e64 v5, 0, 1, s[14:15]
	v_cmp_ne_u32_e64 s[24:25], 0, v4
	v_cmp_ne_u32_e64 s[26:27], 0, v5
	s_bcnt1_i32_b64 s14, s[24:25]
	s_bcnt1_i32_b64 s15, s[26:27]
	s_add_u32 s8, s14, s8
	s_addc_u32 s9, 0, s9
	v_cmp_eq_u32_e64 s[36:37], 2, v7
	s_add_u32 s28, s8, s15
	s_addc_u32 s29, s9, 0
	s_and_b64 s[8:9], s[2:3], s[36:37]
	v_cndmask_b32_e64 v4, 0, 1, s[8:9]
	s_and_b64 s[8:9], s[22:23], s[38:39]
	v_cndmask_b32_e64 v5, 0, 1, s[8:9]
	v_cmp_ne_u32_e64 s[24:25], 0, v4
	v_cmp_ne_u32_e64 s[26:27], 0, v5
	s_bcnt1_i32_b64 s8, s[24:25]
	s_bcnt1_i32_b64 s9, s[26:27]
	v_cndmask_b32_e64 v6, -1, v6, s[16:17]
	s_add_u32 s8, s8, s30
	v_and_b32_e32 v11, v6, v39
	v_lshrrev_b32_e32 v6, s65, v6
	s_addc_u32 s14, 0, s31
	v_cmp_eq_u32_e64 s[16:17], v10, v34
	v_and_b32_e32 v6, 3, v6
	s_add_u32 s30, s8, s9
	v_cmp_eq_u32_e64 s[0:1], v11, v34
	v_cmp_eq_u32_e64 s[42:43], 3, v7
	;; [unrolled: 1-line block ×3, first 2 shown]
	s_addc_u32 s31, s14, 0
	s_and_b64 s[8:9], s[16:17], s[44:45]
	v_cndmask_b32_e64 v4, 0, 1, s[8:9]
	s_and_b64 s[8:9], s[0:1], s[46:47]
	s_and_b64 s[2:3], s[2:3], s[42:43]
	v_cmp_eq_u32_e64 s[50:51], 1, v6
	v_cmp_eq_u32_e64 s[54:55], 2, v6
	;; [unrolled: 1-line block ×3, first 2 shown]
	v_cndmask_b32_e64 v5, 0, 1, s[8:9]
	v_cndmask_b32_e64 v6, 0, 1, s[2:3]
	s_and_b64 s[2:3], s[22:23], s[40:41]
	v_cndmask_b32_e64 v7, 0, 1, s[2:3]
	v_cmp_ne_u32_e64 s[2:3], 0, v4
	v_cmp_ne_u32_e64 s[22:23], 0, v5
	s_bcnt1_i32_b64 s2, s[2:3]
	s_bcnt1_i32_b64 s3, s[22:23]
	s_add_u32 s2, s86, s2
	s_addc_u32 s8, s92, 0
	s_add_u32 s14, s2, s3
	s_addc_u32 s15, s8, 0
	s_and_b64 s[2:3], s[16:17], s[48:49]
	v_cmp_ne_u32_e64 s[24:25], 0, v6
	v_cndmask_b32_e64 v6, 0, 1, s[2:3]
	s_and_b64 s[2:3], s[0:1], s[50:51]
	v_cmp_ne_u32_e64 s[26:27], 0, v7
	v_cndmask_b32_e64 v7, 0, 1, s[2:3]
	v_cmp_ne_u32_e64 s[2:3], 0, v6
	v_cmp_ne_u32_e64 s[22:23], 0, v7
	s_bcnt1_i32_b64 s2, s[2:3]
	s_bcnt1_i32_b64 s3, s[22:23]
	s_add_u32 s2, s28, s2
	s_addc_u32 s9, s29, 0
	s_add_u32 s8, s2, s3
	s_addc_u32 s9, s9, 0
	s_and_b64 s[2:3], s[16:17], s[52:53]
	v_cndmask_b32_e64 v8, 0, 1, s[2:3]
	s_and_b64 s[2:3], s[0:1], s[54:55]
	v_cndmask_b32_e64 v9, 0, 1, s[2:3]
	v_cmp_ne_u32_e64 s[2:3], 0, v8
	v_cmp_ne_u32_e64 s[22:23], 0, v9
	s_bcnt1_i32_b64 s2, s[2:3]
	s_bcnt1_i32_b64 s3, s[22:23]
	s_add_u32 s2, s30, s2
	s_addc_u32 s22, s31, 0
	s_add_u32 s30, s2, s3
	s_addc_u32 s31, s22, 0
	s_and_b64 s[2:3], s[16:17], s[20:21]
	s_and_b64 s[0:1], s[0:1], s[18:19]
	v_cndmask_b32_e64 v10, 0, 1, s[2:3]
	v_cndmask_b32_e64 v11, 0, 1, s[0:1]
	v_cmp_ne_u32_e64 s[0:1], 0, v10
	v_cmp_ne_u32_e64 s[2:3], 0, v11
	s_bcnt1_i32_b64 s22, s[24:25]
	s_bcnt1_i32_b64 s23, s[26:27]
	;; [unrolled: 1-line block ×4, first 2 shown]
	s_add_u32 s2, s22, s98
	s_addc_u32 s3, 0, s99
	s_add_u32 s2, s2, s23
	s_addc_u32 s3, s3, 0
	;; [unrolled: 2-line block ×4, first 2 shown]
	v_mov_b64_e32 v[4:5], s[14:15]
	v_mov_b64_e32 v[6:7], s[8:9]
	;; [unrolled: 1-line block ×3, first 2 shown]
	s_or_b64 s[96:97], vcc, s[96:97]
	v_mov_b64_e32 v[10:11], s[98:99]
	s_andn2_b64 exec, exec, s[96:97]
	s_cbranch_execnz .LBB125_83
; %bb.84:                               ;   in Loop: Header=BB125_24 Depth=1
	s_or_b64 exec, exec, s[96:97]
.LBB125_85:                             ;   in Loop: Header=BB125_24 Depth=1
	s_or_b64 exec, exec, s[76:77]
	s_and_b32 s8, s64, 0x7fffffff
	s_mov_b32 s9, s87
	v_lshl_add_u64 v[28:29], s[58:59], 0, v[0:1]
	v_and_b32_e32 v2, 0xffff, v2
	v_cmp_gt_u64_e32 vcc, s[8:9], v[28:29]
	s_and_saveexec_b64 s[14:15], vcc
	s_cbranch_execz .LBB125_89
; %bb.86:                               ;   in Loop: Header=BB125_24 Depth=1
	v_lshl_add_u32 v23, s78, 4, v12
	s_mov_b64 s[22:23], 0
.LBB125_87:                             ;   Parent Loop BB125_24 Depth=1
                                        ; =>  This Inner Loop Header: Depth=2
	ds_read_b32 v24, v23
	v_lshl_add_u64 v[28:29], v[28:29], 0, v[2:3]
	v_cmp_le_u64_e32 vcc, s[8:9], v[28:29]
	v_add_u32_e32 v23, s66, v23
	s_waitcnt lgkmcnt(0)
	v_cmp_lt_i32_e64 s[0:1], -1, v24
	s_nop 1
	v_cndmask_b32_e64 v42, -1, v37, s[0:1]
	v_xor_b32_e32 v42, v42, v24
	v_cmp_o_f32_e64 s[0:1], v24, v24
	s_nop 1
	v_cndmask_b32_e64 v24, -1, v42, s[0:1]
	v_and_b32_e32 v42, v24, v39
	v_bfe_u32 v24, v24, s6, 2
	v_cmp_eq_u32_e64 s[0:1], v42, v34
	v_cmp_eq_u32_e64 s[2:3], 0, v24
	;; [unrolled: 1-line block ×3, first 2 shown]
	s_and_b64 s[2:3], s[0:1], s[2:3]
	v_cmp_eq_u32_e64 s[18:19], 2, v24
	v_cmp_eq_u32_e64 s[20:21], 3, v24
	v_cndmask_b32_e64 v24, 0, 1, s[2:3]
	s_and_b64 s[2:3], s[0:1], s[16:17]
	v_cndmask_b32_e64 v42, 0, 1, s[2:3]
	s_and_b64 s[2:3], s[0:1], s[18:19]
	s_and_b64 s[0:1], s[0:1], s[20:21]
	v_cndmask_b32_e64 v44, 0, 1, s[0:1]
	v_cmp_ne_u32_e64 s[0:1], 0, v24
	v_cndmask_b32_e64 v43, 0, 1, s[2:3]
	v_cmp_ne_u32_e64 s[2:3], 0, v42
	s_bcnt1_i32_b64 s86, s[0:1]
	v_cmp_ne_u32_e64 s[16:17], 0, v43
	v_lshl_add_u64 v[4:5], s[86:87], 0, v[4:5]
	s_bcnt1_i32_b64 s86, s[2:3]
	v_cmp_ne_u32_e64 s[18:19], 0, v44
	v_lshl_add_u64 v[6:7], s[86:87], 0, v[6:7]
	s_bcnt1_i32_b64 s86, s[16:17]
	v_lshl_add_u64 v[8:9], s[86:87], 0, v[8:9]
	s_bcnt1_i32_b64 s86, s[18:19]
	s_or_b64 s[22:23], vcc, s[22:23]
	v_lshl_add_u64 v[10:11], s[86:87], 0, v[10:11]
	s_andn2_b64 exec, exec, s[22:23]
	s_cbranch_execnz .LBB125_87
; %bb.88:                               ;   in Loop: Header=BB125_24 Depth=1
	s_or_b64 exec, exec, s[22:23]
.LBB125_89:                             ;   in Loop: Header=BB125_24 Depth=1
	s_or_b64 exec, exec, s[14:15]
	s_lshl_b32 s2, s7, 6
	s_and_saveexec_b64 s[0:1], s[4:5]
	s_cbranch_execnz .LBB125_60
	s_branch .LBB125_61
.LBB125_90:                             ;   in Loop: Header=BB125_24 Depth=1
                                        ; implicit-def: $sgpr0_sgpr1
	s_branch .LBB125_69
.LBB125_91:                             ;   in Loop: Header=BB125_24 Depth=1
	s_mov_b32 s3, 0
	v_mov_b64_e32 v[4:5], 0
.LBB125_92:                             ;   in Loop: Header=BB125_24 Depth=1
	v_readlane_b32 s8, v54, 41
	v_readlane_b32 s9, v54, 42
	s_andn2_b64 vcc, exec, s[8:9]
	s_cbranch_vccnz .LBB125_95
; %bb.93:                               ;   in Loop: Header=BB125_24 Depth=1
	s_lshl_b32 s8, s7, 9
	s_lshl_b32 s3, s3, 5
	s_add_i32 s8, s8, s3
	v_add_u32_e32 v2, s8, v36
	v_readlane_b32 s3, v54, 40
.LBB125_94:                             ;   Parent Loop BB125_24 Depth=1
                                        ; =>  This Inner Loop Header: Depth=2
	ds_read_b64 v[6:7], v2
	s_add_i32 s3, s3, -1
	v_add_u32_e32 v2, 32, v2
	s_cmp_lg_u32 s3, 0
	s_waitcnt lgkmcnt(0)
	v_lshl_add_u64 v[4:5], v[6:7], 0, v[4:5]
	s_cbranch_scc1 .LBB125_94
.LBB125_95:                             ;   in Loop: Header=BB125_24 Depth=1
	v_add_lshl_u32 v2, s2, v30, 3
	ds_write_b64 v2, v[4:5] offset:3072
.LBB125_96:                             ;   in Loop: Header=BB125_24 Depth=1
	s_or_b64 exec, exec, s[0:1]
	s_lshl_b32 s0, s2, 3
	v_mov_b32_e32 v2, s0
	s_waitcnt lgkmcnt(0)
	s_barrier
	ds_read_b128 v[8:11], v2 offset:3088
	ds_read_b128 v[4:7], v2 offset:3072
	s_lshl_b32 s64, 3, s6
	v_cmp_eq_u64_e64 s[0:1], 1, v[26:27]
	s_not_b32 s52, s64
	s_waitcnt lgkmcnt(1)
	v_readfirstlane_b32 s22, v8
	s_waitcnt lgkmcnt(0)
	v_cmp_eq_u64_e32 vcc, 1, v[4:5]
	v_readfirstlane_b32 s23, v9
	v_readfirstlane_b32 s2, v10
	;; [unrolled: 1-line block ×3, first 2 shown]
	s_and_b64 s[18:19], vcc, s[0:1]
	s_mov_b64 s[0:1], -1
	s_mov_b64 s[8:9], -1
                                        ; implicit-def: $sgpr24_sgpr25
                                        ; implicit-def: $sgpr20_sgpr21
	s_and_saveexec_b64 s[16:17], s[18:19]
	s_cbranch_execz .LBB125_130
; %bb.97:                               ;   in Loop: Header=BB125_24 Depth=1
	ds_read_b64 v[8:9], v3 offset:5120
	s_waitcnt lgkmcnt(0)
	s_barrier
	v_readfirstlane_b32 s8, v8
	v_readfirstlane_b32 s9, v9
	s_mov_b64 s[14:15], exec
	v_readlane_b32 s20, v54, 26
	v_readlane_b32 s21, v54, 27
	s_and_b64 s[20:21], s[14:15], s[20:21]
	s_mov_b64 exec, s[20:21]
; %bb.98:                               ;   in Loop: Header=BB125_24 Depth=1
	ds_write_b32 v31, v3
; %bb.99:                               ;   in Loop: Header=BB125_24 Depth=1
	s_or_b64 exec, exec, s[14:15]
	v_and_b32_e32 v34, s52, v34
	v_or_b32_e32 v39, s64, v39
	s_mov_b64 s[20:21], -1
	s_mov_b64 s[24:25], 0
	s_cmp_eq_u64 s[8:9], 0
	s_mov_b64 s[26:27], 0
	s_mov_b64 s[14:15], -1
	s_waitcnt lgkmcnt(0)
	s_barrier
                                        ; implicit-def: $vgpr25
	s_cbranch_scc1 .LBB125_114
; %bb.100:                              ;   in Loop: Header=BB125_24 Depth=1
	v_readlane_b32 s14, v54, 32
	s_add_u32 s30, s8, s14
	v_readlane_b32 s14, v54, 33
	s_addc_u32 s15, s9, s14
	s_mov_b32 s14, s87
	s_cmp_lg_u64 s[14:15], 0
	s_cbranch_scc0 .LBB125_157
; %bb.101:                              ;   in Loop: Header=BB125_24 Depth=1
	v_cvt_f32_u32_e32 v2, s84
	s_sub_u32 s14, 0, s84
	s_subb_u32 s28, 0, 0
	v_fmac_f32_e32 v2, 0, v38
	v_rcp_f32_e32 v2, v2
	s_nop 0
	v_mul_f32_e32 v2, 0x5f7ffffc, v2
	v_mul_f32_e32 v8, 0x2f800000, v2
	v_trunc_f32_e32 v8, v8
	v_fmac_f32_e32 v2, 0xcf800000, v8
	v_cvt_u32_f32_e32 v8, v8
	v_cvt_u32_f32_e32 v2, v2
	v_readfirstlane_b32 s29, v8
	v_readfirstlane_b32 s26, v2
	s_mul_i32 s27, s14, s29
	s_mul_hi_u32 s34, s14, s26
	s_mul_i32 s31, s28, s26
	s_add_i32 s27, s34, s27
	s_mul_i32 s35, s14, s26
	s_add_i32 s27, s27, s31
	s_mul_hi_u32 s34, s26, s35
	s_mul_i32 s36, s26, s27
	s_mul_hi_u32 s31, s26, s27
	s_add_u32 s34, s34, s36
	s_addc_u32 s31, 0, s31
	s_mul_hi_u32 s37, s29, s35
	s_mul_i32 s35, s29, s35
	s_add_u32 s34, s34, s35
	s_mul_hi_u32 s36, s29, s27
	s_addc_u32 s31, s31, s37
	s_addc_u32 s34, s36, 0
	s_mul_i32 s27, s29, s27
	s_add_u32 s27, s31, s27
	s_addc_u32 s31, 0, s34
	s_add_u32 s34, s26, s27
	s_cselect_b64 s[26:27], -1, 0
	s_cmp_lg_u64 s[26:27], 0
	s_addc_u32 s29, s29, s31
	s_mul_i32 s26, s14, s29
	s_mul_hi_u32 s27, s14, s34
	s_add_i32 s26, s27, s26
	s_mul_i32 s28, s28, s34
	s_add_i32 s26, s26, s28
	s_mul_i32 s14, s14, s34
	s_mul_hi_u32 s28, s29, s14
	s_mul_i32 s31, s29, s14
	s_mul_i32 s36, s34, s26
	s_mul_hi_u32 s14, s34, s14
	s_mul_hi_u32 s35, s34, s26
	s_add_u32 s14, s14, s36
	s_addc_u32 s35, 0, s35
	s_add_u32 s14, s14, s31
	s_mul_hi_u32 s27, s29, s26
	s_addc_u32 s14, s35, s28
	s_addc_u32 s27, s27, 0
	s_mul_i32 s26, s29, s26
	s_add_u32 s14, s14, s26
	s_addc_u32 s28, 0, s27
	s_add_u32 s14, s34, s14
	s_cselect_b64 s[26:27], -1, 0
	s_cmp_lg_u64 s[26:27], 0
	s_addc_u32 s26, s29, s28
	s_mul_i32 s28, s30, s26
	s_mul_hi_u32 s29, s30, s14
	s_mul_hi_u32 s27, s30, s26
	s_add_u32 s28, s29, s28
	s_addc_u32 s27, 0, s27
	s_mul_hi_u32 s31, s15, s14
	s_mul_i32 s14, s15, s14
	s_add_u32 s14, s28, s14
	s_mul_hi_u32 s29, s15, s26
	s_addc_u32 s14, s27, s31
	s_addc_u32 s27, s29, 0
	s_mul_i32 s26, s15, s26
	s_add_u32 s14, s14, s26
	s_addc_u32 s26, 0, s27
	s_mul_i32 s26, s84, s26
	s_mul_hi_u32 s27, s84, s14
	s_add_i32 s28, s27, s26
	s_mul_i32 s14, s84, s14
	s_sub_u32 s14, s30, s14
	s_cselect_b64 s[26:27], -1, 0
	s_cmp_lg_u64 s[26:27], 0
	s_subb_u32 s28, s15, s28
	s_sub_u32 s29, s14, s84
	s_cselect_b64 s[26:27], -1, 0
	s_cmp_lg_u64 s[26:27], 0
	s_subb_u32 s31, s28, 0
	;; [unrolled: 4-line block ×3, first 2 shown]
	s_cmp_ge_u32 s29, s84
	s_cselect_b32 s27, -1, 0
	s_cmp_eq_u32 s31, 0
	s_cselect_b32 s27, s27, -1
	s_cmp_lg_u32 s27, 0
	s_cselect_b32 s26, s26, s31
	s_cselect_b32 s29, s34, s29
	s_cmp_ge_u32 s14, s84
	s_cselect_b32 s27, -1, 0
	s_cmp_eq_u32 s28, 0
	s_cselect_b32 s27, s27, -1
	s_cmp_lg_u32 s27, 0
	s_cselect_b32 s27, s26, s28
	s_cselect_b32 s26, s29, s14
	s_cbranch_execnz .LBB125_103
.LBB125_102:                            ;   in Loop: Header=BB125_24 Depth=1
	v_cvt_f32_u32_e32 v2, s84
	s_sub_i32 s14, 0, s84
	v_rcp_iflag_f32_e32 v2, v2
	s_nop 0
	v_mul_f32_e32 v2, 0x4f7ffffe, v2
	v_cvt_u32_f32_e32 v2, v2
	s_nop 0
	v_readfirstlane_b32 s26, v2
	s_mul_i32 s14, s14, s26
	s_mul_hi_u32 s14, s26, s14
	s_add_i32 s26, s26, s14
	s_mul_hi_u32 s14, s30, s26
	s_mul_i32 s14, s14, s84
	s_sub_i32 s14, s30, s14
	s_sub_i32 s26, s14, s84
	s_cmp_ge_u32 s14, s84
	s_cselect_b32 s14, s26, s14
	s_sub_i32 s26, s14, s84
	s_cmp_ge_u32 s14, s84
	s_cselect_b32 s86, s26, s14
	s_mov_b64 s[26:27], s[86:87]
.LBB125_103:                            ;   in Loop: Header=BB125_24 Depth=1
	s_sub_u32 s30, s30, s26
	s_subb_u32 s31, s15, s27
	v_cmp_gt_u64_e32 vcc, s[30:31], v[0:1]
	s_mov_b64 s[14:15], 0
	s_mov_b64 s[26:27], 0
                                        ; implicit-def: $vgpr25
	s_and_saveexec_b64 s[28:29], vcc
	s_cbranch_execz .LBB125_113
; %bb.104:                              ;   in Loop: Header=BB125_24 Depth=1
	v_mov_b32_e32 v2, v12
	v_mov_b64_e32 v[8:9], v[0:1]
                                        ; implicit-def: $sgpr34_sgpr35
	s_branch .LBB125_108
.LBB125_105:                            ;   in Loop: Header=BB125_108 Depth=2
	s_or_b64 exec, exec, s[36:37]
	s_waitcnt lgkmcnt(0)
	s_barrier
	ds_read_b64 v[24:25], v3 offset:3072
	s_waitcnt lgkmcnt(0)
	s_barrier
	v_cmp_neq_f32_e32 vcc, 0, v24
	s_cbranch_vccnz .LBB125_111
; %bb.106:                              ;   in Loop: Header=BB125_108 Depth=2
	v_lshl_add_u64 v[8:9], v[8:9], 0, s[84:85]
	v_cmp_le_u64_e32 vcc, s[30:31], v[8:9]
	v_add_u32_e32 v2, s91, v2
	s_mov_b64 s[36:37], 0
	s_orn2_b64 s[38:39], vcc, exec
.LBB125_107:                            ;   in Loop: Header=BB125_108 Depth=2
	s_and_b64 s[38:39], exec, s[38:39]
	s_or_b64 s[26:27], s[38:39], s[26:27]
	s_andn2_b64 s[34:35], s[34:35], exec
	s_and_b64 s[36:37], s[36:37], exec
	s_or_b64 s[34:35], s[34:35], s[36:37]
	s_andn2_b64 exec, exec, s[26:27]
	s_cbranch_execz .LBB125_112
.LBB125_108:                            ;   Parent Loop BB125_24 Depth=1
                                        ; =>  This Inner Loop Header: Depth=2
	v_cmp_gt_u64_e32 vcc, s[8:9], v[8:9]
	s_and_saveexec_b64 s[36:37], vcc
	s_cbranch_execz .LBB125_105
; %bb.109:                              ;   in Loop: Header=BB125_108 Depth=2
	ds_read_b32 v23, v2
	s_waitcnt lgkmcnt(0)
	v_cmp_lt_i32_e32 vcc, -1, v23
	s_nop 1
	v_cndmask_b32_e32 v10, -1, v37, vcc
	v_xor_b32_e32 v10, v10, v23
	v_cmp_o_f32_e32 vcc, v23, v23
	s_nop 1
	v_cndmask_b32_e32 v10, -1, v10, vcc
	v_and_b32_e32 v10, v10, v39
	v_cmp_eq_u32_e32 vcc, v10, v34
	s_and_b64 exec, exec, vcc
	s_cbranch_execz .LBB125_105
; %bb.110:                              ;   in Loop: Header=BB125_108 Depth=2
	ds_write_b64 v3, v[22:23] offset:3072
	s_branch .LBB125_105
.LBB125_111:                            ;   in Loop: Header=BB125_108 Depth=2
	s_mov_b64 s[38:39], -1
                                        ; implicit-def: $vgpr8_vgpr9
                                        ; implicit-def: $vgpr2
	s_mov_b64 s[36:37], -1
	s_branch .LBB125_107
.LBB125_112:                            ;   in Loop: Header=BB125_24 Depth=1
	s_or_b64 exec, exec, s[26:27]
	s_and_b64 s[26:27], s[34:35], exec
.LBB125_113:                            ;   in Loop: Header=BB125_24 Depth=1
	s_or_b64 exec, exec, s[28:29]
.LBB125_114:                            ;   in Loop: Header=BB125_24 Depth=1
	s_and_b64 vcc, exec, s[14:15]
	s_cbranch_vccz .LBB125_129
; %bb.115:                              ;   in Loop: Header=BB125_24 Depth=1
	s_mov_b32 s92, s87
	s_cmp_lg_u64 s[92:93], 0
	s_cbranch_scc0 .LBB125_161
; %bb.116:                              ;   in Loop: Header=BB125_24 Depth=1
	v_cvt_f32_u32_e32 v2, s84
	s_sub_u32 s14, 0, s84
	s_subb_u32 s15, 0, 0
	v_fmac_f32_e32 v2, 0, v38
	v_rcp_f32_e32 v2, v2
	s_nop 0
	v_mul_f32_e32 v2, 0x5f7ffffc, v2
	v_mul_f32_e32 v8, 0x2f800000, v2
	v_trunc_f32_e32 v8, v8
	v_fmac_f32_e32 v2, 0xcf800000, v8
	v_cvt_u32_f32_e32 v8, v8
	v_cvt_u32_f32_e32 v2, v2
	v_readfirstlane_b32 s20, v8
	v_readfirstlane_b32 s8, v2
	s_mul_i32 s9, s14, s20
	s_mul_hi_u32 s24, s14, s8
	s_mul_i32 s21, s15, s8
	s_add_i32 s9, s24, s9
	s_mul_i32 s25, s14, s8
	s_add_i32 s9, s9, s21
	s_mul_hi_u32 s24, s8, s25
	s_mul_i32 s28, s8, s9
	s_mul_hi_u32 s21, s8, s9
	s_add_u32 s24, s24, s28
	s_addc_u32 s21, 0, s21
	s_mul_hi_u32 s29, s20, s25
	s_mul_i32 s25, s20, s25
	s_add_u32 s24, s24, s25
	s_mul_hi_u32 s28, s20, s9
	s_addc_u32 s21, s21, s29
	s_addc_u32 s24, s28, 0
	s_mul_i32 s9, s20, s9
	s_add_u32 s9, s21, s9
	s_addc_u32 s21, 0, s24
	s_add_u32 s24, s8, s9
	s_cselect_b64 s[8:9], -1, 0
	s_cmp_lg_u64 s[8:9], 0
	s_addc_u32 s20, s20, s21
	s_mul_i32 s8, s14, s20
	s_mul_hi_u32 s9, s14, s24
	s_add_i32 s8, s9, s8
	s_mul_i32 s15, s15, s24
	s_add_i32 s8, s8, s15
	s_mul_i32 s14, s14, s24
	s_mul_hi_u32 s15, s20, s14
	s_mul_i32 s21, s20, s14
	s_mul_i32 s28, s24, s8
	s_mul_hi_u32 s14, s24, s14
	s_mul_hi_u32 s25, s24, s8
	s_add_u32 s14, s14, s28
	s_addc_u32 s25, 0, s25
	s_add_u32 s14, s14, s21
	s_mul_hi_u32 s9, s20, s8
	s_addc_u32 s14, s25, s15
	s_addc_u32 s9, s9, 0
	s_mul_i32 s8, s20, s8
	s_add_u32 s8, s14, s8
	s_addc_u32 s14, 0, s9
	s_add_u32 s15, s24, s8
	s_cselect_b64 s[8:9], -1, 0
	s_cmp_lg_u64 s[8:9], 0
	s_addc_u32 s8, s20, s14
	s_mul_i32 s14, s68, s8
	s_mul_hi_u32 s20, s68, s15
	s_mul_hi_u32 s9, s68, s8
	s_add_u32 s14, s20, s14
	s_addc_u32 s9, 0, s9
	s_mul_hi_u32 s21, s93, s15
	s_mul_i32 s15, s93, s15
	s_add_u32 s14, s14, s15
	s_mul_hi_u32 s20, s93, s8
	s_addc_u32 s9, s9, s21
	s_addc_u32 s14, s20, 0
	s_mul_i32 s8, s93, s8
	s_add_u32 s8, s9, s8
	s_addc_u32 s9, 0, s14
	s_mul_i32 s9, s84, s9
	s_mul_hi_u32 s14, s84, s8
	s_add_i32 s14, s14, s9
	s_mul_i32 s8, s84, s8
	s_sub_u32 s15, s68, s8
	s_cselect_b64 s[8:9], -1, 0
	s_cmp_lg_u64 s[8:9], 0
	s_subb_u32 s14, s93, s14
	s_sub_u32 s20, s15, s84
	s_cselect_b64 s[8:9], -1, 0
	s_cmp_lg_u64 s[8:9], 0
	s_subb_u32 s21, s14, 0
	;; [unrolled: 4-line block ×3, first 2 shown]
	s_cmp_ge_u32 s20, s84
	s_cselect_b32 s9, -1, 0
	s_cmp_eq_u32 s21, 0
	s_cselect_b32 s9, s9, -1
	s_cmp_lg_u32 s9, 0
	s_cselect_b32 s8, s8, s21
	s_cselect_b32 s20, s24, s20
	s_cmp_ge_u32 s15, s84
	s_cselect_b32 s9, -1, 0
	s_cmp_eq_u32 s14, 0
	s_cselect_b32 s9, s9, -1
	s_cmp_lg_u32 s9, 0
	s_cselect_b32 s9, s8, s14
	s_cselect_b32 s8, s20, s15
	s_cbranch_execnz .LBB125_118
.LBB125_117:                            ;   in Loop: Header=BB125_24 Depth=1
	v_cvt_f32_u32_e32 v2, s84
	s_sub_i32 s8, 0, s84
	v_rcp_iflag_f32_e32 v2, v2
	s_nop 0
	v_mul_f32_e32 v2, 0x4f7ffffe, v2
	v_cvt_u32_f32_e32 v2, v2
	s_nop 0
	v_readfirstlane_b32 s9, v2
	s_mul_i32 s8, s8, s9
	s_mul_hi_u32 s8, s9, s8
	s_add_i32 s9, s9, s8
	s_mul_hi_u32 s8, s68, s9
	s_mul_i32 s8, s8, s84
	s_sub_i32 s8, s68, s8
	s_sub_i32 s9, s8, s84
	s_cmp_ge_u32 s8, s84
	s_cselect_b32 s8, s9, s8
	s_sub_i32 s9, s8, s84
	s_cmp_ge_u32 s8, s84
	s_cselect_b32 s86, s9, s8
	s_mov_b64 s[8:9], s[86:87]
.LBB125_118:                            ;   in Loop: Header=BB125_24 Depth=1
	s_sub_u32 s14, s68, s8
	s_subb_u32 s15, s93, s9
	v_cmp_gt_u64_e32 vcc, s[14:15], v[0:1]
                                        ; implicit-def: $vgpr25
	s_and_saveexec_b64 s[8:9], vcc
	s_cbranch_execz .LBB125_128
; %bb.119:                              ;   in Loop: Header=BB125_24 Depth=1
	s_mov_b64 s[20:21], 0
	v_mov_b64_e32 v[8:9], v[0:1]
                                        ; implicit-def: $sgpr24_sgpr25
	s_branch .LBB125_123
.LBB125_120:                            ;   in Loop: Header=BB125_123 Depth=2
	s_or_b64 exec, exec, s[28:29]
	s_waitcnt lgkmcnt(0)
	s_barrier
	ds_read_b64 v[24:25], v3 offset:3072
	s_waitcnt lgkmcnt(0)
	s_barrier
	v_cmp_neq_f32_e32 vcc, 0, v24
	s_cbranch_vccnz .LBB125_126
; %bb.121:                              ;   in Loop: Header=BB125_123 Depth=2
	v_lshl_add_u64 v[8:9], v[8:9], 0, s[84:85]
	v_cmp_le_u64_e32 vcc, s[14:15], v[8:9]
	s_mov_b64 s[28:29], 0
	s_orn2_b64 s[30:31], vcc, exec
.LBB125_122:                            ;   in Loop: Header=BB125_123 Depth=2
	s_and_b64 s[30:31], exec, s[30:31]
	s_or_b64 s[20:21], s[30:31], s[20:21]
	s_andn2_b64 s[24:25], s[24:25], exec
	s_and_b64 s[28:29], s[28:29], exec
	s_or_b64 s[24:25], s[24:25], s[28:29]
	s_andn2_b64 exec, exec, s[20:21]
	s_cbranch_execz .LBB125_127
.LBB125_123:                            ;   Parent Loop BB125_24 Depth=1
                                        ; =>  This Inner Loop Header: Depth=2
	v_cmp_gt_u64_e32 vcc, s[56:57], v[8:9]
	s_and_saveexec_b64 s[28:29], vcc
	s_cbranch_execz .LBB125_120
; %bb.124:                              ;   in Loop: Header=BB125_123 Depth=2
	v_mul_lo_u32 v2, v9, s72
	v_mul_lo_u32 v23, v8, s73
	v_mad_u64_u32 v[10:11], s[30:31], v8, s72, 0
	v_add3_u32 v11, v11, v23, v2
	v_lshl_add_u64 v[10:11], v[10:11], 2, s[80:81]
	global_load_dword v23, v[10:11], off
	s_waitcnt vmcnt(0)
	v_cmp_lt_i32_e32 vcc, -1, v23
	s_nop 1
	v_cndmask_b32_e32 v2, -1, v37, vcc
	v_xor_b32_e32 v2, v2, v23
	v_cmp_o_f32_e32 vcc, v23, v23
	s_nop 1
	v_cndmask_b32_e32 v2, -1, v2, vcc
	v_and_b32_e32 v2, v2, v39
	v_cmp_eq_u32_e32 vcc, v2, v34
	s_and_b64 exec, exec, vcc
	s_cbranch_execz .LBB125_120
; %bb.125:                              ;   in Loop: Header=BB125_123 Depth=2
	ds_write_b64 v3, v[22:23] offset:3072
	s_branch .LBB125_120
.LBB125_126:                            ;   in Loop: Header=BB125_123 Depth=2
	s_mov_b64 s[30:31], -1
                                        ; implicit-def: $vgpr8_vgpr9
	s_mov_b64 s[28:29], -1
	s_branch .LBB125_122
.LBB125_127:                            ;   in Loop: Header=BB125_24 Depth=1
	s_or_b64 exec, exec, s[20:21]
	s_andn2_b64 s[14:15], s[26:27], exec
	s_and_b64 s[20:21], s[24:25], exec
	s_or_b64 s[26:27], s[14:15], s[20:21]
.LBB125_128:                            ;   in Loop: Header=BB125_24 Depth=1
	s_or_b64 exec, exec, s[8:9]
	s_mov_b64 s[20:21], 0
	s_mov_b64 s[24:25], -1
.LBB125_129:                            ;   in Loop: Header=BB125_24 Depth=1
	s_orn2_b64 s[8:9], s[26:27], exec
.LBB125_130:                            ;   in Loop: Header=BB125_24 Depth=1
	s_or_b64 exec, exec, s[16:17]
	s_andn2_b64 s[10:11], s[10:11], exec
	s_and_b64 s[14:15], s[24:25], exec
	s_or_b64 s[10:11], s[10:11], s[14:15]
	s_andn2_b64 s[12:13], s[12:13], exec
	s_and_b64 s[14:15], s[20:21], exec
	s_andn2_b64 s[70:71], s[70:71], exec
	s_or_b64 s[12:13], s[12:13], s[14:15]
                                        ; implicit-def: $vgpr8_vgpr9
	s_and_saveexec_b64 s[16:17], s[8:9]
	s_cbranch_execz .LBB125_23
; %bb.131:                              ;   in Loop: Header=BB125_24 Depth=1
	s_xor_b64 s[8:9], s[18:19], -1
	v_mov_b32_e32 v2, 1
	s_mov_b64 s[14:15], 0
	v_mov_b64_e32 v[8:9], 1
	s_and_saveexec_b64 s[0:1], s[8:9]
	s_cbranch_execz .LBB125_140
; %bb.132:                              ;   in Loop: Header=BB125_24 Depth=1
	v_cmp_le_u64_e32 vcc, v[26:27], v[4:5]
	s_and_saveexec_b64 s[8:9], vcc
	s_xor_b64 s[8:9], exec, s[8:9]
	s_cbranch_execz .LBB125_137
; %bb.133:                              ;   in Loop: Header=BB125_24 Depth=1
	ds_read_b64 v[8:9], v3 offset:5120
	v_and_b32_e32 v34, s52, v34
	v_or_b32_e32 v39, s64, v39
	s_waitcnt lgkmcnt(0)
	v_cmp_ne_u64_e32 vcc, 0, v[8:9]
	s_cbranch_vccnz .LBB125_137
; %bb.134:                              ;   in Loop: Header=BB125_24 Depth=1
	s_mov_b64 s[14:15], exec
	v_readlane_b32 s18, v54, 16
	v_readlane_b32 s19, v54, 17
	s_and_b64 s[18:19], s[14:15], s[18:19]
	s_mov_b64 exec, s[18:19]
; %bb.135:                              ;   in Loop: Header=BB125_24 Depth=1
	ds_write_b64 v3, v[4:5] offset:5128
; %bb.136:                              ;   in Loop: Header=BB125_24 Depth=1
	s_or_b64 exec, exec, s[14:15]
	s_waitcnt lgkmcnt(0)
	s_barrier
.LBB125_137:                            ;   in Loop: Header=BB125_24 Depth=1
	s_or_saveexec_b64 s[8:9], s[8:9]
	s_mov_b64 s[14:15], 0
	v_mov_b32_e32 v2, 8
	s_xor_b64 exec, exec, s[8:9]
; %bb.138:                              ;   in Loop: Header=BB125_24 Depth=1
	v_sub_co_u32_e32 v26, vcc, v26, v4
	s_mov_b64 s[14:15], exec
	s_nop 0
	v_subb_co_u32_e32 v27, vcc, v27, v5, vcc
	v_mov_b32_e32 v2, 0
; %bb.139:                              ;   in Loop: Header=BB125_24 Depth=1
	s_or_b64 exec, exec, s[8:9]
	s_and_b64 s[14:15], s[14:15], exec
	v_mov_b64_e32 v[8:9], v[26:27]
.LBB125_140:                            ;   in Loop: Header=BB125_24 Depth=1
	s_or_b64 exec, exec, s[0:1]
	s_mov_b64 s[18:19], -1
	s_mov_b64 s[8:9], -1
                                        ; implicit-def: $sgpr0_sgpr1
                                        ; implicit-def: $sgpr24_sgpr25
	s_and_saveexec_b64 s[20:21], s[14:15]
	s_xor_b64 s[20:21], exec, s[20:21]
	s_cbranch_execz .LBB125_291
; %bb.141:                              ;   in Loop: Header=BB125_24 Depth=1
	v_cmp_eq_u64_e32 vcc, 1, v[6:7]
	v_cmp_eq_u64_e64 s[0:1], 1, v[8:9]
	s_and_b64 s[28:29], vcc, s[0:1]
                                        ; implicit-def: $sgpr24_sgpr25
                                        ; implicit-def: $sgpr0_sgpr1
	s_and_saveexec_b64 s[26:27], s[28:29]
	s_cbranch_execz .LBB125_180
; %bb.142:                              ;   in Loop: Header=BB125_24 Depth=1
	ds_read_b64 v[4:5], v3 offset:5120
	s_waitcnt lgkmcnt(0)
	s_barrier
	v_readfirstlane_b32 s8, v4
	v_readfirstlane_b32 s9, v5
	s_mov_b64 s[0:1], exec
	v_readlane_b32 s14, v54, 26
	v_readlane_b32 s15, v54, 27
	s_and_b64 s[14:15], s[0:1], s[14:15]
	s_mov_b64 exec, s[14:15]
; %bb.143:                              ;   in Loop: Header=BB125_24 Depth=1
	ds_write_b32 v31, v3
; %bb.144:                              ;   in Loop: Header=BB125_24 Depth=1
	s_or_b64 exec, exec, s[0:1]
	v_and_b32_e32 v4, s52, v34
	v_lshl_or_b32 v34, 1, s6, v4
	v_or_b32_e32 v39, s64, v39
	s_mov_b64 s[0:1], -1
	s_mov_b64 s[24:25], 0
	s_cmp_eq_u64 s[8:9], 0
	s_mov_b64 s[34:35], 0
	s_mov_b64 s[14:15], -1
	s_waitcnt lgkmcnt(0)
	s_barrier
                                        ; implicit-def: $vgpr25
	s_cbranch_scc1 .LBB125_164
; %bb.145:                              ;   in Loop: Header=BB125_24 Depth=1
	v_readlane_b32 s14, v54, 32
	s_add_u32 s36, s8, s14
	v_readlane_b32 s14, v54, 33
	s_addc_u32 s15, s9, s14
	s_mov_b32 s14, s87
	s_cmp_lg_u64 s[14:15], 0
	s_cbranch_scc0 .LBB125_208
; %bb.146:                              ;   in Loop: Header=BB125_24 Depth=1
	v_cvt_f32_u32_e32 v4, s84
	s_sub_u32 s14, 0, s84
	s_subb_u32 s34, 0, 0
	v_fmac_f32_e32 v4, 0, v38
	v_rcp_f32_e32 v4, v4
	s_nop 0
	v_mul_f32_e32 v4, 0x5f7ffffc, v4
	v_mul_f32_e32 v5, 0x2f800000, v4
	v_trunc_f32_e32 v5, v5
	v_fmac_f32_e32 v4, 0xcf800000, v5
	v_cvt_u32_f32_e32 v5, v5
	v_cvt_u32_f32_e32 v4, v4
	v_readfirstlane_b32 s35, v5
	v_readfirstlane_b32 s30, v4
	s_mul_i32 s31, s14, s35
	s_mul_hi_u32 s38, s14, s30
	s_mul_i32 s37, s34, s30
	s_add_i32 s31, s38, s31
	s_mul_i32 s39, s14, s30
	s_add_i32 s31, s31, s37
	s_mul_hi_u32 s38, s30, s39
	s_mul_i32 s40, s30, s31
	s_mul_hi_u32 s37, s30, s31
	s_add_u32 s38, s38, s40
	s_addc_u32 s37, 0, s37
	s_mul_hi_u32 s41, s35, s39
	s_mul_i32 s39, s35, s39
	s_add_u32 s38, s38, s39
	s_mul_hi_u32 s40, s35, s31
	s_addc_u32 s37, s37, s41
	s_addc_u32 s38, s40, 0
	s_mul_i32 s31, s35, s31
	s_add_u32 s31, s37, s31
	s_addc_u32 s37, 0, s38
	s_add_u32 s38, s30, s31
	s_cselect_b64 s[30:31], -1, 0
	s_cmp_lg_u64 s[30:31], 0
	s_addc_u32 s35, s35, s37
	s_mul_i32 s30, s14, s35
	s_mul_hi_u32 s31, s14, s38
	s_add_i32 s30, s31, s30
	s_mul_i32 s34, s34, s38
	s_add_i32 s30, s30, s34
	s_mul_i32 s14, s14, s38
	s_mul_hi_u32 s34, s35, s14
	s_mul_i32 s37, s35, s14
	s_mul_i32 s40, s38, s30
	s_mul_hi_u32 s14, s38, s14
	s_mul_hi_u32 s39, s38, s30
	s_add_u32 s14, s14, s40
	s_addc_u32 s39, 0, s39
	s_add_u32 s14, s14, s37
	s_mul_hi_u32 s31, s35, s30
	s_addc_u32 s14, s39, s34
	s_addc_u32 s31, s31, 0
	s_mul_i32 s30, s35, s30
	s_add_u32 s14, s14, s30
	s_addc_u32 s34, 0, s31
	s_add_u32 s14, s38, s14
	s_cselect_b64 s[30:31], -1, 0
	s_cmp_lg_u64 s[30:31], 0
	s_addc_u32 s30, s35, s34
	s_mul_i32 s34, s36, s30
	s_mul_hi_u32 s35, s36, s14
	s_mul_hi_u32 s31, s36, s30
	s_add_u32 s34, s35, s34
	s_addc_u32 s31, 0, s31
	s_mul_hi_u32 s37, s15, s14
	s_mul_i32 s14, s15, s14
	s_add_u32 s14, s34, s14
	s_mul_hi_u32 s35, s15, s30
	s_addc_u32 s14, s31, s37
	s_addc_u32 s31, s35, 0
	s_mul_i32 s30, s15, s30
	s_add_u32 s14, s14, s30
	s_addc_u32 s30, 0, s31
	s_mul_i32 s30, s84, s30
	s_mul_hi_u32 s31, s84, s14
	s_add_i32 s34, s31, s30
	s_mul_i32 s14, s84, s14
	s_sub_u32 s14, s36, s14
	s_cselect_b64 s[30:31], -1, 0
	s_cmp_lg_u64 s[30:31], 0
	s_subb_u32 s34, s15, s34
	s_sub_u32 s35, s14, s84
	s_cselect_b64 s[30:31], -1, 0
	s_cmp_lg_u64 s[30:31], 0
	s_subb_u32 s37, s34, 0
	;; [unrolled: 4-line block ×3, first 2 shown]
	s_cmp_ge_u32 s35, s84
	s_cselect_b32 s31, -1, 0
	s_cmp_eq_u32 s37, 0
	s_cselect_b32 s31, s31, -1
	s_cmp_lg_u32 s31, 0
	s_cselect_b32 s30, s30, s37
	s_cselect_b32 s35, s38, s35
	s_cmp_ge_u32 s14, s84
	s_cselect_b32 s31, -1, 0
	s_cmp_eq_u32 s34, 0
	s_cselect_b32 s31, s31, -1
	s_cmp_lg_u32 s31, 0
	s_cselect_b32 s31, s30, s34
	s_cselect_b32 s30, s35, s14
	s_cbranch_execnz .LBB125_148
.LBB125_147:                            ;   in Loop: Header=BB125_24 Depth=1
	v_cvt_f32_u32_e32 v4, s84
	s_sub_i32 s14, 0, s84
	v_rcp_iflag_f32_e32 v4, v4
	s_nop 0
	v_mul_f32_e32 v4, 0x4f7ffffe, v4
	v_cvt_u32_f32_e32 v4, v4
	s_nop 0
	v_readfirstlane_b32 s30, v4
	s_mul_i32 s14, s14, s30
	s_mul_hi_u32 s14, s30, s14
	s_add_i32 s30, s30, s14
	s_mul_hi_u32 s14, s36, s30
	s_mul_i32 s14, s14, s84
	s_sub_i32 s14, s36, s14
	s_sub_i32 s30, s14, s84
	s_cmp_ge_u32 s14, s84
	s_cselect_b32 s14, s30, s14
	s_sub_i32 s30, s14, s84
	s_cmp_ge_u32 s14, s84
	s_cselect_b32 s86, s30, s14
	s_mov_b64 s[30:31], s[86:87]
.LBB125_148:                            ;   in Loop: Header=BB125_24 Depth=1
	s_sub_u32 s36, s36, s30
	s_subb_u32 s37, s15, s31
	v_cmp_gt_u64_e32 vcc, s[36:37], v[0:1]
	s_mov_b64 s[14:15], 0
	s_mov_b64 s[34:35], 0
                                        ; implicit-def: $vgpr25
	s_and_saveexec_b64 s[30:31], vcc
	s_cbranch_execz .LBB125_163
; %bb.149:                              ;   in Loop: Header=BB125_24 Depth=1
	v_mov_b32_e32 v10, v12
	v_mov_b64_e32 v[4:5], v[0:1]
                                        ; implicit-def: $sgpr38_sgpr39
	s_branch .LBB125_153
.LBB125_150:                            ;   in Loop: Header=BB125_153 Depth=2
	s_or_b64 exec, exec, s[40:41]
	s_waitcnt lgkmcnt(0)
	s_barrier
	ds_read_b64 v[24:25], v3 offset:3072
	s_waitcnt lgkmcnt(0)
	s_barrier
	v_cmp_neq_f32_e32 vcc, 0, v24
	s_cbranch_vccnz .LBB125_156
; %bb.151:                              ;   in Loop: Header=BB125_153 Depth=2
	v_lshl_add_u64 v[4:5], v[4:5], 0, s[84:85]
	v_cmp_le_u64_e32 vcc, s[36:37], v[4:5]
	v_add_u32_e32 v10, s91, v10
	s_mov_b64 s[40:41], 0
	s_orn2_b64 s[42:43], vcc, exec
.LBB125_152:                            ;   in Loop: Header=BB125_153 Depth=2
	s_and_b64 s[42:43], exec, s[42:43]
	s_or_b64 s[34:35], s[42:43], s[34:35]
	s_andn2_b64 s[38:39], s[38:39], exec
	s_and_b64 s[40:41], s[40:41], exec
	s_or_b64 s[38:39], s[38:39], s[40:41]
	s_andn2_b64 exec, exec, s[34:35]
	s_cbranch_execz .LBB125_162
.LBB125_153:                            ;   Parent Loop BB125_24 Depth=1
                                        ; =>  This Inner Loop Header: Depth=2
	v_cmp_gt_u64_e32 vcc, s[8:9], v[4:5]
	s_and_saveexec_b64 s[40:41], vcc
	s_cbranch_execz .LBB125_150
; %bb.154:                              ;   in Loop: Header=BB125_153 Depth=2
	ds_read_b32 v23, v10
	s_waitcnt lgkmcnt(0)
	v_cmp_lt_i32_e32 vcc, -1, v23
	s_nop 1
	v_cndmask_b32_e32 v11, -1, v37, vcc
	v_xor_b32_e32 v11, v11, v23
	v_cmp_o_f32_e32 vcc, v23, v23
	s_nop 1
	v_cndmask_b32_e32 v11, -1, v11, vcc
	v_and_b32_e32 v11, v11, v39
	v_cmp_eq_u32_e32 vcc, v11, v34
	s_and_b64 exec, exec, vcc
	s_cbranch_execz .LBB125_150
; %bb.155:                              ;   in Loop: Header=BB125_153 Depth=2
	ds_write_b64 v3, v[22:23] offset:3072
	s_branch .LBB125_150
.LBB125_156:                            ;   in Loop: Header=BB125_153 Depth=2
	s_mov_b64 s[42:43], -1
                                        ; implicit-def: $vgpr4_vgpr5
                                        ; implicit-def: $vgpr10
	s_mov_b64 s[40:41], -1
	s_branch .LBB125_152
.LBB125_157:                            ;   in Loop: Header=BB125_24 Depth=1
                                        ; implicit-def: $sgpr26_sgpr27
	s_branch .LBB125_102
.LBB125_158:                            ;   in Loop: Header=BB125_24 Depth=1
	s_or_b64 exec, exec, s[14:15]
	s_waitcnt lgkmcnt(0)
	s_barrier
	s_mov_b64 s[0:1], exec
	v_readlane_b32 s2, v54, 16
	v_readlane_b32 s3, v54, 17
	s_and_b64 s[2:3], s[0:1], s[2:3]
	s_mov_b64 exec, s[2:3]
	s_cbranch_execz .LBB125_160
; %bb.159:                              ;   in Loop: Header=BB125_24 Depth=1
	ds_read_b32 v4, v3 offset:5144
	s_waitcnt lgkmcnt(0)
	v_ashrrev_i32_e32 v5, 31, v4
	ds_write_b64 v3, v[4:5] offset:5120
.LBB125_160:                            ;   in Loop: Header=BB125_24 Depth=1
	s_or_b64 exec, exec, s[0:1]
	s_waitcnt lgkmcnt(0)
	s_barrier
	s_mov_b64 s[0:1], -1
	s_and_b64 vcc, exec, s[8:9]
	s_cbranch_vccnz .LBB125_40
	s_branch .LBB125_55
.LBB125_161:                            ;   in Loop: Header=BB125_24 Depth=1
                                        ; implicit-def: $sgpr8_sgpr9
	s_branch .LBB125_117
.LBB125_162:                            ;   in Loop: Header=BB125_24 Depth=1
	s_or_b64 exec, exec, s[34:35]
	s_and_b64 s[34:35], s[38:39], exec
.LBB125_163:                            ;   in Loop: Header=BB125_24 Depth=1
	s_or_b64 exec, exec, s[30:31]
.LBB125_164:                            ;   in Loop: Header=BB125_24 Depth=1
	s_and_b64 vcc, exec, s[14:15]
	s_cbranch_vccz .LBB125_179
; %bb.165:                              ;   in Loop: Header=BB125_24 Depth=1
	s_mov_b32 s92, s87
	s_cmp_lg_u64 s[92:93], 0
	s_cbranch_scc0 .LBB125_209
; %bb.166:                              ;   in Loop: Header=BB125_24 Depth=1
	v_cvt_f32_u32_e32 v4, s84
	s_sub_u32 s8, 0, s84
	s_subb_u32 s9, 0, 0
	v_fmac_f32_e32 v4, 0, v38
	v_rcp_f32_e32 v4, v4
	s_nop 0
	v_mul_f32_e32 v4, 0x5f7ffffc, v4
	v_mul_f32_e32 v5, 0x2f800000, v4
	v_trunc_f32_e32 v5, v5
	v_fmac_f32_e32 v4, 0xcf800000, v5
	v_cvt_u32_f32_e32 v5, v5
	v_cvt_u32_f32_e32 v4, v4
	v_readfirstlane_b32 s14, v5
	v_readfirstlane_b32 s0, v4
	s_mul_i32 s1, s8, s14
	s_mul_hi_u32 s24, s8, s0
	s_mul_i32 s15, s9, s0
	s_add_i32 s1, s24, s1
	s_mul_i32 s25, s8, s0
	s_add_i32 s1, s1, s15
	s_mul_hi_u32 s24, s0, s25
	s_mul_i32 s30, s0, s1
	s_mul_hi_u32 s15, s0, s1
	s_add_u32 s24, s24, s30
	s_addc_u32 s15, 0, s15
	s_mul_hi_u32 s31, s14, s25
	s_mul_i32 s25, s14, s25
	s_add_u32 s24, s24, s25
	s_mul_hi_u32 s30, s14, s1
	s_addc_u32 s15, s15, s31
	s_addc_u32 s24, s30, 0
	s_mul_i32 s1, s14, s1
	s_add_u32 s1, s15, s1
	s_addc_u32 s15, 0, s24
	s_add_u32 s24, s0, s1
	s_cselect_b64 s[0:1], -1, 0
	s_cmp_lg_u64 s[0:1], 0
	s_addc_u32 s14, s14, s15
	s_mul_i32 s0, s8, s14
	s_mul_hi_u32 s1, s8, s24
	s_add_i32 s0, s1, s0
	s_mul_i32 s9, s9, s24
	s_add_i32 s0, s0, s9
	s_mul_i32 s8, s8, s24
	s_mul_hi_u32 s9, s14, s8
	s_mul_i32 s15, s14, s8
	s_mul_i32 s30, s24, s0
	s_mul_hi_u32 s8, s24, s8
	s_mul_hi_u32 s25, s24, s0
	s_add_u32 s8, s8, s30
	s_addc_u32 s25, 0, s25
	s_add_u32 s8, s8, s15
	s_mul_hi_u32 s1, s14, s0
	s_addc_u32 s8, s25, s9
	s_addc_u32 s1, s1, 0
	s_mul_i32 s0, s14, s0
	s_add_u32 s0, s8, s0
	s_addc_u32 s8, 0, s1
	s_add_u32 s9, s24, s0
	s_cselect_b64 s[0:1], -1, 0
	s_cmp_lg_u64 s[0:1], 0
	s_addc_u32 s0, s14, s8
	s_mul_i32 s8, s68, s0
	s_mul_hi_u32 s14, s68, s9
	s_mul_hi_u32 s1, s68, s0
	s_add_u32 s8, s14, s8
	s_addc_u32 s1, 0, s1
	s_mul_hi_u32 s15, s93, s9
	s_mul_i32 s9, s93, s9
	s_add_u32 s8, s8, s9
	s_mul_hi_u32 s14, s93, s0
	s_addc_u32 s1, s1, s15
	s_addc_u32 s8, s14, 0
	s_mul_i32 s0, s93, s0
	s_add_u32 s0, s1, s0
	s_addc_u32 s1, 0, s8
	s_mul_i32 s1, s84, s1
	s_mul_hi_u32 s8, s84, s0
	s_add_i32 s8, s8, s1
	s_mul_i32 s0, s84, s0
	s_sub_u32 s9, s68, s0
	s_cselect_b64 s[0:1], -1, 0
	s_cmp_lg_u64 s[0:1], 0
	s_subb_u32 s8, s93, s8
	s_sub_u32 s14, s9, s84
	s_cselect_b64 s[0:1], -1, 0
	s_cmp_lg_u64 s[0:1], 0
	s_subb_u32 s15, s8, 0
	;; [unrolled: 4-line block ×3, first 2 shown]
	s_cmp_ge_u32 s14, s84
	s_cselect_b32 s1, -1, 0
	s_cmp_eq_u32 s15, 0
	s_cselect_b32 s1, s1, -1
	s_cmp_lg_u32 s1, 0
	s_cselect_b32 s0, s0, s15
	s_cselect_b32 s14, s24, s14
	s_cmp_ge_u32 s9, s84
	s_cselect_b32 s1, -1, 0
	s_cmp_eq_u32 s8, 0
	s_cselect_b32 s1, s1, -1
	s_cmp_lg_u32 s1, 0
	s_cselect_b32 s1, s0, s8
	s_cselect_b32 s0, s14, s9
	s_cbranch_execnz .LBB125_168
.LBB125_167:                            ;   in Loop: Header=BB125_24 Depth=1
	v_cvt_f32_u32_e32 v4, s84
	s_sub_i32 s0, 0, s84
	v_rcp_iflag_f32_e32 v4, v4
	s_nop 0
	v_mul_f32_e32 v4, 0x4f7ffffe, v4
	v_cvt_u32_f32_e32 v4, v4
	s_nop 0
	v_readfirstlane_b32 s1, v4
	s_mul_i32 s0, s0, s1
	s_mul_hi_u32 s0, s1, s0
	s_add_i32 s1, s1, s0
	s_mul_hi_u32 s0, s68, s1
	s_mul_i32 s0, s0, s84
	s_sub_i32 s0, s68, s0
	s_sub_i32 s1, s0, s84
	s_cmp_ge_u32 s0, s84
	s_cselect_b32 s0, s1, s0
	s_sub_i32 s1, s0, s84
	s_cmp_ge_u32 s0, s84
	s_cselect_b32 s86, s1, s0
	s_mov_b64 s[0:1], s[86:87]
.LBB125_168:                            ;   in Loop: Header=BB125_24 Depth=1
	s_sub_u32 s8, s68, s0
	s_subb_u32 s9, s93, s1
	v_cmp_gt_u64_e32 vcc, s[8:9], v[0:1]
                                        ; implicit-def: $vgpr25
	s_and_saveexec_b64 s[0:1], vcc
	s_cbranch_execz .LBB125_178
; %bb.169:                              ;   in Loop: Header=BB125_24 Depth=1
	s_mov_b64 s[14:15], 0
	v_mov_b64_e32 v[4:5], v[0:1]
                                        ; implicit-def: $sgpr24_sgpr25
	s_branch .LBB125_173
.LBB125_170:                            ;   in Loop: Header=BB125_173 Depth=2
	s_or_b64 exec, exec, s[30:31]
	s_waitcnt lgkmcnt(0)
	s_barrier
	ds_read_b64 v[24:25], v3 offset:3072
	s_waitcnt lgkmcnt(0)
	s_barrier
	v_cmp_eq_f32_e32 vcc, 0, v24
	s_cbranch_vccz .LBB125_176
; %bb.171:                              ;   in Loop: Header=BB125_173 Depth=2
	v_lshl_add_u64 v[4:5], v[4:5], 0, s[84:85]
	v_cmp_le_u64_e32 vcc, s[8:9], v[4:5]
	s_mov_b64 s[30:31], 0
	s_orn2_b64 s[36:37], vcc, exec
.LBB125_172:                            ;   in Loop: Header=BB125_173 Depth=2
	s_and_b64 s[36:37], exec, s[36:37]
	s_or_b64 s[14:15], s[36:37], s[14:15]
	s_andn2_b64 s[24:25], s[24:25], exec
	s_and_b64 s[30:31], s[30:31], exec
	s_or_b64 s[24:25], s[24:25], s[30:31]
	s_andn2_b64 exec, exec, s[14:15]
	s_cbranch_execz .LBB125_177
.LBB125_173:                            ;   Parent Loop BB125_24 Depth=1
                                        ; =>  This Inner Loop Header: Depth=2
	v_cmp_gt_u64_e32 vcc, s[56:57], v[4:5]
	s_and_saveexec_b64 s[30:31], vcc
	s_cbranch_execz .LBB125_170
; %bb.174:                              ;   in Loop: Header=BB125_173 Depth=2
	v_mul_lo_u32 v23, v5, s72
	v_mul_lo_u32 v24, v4, s73
	v_mad_u64_u32 v[10:11], s[36:37], v4, s72, 0
	v_add3_u32 v11, v11, v24, v23
	v_lshl_add_u64 v[10:11], v[10:11], 2, s[80:81]
	global_load_dword v23, v[10:11], off
	s_waitcnt vmcnt(0)
	v_cmp_lt_i32_e32 vcc, -1, v23
	s_nop 1
	v_cndmask_b32_e32 v10, -1, v37, vcc
	v_xor_b32_e32 v10, v10, v23
	v_cmp_o_f32_e32 vcc, v23, v23
	s_nop 1
	v_cndmask_b32_e32 v10, -1, v10, vcc
	v_and_b32_e32 v10, v10, v39
	v_cmp_eq_u32_e32 vcc, v10, v34
	s_and_b64 exec, exec, vcc
	s_cbranch_execz .LBB125_170
; %bb.175:                              ;   in Loop: Header=BB125_173 Depth=2
	ds_write_b64 v3, v[22:23] offset:3072
	s_branch .LBB125_170
.LBB125_176:                            ;   in Loop: Header=BB125_173 Depth=2
	s_mov_b64 s[36:37], -1
                                        ; implicit-def: $vgpr4_vgpr5
	s_mov_b64 s[30:31], -1
	s_branch .LBB125_172
.LBB125_177:                            ;   in Loop: Header=BB125_24 Depth=1
	s_or_b64 exec, exec, s[14:15]
	s_andn2_b64 s[8:9], s[34:35], exec
	s_and_b64 s[14:15], s[24:25], exec
	s_or_b64 s[34:35], s[8:9], s[14:15]
.LBB125_178:                            ;   in Loop: Header=BB125_24 Depth=1
	s_or_b64 exec, exec, s[0:1]
	s_mov_b64 s[0:1], 0
	s_mov_b64 s[24:25], -1
.LBB125_179:                            ;   in Loop: Header=BB125_24 Depth=1
	s_orn2_b64 s[8:9], s[34:35], exec
.LBB125_180:                            ;   in Loop: Header=BB125_24 Depth=1
	s_or_b64 exec, exec, s[26:27]
	s_mov_b64 s[14:15], 0
	s_and_saveexec_b64 s[26:27], s[8:9]
	s_cbranch_execz .LBB125_290
; %bb.181:                              ;   in Loop: Header=BB125_24 Depth=1
	s_xor_b64 s[28:29], s[28:29], -1
	v_mov_b32_e32 v2, 1
	v_mov_b64_e32 v[4:5], 1
	s_and_saveexec_b64 s[8:9], s[28:29]
	s_cbranch_execz .LBB125_191
; %bb.182:                              ;   in Loop: Header=BB125_24 Depth=1
	v_cmp_le_u64_e32 vcc, v[8:9], v[6:7]
	s_and_saveexec_b64 s[14:15], vcc
	s_xor_b64 s[14:15], exec, s[14:15]
	s_cbranch_execz .LBB125_188
; %bb.183:                              ;   in Loop: Header=BB125_24 Depth=1
	ds_read_b64 v[4:5], v3 offset:5120
	v_and_b32_e32 v2, s52, v34
	v_lshl_or_b32 v34, 1, s6, v2
	v_or_b32_e32 v39, s64, v39
	s_waitcnt lgkmcnt(0)
	v_cmp_ne_u64_e32 vcc, 0, v[4:5]
	s_cbranch_vccnz .LBB125_187
; %bb.184:                              ;   in Loop: Header=BB125_24 Depth=1
	s_mov_b64 s[28:29], exec
	v_readlane_b32 s30, v54, 16
	v_readlane_b32 s31, v54, 17
	s_and_b64 s[30:31], s[28:29], s[30:31]
	s_mov_b64 exec, s[30:31]
; %bb.185:                              ;   in Loop: Header=BB125_24 Depth=1
	ds_write_b64 v3, v[6:7] offset:5128
; %bb.186:                              ;   in Loop: Header=BB125_24 Depth=1
	s_or_b64 exec, exec, s[28:29]
	s_waitcnt lgkmcnt(0)
	s_barrier
.LBB125_187:                            ;   in Loop: Header=BB125_24 Depth=1
                                        ; implicit-def: $vgpr4_vgpr5_vgpr6_vgpr7
.LBB125_188:                            ;   in Loop: Header=BB125_24 Depth=1
	s_or_saveexec_b64 s[14:15], s[14:15]
	s_mov_b64 s[28:29], 0
	v_mov_b32_e32 v2, 8
	s_xor_b64 exec, exec, s[14:15]
; %bb.189:                              ;   in Loop: Header=BB125_24 Depth=1
	v_sub_co_u32_e32 v8, vcc, v8, v6
	s_mov_b64 s[28:29], exec
	s_nop 0
	v_subb_co_u32_e32 v9, vcc, v9, v7, vcc
	v_mov_b32_e32 v2, 0
; %bb.190:                              ;   in Loop: Header=BB125_24 Depth=1
	s_or_b64 exec, exec, s[14:15]
	s_and_b64 s[14:15], s[28:29], exec
	v_mov_b64_e32 v[4:5], v[8:9]
.LBB125_191:                            ;   in Loop: Header=BB125_24 Depth=1
	s_or_b64 exec, exec, s[8:9]
	s_mov_b64 s[8:9], -1
                                        ; implicit-def: $sgpr34_sgpr35
                                        ; implicit-def: $sgpr36_sgpr37
	s_and_saveexec_b64 s[28:29], s[14:15]
	s_cbranch_execz .LBB125_289
; %bb.192:                              ;   in Loop: Header=BB125_24 Depth=1
	s_cmp_eq_u64 s[22:23], 1
	s_cselect_b64 s[8:9], -1, 0
	v_cmp_eq_u64_e32 vcc, 1, v[4:5]
	s_and_b64 s[40:41], s[8:9], vcc
	s_mov_b64 s[8:9], -1
                                        ; implicit-def: $sgpr36_sgpr37
                                        ; implicit-def: $sgpr34_sgpr35
	s_and_saveexec_b64 s[38:39], s[40:41]
	s_cbranch_execz .LBB125_228
; %bb.193:                              ;   in Loop: Header=BB125_24 Depth=1
	ds_read_b64 v[6:7], v3 offset:5120
	s_waitcnt lgkmcnt(0)
	s_barrier
	v_readfirstlane_b32 s8, v6
	v_readfirstlane_b32 s9, v7
	s_mov_b64 s[14:15], exec
	v_readlane_b32 s30, v54, 26
	v_readlane_b32 s31, v54, 27
	s_and_b64 s[30:31], s[14:15], s[30:31]
	s_mov_b64 exec, s[30:31]
; %bb.194:                              ;   in Loop: Header=BB125_24 Depth=1
	ds_write_b32 v31, v3
; %bb.195:                              ;   in Loop: Header=BB125_24 Depth=1
	s_or_b64 exec, exec, s[14:15]
	v_and_b32_e32 v6, s52, v34
	v_lshl_or_b32 v34, 2, s6, v6
	v_or_b32_e32 v39, s64, v39
	s_mov_b64 s[34:35], -1
	s_mov_b64 s[36:37], 0
	s_cmp_eq_u64 s[8:9], 0
	s_mov_b64 s[42:43], 0
	s_mov_b64 s[14:15], -1
	s_waitcnt lgkmcnt(0)
	s_barrier
                                        ; implicit-def: $vgpr25
	s_cbranch_scc1 .LBB125_212
; %bb.196:                              ;   in Loop: Header=BB125_24 Depth=1
	v_readlane_b32 s14, v54, 32
	s_add_u32 s44, s8, s14
	v_readlane_b32 s14, v54, 33
	s_addc_u32 s15, s9, s14
	s_mov_b32 s14, s87
	s_cmp_lg_u64 s[14:15], 0
	s_cbranch_scc0 .LBB125_255
; %bb.197:                              ;   in Loop: Header=BB125_24 Depth=1
	v_cvt_f32_u32_e32 v6, s84
	s_sub_u32 s14, 0, s84
	s_subb_u32 s42, 0, 0
	v_fmac_f32_e32 v6, 0, v38
	v_rcp_f32_e32 v6, v6
	s_nop 0
	v_mul_f32_e32 v6, 0x5f7ffffc, v6
	v_mul_f32_e32 v7, 0x2f800000, v6
	v_trunc_f32_e32 v7, v7
	v_fmac_f32_e32 v6, 0xcf800000, v7
	v_cvt_u32_f32_e32 v7, v7
	v_cvt_u32_f32_e32 v6, v6
	v_readfirstlane_b32 s43, v7
	v_readfirstlane_b32 s30, v6
	s_mul_i32 s31, s14, s43
	s_mul_hi_u32 s46, s14, s30
	s_mul_i32 s45, s42, s30
	s_add_i32 s31, s46, s31
	s_mul_i32 s47, s14, s30
	s_add_i32 s31, s31, s45
	s_mul_hi_u32 s46, s30, s47
	s_mul_i32 s48, s30, s31
	s_mul_hi_u32 s45, s30, s31
	s_add_u32 s46, s46, s48
	s_addc_u32 s45, 0, s45
	s_mul_hi_u32 s49, s43, s47
	s_mul_i32 s47, s43, s47
	s_add_u32 s46, s46, s47
	s_mul_hi_u32 s48, s43, s31
	s_addc_u32 s45, s45, s49
	s_addc_u32 s46, s48, 0
	s_mul_i32 s31, s43, s31
	s_add_u32 s31, s45, s31
	s_addc_u32 s45, 0, s46
	s_add_u32 s46, s30, s31
	s_cselect_b64 s[30:31], -1, 0
	s_cmp_lg_u64 s[30:31], 0
	s_addc_u32 s43, s43, s45
	s_mul_i32 s30, s14, s43
	s_mul_hi_u32 s31, s14, s46
	s_add_i32 s30, s31, s30
	s_mul_i32 s42, s42, s46
	s_add_i32 s30, s30, s42
	s_mul_i32 s14, s14, s46
	s_mul_hi_u32 s42, s43, s14
	s_mul_i32 s45, s43, s14
	s_mul_i32 s48, s46, s30
	s_mul_hi_u32 s14, s46, s14
	s_mul_hi_u32 s47, s46, s30
	s_add_u32 s14, s14, s48
	s_addc_u32 s47, 0, s47
	s_add_u32 s14, s14, s45
	s_mul_hi_u32 s31, s43, s30
	s_addc_u32 s14, s47, s42
	s_addc_u32 s31, s31, 0
	s_mul_i32 s30, s43, s30
	s_add_u32 s14, s14, s30
	s_addc_u32 s42, 0, s31
	s_add_u32 s14, s46, s14
	s_cselect_b64 s[30:31], -1, 0
	s_cmp_lg_u64 s[30:31], 0
	s_addc_u32 s30, s43, s42
	s_mul_i32 s42, s44, s30
	s_mul_hi_u32 s43, s44, s14
	s_mul_hi_u32 s31, s44, s30
	s_add_u32 s42, s43, s42
	s_addc_u32 s31, 0, s31
	s_mul_hi_u32 s45, s15, s14
	s_mul_i32 s14, s15, s14
	s_add_u32 s14, s42, s14
	s_mul_hi_u32 s43, s15, s30
	s_addc_u32 s14, s31, s45
	s_addc_u32 s31, s43, 0
	s_mul_i32 s30, s15, s30
	s_add_u32 s14, s14, s30
	s_addc_u32 s30, 0, s31
	s_mul_i32 s30, s84, s30
	s_mul_hi_u32 s31, s84, s14
	s_add_i32 s42, s31, s30
	s_mul_i32 s14, s84, s14
	s_sub_u32 s14, s44, s14
	s_cselect_b64 s[30:31], -1, 0
	s_cmp_lg_u64 s[30:31], 0
	s_subb_u32 s42, s15, s42
	s_sub_u32 s43, s14, s84
	s_cselect_b64 s[30:31], -1, 0
	s_cmp_lg_u64 s[30:31], 0
	s_subb_u32 s45, s42, 0
	s_sub_u32 s46, s43, s84
	s_cselect_b64 s[30:31], -1, 0
	s_cmp_lg_u64 s[30:31], 0
	s_subb_u32 s30, s45, 0
	s_cmp_ge_u32 s43, s84
	s_cselect_b32 s31, -1, 0
	s_cmp_eq_u32 s45, 0
	s_cselect_b32 s31, s31, -1
	s_cmp_lg_u32 s31, 0
	s_cselect_b32 s30, s30, s45
	s_cselect_b32 s43, s46, s43
	s_cmp_ge_u32 s14, s84
	s_cselect_b32 s31, -1, 0
	s_cmp_eq_u32 s42, 0
	s_cselect_b32 s31, s31, -1
	s_cmp_lg_u32 s31, 0
	s_cselect_b32 s31, s30, s42
	s_cselect_b32 s30, s43, s14
	s_cbranch_execnz .LBB125_199
.LBB125_198:                            ;   in Loop: Header=BB125_24 Depth=1
	v_cvt_f32_u32_e32 v6, s84
	s_sub_i32 s14, 0, s84
	v_rcp_iflag_f32_e32 v6, v6
	s_nop 0
	v_mul_f32_e32 v6, 0x4f7ffffe, v6
	v_cvt_u32_f32_e32 v6, v6
	s_nop 0
	v_readfirstlane_b32 s30, v6
	s_mul_i32 s14, s14, s30
	s_mul_hi_u32 s14, s30, s14
	s_add_i32 s30, s30, s14
	s_mul_hi_u32 s14, s44, s30
	s_mul_i32 s14, s14, s84
	s_sub_i32 s14, s44, s14
	s_sub_i32 s30, s14, s84
	s_cmp_ge_u32 s14, s84
	s_cselect_b32 s14, s30, s14
	s_sub_i32 s30, s14, s84
	s_cmp_ge_u32 s14, s84
	s_cselect_b32 s86, s30, s14
	s_mov_b64 s[30:31], s[86:87]
.LBB125_199:                            ;   in Loop: Header=BB125_24 Depth=1
	s_sub_u32 s44, s44, s30
	s_subb_u32 s45, s15, s31
	v_cmp_gt_u64_e32 vcc, s[44:45], v[0:1]
	s_mov_b64 s[14:15], 0
	s_mov_b64 s[42:43], 0
                                        ; implicit-def: $vgpr25
	s_and_saveexec_b64 s[30:31], vcc
	s_cbranch_execz .LBB125_211
; %bb.200:                              ;   in Loop: Header=BB125_24 Depth=1
	v_mov_b32_e32 v8, v12
	v_mov_b64_e32 v[6:7], v[0:1]
                                        ; implicit-def: $sgpr46_sgpr47
	s_branch .LBB125_204
.LBB125_201:                            ;   in Loop: Header=BB125_204 Depth=2
	s_or_b64 exec, exec, s[48:49]
	s_waitcnt lgkmcnt(0)
	s_barrier
	ds_read_b64 v[24:25], v3 offset:3072
	s_waitcnt lgkmcnt(0)
	s_barrier
	v_cmp_neq_f32_e32 vcc, 0, v24
	s_cbranch_vccnz .LBB125_207
; %bb.202:                              ;   in Loop: Header=BB125_204 Depth=2
	v_lshl_add_u64 v[6:7], v[6:7], 0, s[84:85]
	v_cmp_le_u64_e32 vcc, s[44:45], v[6:7]
	v_add_u32_e32 v8, s91, v8
	s_mov_b64 s[48:49], 0
	s_orn2_b64 s[50:51], vcc, exec
.LBB125_203:                            ;   in Loop: Header=BB125_204 Depth=2
	s_and_b64 s[50:51], exec, s[50:51]
	s_or_b64 s[42:43], s[50:51], s[42:43]
	s_andn2_b64 s[46:47], s[46:47], exec
	s_and_b64 s[48:49], s[48:49], exec
	s_or_b64 s[46:47], s[46:47], s[48:49]
	s_andn2_b64 exec, exec, s[42:43]
	s_cbranch_execz .LBB125_210
.LBB125_204:                            ;   Parent Loop BB125_24 Depth=1
                                        ; =>  This Inner Loop Header: Depth=2
	v_cmp_gt_u64_e32 vcc, s[8:9], v[6:7]
	s_and_saveexec_b64 s[48:49], vcc
	s_cbranch_execz .LBB125_201
; %bb.205:                              ;   in Loop: Header=BB125_204 Depth=2
	ds_read_b32 v23, v8
	s_waitcnt lgkmcnt(0)
	v_cmp_lt_i32_e32 vcc, -1, v23
	s_nop 1
	v_cndmask_b32_e32 v9, -1, v37, vcc
	v_xor_b32_e32 v9, v9, v23
	v_cmp_o_f32_e32 vcc, v23, v23
	s_nop 1
	v_cndmask_b32_e32 v9, -1, v9, vcc
	v_and_b32_e32 v9, v9, v39
	v_cmp_eq_u32_e32 vcc, v9, v34
	s_and_b64 exec, exec, vcc
	s_cbranch_execz .LBB125_201
; %bb.206:                              ;   in Loop: Header=BB125_204 Depth=2
	ds_write_b64 v3, v[22:23] offset:3072
	s_branch .LBB125_201
.LBB125_207:                            ;   in Loop: Header=BB125_204 Depth=2
	s_mov_b64 s[50:51], -1
                                        ; implicit-def: $vgpr6_vgpr7
                                        ; implicit-def: $vgpr8
	s_mov_b64 s[48:49], -1
	s_branch .LBB125_203
.LBB125_208:                            ;   in Loop: Header=BB125_24 Depth=1
                                        ; implicit-def: $sgpr30_sgpr31
	s_branch .LBB125_147
.LBB125_209:                            ;   in Loop: Header=BB125_24 Depth=1
                                        ; implicit-def: $sgpr0_sgpr1
	s_branch .LBB125_167
.LBB125_210:                            ;   in Loop: Header=BB125_24 Depth=1
	s_or_b64 exec, exec, s[42:43]
	s_and_b64 s[42:43], s[46:47], exec
.LBB125_211:                            ;   in Loop: Header=BB125_24 Depth=1
	s_or_b64 exec, exec, s[30:31]
.LBB125_212:                            ;   in Loop: Header=BB125_24 Depth=1
	s_and_b64 vcc, exec, s[14:15]
	s_cbranch_vccz .LBB125_227
; %bb.213:                              ;   in Loop: Header=BB125_24 Depth=1
	s_mov_b32 s92, s87
	s_cmp_lg_u64 s[92:93], 0
	s_cbranch_scc0 .LBB125_256
; %bb.214:                              ;   in Loop: Header=BB125_24 Depth=1
	v_cvt_f32_u32_e32 v6, s84
	s_sub_u32 s14, 0, s84
	s_subb_u32 s15, 0, 0
	v_fmac_f32_e32 v6, 0, v38
	v_rcp_f32_e32 v6, v6
	s_nop 0
	v_mul_f32_e32 v6, 0x5f7ffffc, v6
	v_mul_f32_e32 v7, 0x2f800000, v6
	v_trunc_f32_e32 v7, v7
	v_fmac_f32_e32 v6, 0xcf800000, v7
	v_cvt_u32_f32_e32 v7, v7
	v_cvt_u32_f32_e32 v6, v6
	v_readfirstlane_b32 s30, v7
	v_readfirstlane_b32 s8, v6
	s_mul_i32 s9, s14, s30
	s_mul_hi_u32 s34, s14, s8
	s_mul_i32 s31, s15, s8
	s_add_i32 s9, s34, s9
	s_mul_i32 s35, s14, s8
	s_add_i32 s9, s9, s31
	s_mul_hi_u32 s34, s8, s35
	s_mul_i32 s36, s8, s9
	s_mul_hi_u32 s31, s8, s9
	s_add_u32 s34, s34, s36
	s_addc_u32 s31, 0, s31
	s_mul_hi_u32 s37, s30, s35
	s_mul_i32 s35, s30, s35
	s_add_u32 s34, s34, s35
	s_mul_hi_u32 s36, s30, s9
	s_addc_u32 s31, s31, s37
	s_addc_u32 s34, s36, 0
	s_mul_i32 s9, s30, s9
	s_add_u32 s9, s31, s9
	s_addc_u32 s31, 0, s34
	s_add_u32 s34, s8, s9
	s_cselect_b64 s[8:9], -1, 0
	s_cmp_lg_u64 s[8:9], 0
	s_addc_u32 s30, s30, s31
	s_mul_i32 s8, s14, s30
	s_mul_hi_u32 s9, s14, s34
	s_add_i32 s8, s9, s8
	s_mul_i32 s15, s15, s34
	s_add_i32 s8, s8, s15
	s_mul_i32 s14, s14, s34
	s_mul_hi_u32 s15, s30, s14
	s_mul_i32 s31, s30, s14
	s_mul_i32 s36, s34, s8
	s_mul_hi_u32 s14, s34, s14
	s_mul_hi_u32 s35, s34, s8
	s_add_u32 s14, s14, s36
	s_addc_u32 s35, 0, s35
	s_add_u32 s14, s14, s31
	s_mul_hi_u32 s9, s30, s8
	s_addc_u32 s14, s35, s15
	s_addc_u32 s9, s9, 0
	s_mul_i32 s8, s30, s8
	s_add_u32 s8, s14, s8
	s_addc_u32 s14, 0, s9
	s_add_u32 s15, s34, s8
	s_cselect_b64 s[8:9], -1, 0
	s_cmp_lg_u64 s[8:9], 0
	s_addc_u32 s8, s30, s14
	s_mul_i32 s14, s68, s8
	s_mul_hi_u32 s30, s68, s15
	s_mul_hi_u32 s9, s68, s8
	s_add_u32 s14, s30, s14
	s_addc_u32 s9, 0, s9
	s_mul_hi_u32 s31, s93, s15
	s_mul_i32 s15, s93, s15
	s_add_u32 s14, s14, s15
	s_mul_hi_u32 s30, s93, s8
	s_addc_u32 s9, s9, s31
	s_addc_u32 s14, s30, 0
	s_mul_i32 s8, s93, s8
	s_add_u32 s8, s9, s8
	s_addc_u32 s9, 0, s14
	s_mul_i32 s9, s84, s9
	s_mul_hi_u32 s14, s84, s8
	s_add_i32 s14, s14, s9
	s_mul_i32 s8, s84, s8
	s_sub_u32 s15, s68, s8
	s_cselect_b64 s[8:9], -1, 0
	s_cmp_lg_u64 s[8:9], 0
	s_subb_u32 s14, s93, s14
	s_sub_u32 s30, s15, s84
	s_cselect_b64 s[8:9], -1, 0
	s_cmp_lg_u64 s[8:9], 0
	s_subb_u32 s31, s14, 0
	s_sub_u32 s34, s30, s84
	s_cselect_b64 s[8:9], -1, 0
	s_cmp_lg_u64 s[8:9], 0
	s_subb_u32 s8, s31, 0
	s_cmp_ge_u32 s30, s84
	s_cselect_b32 s9, -1, 0
	s_cmp_eq_u32 s31, 0
	s_cselect_b32 s9, s9, -1
	s_cmp_lg_u32 s9, 0
	s_cselect_b32 s8, s8, s31
	s_cselect_b32 s30, s34, s30
	s_cmp_ge_u32 s15, s84
	s_cselect_b32 s9, -1, 0
	s_cmp_eq_u32 s14, 0
	s_cselect_b32 s9, s9, -1
	s_cmp_lg_u32 s9, 0
	s_cselect_b32 s9, s8, s14
	s_cselect_b32 s8, s30, s15
	s_cbranch_execnz .LBB125_216
.LBB125_215:                            ;   in Loop: Header=BB125_24 Depth=1
	v_cvt_f32_u32_e32 v6, s84
	s_sub_i32 s8, 0, s84
	v_rcp_iflag_f32_e32 v6, v6
	s_nop 0
	v_mul_f32_e32 v6, 0x4f7ffffe, v6
	v_cvt_u32_f32_e32 v6, v6
	s_nop 0
	v_readfirstlane_b32 s9, v6
	s_mul_i32 s8, s8, s9
	s_mul_hi_u32 s8, s9, s8
	s_add_i32 s9, s9, s8
	s_mul_hi_u32 s8, s68, s9
	s_mul_i32 s8, s8, s84
	s_sub_i32 s8, s68, s8
	s_sub_i32 s9, s8, s84
	s_cmp_ge_u32 s8, s84
	s_cselect_b32 s8, s9, s8
	s_sub_i32 s9, s8, s84
	s_cmp_ge_u32 s8, s84
	s_cselect_b32 s86, s9, s8
	s_mov_b64 s[8:9], s[86:87]
.LBB125_216:                            ;   in Loop: Header=BB125_24 Depth=1
	s_sub_u32 s14, s68, s8
	s_subb_u32 s15, s93, s9
	v_cmp_gt_u64_e32 vcc, s[14:15], v[0:1]
                                        ; implicit-def: $vgpr25
	s_and_saveexec_b64 s[8:9], vcc
	s_cbranch_execz .LBB125_226
; %bb.217:                              ;   in Loop: Header=BB125_24 Depth=1
	s_mov_b64 s[30:31], 0
	v_mov_b64_e32 v[6:7], v[0:1]
                                        ; implicit-def: $sgpr34_sgpr35
	s_branch .LBB125_221
.LBB125_218:                            ;   in Loop: Header=BB125_221 Depth=2
	s_or_b64 exec, exec, s[36:37]
	s_waitcnt lgkmcnt(0)
	s_barrier
	ds_read_b64 v[24:25], v3 offset:3072
	s_waitcnt lgkmcnt(0)
	s_barrier
	v_cmp_eq_f32_e32 vcc, 0, v24
	s_cbranch_vccz .LBB125_224
; %bb.219:                              ;   in Loop: Header=BB125_221 Depth=2
	v_lshl_add_u64 v[6:7], v[6:7], 0, s[84:85]
	v_cmp_le_u64_e32 vcc, s[14:15], v[6:7]
	s_mov_b64 s[36:37], 0
	s_orn2_b64 s[44:45], vcc, exec
.LBB125_220:                            ;   in Loop: Header=BB125_221 Depth=2
	s_and_b64 s[44:45], exec, s[44:45]
	s_or_b64 s[30:31], s[44:45], s[30:31]
	s_andn2_b64 s[34:35], s[34:35], exec
	s_and_b64 s[36:37], s[36:37], exec
	s_or_b64 s[34:35], s[34:35], s[36:37]
	s_andn2_b64 exec, exec, s[30:31]
	s_cbranch_execz .LBB125_225
.LBB125_221:                            ;   Parent Loop BB125_24 Depth=1
                                        ; =>  This Inner Loop Header: Depth=2
	v_cmp_gt_u64_e32 vcc, s[56:57], v[6:7]
	s_and_saveexec_b64 s[36:37], vcc
	s_cbranch_execz .LBB125_218
; %bb.222:                              ;   in Loop: Header=BB125_221 Depth=2
	v_mul_lo_u32 v10, v7, s72
	v_mul_lo_u32 v11, v6, s73
	v_mad_u64_u32 v[8:9], s[44:45], v6, s72, 0
	v_add3_u32 v9, v9, v11, v10
	v_lshl_add_u64 v[8:9], v[8:9], 2, s[80:81]
	global_load_dword v23, v[8:9], off
	s_waitcnt vmcnt(0)
	v_cmp_lt_i32_e32 vcc, -1, v23
	s_nop 1
	v_cndmask_b32_e32 v8, -1, v37, vcc
	v_xor_b32_e32 v8, v8, v23
	v_cmp_o_f32_e32 vcc, v23, v23
	s_nop 1
	v_cndmask_b32_e32 v8, -1, v8, vcc
	v_and_b32_e32 v8, v8, v39
	v_cmp_eq_u32_e32 vcc, v8, v34
	s_and_b64 exec, exec, vcc
	s_cbranch_execz .LBB125_218
; %bb.223:                              ;   in Loop: Header=BB125_221 Depth=2
	ds_write_b64 v3, v[22:23] offset:3072
	s_branch .LBB125_218
.LBB125_224:                            ;   in Loop: Header=BB125_221 Depth=2
	s_mov_b64 s[44:45], -1
                                        ; implicit-def: $vgpr6_vgpr7
	s_mov_b64 s[36:37], -1
	s_branch .LBB125_220
.LBB125_225:                            ;   in Loop: Header=BB125_24 Depth=1
	s_or_b64 exec, exec, s[30:31]
	s_andn2_b64 s[14:15], s[42:43], exec
	s_and_b64 s[30:31], s[34:35], exec
	s_or_b64 s[42:43], s[14:15], s[30:31]
.LBB125_226:                            ;   in Loop: Header=BB125_24 Depth=1
	s_or_b64 exec, exec, s[8:9]
	s_mov_b64 s[34:35], 0
	s_mov_b64 s[36:37], -1
.LBB125_227:                            ;   in Loop: Header=BB125_24 Depth=1
	s_orn2_b64 s[8:9], s[42:43], exec
.LBB125_228:                            ;   in Loop: Header=BB125_24 Depth=1
	s_or_b64 exec, exec, s[38:39]
	s_mov_b64 s[14:15], 0
	s_and_saveexec_b64 s[38:39], s[8:9]
	s_cbranch_execz .LBB125_288
; %bb.229:                              ;   in Loop: Header=BB125_24 Depth=1
	s_xor_b64 s[30:31], s[40:41], -1
	v_mov_b32_e32 v2, 1
	v_mov_b64_e32 v[6:7], 1
	s_and_saveexec_b64 s[8:9], s[30:31]
	s_cbranch_execz .LBB125_238
; %bb.230:                              ;   in Loop: Header=BB125_24 Depth=1
	v_cmp_ge_u64_e32 vcc, s[22:23], v[4:5]
	s_and_saveexec_b64 s[14:15], vcc
	s_xor_b64 s[14:15], exec, s[14:15]
	s_cbranch_execz .LBB125_235
; %bb.231:                              ;   in Loop: Header=BB125_24 Depth=1
	ds_read_b64 v[6:7], v3 offset:5120
	v_and_b32_e32 v2, s52, v34
	v_lshl_or_b32 v34, 2, s6, v2
	v_or_b32_e32 v39, s64, v39
	s_waitcnt lgkmcnt(0)
	v_cmp_ne_u64_e32 vcc, 0, v[6:7]
	s_cbranch_vccnz .LBB125_235
; %bb.232:                              ;   in Loop: Header=BB125_24 Depth=1
	s_mov_b64 s[30:31], exec
	v_readlane_b32 s40, v54, 16
	v_readlane_b32 s41, v54, 17
	s_and_b64 s[40:41], s[30:31], s[40:41]
	s_mov_b64 exec, s[40:41]
; %bb.233:                              ;   in Loop: Header=BB125_24 Depth=1
	v_mov_b64_e32 v[6:7], s[22:23]
	ds_write_b64 v3, v[6:7] offset:5128
; %bb.234:                              ;   in Loop: Header=BB125_24 Depth=1
	s_or_b64 exec, exec, s[30:31]
	s_waitcnt lgkmcnt(0)
	s_barrier
.LBB125_235:                            ;   in Loop: Header=BB125_24 Depth=1
	s_or_saveexec_b64 s[14:15], s[14:15]
	s_mov_b64 s[30:31], 0
	v_mov_b32_e32 v2, 8
	s_xor_b64 exec, exec, s[14:15]
; %bb.236:                              ;   in Loop: Header=BB125_24 Depth=1
	v_mov_b32_e32 v2, s23
	v_subrev_co_u32_e32 v4, vcc, s22, v4
	s_mov_b64 s[30:31], exec
	s_nop 0
	v_subb_co_u32_e32 v5, vcc, v5, v2, vcc
	v_mov_b32_e32 v2, 0
; %bb.237:                              ;   in Loop: Header=BB125_24 Depth=1
	s_or_b64 exec, exec, s[14:15]
	s_and_b64 s[14:15], s[30:31], exec
	v_mov_b64_e32 v[6:7], v[4:5]
.LBB125_238:                            ;   in Loop: Header=BB125_24 Depth=1
	s_or_b64 exec, exec, s[8:9]
	s_mov_b64 s[8:9], -1
                                        ; implicit-def: $sgpr46_sgpr47
                                        ; implicit-def: $sgpr44_sgpr45
	s_and_saveexec_b64 s[22:23], s[14:15]
	s_cbranch_execz .LBB125_287
; %bb.239:                              ;   in Loop: Header=BB125_24 Depth=1
	s_cmp_eq_u64 s[2:3], 1
	s_cselect_b64 s[8:9], -1, 0
	v_cmp_eq_u64_e32 vcc, 1, v[6:7]
	s_and_b64 s[40:41], s[8:9], vcc
	s_mov_b64 s[14:15], -1
                                        ; implicit-def: $sgpr46_sgpr47
                                        ; implicit-def: $sgpr44_sgpr45
	s_and_saveexec_b64 s[42:43], s[40:41]
	s_cbranch_execz .LBB125_275
; %bb.240:                              ;   in Loop: Header=BB125_24 Depth=1
	ds_read_b64 v[4:5], v3 offset:5120
	s_waitcnt lgkmcnt(0)
	s_barrier
	v_readfirstlane_b32 s8, v4
	v_readfirstlane_b32 s9, v5
	s_mov_b64 s[14:15], exec
	v_readlane_b32 s30, v54, 26
	v_readlane_b32 s31, v54, 27
	s_and_b64 s[30:31], s[14:15], s[30:31]
	s_mov_b64 exec, s[30:31]
; %bb.241:                              ;   in Loop: Header=BB125_24 Depth=1
	ds_write_b32 v31, v3
; %bb.242:                              ;   in Loop: Header=BB125_24 Depth=1
	s_or_b64 exec, exec, s[14:15]
	v_or_b32_e32 v34, s64, v34
	v_or_b32_e32 v39, s64, v39
	s_mov_b64 s[44:45], -1
	s_mov_b64 s[46:47], 0
	s_cmp_eq_u64 s[8:9], 0
	s_mov_b64 s[48:49], 0
	s_mov_b64 s[14:15], -1
	s_waitcnt lgkmcnt(0)
	s_barrier
                                        ; implicit-def: $vgpr25
	s_cbranch_scc1 .LBB125_259
; %bb.243:                              ;   in Loop: Header=BB125_24 Depth=1
	v_readlane_b32 s14, v54, 32
	s_add_u32 s50, s8, s14
	v_readlane_b32 s14, v54, 33
	s_addc_u32 s15, s9, s14
	s_mov_b32 s14, s87
	s_cmp_lg_u64 s[14:15], 0
	s_cbranch_scc0 .LBB125_294
; %bb.244:                              ;   in Loop: Header=BB125_24 Depth=1
	v_cvt_f32_u32_e32 v4, s84
	s_sub_u32 s14, 0, s84
	s_subb_u32 s48, 0, 0
	v_fmac_f32_e32 v4, 0, v38
	v_rcp_f32_e32 v4, v4
	s_nop 0
	v_mul_f32_e32 v4, 0x5f7ffffc, v4
	v_mul_f32_e32 v5, 0x2f800000, v4
	v_trunc_f32_e32 v5, v5
	v_fmac_f32_e32 v4, 0xcf800000, v5
	v_cvt_u32_f32_e32 v5, v5
	v_cvt_u32_f32_e32 v4, v4
	v_readfirstlane_b32 s49, v5
	v_readfirstlane_b32 s30, v4
	s_mul_i32 s31, s14, s49
	s_mul_hi_u32 s52, s14, s30
	s_mul_i32 s51, s48, s30
	s_add_i32 s31, s52, s31
	s_mul_i32 s53, s14, s30
	s_add_i32 s31, s31, s51
	s_mul_hi_u32 s52, s30, s53
	s_mul_i32 s54, s30, s31
	s_mul_hi_u32 s51, s30, s31
	s_add_u32 s52, s52, s54
	s_addc_u32 s51, 0, s51
	s_mul_hi_u32 s55, s49, s53
	s_mul_i32 s53, s49, s53
	s_add_u32 s52, s52, s53
	s_mul_hi_u32 s54, s49, s31
	s_addc_u32 s51, s51, s55
	s_addc_u32 s52, s54, 0
	s_mul_i32 s31, s49, s31
	s_add_u32 s31, s51, s31
	s_addc_u32 s51, 0, s52
	s_add_u32 s52, s30, s31
	s_cselect_b64 s[30:31], -1, 0
	s_cmp_lg_u64 s[30:31], 0
	s_addc_u32 s49, s49, s51
	s_mul_i32 s30, s14, s49
	s_mul_hi_u32 s31, s14, s52
	s_add_i32 s30, s31, s30
	s_mul_i32 s48, s48, s52
	s_add_i32 s30, s30, s48
	s_mul_i32 s14, s14, s52
	s_mul_hi_u32 s48, s49, s14
	s_mul_i32 s51, s49, s14
	s_mul_i32 s54, s52, s30
	s_mul_hi_u32 s14, s52, s14
	s_mul_hi_u32 s53, s52, s30
	s_add_u32 s14, s14, s54
	s_addc_u32 s53, 0, s53
	s_add_u32 s14, s14, s51
	s_mul_hi_u32 s31, s49, s30
	s_addc_u32 s14, s53, s48
	s_addc_u32 s31, s31, 0
	s_mul_i32 s30, s49, s30
	s_add_u32 s14, s14, s30
	s_addc_u32 s48, 0, s31
	s_add_u32 s14, s52, s14
	s_cselect_b64 s[30:31], -1, 0
	s_cmp_lg_u64 s[30:31], 0
	s_addc_u32 s30, s49, s48
	s_mul_i32 s48, s50, s30
	s_mul_hi_u32 s49, s50, s14
	s_mul_hi_u32 s31, s50, s30
	s_add_u32 s48, s49, s48
	s_addc_u32 s31, 0, s31
	s_mul_hi_u32 s51, s15, s14
	s_mul_i32 s14, s15, s14
	s_add_u32 s14, s48, s14
	s_mul_hi_u32 s49, s15, s30
	s_addc_u32 s14, s31, s51
	s_addc_u32 s31, s49, 0
	s_mul_i32 s30, s15, s30
	s_add_u32 s14, s14, s30
	s_addc_u32 s30, 0, s31
	s_mul_i32 s30, s84, s30
	s_mul_hi_u32 s31, s84, s14
	s_add_i32 s48, s31, s30
	s_mul_i32 s14, s84, s14
	s_sub_u32 s14, s50, s14
	s_cselect_b64 s[30:31], -1, 0
	s_cmp_lg_u64 s[30:31], 0
	s_subb_u32 s48, s15, s48
	s_sub_u32 s49, s14, s84
	s_cselect_b64 s[30:31], -1, 0
	s_cmp_lg_u64 s[30:31], 0
	s_subb_u32 s51, s48, 0
	;; [unrolled: 4-line block ×3, first 2 shown]
	s_cmp_ge_u32 s49, s84
	s_cselect_b32 s31, -1, 0
	s_cmp_eq_u32 s51, 0
	s_cselect_b32 s31, s31, -1
	s_cmp_lg_u32 s31, 0
	s_cselect_b32 s30, s30, s51
	s_cselect_b32 s49, s52, s49
	s_cmp_ge_u32 s14, s84
	s_cselect_b32 s31, -1, 0
	s_cmp_eq_u32 s48, 0
	s_cselect_b32 s31, s31, -1
	s_cmp_lg_u32 s31, 0
	s_cselect_b32 s31, s30, s48
	s_cselect_b32 s30, s49, s14
	s_cbranch_execnz .LBB125_246
.LBB125_245:                            ;   in Loop: Header=BB125_24 Depth=1
	v_cvt_f32_u32_e32 v4, s84
	s_sub_i32 s14, 0, s84
	v_rcp_iflag_f32_e32 v4, v4
	s_nop 0
	v_mul_f32_e32 v4, 0x4f7ffffe, v4
	v_cvt_u32_f32_e32 v4, v4
	s_nop 0
	v_readfirstlane_b32 s30, v4
	s_mul_i32 s14, s14, s30
	s_mul_hi_u32 s14, s30, s14
	s_add_i32 s30, s30, s14
	s_mul_hi_u32 s14, s50, s30
	s_mul_i32 s14, s14, s84
	s_sub_i32 s14, s50, s14
	s_sub_i32 s30, s14, s84
	s_cmp_ge_u32 s14, s84
	s_cselect_b32 s14, s30, s14
	s_sub_i32 s30, s14, s84
	s_cmp_ge_u32 s14, s84
	s_cselect_b32 s86, s30, s14
	s_mov_b64 s[30:31], s[86:87]
.LBB125_246:                            ;   in Loop: Header=BB125_24 Depth=1
	s_sub_u32 s50, s50, s30
	s_subb_u32 s51, s15, s31
	v_cmp_gt_u64_e32 vcc, s[50:51], v[0:1]
	s_mov_b64 s[14:15], 0
	s_mov_b64 s[48:49], 0
                                        ; implicit-def: $vgpr25
	s_and_saveexec_b64 s[30:31], vcc
	s_cbranch_execz .LBB125_258
; %bb.247:                              ;   in Loop: Header=BB125_24 Depth=1
	v_mov_b32_e32 v8, v12
	v_mov_b64_e32 v[4:5], v[0:1]
                                        ; implicit-def: $sgpr52_sgpr53
	s_branch .LBB125_251
.LBB125_248:                            ;   in Loop: Header=BB125_251 Depth=2
	s_or_b64 exec, exec, s[54:55]
	s_waitcnt lgkmcnt(0)
	s_barrier
	ds_read_b64 v[24:25], v3 offset:3072
	s_waitcnt lgkmcnt(0)
	s_barrier
	v_cmp_neq_f32_e32 vcc, 0, v24
	s_cbranch_vccnz .LBB125_254
; %bb.249:                              ;   in Loop: Header=BB125_251 Depth=2
	v_lshl_add_u64 v[4:5], v[4:5], 0, s[84:85]
	v_cmp_le_u64_e32 vcc, s[50:51], v[4:5]
	v_add_u32_e32 v8, s91, v8
	s_mov_b64 s[54:55], 0
	s_orn2_b64 s[58:59], vcc, exec
.LBB125_250:                            ;   in Loop: Header=BB125_251 Depth=2
	s_and_b64 s[58:59], exec, s[58:59]
	s_or_b64 s[48:49], s[58:59], s[48:49]
	s_andn2_b64 s[52:53], s[52:53], exec
	s_and_b64 s[54:55], s[54:55], exec
	s_or_b64 s[52:53], s[52:53], s[54:55]
	s_andn2_b64 exec, exec, s[48:49]
	s_cbranch_execz .LBB125_257
.LBB125_251:                            ;   Parent Loop BB125_24 Depth=1
                                        ; =>  This Inner Loop Header: Depth=2
	v_cmp_gt_u64_e32 vcc, s[8:9], v[4:5]
	s_and_saveexec_b64 s[54:55], vcc
	s_cbranch_execz .LBB125_248
; %bb.252:                              ;   in Loop: Header=BB125_251 Depth=2
	ds_read_b32 v23, v8
	s_waitcnt lgkmcnt(0)
	v_cmp_lt_i32_e32 vcc, -1, v23
	s_nop 1
	v_cndmask_b32_e32 v9, -1, v37, vcc
	v_xor_b32_e32 v9, v9, v23
	v_cmp_o_f32_e32 vcc, v23, v23
	s_nop 1
	v_cndmask_b32_e32 v9, -1, v9, vcc
	v_and_b32_e32 v9, v9, v39
	v_cmp_eq_u32_e32 vcc, v9, v34
	s_and_b64 exec, exec, vcc
	s_cbranch_execz .LBB125_248
; %bb.253:                              ;   in Loop: Header=BB125_251 Depth=2
	ds_write_b64 v3, v[22:23] offset:3072
	s_branch .LBB125_248
.LBB125_254:                            ;   in Loop: Header=BB125_251 Depth=2
	s_mov_b64 s[58:59], -1
                                        ; implicit-def: $vgpr4_vgpr5
                                        ; implicit-def: $vgpr8
	s_mov_b64 s[54:55], -1
	s_branch .LBB125_250
.LBB125_255:                            ;   in Loop: Header=BB125_24 Depth=1
                                        ; implicit-def: $sgpr30_sgpr31
	s_branch .LBB125_198
.LBB125_256:                            ;   in Loop: Header=BB125_24 Depth=1
                                        ; implicit-def: $sgpr8_sgpr9
	s_branch .LBB125_215
.LBB125_257:                            ;   in Loop: Header=BB125_24 Depth=1
	s_or_b64 exec, exec, s[48:49]
	s_and_b64 s[48:49], s[52:53], exec
.LBB125_258:                            ;   in Loop: Header=BB125_24 Depth=1
	s_or_b64 exec, exec, s[30:31]
.LBB125_259:                            ;   in Loop: Header=BB125_24 Depth=1
	s_and_b64 vcc, exec, s[14:15]
	s_cbranch_vccz .LBB125_274
; %bb.260:                              ;   in Loop: Header=BB125_24 Depth=1
	s_mov_b32 s92, s87
	s_cmp_lg_u64 s[92:93], 0
	s_cbranch_scc0 .LBB125_295
; %bb.261:                              ;   in Loop: Header=BB125_24 Depth=1
	v_cvt_f32_u32_e32 v4, s84
	s_sub_u32 s14, 0, s84
	s_subb_u32 s15, 0, 0
	v_fmac_f32_e32 v4, 0, v38
	v_rcp_f32_e32 v4, v4
	s_nop 0
	v_mul_f32_e32 v4, 0x5f7ffffc, v4
	v_mul_f32_e32 v5, 0x2f800000, v4
	v_trunc_f32_e32 v5, v5
	v_fmac_f32_e32 v4, 0xcf800000, v5
	v_cvt_u32_f32_e32 v5, v5
	v_cvt_u32_f32_e32 v4, v4
	v_readfirstlane_b32 s30, v5
	v_readfirstlane_b32 s8, v4
	s_mul_i32 s9, s14, s30
	s_mul_hi_u32 s44, s14, s8
	s_mul_i32 s31, s15, s8
	s_add_i32 s9, s44, s9
	s_mul_i32 s45, s14, s8
	s_add_i32 s9, s9, s31
	s_mul_hi_u32 s44, s8, s45
	s_mul_i32 s46, s8, s9
	s_mul_hi_u32 s31, s8, s9
	s_add_u32 s44, s44, s46
	s_addc_u32 s31, 0, s31
	s_mul_hi_u32 s47, s30, s45
	s_mul_i32 s45, s30, s45
	s_add_u32 s44, s44, s45
	s_mul_hi_u32 s46, s30, s9
	s_addc_u32 s31, s31, s47
	s_addc_u32 s44, s46, 0
	s_mul_i32 s9, s30, s9
	s_add_u32 s9, s31, s9
	s_addc_u32 s31, 0, s44
	s_add_u32 s44, s8, s9
	s_cselect_b64 s[8:9], -1, 0
	s_cmp_lg_u64 s[8:9], 0
	s_addc_u32 s30, s30, s31
	s_mul_i32 s8, s14, s30
	s_mul_hi_u32 s9, s14, s44
	s_add_i32 s8, s9, s8
	s_mul_i32 s15, s15, s44
	s_add_i32 s8, s8, s15
	s_mul_i32 s14, s14, s44
	s_mul_hi_u32 s15, s30, s14
	s_mul_i32 s31, s30, s14
	s_mul_i32 s46, s44, s8
	s_mul_hi_u32 s14, s44, s14
	s_mul_hi_u32 s45, s44, s8
	s_add_u32 s14, s14, s46
	s_addc_u32 s45, 0, s45
	s_add_u32 s14, s14, s31
	s_mul_hi_u32 s9, s30, s8
	s_addc_u32 s14, s45, s15
	s_addc_u32 s9, s9, 0
	s_mul_i32 s8, s30, s8
	s_add_u32 s8, s14, s8
	s_addc_u32 s14, 0, s9
	s_add_u32 s15, s44, s8
	s_cselect_b64 s[8:9], -1, 0
	s_cmp_lg_u64 s[8:9], 0
	s_addc_u32 s8, s30, s14
	s_mul_i32 s14, s68, s8
	s_mul_hi_u32 s30, s68, s15
	s_mul_hi_u32 s9, s68, s8
	s_add_u32 s14, s30, s14
	s_addc_u32 s9, 0, s9
	s_mul_hi_u32 s31, s93, s15
	s_mul_i32 s15, s93, s15
	s_add_u32 s14, s14, s15
	s_mul_hi_u32 s30, s93, s8
	s_addc_u32 s9, s9, s31
	s_addc_u32 s14, s30, 0
	s_mul_i32 s8, s93, s8
	s_add_u32 s8, s9, s8
	s_addc_u32 s9, 0, s14
	s_mul_i32 s9, s84, s9
	s_mul_hi_u32 s14, s84, s8
	s_add_i32 s14, s14, s9
	s_mul_i32 s8, s84, s8
	s_sub_u32 s15, s68, s8
	s_cselect_b64 s[8:9], -1, 0
	s_cmp_lg_u64 s[8:9], 0
	s_subb_u32 s14, s93, s14
	s_sub_u32 s30, s15, s84
	s_cselect_b64 s[8:9], -1, 0
	s_cmp_lg_u64 s[8:9], 0
	s_subb_u32 s31, s14, 0
	;; [unrolled: 4-line block ×3, first 2 shown]
	s_cmp_ge_u32 s30, s84
	s_cselect_b32 s9, -1, 0
	s_cmp_eq_u32 s31, 0
	s_cselect_b32 s9, s9, -1
	s_cmp_lg_u32 s9, 0
	s_cselect_b32 s8, s8, s31
	s_cselect_b32 s30, s44, s30
	s_cmp_ge_u32 s15, s84
	s_cselect_b32 s9, -1, 0
	s_cmp_eq_u32 s14, 0
	s_cselect_b32 s9, s9, -1
	s_cmp_lg_u32 s9, 0
	s_cselect_b32 s9, s8, s14
	s_cselect_b32 s8, s30, s15
	s_cbranch_execnz .LBB125_263
.LBB125_262:                            ;   in Loop: Header=BB125_24 Depth=1
	v_cvt_f32_u32_e32 v4, s84
	s_sub_i32 s8, 0, s84
	v_rcp_iflag_f32_e32 v4, v4
	s_nop 0
	v_mul_f32_e32 v4, 0x4f7ffffe, v4
	v_cvt_u32_f32_e32 v4, v4
	s_nop 0
	v_readfirstlane_b32 s9, v4
	s_mul_i32 s8, s8, s9
	s_mul_hi_u32 s8, s9, s8
	s_add_i32 s9, s9, s8
	s_mul_hi_u32 s8, s68, s9
	s_mul_i32 s8, s8, s84
	s_sub_i32 s8, s68, s8
	s_sub_i32 s9, s8, s84
	s_cmp_ge_u32 s8, s84
	s_cselect_b32 s8, s9, s8
	s_sub_i32 s9, s8, s84
	s_cmp_ge_u32 s8, s84
	s_cselect_b32 s86, s9, s8
	s_mov_b64 s[8:9], s[86:87]
.LBB125_263:                            ;   in Loop: Header=BB125_24 Depth=1
	s_sub_u32 s14, s68, s8
	s_subb_u32 s15, s93, s9
	v_cmp_gt_u64_e32 vcc, s[14:15], v[0:1]
                                        ; implicit-def: $vgpr25
	s_and_saveexec_b64 s[8:9], vcc
	s_cbranch_execz .LBB125_273
; %bb.264:                              ;   in Loop: Header=BB125_24 Depth=1
	s_mov_b64 s[30:31], 0
	v_mov_b64_e32 v[4:5], v[0:1]
                                        ; implicit-def: $sgpr44_sgpr45
	s_branch .LBB125_268
.LBB125_265:                            ;   in Loop: Header=BB125_268 Depth=2
	s_or_b64 exec, exec, s[46:47]
	s_waitcnt lgkmcnt(0)
	s_barrier
	ds_read_b64 v[24:25], v3 offset:3072
	s_waitcnt lgkmcnt(0)
	s_barrier
	v_cmp_eq_f32_e32 vcc, 0, v24
	s_cbranch_vccz .LBB125_271
; %bb.266:                              ;   in Loop: Header=BB125_268 Depth=2
	v_lshl_add_u64 v[4:5], v[4:5], 0, s[84:85]
	v_cmp_le_u64_e32 vcc, s[14:15], v[4:5]
	s_mov_b64 s[46:47], 0
	s_orn2_b64 s[50:51], vcc, exec
.LBB125_267:                            ;   in Loop: Header=BB125_268 Depth=2
	s_and_b64 s[50:51], exec, s[50:51]
	s_or_b64 s[30:31], s[50:51], s[30:31]
	s_andn2_b64 s[44:45], s[44:45], exec
	s_and_b64 s[46:47], s[46:47], exec
	s_or_b64 s[44:45], s[44:45], s[46:47]
	s_andn2_b64 exec, exec, s[30:31]
	s_cbranch_execz .LBB125_272
.LBB125_268:                            ;   Parent Loop BB125_24 Depth=1
                                        ; =>  This Inner Loop Header: Depth=2
	v_cmp_gt_u64_e32 vcc, s[56:57], v[4:5]
	s_and_saveexec_b64 s[46:47], vcc
	s_cbranch_execz .LBB125_265
; %bb.269:                              ;   in Loop: Header=BB125_268 Depth=2
	v_mul_lo_u32 v10, v5, s72
	v_mul_lo_u32 v11, v4, s73
	v_mad_u64_u32 v[8:9], s[50:51], v4, s72, 0
	v_add3_u32 v9, v9, v11, v10
	v_lshl_add_u64 v[8:9], v[8:9], 2, s[80:81]
	global_load_dword v23, v[8:9], off
	s_waitcnt vmcnt(0)
	v_cmp_lt_i32_e32 vcc, -1, v23
	s_nop 1
	v_cndmask_b32_e32 v8, -1, v37, vcc
	v_xor_b32_e32 v8, v8, v23
	v_cmp_o_f32_e32 vcc, v23, v23
	s_nop 1
	v_cndmask_b32_e32 v8, -1, v8, vcc
	v_and_b32_e32 v8, v8, v39
	v_cmp_eq_u32_e32 vcc, v8, v34
	s_and_b64 exec, exec, vcc
	s_cbranch_execz .LBB125_265
; %bb.270:                              ;   in Loop: Header=BB125_268 Depth=2
	ds_write_b64 v3, v[22:23] offset:3072
	s_branch .LBB125_265
.LBB125_271:                            ;   in Loop: Header=BB125_268 Depth=2
	s_mov_b64 s[50:51], -1
                                        ; implicit-def: $vgpr4_vgpr5
	s_mov_b64 s[46:47], -1
	s_branch .LBB125_267
.LBB125_272:                            ;   in Loop: Header=BB125_24 Depth=1
	s_or_b64 exec, exec, s[30:31]
	s_andn2_b64 s[14:15], s[48:49], exec
	s_and_b64 s[30:31], s[44:45], exec
	s_or_b64 s[48:49], s[14:15], s[30:31]
.LBB125_273:                            ;   in Loop: Header=BB125_24 Depth=1
	s_or_b64 exec, exec, s[8:9]
	s_mov_b64 s[44:45], 0
	s_mov_b64 s[46:47], -1
.LBB125_274:                            ;   in Loop: Header=BB125_24 Depth=1
	s_orn2_b64 s[14:15], s[48:49], exec
.LBB125_275:                            ;   in Loop: Header=BB125_24 Depth=1
	s_or_b64 exec, exec, s[42:43]
	s_mov_b64 s[30:31], 0
	s_and_saveexec_b64 s[8:9], s[14:15]
	s_cbranch_execz .LBB125_286
; %bb.276:                              ;   in Loop: Header=BB125_24 Depth=1
	s_xor_b64 s[30:31], s[40:41], -1
	v_mov_b64_e32 v[4:5], 1
	v_mov_b32_e32 v2, 1
	s_and_saveexec_b64 s[14:15], s[30:31]
	s_cbranch_execz .LBB125_285
; %bb.277:                              ;   in Loop: Header=BB125_24 Depth=1
	v_cmp_ge_u64_e32 vcc, s[2:3], v[6:7]
	s_and_saveexec_b64 s[30:31], vcc
	s_xor_b64 s[30:31], exec, s[30:31]
	s_cbranch_execz .LBB125_282
; %bb.278:                              ;   in Loop: Header=BB125_24 Depth=1
	ds_read_b64 v[4:5], v3 offset:5120
	v_or_b32_e32 v34, s64, v34
	v_or_b32_e32 v39, s64, v39
	s_waitcnt lgkmcnt(0)
	v_cmp_ne_u64_e32 vcc, 0, v[4:5]
	s_cbranch_vccnz .LBB125_282
; %bb.279:                              ;   in Loop: Header=BB125_24 Depth=1
	s_mov_b64 s[40:41], exec
	v_readlane_b32 s42, v54, 16
	v_readlane_b32 s43, v54, 17
	s_and_b64 s[42:43], s[40:41], s[42:43]
	s_mov_b64 exec, s[42:43]
; %bb.280:                              ;   in Loop: Header=BB125_24 Depth=1
	v_mov_b64_e32 v[4:5], s[2:3]
	ds_write_b64 v3, v[4:5] offset:5128
; %bb.281:                              ;   in Loop: Header=BB125_24 Depth=1
	s_or_b64 exec, exec, s[40:41]
	s_waitcnt lgkmcnt(0)
	s_barrier
.LBB125_282:                            ;   in Loop: Header=BB125_24 Depth=1
	s_andn2_saveexec_b64 s[30:31], s[30:31]
; %bb.283:                              ;   in Loop: Header=BB125_24 Depth=1
	v_mov_b32_e32 v2, s3
	v_subrev_co_u32_e32 v6, vcc, s2, v6
	s_nop 1
	v_subb_co_u32_e32 v7, vcc, v7, v2, vcc
; %bb.284:                              ;   in Loop: Header=BB125_24 Depth=1
	s_or_b64 exec, exec, s[30:31]
	v_mov_b32_e32 v2, 8
	v_mov_b64_e32 v[4:5], v[6:7]
.LBB125_285:                            ;   in Loop: Header=BB125_24 Depth=1
	s_or_b64 exec, exec, s[14:15]
	s_mov_b64 s[30:31], exec
	v_mov_b64_e32 v[6:7], v[4:5]
.LBB125_286:                            ;   in Loop: Header=BB125_24 Depth=1
	s_or_b64 exec, exec, s[8:9]
	s_orn2_b64 s[8:9], s[30:31], exec
.LBB125_287:                            ;   in Loop: Header=BB125_24 Depth=1
	s_or_b64 exec, exec, s[22:23]
	s_andn2_b64 s[2:3], s[36:37], exec
	s_and_b64 s[14:15], s[46:47], exec
	s_or_b64 s[36:37], s[2:3], s[14:15]
	s_andn2_b64 s[2:3], s[34:35], exec
	s_and_b64 s[14:15], s[44:45], exec
	s_or_b64 s[34:35], s[2:3], s[14:15]
	s_and_b64 s[14:15], s[8:9], exec
	v_mov_b64_e32 v[4:5], v[6:7]
.LBB125_288:                            ;   in Loop: Header=BB125_24 Depth=1
	s_or_b64 exec, exec, s[38:39]
	s_orn2_b64 s[8:9], s[14:15], exec
.LBB125_289:                            ;   in Loop: Header=BB125_24 Depth=1
	s_or_b64 exec, exec, s[28:29]
	s_andn2_b64 s[2:3], s[24:25], exec
	s_and_b64 s[14:15], s[36:37], exec
	s_or_b64 s[24:25], s[2:3], s[14:15]
	s_andn2_b64 s[0:1], s[0:1], exec
	s_and_b64 s[2:3], s[34:35], exec
	s_or_b64 s[0:1], s[0:1], s[2:3]
	s_and_b64 s[14:15], s[8:9], exec
	v_mov_b64_e32 v[8:9], v[4:5]
.LBB125_290:                            ;   in Loop: Header=BB125_24 Depth=1
	s_or_b64 exec, exec, s[26:27]
	s_orn2_b64 s[8:9], s[14:15], exec
.LBB125_291:                            ;   in Loop: Header=BB125_24 Depth=1
	s_or_b64 exec, exec, s[20:21]
	s_mov_b64 s[14:15], 0
	s_and_saveexec_b64 s[2:3], s[8:9]
	s_xor_b64 s[2:3], exec, s[2:3]
	s_cbranch_execz .LBB125_22
; %bb.292:                              ;   in Loop: Header=BB125_24 Depth=1
	v_and_b32_e32 v2, 7, v2
	v_cmp_eq_u32_e32 vcc, 0, v2
	s_mov_b64 s[8:9], -1
	s_mov_b64 s[14:15], -1
	s_and_saveexec_b64 s[18:19], vcc
	s_cbranch_execz .LBB125_21
; %bb.293:                              ;   in Loop: Header=BB125_24 Depth=1
	s_xor_b32 s7, s7, 1
	s_add_i32 s20, s6, -2
	s_cmp_eq_u32 s6, 0
	s_cselect_b64 s[8:9], -1, 0
	s_xor_b64 s[14:15], exec, -1
	s_orn2_b64 s[8:9], s[8:9], exec
	s_mov_b32 s6, s20
	s_branch .LBB125_21
.LBB125_294:                            ;   in Loop: Header=BB125_24 Depth=1
                                        ; implicit-def: $sgpr30_sgpr31
	s_branch .LBB125_245
.LBB125_295:                            ;   in Loop: Header=BB125_24 Depth=1
                                        ; implicit-def: $sgpr8_sgpr9
	s_branch .LBB125_262
.LBB125_296:
	s_or_b64 exec, exec, s[74:75]
	s_xor_b64 s[4:5], s[82:83], -1
	s_xor_b64 s[2:3], s[60:61], -1
	;; [unrolled: 1-line block ×3, first 2 shown]
	s_mov_b64 s[0:1], 0
	s_and_saveexec_b64 s[8:9], s[2:3]
	s_xor_b64 s[2:3], exec, s[8:9]
	s_cbranch_execnz .LBB125_301
; %bb.297:
	s_andn2_saveexec_b64 s[2:3], s[2:3]
	s_cbranch_execnz .LBB125_314
.LBB125_298:
	s_or_b64 exec, exec, s[2:3]
	s_and_saveexec_b64 s[2:3], s[0:1]
.LBB125_299:
	; divergent unreachable
.LBB125_300:
	s_endpgm
.LBB125_301:
	s_and_saveexec_b64 s[0:1], s[4:5]
	s_xor_b64 s[4:5], exec, s[0:1]
	s_cbranch_execz .LBB125_312
; %bb.302:
	s_and_saveexec_b64 s[0:1], s[6:7]
	s_xor_b64 s[0:1], exec, s[0:1]
; %bb.303:
	v_bfrev_b32_e32 v2, 1
	v_cmp_lt_i32_e32 vcc, -1, v34
	s_nop 1
	v_cndmask_b32_e64 v2, v2, -1, vcc
	v_xor_b32_e32 v25, v2, v34
; %bb.304:
	s_or_b64 exec, exec, s[0:1]
	v_readlane_b32 s6, v54, 6
	v_readlane_b32 s0, v54, 4
	;; [unrolled: 1-line block ×4, first 2 shown]
	s_mov_b32 s8, s0
	s_mul_i32 s0, s0, s7
	s_mul_hi_u32 s1, s8, s6
	s_add_i32 s1, s1, s0
	s_mul_i32 s0, s8, s6
	v_readlane_b32 s6, v54, 12
	v_readlane_b32 s12, v54, 22
	v_readlane_b32 s7, v54, 13
	s_sub_u32 s0, s6, s0
	v_readlane_b32 s14, v54, 24
	v_readlane_b32 s15, v54, 25
	s_subb_u32 s1, 0, s1
	s_mul_i32 s6, s0, s15
	s_mul_hi_u32 s7, s0, s14
	v_readlane_b32 s13, v54, 23
	s_add_i32 s6, s7, s6
	s_mul_i32 s1, s1, s14
	s_add_i32 s1, s6, s1
	s_mul_i32 s6, s8, s13
	s_mul_hi_u32 s7, s8, s12
	s_add_i32 s7, s7, s6
	s_mul_i32 s6, s8, s12
	s_lshl_b64 s[6:7], s[6:7], 2
	v_readlane_b32 s8, v54, 10
	s_mul_i32 s0, s0, s14
	v_readlane_b32 s9, v54, 11
	s_add_u32 s6, s8, s6
	s_addc_u32 s7, s9, s7
	s_lshl_b64 s[0:1], s[0:1], 2
	s_add_u32 s0, s6, s0
	s_addc_u32 s1, s7, s1
	v_mov_b32_e32 v2, 0
	global_store_dword v2, v25, s[0:1]
	s_mov_b64 s[6:7], exec
	v_readlane_b32 s0, v54, 14
	v_readlane_b32 s1, v54, 15
	s_and_b64 s[0:1], s[6:7], s[0:1]
	s_mov_b64 exec, s[0:1]
	s_cbranch_execz .LBB125_311
; %bb.305:
	v_cmp_u_f32_e32 vcc, v25, v25
	s_mov_b64 s[8:9], 0
	s_xor_b64 s[12:13], vcc, -1
                                        ; implicit-def: $sgpr10_sgpr11
                                        ; implicit-def: $sgpr16_sgpr17
                                        ; implicit-def: $sgpr14_sgpr15
	s_branch .LBB125_307
.LBB125_306:                            ;   in Loop: Header=BB125_307 Depth=1
	s_or_b64 exec, exec, s[0:1]
	s_and_b64 s[0:1], exec, s[16:17]
	s_or_b64 s[8:9], s[0:1], s[8:9]
	s_andn2_b64 s[0:1], s[10:11], exec
	s_and_b64 s[10:11], s[14:15], exec
	s_or_b64 s[10:11], s[0:1], s[10:11]
	s_andn2_b64 exec, exec, s[8:9]
	s_cbranch_execz .LBB125_309
.LBB125_307:                            ; =>This Inner Loop Header: Depth=1
	v_mov_b64_e32 v[2:3], v[0:1]
	v_mul_lo_u32 v4, v3, s72
	v_mul_lo_u32 v5, v2, s73
	v_mad_u64_u32 v[0:1], s[0:1], v2, s72, 0
	v_add3_u32 v1, v1, v5, v4
	v_lshl_add_u64 v[0:1], v[0:1], 2, s[80:81]
	global_load_dword v0, v[0:1], off
	s_or_b64 s[14:15], s[14:15], exec
	s_or_b64 s[16:17], s[16:17], exec
	s_waitcnt vmcnt(0)
	v_cmp_o_f32_e64 s[0:1], v0, v0
	v_cmp_neq_f32_e32 vcc, v0, v25
	s_or_b64 s[0:1], s[0:1], s[12:13]
	s_and_b64 s[18:19], vcc, s[0:1]
                                        ; implicit-def: $vgpr0_vgpr1
	s_and_saveexec_b64 s[0:1], s[18:19]
	s_cbranch_execz .LBB125_306
; %bb.308:                              ;   in Loop: Header=BB125_307 Depth=1
	v_lshl_add_u64 v[0:1], v[2:3], 0, s[84:85]
	v_cmp_le_u64_e32 vcc, s[56:57], v[0:1]
	s_andn2_b64 s[16:17], s[16:17], exec
	s_and_b64 s[18:19], vcc, exec
	s_andn2_b64 s[14:15], s[14:15], exec
	s_or_b64 s[16:17], s[16:17], s[18:19]
	s_branch .LBB125_306
.LBB125_309:
	s_or_b64 exec, exec, s[8:9]
	s_and_saveexec_b64 s[0:1], s[10:11]
	s_xor_b64 s[0:1], exec, s[0:1]
	s_cbranch_execz .LBB125_311
; %bb.310:
	v_readlane_b32 s8, v54, 0
	v_readlane_b32 s0, v54, 2
	;; [unrolled: 1-line block ×4, first 2 shown]
	s_mov_b32 s10, s0
	s_mul_i32 s0, s0, s9
	s_mul_hi_u32 s1, s10, s8
	s_add_i32 s1, s1, s0
	s_mul_i32 s0, s10, s8
	v_readlane_b32 s8, v54, 12
	v_readlane_b32 s12, v54, 18
	;; [unrolled: 1-line block ×3, first 2 shown]
	s_sub_u32 s0, s8, s0
	v_readlane_b32 s14, v54, 20
	v_readlane_b32 s15, v54, 21
	s_subb_u32 s1, 0, s1
	s_mul_i32 s8, s0, s15
	s_mul_hi_u32 s9, s0, s14
	v_readlane_b32 s13, v54, 19
	s_add_i32 s8, s9, s8
	s_mul_i32 s1, s1, s14
	s_add_i32 s1, s8, s1
	s_mul_i32 s8, s10, s13
	s_mul_hi_u32 s9, s10, s12
	s_add_i32 s9, s9, s8
	s_mul_i32 s8, s10, s12
	s_lshl_b64 s[8:9], s[8:9], 3
	v_readlane_b32 s10, v54, 8
	s_mul_i32 s0, s0, s14
	v_readlane_b32 s11, v54, 9
	s_add_u32 s8, s10, s8
	s_addc_u32 s9, s11, s9
	s_lshl_b64 s[0:1], s[0:1], 3
	s_add_u32 s0, s8, s0
	s_addc_u32 s1, s9, s1
	v_mov_b32_e32 v0, 0
	global_store_dwordx2 v0, v[2:3], s[0:1]
.LBB125_311:
	s_or_b64 exec, exec, s[6:7]
.LBB125_312:
	s_or_saveexec_b64 s[0:1], s[4:5]
	s_mov_b64 s[4:5], 0
	s_xor_b64 exec, exec, s[0:1]
	s_cbranch_execnz .LBB125_315
.LBB125_313:
	s_or_b64 exec, exec, s[0:1]
	s_and_b64 s[0:1], s[4:5], exec
	s_andn2_saveexec_b64 s[2:3], s[2:3]
	s_cbranch_execz .LBB125_298
.LBB125_314:
	s_or_b64 s[0:1], s[0:1], exec
	s_trap 2
	s_or_b64 exec, exec, s[2:3]
	s_and_saveexec_b64 s[2:3], s[0:1]
	s_cbranch_execnz .LBB125_299
	s_branch .LBB125_300
.LBB125_315:
	s_mov_b64 s[4:5], exec
	s_trap 2
	s_branch .LBB125_313
	.section	.rodata,"a",@progbits
	.p2align	6, 0x0
	.amdhsa_kernel _ZN2at6native12_GLOBAL__N_112gatherMedianIfmLi2EEEvNS_4cuda6detail10TensorInfoIT_T0_EENS5_IlS7_EENS5_IKS6_S7_EES7_S7_S7_b
		.amdhsa_group_segment_fixed_size 5152
		.amdhsa_private_segment_fixed_size 0
		.amdhsa_kernarg_size 1536
		.amdhsa_user_sgpr_count 2
		.amdhsa_user_sgpr_dispatch_ptr 0
		.amdhsa_user_sgpr_queue_ptr 0
		.amdhsa_user_sgpr_kernarg_segment_ptr 1
		.amdhsa_user_sgpr_dispatch_id 0
		.amdhsa_user_sgpr_kernarg_preload_length 0
		.amdhsa_user_sgpr_kernarg_preload_offset 0
		.amdhsa_user_sgpr_private_segment_size 0
		.amdhsa_uses_dynamic_stack 0
		.amdhsa_enable_private_segment 0
		.amdhsa_system_sgpr_workgroup_id_x 1
		.amdhsa_system_sgpr_workgroup_id_y 1
		.amdhsa_system_sgpr_workgroup_id_z 1
		.amdhsa_system_sgpr_workgroup_info 0
		.amdhsa_system_vgpr_workitem_id 0
		.amdhsa_next_free_vgpr 55
		.amdhsa_next_free_sgpr 100
		.amdhsa_accum_offset 56
		.amdhsa_reserve_vcc 1
		.amdhsa_float_round_mode_32 0
		.amdhsa_float_round_mode_16_64 0
		.amdhsa_float_denorm_mode_32 3
		.amdhsa_float_denorm_mode_16_64 3
		.amdhsa_dx10_clamp 1
		.amdhsa_ieee_mode 1
		.amdhsa_fp16_overflow 0
		.amdhsa_tg_split 0
		.amdhsa_exception_fp_ieee_invalid_op 0
		.amdhsa_exception_fp_denorm_src 0
		.amdhsa_exception_fp_ieee_div_zero 0
		.amdhsa_exception_fp_ieee_overflow 0
		.amdhsa_exception_fp_ieee_underflow 0
		.amdhsa_exception_fp_ieee_inexact 0
		.amdhsa_exception_int_div_zero 0
	.end_amdhsa_kernel
	.section	.text._ZN2at6native12_GLOBAL__N_112gatherMedianIfmLi2EEEvNS_4cuda6detail10TensorInfoIT_T0_EENS5_IlS7_EENS5_IKS6_S7_EES7_S7_S7_b,"axG",@progbits,_ZN2at6native12_GLOBAL__N_112gatherMedianIfmLi2EEEvNS_4cuda6detail10TensorInfoIT_T0_EENS5_IlS7_EENS5_IKS6_S7_EES7_S7_S7_b,comdat
.Lfunc_end125:
	.size	_ZN2at6native12_GLOBAL__N_112gatherMedianIfmLi2EEEvNS_4cuda6detail10TensorInfoIT_T0_EENS5_IlS7_EENS5_IKS6_S7_EES7_S7_S7_b, .Lfunc_end125-_ZN2at6native12_GLOBAL__N_112gatherMedianIfmLi2EEEvNS_4cuda6detail10TensorInfoIT_T0_EENS5_IlS7_EENS5_IKS6_S7_EES7_S7_S7_b
                                        ; -- End function
	.set _ZN2at6native12_GLOBAL__N_112gatherMedianIfmLi2EEEvNS_4cuda6detail10TensorInfoIT_T0_EENS5_IlS7_EENS5_IKS6_S7_EES7_S7_S7_b.num_vgpr, 55
	.set _ZN2at6native12_GLOBAL__N_112gatherMedianIfmLi2EEEvNS_4cuda6detail10TensorInfoIT_T0_EENS5_IlS7_EENS5_IKS6_S7_EES7_S7_S7_b.num_agpr, 0
	.set _ZN2at6native12_GLOBAL__N_112gatherMedianIfmLi2EEEvNS_4cuda6detail10TensorInfoIT_T0_EENS5_IlS7_EENS5_IKS6_S7_EES7_S7_S7_b.numbered_sgpr, 100
	.set _ZN2at6native12_GLOBAL__N_112gatherMedianIfmLi2EEEvNS_4cuda6detail10TensorInfoIT_T0_EENS5_IlS7_EENS5_IKS6_S7_EES7_S7_S7_b.num_named_barrier, 0
	.set _ZN2at6native12_GLOBAL__N_112gatherMedianIfmLi2EEEvNS_4cuda6detail10TensorInfoIT_T0_EENS5_IlS7_EENS5_IKS6_S7_EES7_S7_S7_b.private_seg_size, 0
	.set _ZN2at6native12_GLOBAL__N_112gatherMedianIfmLi2EEEvNS_4cuda6detail10TensorInfoIT_T0_EENS5_IlS7_EENS5_IKS6_S7_EES7_S7_S7_b.uses_vcc, 1
	.set _ZN2at6native12_GLOBAL__N_112gatherMedianIfmLi2EEEvNS_4cuda6detail10TensorInfoIT_T0_EENS5_IlS7_EENS5_IKS6_S7_EES7_S7_S7_b.uses_flat_scratch, 0
	.set _ZN2at6native12_GLOBAL__N_112gatherMedianIfmLi2EEEvNS_4cuda6detail10TensorInfoIT_T0_EENS5_IlS7_EENS5_IKS6_S7_EES7_S7_S7_b.has_dyn_sized_stack, 0
	.set _ZN2at6native12_GLOBAL__N_112gatherMedianIfmLi2EEEvNS_4cuda6detail10TensorInfoIT_T0_EENS5_IlS7_EENS5_IKS6_S7_EES7_S7_S7_b.has_recursion, 0
	.set _ZN2at6native12_GLOBAL__N_112gatherMedianIfmLi2EEEvNS_4cuda6detail10TensorInfoIT_T0_EENS5_IlS7_EENS5_IKS6_S7_EES7_S7_S7_b.has_indirect_call, 0
	.section	.AMDGPU.csdata,"",@progbits
; Kernel info:
; codeLenInByte = 16208
; TotalNumSgprs: 106
; NumVgprs: 55
; NumAgprs: 0
; TotalNumVgprs: 55
; ScratchSize: 0
; MemoryBound: 0
; FloatMode: 240
; IeeeMode: 1
; LDSByteSize: 5152 bytes/workgroup (compile time only)
; SGPRBlocks: 13
; VGPRBlocks: 6
; NumSGPRsForWavesPerEU: 106
; NumVGPRsForWavesPerEU: 55
; AccumOffset: 56
; Occupancy: 7
; WaveLimiterHint : 1
; COMPUTE_PGM_RSRC2:SCRATCH_EN: 0
; COMPUTE_PGM_RSRC2:USER_SGPR: 2
; COMPUTE_PGM_RSRC2:TRAP_HANDLER: 0
; COMPUTE_PGM_RSRC2:TGID_X_EN: 1
; COMPUTE_PGM_RSRC2:TGID_Y_EN: 1
; COMPUTE_PGM_RSRC2:TGID_Z_EN: 1
; COMPUTE_PGM_RSRC2:TIDIG_COMP_CNT: 0
; COMPUTE_PGM_RSRC3_GFX90A:ACCUM_OFFSET: 13
; COMPUTE_PGM_RSRC3_GFX90A:TG_SPLIT: 0
	.section	.text._ZN2at6native12_GLOBAL__N_112gatherMedianIfmLi3EEEvNS_4cuda6detail10TensorInfoIT_T0_EENS5_IlS7_EENS5_IKS6_S7_EES7_S7_S7_b,"axG",@progbits,_ZN2at6native12_GLOBAL__N_112gatherMedianIfmLi3EEEvNS_4cuda6detail10TensorInfoIT_T0_EENS5_IlS7_EENS5_IKS6_S7_EES7_S7_S7_b,comdat
	.globl	_ZN2at6native12_GLOBAL__N_112gatherMedianIfmLi3EEEvNS_4cuda6detail10TensorInfoIT_T0_EENS5_IlS7_EENS5_IKS6_S7_EES7_S7_S7_b ; -- Begin function _ZN2at6native12_GLOBAL__N_112gatherMedianIfmLi3EEEvNS_4cuda6detail10TensorInfoIT_T0_EENS5_IlS7_EENS5_IKS6_S7_EES7_S7_S7_b
	.p2align	8
	.type	_ZN2at6native12_GLOBAL__N_112gatherMedianIfmLi3EEEvNS_4cuda6detail10TensorInfoIT_T0_EENS5_IlS7_EENS5_IKS6_S7_EES7_S7_S7_b,@function
_ZN2at6native12_GLOBAL__N_112gatherMedianIfmLi3EEEvNS_4cuda6detail10TensorInfoIT_T0_EENS5_IlS7_EENS5_IKS6_S7_EES7_S7_S7_b: ; @_ZN2at6native12_GLOBAL__N_112gatherMedianIfmLi3EEEvNS_4cuda6detail10TensorInfoIT_T0_EENS5_IlS7_EENS5_IKS6_S7_EES7_S7_S7_b
; %bb.0:
	s_load_dwordx2 s[12:13], s[0:1], 0x500
	s_load_dwordx4 s[56:59], s[0:1], 0x4e0
	s_add_u32 s16, s0, 0x500
	s_addc_u32 s17, s1, 0
	s_mov_b32 s25, 0
	s_waitcnt lgkmcnt(0)
	s_mul_i32 s4, s13, s4
	s_add_i32 s3, s4, s3
	s_mul_i32 s3, s3, s12
	s_add_i32 s24, s3, s2
	v_mov_b64_e32 v[2:3], s[24:25]
	v_cmp_le_u64_e32 vcc, s[58:59], v[2:3]
	s_cbranch_vccnz .LBB126_306
; %bb.1:
	s_load_dwordx4 s[8:11], s[0:1], 0x10
	s_mov_b64 s[18:19], 0
	s_mov_b64 s[14:15], 0
	s_waitcnt lgkmcnt(0)
	v_mov_b64_e32 v[2:3], s[10:11]
	v_cmp_lt_u64_e32 vcc, s[24:25], v[2:3]
	s_cbranch_vccnz .LBB126_3
; %bb.2:
	v_cvt_f32_u32_e32 v1, s10
	s_sub_i32 s3, 0, s10
	s_mov_b32 s15, 0
	v_rcp_iflag_f32_e32 v1, v1
	s_nop 0
	v_mul_f32_e32 v1, 0x4f7ffffe, v1
	v_cvt_u32_f32_e32 v1, v1
	s_nop 0
	v_readfirstlane_b32 s4, v1
	s_mul_i32 s3, s3, s4
	s_mul_hi_u32 s3, s4, s3
	s_add_i32 s4, s4, s3
	s_mul_hi_u32 s3, s24, s4
	s_mul_i32 s5, s3, s10
	s_sub_i32 s5, s24, s5
	s_add_i32 s4, s3, 1
	s_sub_i32 s6, s5, s10
	s_cmp_ge_u32 s5, s10
	s_cselect_b32 s3, s4, s3
	s_cselect_b32 s5, s6, s5
	s_add_i32 s4, s3, 1
	s_cmp_ge_u32 s5, s10
	s_cselect_b32 s14, s4, s3
.LBB126_3:
	s_load_dwordx4 s[20:23], s[0:1], 0x1b0
                                        ; implicit-def: $vgpr54 : SGPR spill to VGPR lane
	v_mov_b64_e32 v[2:3], s[8:9]
	v_cmp_lt_u64_e32 vcc, s[14:15], v[2:3]
	s_and_b64 vcc, exec, vcc
	s_waitcnt lgkmcnt(0)
	v_writelane_b32 v54, s20, 0
	s_nop 1
	v_writelane_b32 v54, s21, 1
	v_writelane_b32 v54, s22, 2
	;; [unrolled: 1-line block ×3, first 2 shown]
	s_cbranch_vccnz .LBB126_5
; %bb.4:
	v_cvt_f32_u32_e32 v1, s8
	s_sub_i32 s3, 0, s8
	s_load_dwordx4 s[20:23], s[0:1], 0x1b0
	v_rcp_iflag_f32_e32 v1, v1
	s_nop 0
	v_mul_f32_e32 v1, 0x4f7ffffe, v1
	v_cvt_u32_f32_e32 v1, v1
	s_nop 0
	v_readfirstlane_b32 s4, v1
	s_mul_i32 s3, s3, s4
	s_mul_hi_u32 s3, s4, s3
	s_add_i32 s4, s4, s3
	s_mul_hi_u32 s3, s14, s4
	s_mul_i32 s5, s3, s8
	s_sub_i32 s5, s14, s5
	s_add_i32 s4, s3, 1
	s_sub_i32 s6, s5, s8
	s_cmp_ge_u32 s5, s8
	s_cselect_b32 s3, s4, s3
	s_cselect_b32 s5, s6, s5
	s_add_i32 s4, s3, 1
	s_cmp_ge_u32 s5, s8
	s_cselect_b32 s18, s4, s3
.LBB126_5:
	v_writelane_b32 v54, s18, 4
	s_waitcnt lgkmcnt(0)
	v_mov_b64_e32 v[2:3], s[22:23]
	v_cmp_lt_u64_e32 vcc, s[24:25], v[2:3]
	v_writelane_b32 v54, s19, 5
	v_writelane_b32 v54, s14, 6
	s_mov_b64 s[4:5], 0
	s_and_b64 vcc, exec, vcc
	v_writelane_b32 v54, s15, 7
	v_writelane_b32 v54, s8, 8
	s_mov_b64 s[6:7], 0
	s_nop 0
	v_writelane_b32 v54, s9, 9
	v_writelane_b32 v54, s10, 10
	;; [unrolled: 1-line block ×4, first 2 shown]
	s_nop 1
	v_writelane_b32 v54, s5, 13
	s_cbranch_vccnz .LBB126_7
; %bb.6:
	v_cvt_f32_u32_e32 v1, s22
	s_sub_i32 s3, 0, s22
	s_mov_b32 s7, 0
	v_rcp_iflag_f32_e32 v1, v1
	s_nop 0
	v_mul_f32_e32 v1, 0x4f7ffffe, v1
	v_cvt_u32_f32_e32 v1, v1
	s_nop 0
	v_readfirstlane_b32 s4, v1
	s_mul_i32 s3, s3, s4
	s_mul_hi_u32 s3, s4, s3
	s_add_i32 s4, s4, s3
	s_mul_hi_u32 s3, s24, s4
	s_mul_i32 s5, s3, s22
	s_sub_i32 s5, s24, s5
	s_add_i32 s4, s3, 1
	s_sub_i32 s6, s5, s22
	s_cmp_ge_u32 s5, s22
	s_cselect_b32 s3, s4, s3
	s_cselect_b32 s5, s6, s5
	s_add_i32 s4, s3, 1
	s_cmp_ge_u32 s5, s22
	s_cselect_b32 s6, s4, s3
.LBB126_7:
	s_mov_b64 s[18:19], s[6:7]
	s_load_dwordx2 s[14:15], s[0:1], 0x420
	s_load_dwordx4 s[4:7], s[0:1], 0x410
	s_load_dwordx4 s[8:11], s[0:1], 0x350
	s_load_dwordx2 s[82:83], s[0:1], 0x4f0
	v_mov_b64_e32 v[2:3], s[20:21]
	v_writelane_b32 v54, s18, 14
	s_nop 1
	v_cmp_lt_u64_e32 vcc, s[18:19], v[2:3]
	v_writelane_b32 v54, s19, 15
	s_cbranch_vccnz .LBB126_9
; %bb.8:
	s_load_dwordx4 s[20:23], s[0:1], 0x1b0
	s_waitcnt lgkmcnt(0)
	v_readlane_b32 s22, v54, 14
	v_readlane_b32 s23, v54, 15
	v_cvt_f32_u32_e32 v1, s20
	s_sub_i32 s3, 0, s20
	v_rcp_iflag_f32_e32 v1, v1
	s_nop 0
	v_mul_f32_e32 v1, 0x4f7ffffe, v1
	v_cvt_u32_f32_e32 v1, v1
	s_nop 0
	v_readfirstlane_b32 s13, v1
	s_mul_i32 s3, s3, s13
	s_mul_hi_u32 s3, s13, s3
	s_add_i32 s13, s13, s3
	s_mul_hi_u32 s3, s22, s13
	s_mul_i32 s18, s3, s20
	s_sub_i32 s18, s22, s18
	s_add_i32 s13, s3, 1
	s_sub_i32 s19, s18, s20
	s_cmp_ge_u32 s18, s20
	s_cselect_b32 s3, s13, s3
	s_cselect_b32 s18, s19, s18
	s_add_i32 s13, s3, 1
	s_cmp_ge_u32 s18, s20
	s_cselect_b32 s18, s13, s3
	v_writelane_b32 v54, s18, 12
	s_nop 1
	v_writelane_b32 v54, s19, 13
.LBB126_9:
	s_load_dwordx2 s[18:19], s[0:1], 0x340
	s_waitcnt lgkmcnt(0)
	v_mov_b64_e32 v[2:3], s[10:11]
	v_cmp_lt_u64_e32 vcc, s[24:25], v[2:3]
	s_mov_b64 s[20:21], 0
	s_mov_b64 s[22:23], 0
	s_cbranch_vccnz .LBB126_11
; %bb.10:
	v_cvt_f32_u32_e32 v1, s10
	s_sub_i32 s3, 0, s10
	s_mov_b32 s23, 0
	v_rcp_iflag_f32_e32 v1, v1
	s_nop 0
	v_mul_f32_e32 v1, 0x4f7ffffe, v1
	v_cvt_u32_f32_e32 v1, v1
	s_nop 0
	v_readfirstlane_b32 s13, v1
	s_mul_i32 s3, s3, s13
	s_mul_hi_u32 s3, s13, s3
	s_add_i32 s13, s13, s3
	s_mul_hi_u32 s3, s24, s13
	s_mul_i32 s21, s3, s10
	s_sub_i32 s21, s24, s21
	s_add_i32 s13, s3, 1
	s_sub_i32 s22, s21, s10
	s_cmp_ge_u32 s21, s10
	s_cselect_b32 s3, s13, s3
	s_cselect_b32 s21, s22, s21
	s_add_i32 s13, s3, 1
	s_cmp_ge_u32 s21, s10
	s_cselect_b32 s22, s13, s3
.LBB126_11:
	s_load_dwordx2 s[26:27], s[0:1], 0x280
	s_load_dwordx4 s[28:31], s[0:1], 0x270
	v_mov_b64_e32 v[2:3], s[8:9]
	v_cmp_lt_u64_e32 vcc, s[22:23], v[2:3]
	s_and_b64 vcc, exec, vcc
	s_waitcnt lgkmcnt(0)
	v_writelane_b32 v54, s26, 16
	s_nop 1
	v_writelane_b32 v54, s27, 17
	v_writelane_b32 v54, s28, 18
	s_load_dwordx2 s[26:27], s[0:1], 0xe0
	s_nop 0
	v_writelane_b32 v54, s29, 19
	v_writelane_b32 v54, s30, 20
	;; [unrolled: 1-line block ×3, first 2 shown]
	s_load_dwordx4 s[28:31], s[0:1], 0xd0
	s_waitcnt lgkmcnt(0)
	v_writelane_b32 v54, s26, 22
	s_nop 1
	v_writelane_b32 v54, s27, 23
	v_writelane_b32 v54, s28, 24
	s_nop 1
	v_writelane_b32 v54, s29, 25
	v_writelane_b32 v54, s30, 26
	;; [unrolled: 1-line block ×3, first 2 shown]
	s_cbranch_vccnz .LBB126_13
; %bb.12:
	v_cvt_f32_u32_e32 v1, s8
	s_sub_i32 s3, 0, s8
	v_rcp_iflag_f32_e32 v1, v1
	s_nop 0
	v_mul_f32_e32 v1, 0x4f7ffffe, v1
	v_cvt_u32_f32_e32 v1, v1
	s_nop 0
	v_readfirstlane_b32 s13, v1
	s_mul_i32 s3, s3, s13
	s_mul_hi_u32 s3, s13, s3
	s_add_i32 s13, s13, s3
	s_mul_hi_u32 s3, s22, s13
	s_mul_i32 s20, s3, s8
	s_sub_i32 s20, s22, s20
	s_add_i32 s13, s3, 1
	s_sub_i32 s21, s20, s8
	s_cmp_ge_u32 s20, s8
	s_cselect_b32 s3, s13, s3
	s_cselect_b32 s20, s21, s20
	s_add_i32 s13, s3, 1
	s_cmp_ge_u32 s20, s8
	s_cselect_b32 s20, s13, s3
.LBB126_13:
	s_load_dwordx2 s[26:27], s[0:1], 0x1a0
	s_mul_i32 s3, s22, s11
	s_mul_hi_u32 s11, s22, s10
	s_add_i32 s11, s11, s3
	s_mul_i32 s3, s22, s10
	s_waitcnt lgkmcnt(0)
	v_writelane_b32 v54, s26, 28
	s_mov_b32 s10, s24
	s_sub_u32 s3, s24, s3
	v_writelane_b32 v54, s27, 29
	s_load_dwordx2 s[26:27], s[0:1], 0x0
	s_mul_hi_u32 s13, s3, s14
	v_mov_b32_e32 v1, 0
	v_mov_b64_e32 v[2:3], 0
	s_waitcnt lgkmcnt(0)
	v_writelane_b32 v54, s26, 30
	s_nop 1
	v_writelane_b32 v54, s27, 31
	v_writelane_b32 v54, s10, 32
	s_nop 1
	v_writelane_b32 v54, s11, 33
	s_subb_u32 s10, 0, s11
	s_mul_i32 s11, s3, s15
	s_add_i32 s11, s13, s11
	s_mul_i32 s10, s10, s14
	s_add_i32 s11, s11, s10
	s_mul_i32 s10, s3, s14
	s_mul_i32 s3, s20, s9
	s_mul_hi_u32 s9, s20, s8
	s_add_i32 s9, s9, s3
	s_mul_i32 s3, s20, s8
	s_sub_u32 s3, s22, s3
	s_subb_u32 s8, s23, s9
	s_mul_i32 s7, s3, s7
	s_mul_hi_u32 s9, s3, s6
	s_mul_i32 s8, s8, s6
	s_mul_i32 s6, s3, s6
	;; [unrolled: 1-line block ×3, first 2 shown]
	s_mul_hi_u32 s5, s20, s4
	s_add_i32 s7, s9, s7
	s_add_i32 s5, s5, s3
	s_mul_i32 s4, s20, s4
	s_add_i32 s7, s7, s8
	s_lshl_b64 s[4:5], s[4:5], 2
	s_add_u32 s3, s18, s4
	s_addc_u32 s8, s19, s5
	s_lshl_b64 s[4:5], s[6:7], 2
	s_add_u32 s3, s3, s4
	s_addc_u32 s6, s8, s5
	;; [unrolled: 3-line block ×3, first 2 shown]
	v_cmp_gt_u64_e64 s[6:7], s[56:57], v[0:1]
	s_mov_b64 s[4:5], exec
	s_nop 0
	v_writelane_b32 v54, s6, 34
	s_nop 1
	v_writelane_b32 v54, s7, 35
	s_and_b64 s[6:7], s[4:5], s[6:7]
	s_mov_b64 exec, s[6:7]
	s_cbranch_execz .LBB126_17
; %bb.14:
	s_load_dword s3, s[16:17], 0xc
	s_mov_b32 s7, 0
	s_mov_b64 s[8:9], 0
	v_mov_b64_e32 v[2:3], 0
	v_mov_b64_e32 v[4:5], v[0:1]
	s_waitcnt lgkmcnt(0)
	s_and_b32 s6, s3, 0xffff
.LBB126_15:                             ; =>This Inner Loop Header: Depth=1
	v_mul_lo_u32 v8, v5, s82
	v_mul_lo_u32 v9, v4, s83
	v_mad_u64_u32 v[6:7], s[10:11], v4, s82, 0
	v_add3_u32 v7, v7, v9, v8
	v_lshl_add_u64 v[6:7], v[6:7], 2, s[90:91]
	global_load_dword v6, v[6:7], off
	v_lshl_add_u64 v[4:5], v[4:5], 0, s[6:7]
	v_cmp_le_u64_e32 vcc, s[56:57], v[4:5]
	s_or_b64 s[8:9], vcc, s[8:9]
	v_mov_b32_e32 v7, s7
	s_waitcnt vmcnt(0)
	v_cmp_u_f32_e32 vcc, v6, v6
	s_nop 1
	v_cndmask_b32_e64 v6, 0, 1, vcc
	v_lshl_add_u64 v[2:3], v[2:3], 0, v[6:7]
	s_andn2_b64 exec, exec, s[8:9]
	s_cbranch_execnz .LBB126_15
; %bb.16:
	s_or_b64 exec, exec, s[8:9]
.LBB126_17:
	s_or_b64 exec, exec, s[4:5]
	v_cmp_eq_u32_e64 s[6:7], 0, v0
	s_mov_b64 s[4:5], exec
	s_nop 0
	v_writelane_b32 v54, s6, 36
	s_nop 1
	v_writelane_b32 v54, s7, 37
	s_and_b64 s[6:7], s[4:5], s[6:7]
	s_mov_b64 exec, s[6:7]
; %bb.18:
	v_mov_b32_e32 v4, 0
	v_mov_b32_e32 v5, v4
	ds_write_b64 v4, v[4:5] offset:5136
; %bb.19:
	s_or_b64 exec, exec, s[4:5]
	s_mov_b64 s[6:7], 0
	v_cmp_ne_u64_e32 vcc, 0, v[2:3]
	s_waitcnt lgkmcnt(0)
	s_barrier
	s_and_saveexec_b64 s[4:5], vcc
	s_cbranch_execz .LBB126_24
; %bb.20:
	s_mov_b64 s[8:9], exec
.LBB126_21:                             ; =>This Inner Loop Header: Depth=1
	s_ff1_i32_b64 s3, s[8:9]
	v_readlane_b32 s11, v2, s3
	v_readlane_b32 s10, v3, s3
	s_add_u32 s6, s6, s11
	s_addc_u32 s7, s7, s10
	s_lshl_b64 s[10:11], 1, s3
	s_andn2_b64 s[8:9], s[8:9], s[10:11]
	s_cmp_lg_u64 s[8:9], 0
	s_cbranch_scc1 .LBB126_21
; %bb.22:
	v_mbcnt_lo_u32_b32 v2, exec_lo, 0
	v_mbcnt_hi_u32_b32 v2, exec_hi, v2
	v_cmp_eq_u32_e32 vcc, 0, v2
	s_and_saveexec_b64 s[8:9], vcc
	s_xor_b64 s[8:9], exec, s[8:9]
; %bb.23:
	v_mov_b32_e32 v2, 0
	v_mov_b64_e32 v[4:5], s[6:7]
	ds_add_u64 v2, v[4:5] offset:5136
.LBB126_24:
	s_or_b64 exec, exec, s[4:5]
	v_mov_b32_e32 v3, 0
	s_waitcnt lgkmcnt(0)
	s_barrier
	ds_read_b64 v[4:5], v3 offset:5136
	s_waitcnt lgkmcnt(0)
	v_readfirstlane_b32 s4, v4
	v_readfirstlane_b32 s5, v5
	s_mov_b64 s[6:7], exec
	v_readlane_b32 s8, v54, 36
	v_readlane_b32 s9, v54, 37
	s_and_b64 s[8:9], s[6:7], s[8:9]
	s_mov_b64 exec, s[8:9]
	s_cbranch_execz .LBB126_26
; %bb.25:
	v_mov_b32_e32 v4, 0
	v_mov_b32_e32 v6, s56
	;; [unrolled: 1-line block ×4, first 2 shown]
	ds_write_b32 v4, v4 offset:5144
	ds_write_b128 v4, v[4:7] offset:5120
.LBB126_26:
	s_or_b64 exec, exec, s[6:7]
	s_load_dword s3, s[0:1], 0x4f8
	v_cmp_lt_i64_e64 s[0:1], s[4:5], 1
	v_mbcnt_lo_u32_b32 v2, -1, 0
	v_mbcnt_hi_u32_b32 v30, -1, v2
	v_cmp_gt_u32_e32 vcc, 64, v0
	s_waitcnt lgkmcnt(0)
	s_bitcmp1_b32 s3, 0
	s_cselect_b64 s[6:7], -1, 0
	s_not_b64 s[4:5], s[4:5]
	s_or_b64 s[0:1], s[6:7], s[0:1]
	s_add_u32 s4, s56, s4
	s_addc_u32 s5, s57, s5
	s_lshr_b64 s[4:5], s[4:5], 1
	s_add_u32 s3, s4, 1
	s_addc_u32 s4, s5, 0
	s_and_b64 s[0:1], s[0:1], exec
	v_cmp_gt_i32_e64 s[0:1], 4, v30
	s_cselect_b32 s9, s4, s57
	s_cselect_b32 s8, s3, s56
	s_and_b64 s[88:89], vcc, s[0:1]
	v_cmp_gt_u32_e64 s[0:1], 2, v0
	v_mov_b64_e32 v[4:5], 0x300
	s_nop 0
	v_writelane_b32 v54, s0, 38
	s_barrier
	s_nop 0
	v_writelane_b32 v54, s1, 39
	v_cmp_gt_u64_e64 s[0:1], s[56:57], v[4:5]
	s_mov_b32 s99, 0
	v_lshlrev_b32_e32 v12, 2, v0
	v_writelane_b32 v54, s0, 40
	v_cmp_eq_u32_e64 s[4:5], 0, v30
	v_add_u32_e32 v31, 0xc00, v12
	v_writelane_b32 v54, s1, 41
	v_mad_u64_u32 v[4:5], s[0:1], s82, v0, 0
	v_mov_b32_e32 v2, v5
	v_mad_u64_u32 v[6:7], s[0:1], s83, v0, v[2:3]
	s_load_dword s0, s[16:17], 0xc
	v_lshlrev_b32_e32 v2, 2, v30
	v_and_b32_e32 v32, 0x100, v2
	v_lshrrev_b32_e32 v2, 1, v0
	v_mov_b32_e32 v5, v6
	s_waitcnt lgkmcnt(0)
	s_and_b32 s96, s0, 0xffff
	s_bfe_u32 s0, s0, 0xa0006
	v_and_b32_e32 v2, 0x1e0, v2
	v_lshl_add_u64 v[14:15], v[4:5], 2, s[90:91]
	v_lshlrev_b64 v[4:5], v30, -1
	s_cmp_gt_u32 s96, 63
	v_or_b32_e32 v33, 0xc00, v2
	v_add_u32_e32 v2, 2, v0
	v_not_b32_e32 v16, v4
	s_cselect_b64 s[6:7], -1, 0
	s_add_u32 s1, s96, -1
	v_mov_b32_e32 v4, s57
	v_cmp_gt_u64_e32 vcc, s[56:57], v[2:3]
	v_not_b32_e32 v17, v5
	v_writelane_b32 v54, s6, 42
	s_addc_u32 s3, 0, -1
	v_cndmask_b32_e32 v5, 0, v4, vcc
	v_mov_b32_e32 v4, s56
	v_writelane_b32 v54, s7, 43
	s_add_u32 s76, s1, s56
	v_cndmask_b32_e32 v4, v2, v4, vcc
	v_mov_b32_e32 v7, -1
	v_not_b32_e32 v6, v0
	v_writelane_b32 v54, s1, 44
	s_addc_u32 s69, s3, s57
	v_lshl_add_u64 v[4:5], v[4:5], 0, v[6:7]
	v_writelane_b32 v54, s3, 45
	s_cmp_lt_u32 s2, s12
	v_cmp_lt_u64_e64 s[2:3], 1, v[4:5]
	s_cselect_b32 s1, 12, 18
	v_and_b32_e32 v18, -2, v4
	v_writelane_b32 v54, s2, 46
	v_mov_b32_e32 v19, v5
	s_add_u32 s70, s16, s1
	v_writelane_b32 v54, s3, 47
	v_cmp_ne_u64_e64 s[2:3], v[4:5], v[18:19]
	s_addc_u32 s71, s17, 0
	s_add_i32 s1, s0, -1
	v_writelane_b32 v54, s2, 48
	s_and_b32 s1, s1, 0xffff
	v_mov_b32_e32 v2, 0xc00
	v_writelane_b32 v54, s3, 49
	s_bfe_u32 s2, s96, 0x30006
	s_cmp_gt_u32 s1, 6
	s_cselect_b64 s[6:7], -1, 0
	v_writelane_b32 v54, s6, 50
	s_and_b32 s86, s0, 0x3f8
	s_cmp_lg_u32 s2, 0
	v_writelane_b32 v54, s7, 51
	v_writelane_b32 v54, s2, 52
	s_cselect_b64 s[0:1], -1, 0
	v_mov_b32_e32 v13, v3
	s_mov_b32 s97, s99
	v_lshl_add_u64 v[20:21], v[18:19], 0, v[0:1]
	s_mov_b32 s33, s82
	s_mov_b32 s77, s83
	v_writelane_b32 v54, s0, 53
	v_lshlrev_b32_e32 v35, 4, v0
	v_lshl_or_b32 v36, v30, 3, v2
	s_lshl_b32 s87, s96, 2
	s_mov_b32 s6, 30
	s_mov_b64 s[12:13], 0
	v_mov_b64_e32 v[26:27], s[8:9]
	v_mov_b64_e32 v[40:41], s[56:57]
	v_mov_b32_e32 v22, 1.0
	v_bfrev_b32_e32 v37, 1
	v_mov_b32_e32 v38, 0x4f800000
	v_mov_b32_e32 v25, 0
	s_mov_b32 s7, 0
	v_mov_b32_e32 v34, 0
	v_mov_b32_e32 v39, 0
	v_writelane_b32 v54, s1, 54
                                        ; implicit-def: $sgpr92_sgpr93
                                        ; implicit-def: $sgpr72_sgpr73
                                        ; implicit-def: $sgpr10_sgpr11
                                        ; implicit-def: $sgpr84_sgpr85
                                        ; implicit-def: $sgpr58_sgpr59
                                        ; implicit-def: $sgpr74_sgpr75
	s_branch .LBB126_30
.LBB126_27:                             ;   in Loop: Header=BB126_30 Depth=1
	s_or_b64 exec, exec, s[18:19]
	s_and_b64 s[14:15], s[14:15], exec
	s_andn2_b64 s[24:25], s[24:25], exec
	s_andn2_b64 s[0:1], s[0:1], exec
	s_orn2_b64 s[18:19], s[8:9], exec
.LBB126_28:                             ;   in Loop: Header=BB126_30 Depth=1
	s_or_b64 exec, exec, s[2:3]
	s_andn2_b64 s[2:3], s[74:75], exec
	s_and_b64 s[8:9], s[14:15], exec
	s_or_b64 s[74:75], s[2:3], s[8:9]
	s_andn2_b64 s[2:3], s[58:59], exec
	s_and_b64 s[8:9], s[24:25], exec
	s_or_b64 s[58:59], s[2:3], s[8:9]
	;; [unrolled: 3-line block ×3, first 2 shown]
	s_orn2_b64 s[0:1], s[18:19], exec
.LBB126_29:                             ;   in Loop: Header=BB126_30 Depth=1
	s_or_b64 exec, exec, s[16:17]
	s_and_b64 s[0:1], exec, s[0:1]
	s_or_b64 s[12:13], s[0:1], s[12:13]
	s_andn2_b64 s[0:1], s[10:11], exec
	s_and_b64 s[2:3], s[74:75], exec
	s_or_b64 s[10:11], s[0:1], s[2:3]
	s_andn2_b64 s[0:1], s[72:73], exec
	s_and_b64 s[2:3], s[58:59], exec
	;; [unrolled: 3-line block ×3, first 2 shown]
	s_or_b64 s[92:93], s[0:1], s[2:3]
	v_mov_b64_e32 v[26:27], v[8:9]
	s_andn2_b64 exec, exec, s[12:13]
	s_cbranch_execz .LBB126_302
.LBB126_30:                             ; =>This Loop Header: Depth=1
                                        ;     Child Loop BB126_36 Depth 2
                                        ;     Child Loop BB126_50 Depth 2
	;; [unrolled: 1-line block ×17, first 2 shown]
	ds_read_b128 v[4:7], v3 offset:5120
	s_waitcnt lgkmcnt(0)
	v_readfirstlane_b32 s81, v5
	v_readfirstlane_b32 s80, v4
	s_cmp_lg_u64 s[80:81], 0
	s_cbranch_scc1 .LBB126_63
; %bb.31:                               ;   in Loop: Header=BB126_30 Depth=1
	v_readlane_b32 s0, v54, 40
	v_readlane_b32 s1, v54, 41
	s_and_b64 vcc, exec, s[0:1]
	s_cbranch_vccz .LBB126_44
; %bb.32:                               ;   in Loop: Header=BB126_30 Depth=1
	s_mov_b64 s[0:1], 0x301
	v_cmp_gt_u64_e32 vcc, s[0:1], v[6:7]
	s_mov_b64 s[8:9], 0
	s_mov_b64 s[0:1], 0
	s_cbranch_vccz .LBB126_45
; %bb.33:                               ;   in Loop: Header=BB126_30 Depth=1
	s_mov_b64 s[14:15], exec
	v_readlane_b32 s0, v54, 34
	v_readlane_b32 s1, v54, 35
	s_and_b64 s[0:1], s[14:15], s[0:1]
	s_mov_b64 exec, s[0:1]
	s_cbranch_execz .LBB126_164
; %bb.34:                               ;   in Loop: Header=BB126_30 Depth=1
	global_load_ushort v2, v3, s[70:71]
	global_load_dword v6, v[14:15], off
	s_mov_b64 s[16:17], 0
	v_mov_b64_e32 v[4:5], v[0:1]
	s_waitcnt vmcnt(1)
	v_and_b32_e32 v2, 0xffff, v2
	s_branch .LBB126_36
.LBB126_35:                             ;   in Loop: Header=BB126_36 Depth=2
	s_or_b64 exec, exec, s[2:3]
	v_mov_b32_e32 v6, v7
	s_andn2_b64 exec, exec, s[16:17]
	s_cbranch_execz .LBB126_164
.LBB126_36:                             ;   Parent Loop BB126_30 Depth=1
                                        ; =>  This Inner Loop Header: Depth=2
	v_lshl_add_u64 v[4:5], v[4:5], 0, v[2:3]
	v_cmp_gt_u64_e64 s[0:1], s[56:57], v[4:5]
	v_cmp_le_u64_e32 vcc, s[56:57], v[4:5]
	s_waitcnt lgkmcnt(0)
	v_mov_b32_e32 v8, 0
	v_mov_b32_e32 v7, 0
	s_and_saveexec_b64 s[2:3], s[0:1]
	s_cbranch_execz .LBB126_38
; %bb.37:                               ;   in Loop: Header=BB126_36 Depth=2
	v_mul_lo_u32 v7, v5, s82
	v_mul_lo_u32 v9, v4, s83
	v_mad_u64_u32 v[10:11], s[0:1], v4, s82, 0
	v_add3_u32 v11, v11, v9, v7
	v_lshl_add_u64 v[10:11], v[10:11], 2, s[90:91]
	global_load_dword v7, v[10:11], off
.LBB126_38:                             ;   in Loop: Header=BB126_36 Depth=2
	s_or_b64 exec, exec, s[2:3]
	s_waitcnt vmcnt(0)
	v_cmp_lt_i32_e64 s[0:1], -1, v6
	s_nop 1
	v_cndmask_b32_e64 v9, -1, v37, s[0:1]
	v_xor_b32_e32 v9, v9, v6
	v_cmp_o_f32_e64 s[0:1], v6, v6
	s_nop 1
	v_cndmask_b32_e64 v9, -1, v9, s[0:1]
	v_and_b32_e32 v9, v9, v39
	v_cmp_eq_u32_e64 s[0:1], v9, v34
	s_cmp_lg_u64 s[0:1], 0
	s_cselect_b64 s[2:3], -1, 0
	s_and_b64 s[2:3], s[4:5], s[2:3]
	s_and_saveexec_b64 s[18:19], s[2:3]
	s_cbranch_execz .LBB126_42
; %bb.39:                               ;   in Loop: Header=BB126_36 Depth=2
	s_mov_b64 s[22:23], exec
	v_mbcnt_lo_u32_b32 v8, s22, 0
	v_mbcnt_hi_u32_b32 v8, s23, v8
	s_bcnt1_i32_b64 s24, s[0:1]
	v_cmp_eq_u32_e64 s[2:3], 0, v8
                                        ; implicit-def: $vgpr9
	s_and_saveexec_b64 s[20:21], s[2:3]
; %bb.40:                               ;   in Loop: Header=BB126_36 Depth=2
	s_bcnt1_i32_b64 s2, s[22:23]
	s_mul_i32 s2, s24, s2
	v_mov_b32_e32 v9, s2
	ds_add_rtn_u32 v9, v3, v9 offset:5144
; %bb.41:                               ;   in Loop: Header=BB126_36 Depth=2
	s_or_b64 exec, exec, s[20:21]
	s_waitcnt lgkmcnt(0)
	v_readfirstlane_b32 s2, v9
	s_nop 1
	v_mov_b32_e32 v9, s2
	v_mad_u32_u24 v8, s24, v8, v9
.LBB126_42:                             ;   in Loop: Header=BB126_36 Depth=2
	s_or_b64 exec, exec, s[18:19]
	ds_bpermute_b32 v8, v32, v8
	s_and_b64 s[2:3], exec, vcc
	s_or_b64 s[16:17], s[2:3], s[16:17]
	s_and_saveexec_b64 s[2:3], s[0:1]
	s_cbranch_execz .LBB126_35
; %bb.43:                               ;   in Loop: Header=BB126_36 Depth=2
	v_and_b32_e32 v10, s0, v16
	v_and_b32_e32 v9, s1, v17
	v_bcnt_u32_b32 v10, v10, 0
	v_bcnt_u32_b32 v9, v9, v10
	v_lshlrev_b32_e32 v9, 2, v9
	s_waitcnt lgkmcnt(0)
	v_lshl_add_u32 v8, v8, 2, v9
	ds_write_b32 v8, v6
	s_branch .LBB126_35
.LBB126_44:                             ;   in Loop: Header=BB126_30 Depth=1
	s_mov_b64 s[8:9], -1
	s_mov_b64 s[0:1], 0
.LBB126_45:                             ;   in Loop: Header=BB126_30 Depth=1
	s_and_b64 vcc, exec, s[8:9]
	s_cbranch_vccz .LBB126_61
.LBB126_46:                             ;   in Loop: Header=BB126_30 Depth=1
	s_mov_b64 s[0:1], exec
	v_readlane_b32 s2, v54, 34
	v_readlane_b32 s3, v54, 35
	s_and_b64 s[2:3], s[0:1], s[2:3]
	s_mov_b64 exec, s[2:3]
	s_cbranch_execz .LBB126_58
; %bb.47:                               ;   in Loop: Header=BB126_30 Depth=1
	global_load_ushort v2, v3, s[70:71]
	global_load_dword v10, v[14:15], off
	v_mov_b32_e32 v6, v0
	s_waitcnt vmcnt(1)
	v_readfirstlane_b32 s8, v2
	v_add_u32_sdwa v2, v2, v0 dst_sel:DWORD dst_unused:UNUSED_PAD src0_sel:WORD_0 src1_sel:DWORD
	v_cmp_gt_u64_e32 vcc, s[56:57], v[2:3]
	s_and_saveexec_b64 s[2:3], vcc
	s_cbranch_execz .LBB126_57
; %bb.48:                               ;   in Loop: Header=BB126_30 Depth=1
	s_and_b32 s98, s8, 0xffff
	s_cmp_eq_u32 s98, 1
	v_readlane_b32 s14, v54, 46
	s_cselect_b64 s[8:9], -1, 0
	v_readlane_b32 s15, v54, 47
	s_and_b64 s[16:17], s[14:15], s[8:9]
	s_mov_b64 s[14:15], -1
	v_mov_b64_e32 v[8:9], v[0:1]
	v_mov_b64_e32 v[4:5], v[2:3]
                                        ; implicit-def: $vgpr11
                                        ; implicit-def: $vgpr6_vgpr7
	s_and_saveexec_b64 s[8:9], s[16:17]
	s_cbranch_execz .LBB126_52
; %bb.49:                               ;   in Loop: Header=BB126_30 Depth=1
	v_lshl_add_u64 v[4:5], v[2:3], 0, 1
	v_mov_b64_e32 v[6:7], v[4:5]
	s_mov_b64 s[14:15], 0
	v_mov_b64_e32 v[8:9], v[18:19]
	v_mov_b32_e32 v23, v12
	v_mov_b64_e32 v[4:5], v[2:3]
.LBB126_50:                             ;   Parent Loop BB126_30 Depth=1
                                        ; =>  This Inner Loop Header: Depth=2
	v_mul_lo_u32 v44, v5, s82
	v_mul_lo_u32 v45, v4, s83
	v_mad_u64_u32 v[42:43], s[16:17], v4, s82, 0
	v_mul_lo_u32 v11, v7, s33
	v_mul_lo_u32 v24, v6, s77
	v_mad_u64_u32 v[28:29], s[16:17], v6, s33, 0
	v_add3_u32 v43, v43, v45, v44
	v_add3_u32 v29, v29, v24, v11
	v_lshl_add_u64 v[42:43], v[42:43], 2, s[90:91]
	v_lshl_add_u64 v[28:29], v[28:29], 2, s[90:91]
	global_load_dword v24, v[42:43], off
	global_load_dword v11, v[28:29], off
	v_lshl_add_u64 v[8:9], v[8:9], 0, -2
	v_cmp_eq_u64_e32 vcc, 0, v[8:9]
	v_lshl_add_u64 v[6:7], v[6:7], 0, 2
	v_lshl_add_u64 v[4:5], v[4:5], 0, 2
	s_or_b64 s[14:15], vcc, s[14:15]
	s_waitcnt vmcnt(1)
	ds_write2_b32 v23, v10, v24 offset1:1
	v_add_u32_e32 v23, 8, v23
	s_waitcnt vmcnt(0)
	v_mov_b32_e32 v10, v11
	s_andn2_b64 exec, exec, s[14:15]
	s_cbranch_execnz .LBB126_50
; %bb.51:                               ;   in Loop: Header=BB126_30 Depth=1
	s_or_b64 exec, exec, s[14:15]
	v_readlane_b32 s14, v54, 48
	v_lshl_add_u64 v[4:5], v[2:3], 0, v[18:19]
	v_readlane_b32 s15, v54, 49
	v_lshl_add_u64 v[6:7], v[4:5], 0, -1
	s_orn2_b64 s[14:15], s[14:15], exec
	v_mov_b32_e32 v10, v11
	v_mov_b64_e32 v[8:9], v[20:21]
.LBB126_52:                             ;   in Loop: Header=BB126_30 Depth=1
	s_or_b64 exec, exec, s[8:9]
	s_and_saveexec_b64 s[8:9], s[14:15]
	s_cbranch_execz .LBB126_56
; %bb.53:                               ;   in Loop: Header=BB126_30 Depth=1
	s_sub_u32 s14, 0, s98
	s_mov_b64 s[16:17], 0
	s_subb_u32 s15, 0, 0
.LBB126_54:                             ;   Parent Loop BB126_30 Depth=1
                                        ; =>  This Inner Loop Header: Depth=2
	v_mov_b64_e32 v[6:7], v[4:5]
	v_mul_lo_u32 v2, v7, s82
	v_mul_lo_u32 v9, v6, s83
	v_mad_u64_u32 v[4:5], s[18:19], v6, s82, 0
	v_add3_u32 v5, v5, v9, v2
	v_lshl_add_u64 v[4:5], v[4:5], 2, s[90:91]
	global_load_dword v11, v[4:5], off
	v_lshl_add_u64 v[4:5], v[6:7], 0, s[98:99]
	v_lshlrev_b32_e32 v2, 2, v8
	v_cmp_le_u64_e32 vcc, s[56:57], v[4:5]
	s_waitcnt vmcnt(1)
	ds_write_b32 v2, v10
	v_mov_b64_e32 v[8:9], v[6:7]
	s_or_b64 s[16:17], vcc, s[16:17]
	s_waitcnt vmcnt(0)
	v_mov_b32_e32 v10, v11
	s_andn2_b64 exec, exec, s[16:17]
	s_cbranch_execnz .LBB126_54
; %bb.55:                               ;   in Loop: Header=BB126_30 Depth=1
	s_or_b64 exec, exec, s[16:17]
	v_lshl_add_u64 v[6:7], s[14:15], 0, v[4:5]
.LBB126_56:                             ;   in Loop: Header=BB126_30 Depth=1
	s_or_b64 exec, exec, s[8:9]
	s_waitcnt vmcnt(0)
	v_mov_b32_e32 v10, v11
.LBB126_57:                             ;   in Loop: Header=BB126_30 Depth=1
	s_or_b64 exec, exec, s[2:3]
	v_lshlrev_b32_e32 v2, 2, v6
	s_waitcnt vmcnt(0)
	ds_write_b32 v2, v10
.LBB126_58:                             ;   in Loop: Header=BB126_30 Depth=1
	s_or_b64 exec, exec, s[0:1]
	s_waitcnt lgkmcnt(0)
	s_barrier
	s_mov_b64 s[0:1], exec
	v_readlane_b32 s2, v54, 36
	v_readlane_b32 s3, v54, 37
	s_and_b64 s[2:3], s[0:1], s[2:3]
	s_mov_b64 exec, s[2:3]
; %bb.59:                               ;   in Loop: Header=BB126_30 Depth=1
	ds_write_b64 v3, v[40:41] offset:5120
; %bb.60:                               ;   in Loop: Header=BB126_30 Depth=1
	s_or_b64 exec, exec, s[0:1]
	s_mov_b64 s[0:1], -1
	s_waitcnt lgkmcnt(0)
	s_barrier
.LBB126_61:                             ;   in Loop: Header=BB126_30 Depth=1
	s_mov_b64 s[80:81], 0
	s_and_b64 vcc, exec, s[0:1]
	s_cbranch_vccz .LBB126_63
; %bb.62:                               ;   in Loop: Header=BB126_30 Depth=1
	ds_read_b64 v[4:5], v3 offset:5120
	s_waitcnt lgkmcnt(0)
	v_readfirstlane_b32 s80, v4
.LBB126_63:                             ;   in Loop: Header=BB126_30 Depth=1
	s_cmp_lt_i32 s80, 1
	s_mov_b64 s[0:1], -1
                                        ; implicit-def: $vgpr4_vgpr5
                                        ; implicit-def: $vgpr8_vgpr9
	s_cbranch_scc1 .LBB126_73
; %bb.64:                               ;   in Loop: Header=BB126_30 Depth=1
	s_and_b64 vcc, exec, s[0:1]
	s_cbranch_vccnz .LBB126_87
.LBB126_65:                             ;   in Loop: Header=BB126_30 Depth=1
	s_lshl_b32 s2, s7, 6
	s_and_saveexec_b64 s[0:1], s[4:5]
	s_cbranch_execz .LBB126_67
.LBB126_66:                             ;   in Loop: Header=BB126_30 Depth=1
	v_lshl_add_u32 v2, s2, 3, v33
	ds_write_b128 v2, v[4:7]
	ds_write_b128 v2, v[8:11] offset:16
.LBB126_67:                             ;   in Loop: Header=BB126_30 Depth=1
	s_or_b64 exec, exec, s[0:1]
	s_waitcnt lgkmcnt(0)
	s_barrier
	s_and_saveexec_b64 s[0:1], s[88:89]
	s_cbranch_execz .LBB126_102
; %bb.68:                               ;   in Loop: Header=BB126_30 Depth=1
	v_readlane_b32 s8, v54, 42
	v_readlane_b32 s9, v54, 43
	s_andn2_b64 vcc, exec, s[8:9]
	v_mov_b64_e32 v[4:5], 0
	s_cbranch_vccnz .LBB126_101
; %bb.69:                               ;   in Loop: Header=BB126_30 Depth=1
	v_readlane_b32 s8, v54, 50
	v_readlane_b32 s9, v54, 51
	s_andn2_b64 vcc, exec, s[8:9]
	s_cbranch_vccnz .LBB126_97
; %bb.70:                               ;   in Loop: Header=BB126_30 Depth=1
	v_lshl_add_u32 v2, s7, 9, v36
	v_mov_b64_e32 v[4:5], 0
	s_mov_b32 s3, 0
.LBB126_71:                             ;   Parent Loop BB126_30 Depth=1
                                        ; =>  This Inner Loop Header: Depth=2
	ds_read2_b64 v[6:9], v2 offset1:4
	ds_read2_b64 v[42:45], v2 offset0:8 offset1:12
	ds_read2_b64 v[46:49], v2 offset0:16 offset1:20
	;; [unrolled: 1-line block ×3, first 2 shown]
	s_add_i32 s3, s3, 8
	s_waitcnt lgkmcnt(3)
	v_lshl_add_u64 v[4:5], v[6:7], 0, v[4:5]
	v_lshl_add_u64 v[4:5], v[8:9], 0, v[4:5]
	s_waitcnt lgkmcnt(2)
	v_lshl_add_u64 v[4:5], v[42:43], 0, v[4:5]
	v_lshl_add_u64 v[4:5], v[44:45], 0, v[4:5]
	;; [unrolled: 3-line block ×3, first 2 shown]
	s_waitcnt lgkmcnt(0)
	v_lshl_add_u64 v[4:5], v[50:51], 0, v[4:5]
	v_add_u32_e32 v2, 0x100, v2
	s_cmp_eq_u32 s86, s3
	v_lshl_add_u64 v[4:5], v[52:53], 0, v[4:5]
	s_cbranch_scc0 .LBB126_71
; %bb.72:                               ;   in Loop: Header=BB126_30 Depth=1
	s_mov_b32 s3, s86
	s_branch .LBB126_98
.LBB126_73:                             ;   in Loop: Header=BB126_30 Depth=1
	global_load_ushort v2, v3, s[70:71]
	s_mov_b32 s0, s99
	s_waitcnt vmcnt(0)
	v_readfirstlane_b32 s1, v2
	s_and_b32 s1, 0xffff, s1
	s_lshl_b32 s98, s1, 2
	s_mov_b32 s1, s57
	s_cmp_lg_u64 s[0:1], 0
	s_cbranch_scc0 .LBB126_96
; %bb.74:                               ;   in Loop: Header=BB126_30 Depth=1
	v_cvt_f32_u32_e32 v4, s98
	s_sub_u32 s2, 0, s98
	s_subb_u32 s3, 0, 0
	v_fmac_f32_e32 v4, 0, v38
	v_rcp_f32_e32 v4, v4
	s_nop 0
	v_mul_f32_e32 v4, 0x5f7ffffc, v4
	v_mul_f32_e32 v5, 0x2f800000, v4
	v_trunc_f32_e32 v5, v5
	v_fmac_f32_e32 v4, 0xcf800000, v5
	v_cvt_u32_f32_e32 v5, v5
	v_cvt_u32_f32_e32 v4, v4
	v_readfirstlane_b32 s8, v5
	v_readfirstlane_b32 s0, v4
	s_mul_i32 s1, s2, s8
	s_mul_hi_u32 s14, s2, s0
	s_mul_i32 s9, s3, s0
	s_add_i32 s1, s14, s1
	s_mul_i32 s15, s2, s0
	s_add_i32 s1, s1, s9
	s_mul_hi_u32 s14, s0, s15
	s_mul_i32 s16, s0, s1
	s_mul_hi_u32 s9, s0, s1
	s_add_u32 s14, s14, s16
	s_addc_u32 s9, 0, s9
	s_mul_hi_u32 s17, s8, s15
	s_mul_i32 s15, s8, s15
	s_add_u32 s14, s14, s15
	s_mul_hi_u32 s16, s8, s1
	s_addc_u32 s9, s9, s17
	s_addc_u32 s14, s16, 0
	s_mul_i32 s1, s8, s1
	s_add_u32 s1, s9, s1
	s_addc_u32 s9, 0, s14
	s_add_u32 s14, s0, s1
	s_cselect_b64 s[0:1], -1, 0
	s_cmp_lg_u64 s[0:1], 0
	s_addc_u32 s8, s8, s9
	s_mul_i32 s0, s2, s8
	s_mul_hi_u32 s1, s2, s14
	s_add_i32 s0, s1, s0
	s_mul_i32 s3, s3, s14
	s_add_i32 s0, s0, s3
	s_mul_i32 s2, s2, s14
	s_mul_hi_u32 s3, s8, s2
	s_mul_i32 s9, s8, s2
	s_mul_i32 s16, s14, s0
	s_mul_hi_u32 s2, s14, s2
	s_mul_hi_u32 s15, s14, s0
	s_add_u32 s2, s2, s16
	s_addc_u32 s15, 0, s15
	s_add_u32 s2, s2, s9
	s_mul_hi_u32 s1, s8, s0
	s_addc_u32 s2, s15, s3
	s_addc_u32 s1, s1, 0
	s_mul_i32 s0, s8, s0
	s_add_u32 s0, s2, s0
	s_addc_u32 s2, 0, s1
	s_add_u32 s3, s14, s0
	s_cselect_b64 s[0:1], -1, 0
	s_cmp_lg_u64 s[0:1], 0
	s_addc_u32 s0, s8, s2
	s_mul_i32 s2, s56, s0
	s_mul_hi_u32 s8, s56, s3
	s_mul_hi_u32 s1, s56, s0
	s_add_u32 s2, s8, s2
	s_addc_u32 s1, 0, s1
	s_mul_hi_u32 s9, s57, s3
	s_mul_i32 s3, s57, s3
	s_add_u32 s2, s2, s3
	s_mul_hi_u32 s8, s57, s0
	s_addc_u32 s1, s1, s9
	s_addc_u32 s2, s8, 0
	s_mul_i32 s0, s57, s0
	s_add_u32 s0, s1, s0
	s_addc_u32 s1, 0, s2
	s_mul_i32 s1, s98, s1
	s_mul_hi_u32 s2, s98, s0
	s_add_i32 s2, s2, s1
	s_mul_i32 s0, s98, s0
	s_sub_u32 s3, s56, s0
	s_cselect_b64 s[0:1], -1, 0
	s_cmp_lg_u64 s[0:1], 0
	s_subb_u32 s2, s57, s2
	s_sub_u32 s8, s3, s98
	s_cselect_b64 s[0:1], -1, 0
	s_cmp_lg_u64 s[0:1], 0
	s_subb_u32 s9, s2, 0
	;; [unrolled: 4-line block ×3, first 2 shown]
	s_cmp_ge_u32 s8, s98
	s_cselect_b32 s1, -1, 0
	s_cmp_eq_u32 s9, 0
	s_cselect_b32 s1, s1, -1
	s_cmp_lg_u32 s1, 0
	s_cselect_b32 s0, s0, s9
	s_cselect_b32 s8, s14, s8
	s_cmp_ge_u32 s3, s98
	s_cselect_b32 s1, -1, 0
	s_cmp_eq_u32 s2, 0
	s_cselect_b32 s1, s1, -1
	s_cmp_lg_u32 s1, 0
	s_cselect_b32 s1, s0, s2
	s_cselect_b32 s0, s8, s3
	s_cbranch_execnz .LBB126_76
.LBB126_75:                             ;   in Loop: Header=BB126_30 Depth=1
	v_cvt_f32_u32_e32 v4, s98
	s_sub_i32 s0, 0, s98
	v_rcp_iflag_f32_e32 v4, v4
	s_nop 0
	v_mul_f32_e32 v4, 0x4f7ffffe, v4
	v_cvt_u32_f32_e32 v4, v4
	s_nop 0
	v_readfirstlane_b32 s1, v4
	s_mul_i32 s0, s0, s1
	s_mul_hi_u32 s0, s1, s0
	s_add_i32 s1, s1, s0
	s_mul_hi_u32 s0, s56, s1
	s_mul_i32 s0, s0, s98
	s_sub_i32 s0, s56, s0
	s_sub_i32 s1, s0, s98
	s_cmp_ge_u32 s0, s98
	s_cselect_b32 s0, s1, s0
	s_sub_i32 s1, s0, s98
	s_cmp_ge_u32 s0, s98
	s_cselect_b32 s0, s1, s0
	s_mov_b32 s1, s99
.LBB126_76:                             ;   in Loop: Header=BB126_30 Depth=1
	s_sub_u32 s54, s56, s0
	s_subb_u32 s55, s57, s1
	v_cmp_gt_u64_e32 vcc, s[54:55], v[12:13]
	v_mov_b64_e32 v[4:5], 0
	v_mov_b64_e32 v[6:7], 0
	;; [unrolled: 1-line block ×4, first 2 shown]
	s_and_saveexec_b64 s[60:61], vcc
	s_cbranch_execz .LBB126_80
; %bb.77:                               ;   in Loop: Header=BB126_30 Depth=1
	s_mov_b64 s[62:63], 0
	s_mov_b64 s[94:95], 0
	;; [unrolled: 1-line block ×5, first 2 shown]
	v_mov_b64_e32 v[28:29], v[12:13]
.LBB126_78:                             ;   Parent Loop BB126_30 Depth=1
                                        ; =>  This Inner Loop Header: Depth=2
	v_mul_lo_u32 v6, v29, s82
	v_mul_lo_u32 v7, v28, s83
	v_mad_u64_u32 v[4:5], s[0:1], v28, s82, 0
	v_add3_u32 v5, v5, v7, v6
	s_lshl_b64 s[0:1], s[82:83], 2
	v_lshl_add_u64 v[4:5], v[4:5], 2, s[90:91]
	global_load_dword v6, v[4:5], off
	v_lshl_add_u64 v[4:5], v[4:5], 0, s[0:1]
	global_load_dword v7, v[4:5], off
	;; [unrolled: 2-line block ×4, first 2 shown]
	v_lshl_add_u64 v[28:29], v[28:29], 0, s[98:99]
	v_cmp_le_u64_e32 vcc, s[54:55], v[28:29]
	s_waitcnt vmcnt(3)
	v_cmp_lt_i32_e64 s[0:1], -1, v6
	s_nop 1
	v_cndmask_b32_e64 v5, -1, v37, s[0:1]
	s_waitcnt vmcnt(2)
	v_cmp_lt_i32_e64 s[0:1], -1, v7
	v_xor_b32_e32 v5, v5, v6
	s_waitcnt vmcnt(0)
	v_cmp_o_f32_e64 s[16:17], v4, v4
	v_cndmask_b32_e64 v9, -1, v37, s[0:1]
	v_cmp_o_f32_e64 s[0:1], v6, v6
	v_xor_b32_e32 v6, v9, v7
	s_nop 0
	v_cndmask_b32_e64 v5, -1, v5, s[0:1]
	v_cmp_lt_i32_e64 s[0:1], -1, v8
	v_and_b32_e32 v10, v5, v39
	v_bfe_u32 v5, v5, s6, 2
	v_cndmask_b32_e64 v9, -1, v37, s[0:1]
	v_cmp_o_f32_e64 s[0:1], v7, v7
	v_xor_b32_e32 v7, v9, v8
	v_cmp_eq_u32_e64 s[2:3], 0, v5
	v_cndmask_b32_e64 v6, -1, v6, s[0:1]
	v_cmp_lt_i32_e64 s[0:1], -1, v4
	v_cmp_eq_u32_e64 s[34:35], 1, v5
	v_cmp_eq_u32_e64 s[36:37], 2, v5
	v_cndmask_b32_e64 v9, -1, v37, s[0:1]
	v_cmp_o_f32_e64 s[0:1], v8, v8
	v_xor_b32_e32 v8, v9, v4
	v_and_b32_e32 v9, v6, v39
	v_cndmask_b32_e64 v7, -1, v7, s[0:1]
	v_cmp_eq_u32_e64 s[0:1], v10, v34
	v_bfe_u32 v6, v6, s6, 2
	v_cmp_eq_u32_e64 s[18:19], 3, v5
	v_cndmask_b32_e64 v4, -1, v8, s[16:17]
	v_and_b32_e32 v5, v7, v39
	v_bfe_u32 v7, v7, s6, 2
	s_and_b64 s[2:3], s[0:1], s[2:3]
	v_cmp_eq_u32_e64 s[16:17], v9, v34
	v_cmp_eq_u32_e64 s[26:27], 0, v6
	;; [unrolled: 1-line block ×5, first 2 shown]
	v_cndmask_b32_e64 v6, 0, 1, s[2:3]
	v_cmp_eq_u32_e64 s[22:23], v5, v34
	v_and_b32_e32 v5, v4, v39
	v_bfe_u32 v4, v4, s6, 2
	v_cmp_eq_u32_e64 s[2:3], 0, v7
	s_and_b64 s[8:9], s[16:17], s[26:27]
	v_cmp_eq_u32_e64 s[26:27], v5, v34
	v_cmp_eq_u32_e64 s[48:49], 0, v4
	s_and_b64 s[2:3], s[22:23], s[2:3]
	v_cmp_ne_u32_e64 s[46:47], 0, v6
	v_cndmask_b32_e64 v6, 0, 1, s[8:9]
	v_cmp_eq_u32_e64 s[50:51], 1, v4
	v_cmp_eq_u32_e64 s[52:53], 2, v4
	;; [unrolled: 1-line block ×3, first 2 shown]
	v_cndmask_b32_e64 v4, 0, 1, s[2:3]
	s_and_b64 s[8:9], s[26:27], s[48:49]
	v_cmp_ne_u32_e64 s[2:3], 0, v4
	v_cndmask_b32_e64 v4, 0, 1, s[8:9]
	s_bcnt1_i32_b64 s14, s[46:47]
	v_cmp_ne_u32_e64 s[46:47], 0, v6
	s_bcnt1_i32_b64 s8, s[2:3]
	v_cmp_ne_u32_e64 s[2:3], 0, v4
	s_bcnt1_i32_b64 s15, s[46:47]
	s_bcnt1_i32_b64 s2, s[2:3]
	s_add_u32 s3, s14, s66
	s_addc_u32 s9, 0, s67
	s_add_u32 s3, s3, s15
	s_addc_u32 s9, s9, 0
	;; [unrolled: 2-line block ×4, first 2 shown]
	s_and_b64 s[2:3], s[0:1], s[34:35]
	v_cmp_eq_u32_e64 s[42:43], 1, v7
	v_cndmask_b32_e64 v6, 0, 1, s[2:3]
	s_and_b64 s[2:3], s[16:17], s[38:39]
	v_cmp_eq_u32_e64 s[44:45], 2, v7
	v_cmp_eq_u32_e64 s[24:25], 3, v7
	v_cndmask_b32_e64 v7, 0, 1, s[2:3]
	s_and_b64 s[2:3], s[22:23], s[42:43]
	v_cndmask_b32_e64 v8, 0, 1, s[2:3]
	s_and_b64 s[2:3], s[26:27], s[50:51]
	v_cndmask_b32_e64 v9, 0, 1, s[2:3]
	v_cmp_ne_u32_e64 s[2:3], 0, v6
	v_cmp_ne_u32_e64 s[34:35], 0, v7
	;; [unrolled: 1-line block ×4, first 2 shown]
	s_bcnt1_i32_b64 s2, s[2:3]
	s_bcnt1_i32_b64 s3, s[34:35]
	;; [unrolled: 1-line block ×4, first 2 shown]
	s_add_u32 s2, s2, s64
	s_addc_u32 s14, 0, s65
	s_add_u32 s2, s2, s3
	s_addc_u32 s3, s14, 0
	;; [unrolled: 2-line block ×4, first 2 shown]
	s_and_b64 s[2:3], s[0:1], s[36:37]
	v_cndmask_b32_e64 v8, 0, 1, s[2:3]
	s_and_b64 s[2:3], s[16:17], s[40:41]
	v_cndmask_b32_e64 v9, 0, 1, s[2:3]
	;; [unrolled: 2-line block ×4, first 2 shown]
	v_cmp_ne_u32_e64 s[2:3], 0, v8
	v_cmp_ne_u32_e64 s[34:35], 0, v9
	;; [unrolled: 1-line block ×4, first 2 shown]
	s_bcnt1_i32_b64 s2, s[2:3]
	s_bcnt1_i32_b64 s3, s[34:35]
	;; [unrolled: 1-line block ×4, first 2 shown]
	s_add_u32 s2, s2, s78
	s_addc_u32 s14, 0, s79
	s_add_u32 s2, s2, s3
	s_addc_u32 s3, s14, 0
	;; [unrolled: 2-line block ×4, first 2 shown]
	s_and_b64 s[0:1], s[0:1], s[18:19]
	v_cndmask_b32_e64 v10, 0, 1, s[0:1]
	s_and_b64 s[0:1], s[16:17], s[20:21]
	v_cndmask_b32_e64 v11, 0, 1, s[0:1]
	;; [unrolled: 2-line block ×4, first 2 shown]
	v_cmp_ne_u32_e64 s[0:1], 0, v10
	v_cmp_ne_u32_e64 s[2:3], 0, v11
	;; [unrolled: 1-line block ×4, first 2 shown]
	s_bcnt1_i32_b64 s0, s[0:1]
	s_bcnt1_i32_b64 s1, s[2:3]
	;; [unrolled: 1-line block ×4, first 2 shown]
	s_add_u32 s0, s0, s94
	s_addc_u32 s8, 0, s95
	s_add_u32 s0, s0, s1
	s_addc_u32 s1, s8, 0
	;; [unrolled: 2-line block ×4, first 2 shown]
	v_mov_b64_e32 v[4:5], s[66:67]
	v_mov_b64_e32 v[6:7], s[64:65]
	v_mov_b64_e32 v[8:9], s[78:79]
	s_or_b64 s[62:63], vcc, s[62:63]
	v_mov_b64_e32 v[10:11], s[94:95]
	s_andn2_b64 exec, exec, s[62:63]
	s_cbranch_execnz .LBB126_78
; %bb.79:                               ;   in Loop: Header=BB126_30 Depth=1
	s_or_b64 exec, exec, s[62:63]
.LBB126_80:                             ;   in Loop: Header=BB126_30 Depth=1
	s_or_b64 exec, exec, s[60:61]
	v_lshl_add_u64 v[28:29], s[54:55], 0, v[0:1]
	v_and_b32_e32 v2, 0xffff, v2
	v_cmp_gt_u64_e32 vcc, s[56:57], v[28:29]
	s_and_saveexec_b64 s[2:3], vcc
	s_cbranch_execz .LBB126_86
; %bb.81:                               ;   in Loop: Header=BB126_30 Depth=1
	v_mul_lo_u32 v23, v29, s82
	v_mul_lo_u32 v24, v28, s83
	v_mad_u64_u32 v[42:43], s[0:1], v28, s82, 0
	v_add3_u32 v43, v43, v24, v23
	v_lshl_add_u64 v[42:43], v[42:43], 2, s[90:91]
	global_load_dword v24, v[42:43], off
	s_mov_b64 s[8:9], 0
	s_branch .LBB126_83
.LBB126_82:                             ;   in Loop: Header=BB126_83 Depth=2
	s_or_b64 exec, exec, s[14:15]
	s_and_b64 s[0:1], exec, vcc
	s_waitcnt vmcnt(0)
	v_cmp_lt_i32_e32 vcc, -1, v24
	s_or_b64 s[8:9], s[0:1], s[8:9]
	s_nop 0
	v_cndmask_b32_e32 v42, -1, v37, vcc
	v_xor_b32_e32 v42, v42, v24
	v_cmp_o_f32_e32 vcc, v24, v24
	s_nop 1
	v_cndmask_b32_e32 v24, -1, v42, vcc
	v_and_b32_e32 v42, v24, v39
	v_bfe_u32 v24, v24, s6, 2
	v_cmp_eq_u32_e32 vcc, v42, v34
	v_cmp_eq_u32_e64 s[0:1], 0, v24
	s_and_b64 s[0:1], vcc, s[0:1]
	s_nop 0
	v_cndmask_b32_e64 v42, 0, 1, s[0:1]
	v_cmp_ne_u32_e64 s[0:1], 0, v42
	s_bcnt1_i32_b64 s98, s[0:1]
	v_cmp_eq_u32_e64 s[0:1], 1, v24
	s_and_b64 s[0:1], vcc, s[0:1]
	v_lshl_add_u64 v[4:5], s[98:99], 0, v[4:5]
	v_cndmask_b32_e64 v42, 0, 1, s[0:1]
	v_cmp_ne_u32_e64 s[0:1], 0, v42
	s_bcnt1_i32_b64 s98, s[0:1]
	v_cmp_eq_u32_e64 s[0:1], 2, v24
	s_and_b64 s[0:1], vcc, s[0:1]
	v_lshl_add_u64 v[6:7], s[98:99], 0, v[6:7]
	;; [unrolled: 6-line block ×3, first 2 shown]
	v_cndmask_b32_e64 v24, 0, 1, s[0:1]
	v_cmp_ne_u32_e32 vcc, 0, v24
	s_bcnt1_i32_b64 s98, vcc
	v_lshl_add_u64 v[10:11], s[98:99], 0, v[10:11]
	v_mov_b32_e32 v24, v23
	s_andn2_b64 exec, exec, s[8:9]
	s_cbranch_execz .LBB126_85
.LBB126_83:                             ;   Parent Loop BB126_30 Depth=1
                                        ; =>  This Inner Loop Header: Depth=2
	v_lshl_add_u64 v[28:29], v[28:29], 0, v[2:3]
	v_cmp_gt_u64_e64 s[0:1], s[56:57], v[28:29]
	v_cmp_le_u64_e32 vcc, s[56:57], v[28:29]
	v_mov_b32_e32 v23, 0
	s_and_saveexec_b64 s[14:15], s[0:1]
	s_cbranch_execz .LBB126_82
; %bb.84:                               ;   in Loop: Header=BB126_83 Depth=2
	v_mul_lo_u32 v23, v29, s82
	v_mul_lo_u32 v44, v28, s83
	v_mad_u64_u32 v[42:43], s[0:1], v28, s82, 0
	v_add3_u32 v43, v43, v44, v23
	v_lshl_add_u64 v[42:43], v[42:43], 2, s[90:91]
	global_load_dword v23, v[42:43], off
	s_branch .LBB126_82
.LBB126_85:                             ;   in Loop: Header=BB126_30 Depth=1
	s_or_b64 exec, exec, s[8:9]
.LBB126_86:                             ;   in Loop: Header=BB126_30 Depth=1
	s_or_b64 exec, exec, s[2:3]
	s_branch .LBB126_65
.LBB126_87:                             ;   in Loop: Header=BB126_30 Depth=1
	global_load_ushort v2, v3, s[70:71]
	v_mov_b64_e32 v[8:9], 0
	s_waitcnt vmcnt(0)
	v_readfirstlane_b32 s0, v2
	s_and_b32 s0, 0xffff, s0
	s_lshl_b32 s60, s0, 2
	v_cvt_f32_u32_e32 v4, s60
	s_sub_i32 s1, 0, s60
	v_rcp_iflag_f32_e32 v6, v4
	v_mov_b64_e32 v[4:5], 0
	v_mul_f32_e32 v6, 0x4f7ffffe, v6
	v_cvt_u32_f32_e32 v10, v6
	v_mov_b64_e32 v[6:7], 0
	v_readfirstlane_b32 s2, v10
	s_mul_i32 s1, s1, s2
	s_mul_hi_u32 s1, s2, s1
	s_add_i32 s2, s2, s1
	s_mul_hi_u32 s1, s80, s2
	s_mul_i32 s2, s1, s60
	s_sub_i32 s2, s80, s2
	s_add_i32 s3, s1, 1
	s_sub_i32 s8, s2, s60
	s_cmp_ge_u32 s2, s60
	s_cselect_b32 s1, s3, s1
	s_cselect_b32 s2, s8, s2
	s_add_i32 s3, s1, 1
	s_cmp_ge_u32 s2, s60
	s_cselect_b32 s1, s3, s1
	s_mul_hi_u32 s63, s0, s1
	s_mul_i32 s62, s0, s1
	s_lshl_b64 s[64:65], s[62:63], 2
	v_cmp_gt_u64_e32 vcc, s[64:65], v[12:13]
	v_mov_b64_e32 v[10:11], 0
	s_and_saveexec_b64 s[66:67], vcc
	s_cbranch_execz .LBB126_91
; %bb.88:                               ;   in Loop: Header=BB126_30 Depth=1
	s_mov_b32 s61, s99
	s_mov_b32 s63, s6
	s_lshl_b32 s68, s0, 4
	s_mov_b64 s[78:79], 0
	v_mov_b32_e32 v23, v35
	s_mov_b64 s[94:95], 0
	s_mov_b64 s[30:31], 0
	;; [unrolled: 1-line block ×4, first 2 shown]
	v_mov_b64_e32 v[28:29], v[12:13]
.LBB126_89:                             ;   Parent Loop BB126_30 Depth=1
                                        ; =>  This Inner Loop Header: Depth=2
	ds_read_b128 v[4:7], v23
	v_lshl_add_u64 v[28:29], v[28:29], 0, s[60:61]
	v_cmp_le_u64_e32 vcc, s[64:65], v[28:29]
	v_add_u32_e32 v23, s68, v23
	s_waitcnt lgkmcnt(0)
	v_cmp_lt_i32_e64 s[0:1], -1, v5
	v_cmp_o_f32_e64 s[2:3], v6, v6
	s_nop 0
	v_cndmask_b32_e64 v8, -1, v37, s[0:1]
	v_cmp_lt_i32_e64 s[0:1], -1, v4
	v_cmp_o_f32_e64 s[16:17], v7, v7
	v_cmp_o_f32_e64 s[18:19], v5, v5
	v_cndmask_b32_e64 v9, -1, v37, s[0:1]
	v_cmp_lt_i32_e64 s[0:1], -1, v7
	v_xor_b32_e32 v9, v9, v4
	s_nop 0
	v_cndmask_b32_e64 v10, -1, v37, s[0:1]
	v_cmp_lt_i32_e64 s[0:1], -1, v6
	s_nop 1
	v_cndmask_b32_e64 v11, -1, v37, s[0:1]
	v_cmp_o_f32_e64 s[0:1], v4, v4
	v_xor_b32_e32 v4, v11, v6
	v_xor_b32_e32 v6, v10, v7
	;; [unrolled: 1-line block ×3, first 2 shown]
	v_cndmask_b32_e64 v5, -1, v7, s[18:19]
	v_cndmask_b32_e64 v7, -1, v9, s[0:1]
	v_and_b32_e32 v8, v7, v39
	v_lshrrev_b32_e32 v7, s6, v7
	v_cndmask_b32_e64 v4, -1, v4, s[2:3]
	v_and_b32_e32 v9, v5, v39
	v_lshrrev_b32_e32 v5, s63, v5
	v_and_b32_e32 v7, 3, v7
	v_and_b32_e32 v10, v4, v39
	v_lshrrev_b32_e32 v4, s6, v4
	v_cmp_eq_u32_e64 s[2:3], v8, v34
	v_and_b32_e32 v5, 3, v5
	v_cmp_eq_u32_e64 s[24:25], 0, v7
	v_cmp_eq_u32_e64 s[22:23], v9, v34
	v_and_b32_e32 v4, 3, v4
	v_cmp_eq_u32_e64 s[26:27], 0, v5
	s_and_b64 s[24:25], s[2:3], s[24:25]
	v_cmp_eq_u32_e64 s[44:45], 0, v4
	v_cmp_eq_u32_e64 s[48:49], 1, v4
	;; [unrolled: 1-line block ×4, first 2 shown]
	v_cndmask_b32_e64 v4, 0, 1, s[24:25]
	s_and_b64 s[24:25], s[22:23], s[26:27]
	v_cmp_eq_u32_e64 s[34:35], 1, v5
	v_cmp_eq_u32_e64 s[38:39], 2, v5
	;; [unrolled: 1-line block ×3, first 2 shown]
	v_cndmask_b32_e64 v5, 0, 1, s[24:25]
	v_cmp_ne_u32_e64 s[24:25], 0, v4
	v_cmp_ne_u32_e64 s[26:27], 0, v5
	s_bcnt1_i32_b64 s24, s[24:25]
	s_bcnt1_i32_b64 s25, s[26:27]
	s_add_u32 s14, s24, s14
	s_addc_u32 s15, 0, s15
	v_cmp_eq_u32_e64 s[28:29], 1, v7
	s_add_u32 s81, s14, s25
	s_addc_u32 s98, s15, 0
	s_and_b64 s[14:15], s[2:3], s[28:29]
	v_cndmask_b32_e64 v4, 0, 1, s[14:15]
	s_and_b64 s[14:15], s[22:23], s[34:35]
	v_cndmask_b32_e64 v5, 0, 1, s[14:15]
	v_cmp_ne_u32_e64 s[24:25], 0, v4
	v_cmp_ne_u32_e64 s[26:27], 0, v5
	s_bcnt1_i32_b64 s14, s[24:25]
	s_bcnt1_i32_b64 s15, s[26:27]
	s_add_u32 s8, s14, s8
	s_addc_u32 s9, 0, s9
	v_cmp_eq_u32_e64 s[36:37], 2, v7
	s_add_u32 s28, s8, s15
	s_addc_u32 s29, s9, 0
	s_and_b64 s[8:9], s[2:3], s[36:37]
	v_cndmask_b32_e64 v4, 0, 1, s[8:9]
	s_and_b64 s[8:9], s[22:23], s[38:39]
	v_cndmask_b32_e64 v5, 0, 1, s[8:9]
	v_cmp_ne_u32_e64 s[24:25], 0, v4
	v_cmp_ne_u32_e64 s[26:27], 0, v5
	s_bcnt1_i32_b64 s8, s[24:25]
	s_bcnt1_i32_b64 s9, s[26:27]
	v_cndmask_b32_e64 v6, -1, v6, s[16:17]
	s_add_u32 s8, s8, s30
	v_and_b32_e32 v11, v6, v39
	v_lshrrev_b32_e32 v6, s63, v6
	s_addc_u32 s14, 0, s31
	v_cmp_eq_u32_e64 s[16:17], v10, v34
	v_and_b32_e32 v6, 3, v6
	s_add_u32 s30, s8, s9
	v_cmp_eq_u32_e64 s[0:1], v11, v34
	v_cmp_eq_u32_e64 s[42:43], 3, v7
	;; [unrolled: 1-line block ×3, first 2 shown]
	s_addc_u32 s31, s14, 0
	s_and_b64 s[8:9], s[16:17], s[44:45]
	v_cndmask_b32_e64 v4, 0, 1, s[8:9]
	s_and_b64 s[8:9], s[0:1], s[46:47]
	s_and_b64 s[2:3], s[2:3], s[42:43]
	v_cmp_eq_u32_e64 s[50:51], 1, v6
	v_cmp_eq_u32_e64 s[54:55], 2, v6
	;; [unrolled: 1-line block ×3, first 2 shown]
	v_cndmask_b32_e64 v5, 0, 1, s[8:9]
	v_cndmask_b32_e64 v6, 0, 1, s[2:3]
	s_and_b64 s[2:3], s[22:23], s[40:41]
	v_cndmask_b32_e64 v7, 0, 1, s[2:3]
	v_cmp_ne_u32_e64 s[2:3], 0, v4
	v_cmp_ne_u32_e64 s[22:23], 0, v5
	s_bcnt1_i32_b64 s2, s[2:3]
	s_bcnt1_i32_b64 s3, s[22:23]
	s_add_u32 s2, s81, s2
	s_addc_u32 s8, s98, 0
	s_add_u32 s14, s2, s3
	s_addc_u32 s15, s8, 0
	s_and_b64 s[2:3], s[16:17], s[48:49]
	v_cmp_ne_u32_e64 s[24:25], 0, v6
	v_cndmask_b32_e64 v6, 0, 1, s[2:3]
	s_and_b64 s[2:3], s[0:1], s[50:51]
	v_cmp_ne_u32_e64 s[26:27], 0, v7
	v_cndmask_b32_e64 v7, 0, 1, s[2:3]
	v_cmp_ne_u32_e64 s[2:3], 0, v6
	v_cmp_ne_u32_e64 s[22:23], 0, v7
	s_bcnt1_i32_b64 s2, s[2:3]
	s_bcnt1_i32_b64 s3, s[22:23]
	s_add_u32 s2, s28, s2
	s_addc_u32 s9, s29, 0
	s_add_u32 s8, s2, s3
	s_addc_u32 s9, s9, 0
	s_and_b64 s[2:3], s[16:17], s[52:53]
	v_cndmask_b32_e64 v8, 0, 1, s[2:3]
	s_and_b64 s[2:3], s[0:1], s[54:55]
	v_cndmask_b32_e64 v9, 0, 1, s[2:3]
	v_cmp_ne_u32_e64 s[2:3], 0, v8
	v_cmp_ne_u32_e64 s[22:23], 0, v9
	s_bcnt1_i32_b64 s2, s[2:3]
	s_bcnt1_i32_b64 s3, s[22:23]
	s_add_u32 s2, s30, s2
	s_addc_u32 s22, s31, 0
	s_add_u32 s30, s2, s3
	s_addc_u32 s31, s22, 0
	s_and_b64 s[2:3], s[16:17], s[20:21]
	s_and_b64 s[0:1], s[0:1], s[18:19]
	v_cndmask_b32_e64 v10, 0, 1, s[2:3]
	v_cndmask_b32_e64 v11, 0, 1, s[0:1]
	v_cmp_ne_u32_e64 s[0:1], 0, v10
	v_cmp_ne_u32_e64 s[2:3], 0, v11
	s_bcnt1_i32_b64 s22, s[24:25]
	s_bcnt1_i32_b64 s23, s[26:27]
	;; [unrolled: 1-line block ×4, first 2 shown]
	s_add_u32 s2, s22, s94
	s_addc_u32 s3, 0, s95
	s_add_u32 s2, s2, s23
	s_addc_u32 s3, s3, 0
	;; [unrolled: 2-line block ×4, first 2 shown]
	v_mov_b64_e32 v[4:5], s[14:15]
	v_mov_b64_e32 v[6:7], s[8:9]
	;; [unrolled: 1-line block ×3, first 2 shown]
	s_or_b64 s[78:79], vcc, s[78:79]
	v_mov_b64_e32 v[10:11], s[94:95]
	s_andn2_b64 exec, exec, s[78:79]
	s_cbranch_execnz .LBB126_89
; %bb.90:                               ;   in Loop: Header=BB126_30 Depth=1
	s_or_b64 exec, exec, s[78:79]
.LBB126_91:                             ;   in Loop: Header=BB126_30 Depth=1
	s_or_b64 exec, exec, s[66:67]
	s_and_b32 s8, s80, 0x7fffffff
	s_mov_b32 s9, s99
	v_lshl_add_u64 v[28:29], s[64:65], 0, v[0:1]
	v_and_b32_e32 v2, 0xffff, v2
	v_cmp_gt_u64_e32 vcc, s[8:9], v[28:29]
	s_and_saveexec_b64 s[14:15], vcc
	s_cbranch_execz .LBB126_95
; %bb.92:                               ;   in Loop: Header=BB126_30 Depth=1
	v_lshl_add_u32 v23, s62, 4, v12
	s_mov_b64 s[22:23], 0
.LBB126_93:                             ;   Parent Loop BB126_30 Depth=1
                                        ; =>  This Inner Loop Header: Depth=2
	ds_read_b32 v24, v23
	v_lshl_add_u64 v[28:29], v[28:29], 0, v[2:3]
	v_cmp_le_u64_e32 vcc, s[8:9], v[28:29]
	v_add_u32_e32 v23, s60, v23
	s_waitcnt lgkmcnt(0)
	v_cmp_lt_i32_e64 s[0:1], -1, v24
	s_nop 1
	v_cndmask_b32_e64 v42, -1, v37, s[0:1]
	v_xor_b32_e32 v42, v42, v24
	v_cmp_o_f32_e64 s[0:1], v24, v24
	s_nop 1
	v_cndmask_b32_e64 v24, -1, v42, s[0:1]
	v_and_b32_e32 v42, v24, v39
	v_bfe_u32 v24, v24, s6, 2
	v_cmp_eq_u32_e64 s[0:1], v42, v34
	v_cmp_eq_u32_e64 s[2:3], 0, v24
	;; [unrolled: 1-line block ×3, first 2 shown]
	s_and_b64 s[2:3], s[0:1], s[2:3]
	v_cmp_eq_u32_e64 s[18:19], 2, v24
	v_cmp_eq_u32_e64 s[20:21], 3, v24
	v_cndmask_b32_e64 v24, 0, 1, s[2:3]
	s_and_b64 s[2:3], s[0:1], s[16:17]
	v_cndmask_b32_e64 v42, 0, 1, s[2:3]
	s_and_b64 s[2:3], s[0:1], s[18:19]
	s_and_b64 s[0:1], s[0:1], s[20:21]
	v_cndmask_b32_e64 v44, 0, 1, s[0:1]
	v_cmp_ne_u32_e64 s[0:1], 0, v24
	v_cndmask_b32_e64 v43, 0, 1, s[2:3]
	v_cmp_ne_u32_e64 s[2:3], 0, v42
	s_bcnt1_i32_b64 s98, s[0:1]
	v_cmp_ne_u32_e64 s[16:17], 0, v43
	v_lshl_add_u64 v[4:5], s[98:99], 0, v[4:5]
	s_bcnt1_i32_b64 s98, s[2:3]
	v_cmp_ne_u32_e64 s[18:19], 0, v44
	v_lshl_add_u64 v[6:7], s[98:99], 0, v[6:7]
	s_bcnt1_i32_b64 s98, s[16:17]
	v_lshl_add_u64 v[8:9], s[98:99], 0, v[8:9]
	s_bcnt1_i32_b64 s98, s[18:19]
	s_or_b64 s[22:23], vcc, s[22:23]
	v_lshl_add_u64 v[10:11], s[98:99], 0, v[10:11]
	s_andn2_b64 exec, exec, s[22:23]
	s_cbranch_execnz .LBB126_93
; %bb.94:                               ;   in Loop: Header=BB126_30 Depth=1
	s_or_b64 exec, exec, s[22:23]
.LBB126_95:                             ;   in Loop: Header=BB126_30 Depth=1
	s_or_b64 exec, exec, s[14:15]
	s_lshl_b32 s2, s7, 6
	s_and_saveexec_b64 s[0:1], s[4:5]
	s_cbranch_execnz .LBB126_66
	s_branch .LBB126_67
.LBB126_96:                             ;   in Loop: Header=BB126_30 Depth=1
                                        ; implicit-def: $sgpr0_sgpr1
	s_branch .LBB126_75
.LBB126_97:                             ;   in Loop: Header=BB126_30 Depth=1
	s_mov_b32 s3, 0
	v_mov_b64_e32 v[4:5], 0
.LBB126_98:                             ;   in Loop: Header=BB126_30 Depth=1
	v_readlane_b32 s8, v54, 53
	v_readlane_b32 s9, v54, 54
	s_andn2_b64 vcc, exec, s[8:9]
	s_cbranch_vccnz .LBB126_101
; %bb.99:                               ;   in Loop: Header=BB126_30 Depth=1
	s_lshl_b32 s8, s7, 9
	s_lshl_b32 s3, s3, 5
	s_add_i32 s8, s8, s3
	v_add_u32_e32 v2, s8, v36
	v_readlane_b32 s3, v54, 52
.LBB126_100:                            ;   Parent Loop BB126_30 Depth=1
                                        ; =>  This Inner Loop Header: Depth=2
	ds_read_b64 v[6:7], v2
	s_add_i32 s3, s3, -1
	v_add_u32_e32 v2, 32, v2
	s_cmp_lg_u32 s3, 0
	s_waitcnt lgkmcnt(0)
	v_lshl_add_u64 v[4:5], v[6:7], 0, v[4:5]
	s_cbranch_scc1 .LBB126_100
.LBB126_101:                            ;   in Loop: Header=BB126_30 Depth=1
	v_add_lshl_u32 v2, s2, v30, 3
	ds_write_b64 v2, v[4:5] offset:3072
.LBB126_102:                            ;   in Loop: Header=BB126_30 Depth=1
	s_or_b64 exec, exec, s[0:1]
	s_lshl_b32 s0, s2, 3
	v_mov_b32_e32 v2, s0
	s_waitcnt lgkmcnt(0)
	s_barrier
	ds_read_b128 v[8:11], v2 offset:3088
	ds_read_b128 v[4:7], v2 offset:3072
	s_lshl_b32 s62, 3, s6
	v_cmp_eq_u64_e64 s[0:1], 1, v[26:27]
	s_not_b32 s52, s62
	s_waitcnt lgkmcnt(1)
	v_readfirstlane_b32 s22, v8
	s_waitcnt lgkmcnt(0)
	v_cmp_eq_u64_e32 vcc, 1, v[4:5]
	v_readfirstlane_b32 s23, v9
	v_readfirstlane_b32 s2, v10
	;; [unrolled: 1-line block ×3, first 2 shown]
	s_and_b64 s[18:19], vcc, s[0:1]
	s_mov_b64 s[0:1], -1
	s_mov_b64 s[8:9], -1
                                        ; implicit-def: $sgpr24_sgpr25
                                        ; implicit-def: $sgpr20_sgpr21
	s_and_saveexec_b64 s[16:17], s[18:19]
	s_cbranch_execz .LBB126_136
; %bb.103:                              ;   in Loop: Header=BB126_30 Depth=1
	ds_read_b64 v[8:9], v3 offset:5120
	s_waitcnt lgkmcnt(0)
	s_barrier
	v_readfirstlane_b32 s8, v8
	v_readfirstlane_b32 s9, v9
	s_mov_b64 s[14:15], exec
	v_readlane_b32 s20, v54, 38
	v_readlane_b32 s21, v54, 39
	s_and_b64 s[20:21], s[14:15], s[20:21]
	s_mov_b64 exec, s[20:21]
; %bb.104:                              ;   in Loop: Header=BB126_30 Depth=1
	ds_write_b32 v31, v3
; %bb.105:                              ;   in Loop: Header=BB126_30 Depth=1
	s_or_b64 exec, exec, s[14:15]
	v_and_b32_e32 v34, s52, v34
	v_or_b32_e32 v39, s62, v39
	s_mov_b64 s[20:21], -1
	s_mov_b64 s[24:25], 0
	s_cmp_eq_u64 s[8:9], 0
	s_mov_b64 s[26:27], 0
	s_mov_b64 s[14:15], -1
	s_waitcnt lgkmcnt(0)
	s_barrier
                                        ; implicit-def: $vgpr25
	s_cbranch_scc1 .LBB126_120
; %bb.106:                              ;   in Loop: Header=BB126_30 Depth=1
	v_readlane_b32 s14, v54, 44
	s_add_u32 s30, s8, s14
	v_readlane_b32 s14, v54, 45
	s_addc_u32 s15, s9, s14
	s_mov_b32 s14, s99
	s_cmp_lg_u64 s[14:15], 0
	s_cbranch_scc0 .LBB126_163
; %bb.107:                              ;   in Loop: Header=BB126_30 Depth=1
	v_cvt_f32_u32_e32 v2, s96
	s_sub_u32 s14, 0, s96
	s_subb_u32 s28, 0, 0
	v_fmac_f32_e32 v2, 0, v38
	v_rcp_f32_e32 v2, v2
	s_nop 0
	v_mul_f32_e32 v2, 0x5f7ffffc, v2
	v_mul_f32_e32 v8, 0x2f800000, v2
	v_trunc_f32_e32 v8, v8
	v_fmac_f32_e32 v2, 0xcf800000, v8
	v_cvt_u32_f32_e32 v8, v8
	v_cvt_u32_f32_e32 v2, v2
	v_readfirstlane_b32 s29, v8
	v_readfirstlane_b32 s26, v2
	s_mul_i32 s27, s14, s29
	s_mul_hi_u32 s34, s14, s26
	s_mul_i32 s31, s28, s26
	s_add_i32 s27, s34, s27
	s_mul_i32 s35, s14, s26
	s_add_i32 s27, s27, s31
	s_mul_hi_u32 s34, s26, s35
	s_mul_i32 s36, s26, s27
	s_mul_hi_u32 s31, s26, s27
	s_add_u32 s34, s34, s36
	s_addc_u32 s31, 0, s31
	s_mul_hi_u32 s37, s29, s35
	s_mul_i32 s35, s29, s35
	s_add_u32 s34, s34, s35
	s_mul_hi_u32 s36, s29, s27
	s_addc_u32 s31, s31, s37
	s_addc_u32 s34, s36, 0
	s_mul_i32 s27, s29, s27
	s_add_u32 s27, s31, s27
	s_addc_u32 s31, 0, s34
	s_add_u32 s34, s26, s27
	s_cselect_b64 s[26:27], -1, 0
	s_cmp_lg_u64 s[26:27], 0
	s_addc_u32 s29, s29, s31
	s_mul_i32 s26, s14, s29
	s_mul_hi_u32 s27, s14, s34
	s_add_i32 s26, s27, s26
	s_mul_i32 s28, s28, s34
	s_add_i32 s26, s26, s28
	s_mul_i32 s14, s14, s34
	s_mul_hi_u32 s28, s29, s14
	s_mul_i32 s31, s29, s14
	s_mul_i32 s36, s34, s26
	s_mul_hi_u32 s14, s34, s14
	s_mul_hi_u32 s35, s34, s26
	s_add_u32 s14, s14, s36
	s_addc_u32 s35, 0, s35
	s_add_u32 s14, s14, s31
	s_mul_hi_u32 s27, s29, s26
	s_addc_u32 s14, s35, s28
	s_addc_u32 s27, s27, 0
	s_mul_i32 s26, s29, s26
	s_add_u32 s14, s14, s26
	s_addc_u32 s28, 0, s27
	s_add_u32 s14, s34, s14
	s_cselect_b64 s[26:27], -1, 0
	s_cmp_lg_u64 s[26:27], 0
	s_addc_u32 s26, s29, s28
	s_mul_i32 s28, s30, s26
	s_mul_hi_u32 s29, s30, s14
	s_mul_hi_u32 s27, s30, s26
	s_add_u32 s28, s29, s28
	s_addc_u32 s27, 0, s27
	s_mul_hi_u32 s31, s15, s14
	s_mul_i32 s14, s15, s14
	s_add_u32 s14, s28, s14
	s_mul_hi_u32 s29, s15, s26
	s_addc_u32 s14, s27, s31
	s_addc_u32 s27, s29, 0
	s_mul_i32 s26, s15, s26
	s_add_u32 s14, s14, s26
	s_addc_u32 s26, 0, s27
	s_mul_i32 s26, s96, s26
	s_mul_hi_u32 s27, s96, s14
	s_add_i32 s28, s27, s26
	s_mul_i32 s14, s96, s14
	s_sub_u32 s14, s30, s14
	s_cselect_b64 s[26:27], -1, 0
	s_cmp_lg_u64 s[26:27], 0
	s_subb_u32 s28, s15, s28
	s_sub_u32 s29, s14, s96
	s_cselect_b64 s[26:27], -1, 0
	s_cmp_lg_u64 s[26:27], 0
	s_subb_u32 s31, s28, 0
	;; [unrolled: 4-line block ×3, first 2 shown]
	s_cmp_ge_u32 s29, s96
	s_cselect_b32 s27, -1, 0
	s_cmp_eq_u32 s31, 0
	s_cselect_b32 s27, s27, -1
	s_cmp_lg_u32 s27, 0
	s_cselect_b32 s26, s26, s31
	s_cselect_b32 s29, s34, s29
	s_cmp_ge_u32 s14, s96
	s_cselect_b32 s27, -1, 0
	s_cmp_eq_u32 s28, 0
	s_cselect_b32 s27, s27, -1
	s_cmp_lg_u32 s27, 0
	s_cselect_b32 s27, s26, s28
	s_cselect_b32 s26, s29, s14
	s_cbranch_execnz .LBB126_109
.LBB126_108:                            ;   in Loop: Header=BB126_30 Depth=1
	v_cvt_f32_u32_e32 v2, s96
	s_sub_i32 s14, 0, s96
	v_rcp_iflag_f32_e32 v2, v2
	s_nop 0
	v_mul_f32_e32 v2, 0x4f7ffffe, v2
	v_cvt_u32_f32_e32 v2, v2
	s_nop 0
	v_readfirstlane_b32 s26, v2
	s_mul_i32 s14, s14, s26
	s_mul_hi_u32 s14, s26, s14
	s_add_i32 s26, s26, s14
	s_mul_hi_u32 s14, s30, s26
	s_mul_i32 s14, s14, s96
	s_sub_i32 s14, s30, s14
	s_sub_i32 s26, s14, s96
	s_cmp_ge_u32 s14, s96
	s_cselect_b32 s14, s26, s14
	s_sub_i32 s26, s14, s96
	s_cmp_ge_u32 s14, s96
	s_cselect_b32 s98, s26, s14
	s_mov_b64 s[26:27], s[98:99]
.LBB126_109:                            ;   in Loop: Header=BB126_30 Depth=1
	s_sub_u32 s30, s30, s26
	s_subb_u32 s31, s15, s27
	v_cmp_gt_u64_e32 vcc, s[30:31], v[0:1]
	s_mov_b64 s[14:15], 0
	s_mov_b64 s[26:27], 0
                                        ; implicit-def: $vgpr25
	s_and_saveexec_b64 s[28:29], vcc
	s_cbranch_execz .LBB126_119
; %bb.110:                              ;   in Loop: Header=BB126_30 Depth=1
	v_mov_b32_e32 v2, v12
	v_mov_b64_e32 v[8:9], v[0:1]
                                        ; implicit-def: $sgpr34_sgpr35
	s_branch .LBB126_114
.LBB126_111:                            ;   in Loop: Header=BB126_114 Depth=2
	s_or_b64 exec, exec, s[36:37]
	s_waitcnt lgkmcnt(0)
	s_barrier
	ds_read_b64 v[24:25], v3 offset:3072
	s_waitcnt lgkmcnt(0)
	s_barrier
	v_cmp_neq_f32_e32 vcc, 0, v24
	s_cbranch_vccnz .LBB126_117
; %bb.112:                              ;   in Loop: Header=BB126_114 Depth=2
	v_lshl_add_u64 v[8:9], v[8:9], 0, s[96:97]
	v_cmp_le_u64_e32 vcc, s[30:31], v[8:9]
	v_add_u32_e32 v2, s87, v2
	s_mov_b64 s[36:37], 0
	s_orn2_b64 s[38:39], vcc, exec
.LBB126_113:                            ;   in Loop: Header=BB126_114 Depth=2
	s_and_b64 s[38:39], exec, s[38:39]
	s_or_b64 s[26:27], s[38:39], s[26:27]
	s_andn2_b64 s[34:35], s[34:35], exec
	s_and_b64 s[36:37], s[36:37], exec
	s_or_b64 s[34:35], s[34:35], s[36:37]
	s_andn2_b64 exec, exec, s[26:27]
	s_cbranch_execz .LBB126_118
.LBB126_114:                            ;   Parent Loop BB126_30 Depth=1
                                        ; =>  This Inner Loop Header: Depth=2
	v_cmp_gt_u64_e32 vcc, s[8:9], v[8:9]
	s_and_saveexec_b64 s[36:37], vcc
	s_cbranch_execz .LBB126_111
; %bb.115:                              ;   in Loop: Header=BB126_114 Depth=2
	ds_read_b32 v23, v2
	s_waitcnt lgkmcnt(0)
	v_cmp_lt_i32_e32 vcc, -1, v23
	s_nop 1
	v_cndmask_b32_e32 v10, -1, v37, vcc
	v_xor_b32_e32 v10, v10, v23
	v_cmp_o_f32_e32 vcc, v23, v23
	s_nop 1
	v_cndmask_b32_e32 v10, -1, v10, vcc
	v_and_b32_e32 v10, v10, v39
	v_cmp_eq_u32_e32 vcc, v10, v34
	s_and_b64 exec, exec, vcc
	s_cbranch_execz .LBB126_111
; %bb.116:                              ;   in Loop: Header=BB126_114 Depth=2
	ds_write_b64 v3, v[22:23] offset:3072
	s_branch .LBB126_111
.LBB126_117:                            ;   in Loop: Header=BB126_114 Depth=2
	s_mov_b64 s[38:39], -1
                                        ; implicit-def: $vgpr8_vgpr9
                                        ; implicit-def: $vgpr2
	s_mov_b64 s[36:37], -1
	s_branch .LBB126_113
.LBB126_118:                            ;   in Loop: Header=BB126_30 Depth=1
	s_or_b64 exec, exec, s[26:27]
	s_and_b64 s[26:27], s[34:35], exec
.LBB126_119:                            ;   in Loop: Header=BB126_30 Depth=1
	s_or_b64 exec, exec, s[28:29]
.LBB126_120:                            ;   in Loop: Header=BB126_30 Depth=1
	s_and_b64 vcc, exec, s[14:15]
	s_cbranch_vccz .LBB126_135
; %bb.121:                              ;   in Loop: Header=BB126_30 Depth=1
	s_mov_b32 s68, s99
	s_cmp_lg_u64 s[68:69], 0
	s_cbranch_scc0 .LBB126_167
; %bb.122:                              ;   in Loop: Header=BB126_30 Depth=1
	v_cvt_f32_u32_e32 v2, s96
	s_sub_u32 s14, 0, s96
	s_subb_u32 s15, 0, 0
	v_fmac_f32_e32 v2, 0, v38
	v_rcp_f32_e32 v2, v2
	s_nop 0
	v_mul_f32_e32 v2, 0x5f7ffffc, v2
	v_mul_f32_e32 v8, 0x2f800000, v2
	v_trunc_f32_e32 v8, v8
	v_fmac_f32_e32 v2, 0xcf800000, v8
	v_cvt_u32_f32_e32 v8, v8
	v_cvt_u32_f32_e32 v2, v2
	v_readfirstlane_b32 s20, v8
	v_readfirstlane_b32 s8, v2
	s_mul_i32 s9, s14, s20
	s_mul_hi_u32 s24, s14, s8
	s_mul_i32 s21, s15, s8
	s_add_i32 s9, s24, s9
	s_mul_i32 s25, s14, s8
	s_add_i32 s9, s9, s21
	s_mul_hi_u32 s24, s8, s25
	s_mul_i32 s28, s8, s9
	s_mul_hi_u32 s21, s8, s9
	s_add_u32 s24, s24, s28
	s_addc_u32 s21, 0, s21
	s_mul_hi_u32 s29, s20, s25
	s_mul_i32 s25, s20, s25
	s_add_u32 s24, s24, s25
	s_mul_hi_u32 s28, s20, s9
	s_addc_u32 s21, s21, s29
	s_addc_u32 s24, s28, 0
	s_mul_i32 s9, s20, s9
	s_add_u32 s9, s21, s9
	s_addc_u32 s21, 0, s24
	s_add_u32 s24, s8, s9
	s_cselect_b64 s[8:9], -1, 0
	s_cmp_lg_u64 s[8:9], 0
	s_addc_u32 s20, s20, s21
	s_mul_i32 s8, s14, s20
	s_mul_hi_u32 s9, s14, s24
	s_add_i32 s8, s9, s8
	s_mul_i32 s15, s15, s24
	s_add_i32 s8, s8, s15
	s_mul_i32 s14, s14, s24
	s_mul_hi_u32 s15, s20, s14
	s_mul_i32 s21, s20, s14
	s_mul_i32 s28, s24, s8
	s_mul_hi_u32 s14, s24, s14
	s_mul_hi_u32 s25, s24, s8
	s_add_u32 s14, s14, s28
	s_addc_u32 s25, 0, s25
	s_add_u32 s14, s14, s21
	s_mul_hi_u32 s9, s20, s8
	s_addc_u32 s14, s25, s15
	s_addc_u32 s9, s9, 0
	s_mul_i32 s8, s20, s8
	s_add_u32 s8, s14, s8
	s_addc_u32 s14, 0, s9
	s_add_u32 s15, s24, s8
	s_cselect_b64 s[8:9], -1, 0
	s_cmp_lg_u64 s[8:9], 0
	s_addc_u32 s8, s20, s14
	s_mul_i32 s14, s76, s8
	s_mul_hi_u32 s20, s76, s15
	s_mul_hi_u32 s9, s76, s8
	s_add_u32 s14, s20, s14
	s_addc_u32 s9, 0, s9
	s_mul_hi_u32 s21, s69, s15
	s_mul_i32 s15, s69, s15
	s_add_u32 s14, s14, s15
	s_mul_hi_u32 s20, s69, s8
	s_addc_u32 s9, s9, s21
	s_addc_u32 s14, s20, 0
	s_mul_i32 s8, s69, s8
	s_add_u32 s8, s9, s8
	s_addc_u32 s9, 0, s14
	s_mul_i32 s9, s96, s9
	s_mul_hi_u32 s14, s96, s8
	s_add_i32 s14, s14, s9
	s_mul_i32 s8, s96, s8
	s_sub_u32 s15, s76, s8
	s_cselect_b64 s[8:9], -1, 0
	s_cmp_lg_u64 s[8:9], 0
	s_subb_u32 s14, s69, s14
	s_sub_u32 s20, s15, s96
	s_cselect_b64 s[8:9], -1, 0
	s_cmp_lg_u64 s[8:9], 0
	s_subb_u32 s21, s14, 0
	;; [unrolled: 4-line block ×3, first 2 shown]
	s_cmp_ge_u32 s20, s96
	s_cselect_b32 s9, -1, 0
	s_cmp_eq_u32 s21, 0
	s_cselect_b32 s9, s9, -1
	s_cmp_lg_u32 s9, 0
	s_cselect_b32 s8, s8, s21
	s_cselect_b32 s20, s24, s20
	s_cmp_ge_u32 s15, s96
	s_cselect_b32 s9, -1, 0
	s_cmp_eq_u32 s14, 0
	s_cselect_b32 s9, s9, -1
	s_cmp_lg_u32 s9, 0
	s_cselect_b32 s9, s8, s14
	s_cselect_b32 s8, s20, s15
	s_cbranch_execnz .LBB126_124
.LBB126_123:                            ;   in Loop: Header=BB126_30 Depth=1
	v_cvt_f32_u32_e32 v2, s96
	s_sub_i32 s8, 0, s96
	v_rcp_iflag_f32_e32 v2, v2
	s_nop 0
	v_mul_f32_e32 v2, 0x4f7ffffe, v2
	v_cvt_u32_f32_e32 v2, v2
	s_nop 0
	v_readfirstlane_b32 s9, v2
	s_mul_i32 s8, s8, s9
	s_mul_hi_u32 s8, s9, s8
	s_add_i32 s9, s9, s8
	s_mul_hi_u32 s8, s76, s9
	s_mul_i32 s8, s8, s96
	s_sub_i32 s8, s76, s8
	s_sub_i32 s9, s8, s96
	s_cmp_ge_u32 s8, s96
	s_cselect_b32 s8, s9, s8
	s_sub_i32 s9, s8, s96
	s_cmp_ge_u32 s8, s96
	s_cselect_b32 s98, s9, s8
	s_mov_b64 s[8:9], s[98:99]
.LBB126_124:                            ;   in Loop: Header=BB126_30 Depth=1
	s_sub_u32 s14, s76, s8
	s_subb_u32 s15, s69, s9
	v_cmp_gt_u64_e32 vcc, s[14:15], v[0:1]
                                        ; implicit-def: $vgpr25
	s_and_saveexec_b64 s[8:9], vcc
	s_cbranch_execz .LBB126_134
; %bb.125:                              ;   in Loop: Header=BB126_30 Depth=1
	s_mov_b64 s[20:21], 0
	v_mov_b64_e32 v[8:9], v[0:1]
                                        ; implicit-def: $sgpr24_sgpr25
	s_branch .LBB126_129
.LBB126_126:                            ;   in Loop: Header=BB126_129 Depth=2
	s_or_b64 exec, exec, s[28:29]
	s_waitcnt lgkmcnt(0)
	s_barrier
	ds_read_b64 v[24:25], v3 offset:3072
	s_waitcnt lgkmcnt(0)
	s_barrier
	v_cmp_neq_f32_e32 vcc, 0, v24
	s_cbranch_vccnz .LBB126_132
; %bb.127:                              ;   in Loop: Header=BB126_129 Depth=2
	v_lshl_add_u64 v[8:9], v[8:9], 0, s[96:97]
	v_cmp_le_u64_e32 vcc, s[14:15], v[8:9]
	s_mov_b64 s[28:29], 0
	s_orn2_b64 s[30:31], vcc, exec
.LBB126_128:                            ;   in Loop: Header=BB126_129 Depth=2
	s_and_b64 s[30:31], exec, s[30:31]
	s_or_b64 s[20:21], s[30:31], s[20:21]
	s_andn2_b64 s[24:25], s[24:25], exec
	s_and_b64 s[28:29], s[28:29], exec
	s_or_b64 s[24:25], s[24:25], s[28:29]
	s_andn2_b64 exec, exec, s[20:21]
	s_cbranch_execz .LBB126_133
.LBB126_129:                            ;   Parent Loop BB126_30 Depth=1
                                        ; =>  This Inner Loop Header: Depth=2
	v_cmp_gt_u64_e32 vcc, s[56:57], v[8:9]
	s_and_saveexec_b64 s[28:29], vcc
	s_cbranch_execz .LBB126_126
; %bb.130:                              ;   in Loop: Header=BB126_129 Depth=2
	v_mul_lo_u32 v2, v9, s82
	v_mul_lo_u32 v23, v8, s83
	v_mad_u64_u32 v[10:11], s[30:31], v8, s82, 0
	v_add3_u32 v11, v11, v23, v2
	v_lshl_add_u64 v[10:11], v[10:11], 2, s[90:91]
	global_load_dword v23, v[10:11], off
	s_waitcnt vmcnt(0)
	v_cmp_lt_i32_e32 vcc, -1, v23
	s_nop 1
	v_cndmask_b32_e32 v2, -1, v37, vcc
	v_xor_b32_e32 v2, v2, v23
	v_cmp_o_f32_e32 vcc, v23, v23
	s_nop 1
	v_cndmask_b32_e32 v2, -1, v2, vcc
	v_and_b32_e32 v2, v2, v39
	v_cmp_eq_u32_e32 vcc, v2, v34
	s_and_b64 exec, exec, vcc
	s_cbranch_execz .LBB126_126
; %bb.131:                              ;   in Loop: Header=BB126_129 Depth=2
	ds_write_b64 v3, v[22:23] offset:3072
	s_branch .LBB126_126
.LBB126_132:                            ;   in Loop: Header=BB126_129 Depth=2
	s_mov_b64 s[30:31], -1
                                        ; implicit-def: $vgpr8_vgpr9
	s_mov_b64 s[28:29], -1
	s_branch .LBB126_128
.LBB126_133:                            ;   in Loop: Header=BB126_30 Depth=1
	s_or_b64 exec, exec, s[20:21]
	s_andn2_b64 s[14:15], s[26:27], exec
	s_and_b64 s[20:21], s[24:25], exec
	s_or_b64 s[26:27], s[14:15], s[20:21]
.LBB126_134:                            ;   in Loop: Header=BB126_30 Depth=1
	s_or_b64 exec, exec, s[8:9]
	s_mov_b64 s[20:21], 0
	s_mov_b64 s[24:25], -1
.LBB126_135:                            ;   in Loop: Header=BB126_30 Depth=1
	s_orn2_b64 s[8:9], s[26:27], exec
.LBB126_136:                            ;   in Loop: Header=BB126_30 Depth=1
	s_or_b64 exec, exec, s[16:17]
	s_andn2_b64 s[14:15], s[58:59], exec
	s_and_b64 s[16:17], s[24:25], exec
	s_or_b64 s[58:59], s[14:15], s[16:17]
	s_andn2_b64 s[14:15], s[84:85], exec
	s_and_b64 s[16:17], s[20:21], exec
	s_andn2_b64 s[74:75], s[74:75], exec
	s_or_b64 s[84:85], s[14:15], s[16:17]
                                        ; implicit-def: $vgpr8_vgpr9
	s_and_saveexec_b64 s[16:17], s[8:9]
	s_cbranch_execz .LBB126_29
; %bb.137:                              ;   in Loop: Header=BB126_30 Depth=1
	s_xor_b64 s[8:9], s[18:19], -1
	v_mov_b32_e32 v2, 1
	s_mov_b64 s[14:15], 0
	v_mov_b64_e32 v[8:9], 1
	s_and_saveexec_b64 s[0:1], s[8:9]
	s_cbranch_execz .LBB126_146
; %bb.138:                              ;   in Loop: Header=BB126_30 Depth=1
	v_cmp_le_u64_e32 vcc, v[26:27], v[4:5]
	s_and_saveexec_b64 s[8:9], vcc
	s_xor_b64 s[8:9], exec, s[8:9]
	s_cbranch_execz .LBB126_143
; %bb.139:                              ;   in Loop: Header=BB126_30 Depth=1
	ds_read_b64 v[8:9], v3 offset:5120
	v_and_b32_e32 v34, s52, v34
	v_or_b32_e32 v39, s62, v39
	s_waitcnt lgkmcnt(0)
	v_cmp_ne_u64_e32 vcc, 0, v[8:9]
	s_cbranch_vccnz .LBB126_143
; %bb.140:                              ;   in Loop: Header=BB126_30 Depth=1
	s_mov_b64 s[14:15], exec
	v_readlane_b32 s18, v54, 36
	v_readlane_b32 s19, v54, 37
	s_and_b64 s[18:19], s[14:15], s[18:19]
	s_mov_b64 exec, s[18:19]
; %bb.141:                              ;   in Loop: Header=BB126_30 Depth=1
	ds_write_b64 v3, v[4:5] offset:5128
; %bb.142:                              ;   in Loop: Header=BB126_30 Depth=1
	s_or_b64 exec, exec, s[14:15]
	s_waitcnt lgkmcnt(0)
	s_barrier
.LBB126_143:                            ;   in Loop: Header=BB126_30 Depth=1
	s_or_saveexec_b64 s[8:9], s[8:9]
	s_mov_b64 s[14:15], 0
	v_mov_b32_e32 v2, 8
	s_xor_b64 exec, exec, s[8:9]
; %bb.144:                              ;   in Loop: Header=BB126_30 Depth=1
	v_sub_co_u32_e32 v26, vcc, v26, v4
	s_mov_b64 s[14:15], exec
	s_nop 0
	v_subb_co_u32_e32 v27, vcc, v27, v5, vcc
	v_mov_b32_e32 v2, 0
; %bb.145:                              ;   in Loop: Header=BB126_30 Depth=1
	s_or_b64 exec, exec, s[8:9]
	s_and_b64 s[14:15], s[14:15], exec
	v_mov_b64_e32 v[8:9], v[26:27]
.LBB126_146:                            ;   in Loop: Header=BB126_30 Depth=1
	s_or_b64 exec, exec, s[0:1]
	s_mov_b64 s[18:19], -1
	s_mov_b64 s[8:9], -1
                                        ; implicit-def: $sgpr0_sgpr1
                                        ; implicit-def: $sgpr24_sgpr25
	s_and_saveexec_b64 s[20:21], s[14:15]
	s_xor_b64 s[20:21], exec, s[20:21]
	s_cbranch_execz .LBB126_297
; %bb.147:                              ;   in Loop: Header=BB126_30 Depth=1
	v_cmp_eq_u64_e32 vcc, 1, v[6:7]
	v_cmp_eq_u64_e64 s[0:1], 1, v[8:9]
	s_and_b64 s[28:29], vcc, s[0:1]
                                        ; implicit-def: $sgpr24_sgpr25
                                        ; implicit-def: $sgpr0_sgpr1
	s_and_saveexec_b64 s[26:27], s[28:29]
	s_cbranch_execz .LBB126_186
; %bb.148:                              ;   in Loop: Header=BB126_30 Depth=1
	ds_read_b64 v[4:5], v3 offset:5120
	s_waitcnt lgkmcnt(0)
	s_barrier
	v_readfirstlane_b32 s8, v4
	v_readfirstlane_b32 s9, v5
	s_mov_b64 s[0:1], exec
	v_readlane_b32 s14, v54, 38
	v_readlane_b32 s15, v54, 39
	s_and_b64 s[14:15], s[0:1], s[14:15]
	s_mov_b64 exec, s[14:15]
; %bb.149:                              ;   in Loop: Header=BB126_30 Depth=1
	ds_write_b32 v31, v3
; %bb.150:                              ;   in Loop: Header=BB126_30 Depth=1
	s_or_b64 exec, exec, s[0:1]
	v_and_b32_e32 v4, s52, v34
	v_lshl_or_b32 v34, 1, s6, v4
	v_or_b32_e32 v39, s62, v39
	s_mov_b64 s[0:1], -1
	s_mov_b64 s[24:25], 0
	s_cmp_eq_u64 s[8:9], 0
	s_mov_b64 s[34:35], 0
	s_mov_b64 s[14:15], -1
	s_waitcnt lgkmcnt(0)
	s_barrier
                                        ; implicit-def: $vgpr25
	s_cbranch_scc1 .LBB126_170
; %bb.151:                              ;   in Loop: Header=BB126_30 Depth=1
	v_readlane_b32 s14, v54, 44
	s_add_u32 s36, s8, s14
	v_readlane_b32 s14, v54, 45
	s_addc_u32 s15, s9, s14
	s_mov_b32 s14, s99
	s_cmp_lg_u64 s[14:15], 0
	s_cbranch_scc0 .LBB126_214
; %bb.152:                              ;   in Loop: Header=BB126_30 Depth=1
	v_cvt_f32_u32_e32 v4, s96
	s_sub_u32 s14, 0, s96
	s_subb_u32 s34, 0, 0
	v_fmac_f32_e32 v4, 0, v38
	v_rcp_f32_e32 v4, v4
	s_nop 0
	v_mul_f32_e32 v4, 0x5f7ffffc, v4
	v_mul_f32_e32 v5, 0x2f800000, v4
	v_trunc_f32_e32 v5, v5
	v_fmac_f32_e32 v4, 0xcf800000, v5
	v_cvt_u32_f32_e32 v5, v5
	v_cvt_u32_f32_e32 v4, v4
	v_readfirstlane_b32 s35, v5
	v_readfirstlane_b32 s30, v4
	s_mul_i32 s31, s14, s35
	s_mul_hi_u32 s38, s14, s30
	s_mul_i32 s37, s34, s30
	s_add_i32 s31, s38, s31
	s_mul_i32 s39, s14, s30
	s_add_i32 s31, s31, s37
	s_mul_hi_u32 s38, s30, s39
	s_mul_i32 s40, s30, s31
	s_mul_hi_u32 s37, s30, s31
	s_add_u32 s38, s38, s40
	s_addc_u32 s37, 0, s37
	s_mul_hi_u32 s41, s35, s39
	s_mul_i32 s39, s35, s39
	s_add_u32 s38, s38, s39
	s_mul_hi_u32 s40, s35, s31
	s_addc_u32 s37, s37, s41
	s_addc_u32 s38, s40, 0
	s_mul_i32 s31, s35, s31
	s_add_u32 s31, s37, s31
	s_addc_u32 s37, 0, s38
	s_add_u32 s38, s30, s31
	s_cselect_b64 s[30:31], -1, 0
	s_cmp_lg_u64 s[30:31], 0
	s_addc_u32 s35, s35, s37
	s_mul_i32 s30, s14, s35
	s_mul_hi_u32 s31, s14, s38
	s_add_i32 s30, s31, s30
	s_mul_i32 s34, s34, s38
	s_add_i32 s30, s30, s34
	s_mul_i32 s14, s14, s38
	s_mul_hi_u32 s34, s35, s14
	s_mul_i32 s37, s35, s14
	s_mul_i32 s40, s38, s30
	s_mul_hi_u32 s14, s38, s14
	s_mul_hi_u32 s39, s38, s30
	s_add_u32 s14, s14, s40
	s_addc_u32 s39, 0, s39
	s_add_u32 s14, s14, s37
	s_mul_hi_u32 s31, s35, s30
	s_addc_u32 s14, s39, s34
	s_addc_u32 s31, s31, 0
	s_mul_i32 s30, s35, s30
	s_add_u32 s14, s14, s30
	s_addc_u32 s34, 0, s31
	s_add_u32 s14, s38, s14
	s_cselect_b64 s[30:31], -1, 0
	s_cmp_lg_u64 s[30:31], 0
	s_addc_u32 s30, s35, s34
	s_mul_i32 s34, s36, s30
	s_mul_hi_u32 s35, s36, s14
	s_mul_hi_u32 s31, s36, s30
	s_add_u32 s34, s35, s34
	s_addc_u32 s31, 0, s31
	s_mul_hi_u32 s37, s15, s14
	s_mul_i32 s14, s15, s14
	s_add_u32 s14, s34, s14
	s_mul_hi_u32 s35, s15, s30
	s_addc_u32 s14, s31, s37
	s_addc_u32 s31, s35, 0
	s_mul_i32 s30, s15, s30
	s_add_u32 s14, s14, s30
	s_addc_u32 s30, 0, s31
	s_mul_i32 s30, s96, s30
	s_mul_hi_u32 s31, s96, s14
	s_add_i32 s34, s31, s30
	s_mul_i32 s14, s96, s14
	s_sub_u32 s14, s36, s14
	s_cselect_b64 s[30:31], -1, 0
	s_cmp_lg_u64 s[30:31], 0
	s_subb_u32 s34, s15, s34
	s_sub_u32 s35, s14, s96
	s_cselect_b64 s[30:31], -1, 0
	s_cmp_lg_u64 s[30:31], 0
	s_subb_u32 s37, s34, 0
	;; [unrolled: 4-line block ×3, first 2 shown]
	s_cmp_ge_u32 s35, s96
	s_cselect_b32 s31, -1, 0
	s_cmp_eq_u32 s37, 0
	s_cselect_b32 s31, s31, -1
	s_cmp_lg_u32 s31, 0
	s_cselect_b32 s30, s30, s37
	s_cselect_b32 s35, s38, s35
	s_cmp_ge_u32 s14, s96
	s_cselect_b32 s31, -1, 0
	s_cmp_eq_u32 s34, 0
	s_cselect_b32 s31, s31, -1
	s_cmp_lg_u32 s31, 0
	s_cselect_b32 s31, s30, s34
	s_cselect_b32 s30, s35, s14
	s_cbranch_execnz .LBB126_154
.LBB126_153:                            ;   in Loop: Header=BB126_30 Depth=1
	v_cvt_f32_u32_e32 v4, s96
	s_sub_i32 s14, 0, s96
	v_rcp_iflag_f32_e32 v4, v4
	s_nop 0
	v_mul_f32_e32 v4, 0x4f7ffffe, v4
	v_cvt_u32_f32_e32 v4, v4
	s_nop 0
	v_readfirstlane_b32 s30, v4
	s_mul_i32 s14, s14, s30
	s_mul_hi_u32 s14, s30, s14
	s_add_i32 s30, s30, s14
	s_mul_hi_u32 s14, s36, s30
	s_mul_i32 s14, s14, s96
	s_sub_i32 s14, s36, s14
	s_sub_i32 s30, s14, s96
	s_cmp_ge_u32 s14, s96
	s_cselect_b32 s14, s30, s14
	s_sub_i32 s30, s14, s96
	s_cmp_ge_u32 s14, s96
	s_cselect_b32 s98, s30, s14
	s_mov_b64 s[30:31], s[98:99]
.LBB126_154:                            ;   in Loop: Header=BB126_30 Depth=1
	s_sub_u32 s36, s36, s30
	s_subb_u32 s37, s15, s31
	v_cmp_gt_u64_e32 vcc, s[36:37], v[0:1]
	s_mov_b64 s[14:15], 0
	s_mov_b64 s[34:35], 0
                                        ; implicit-def: $vgpr25
	s_and_saveexec_b64 s[30:31], vcc
	s_cbranch_execz .LBB126_169
; %bb.155:                              ;   in Loop: Header=BB126_30 Depth=1
	v_mov_b32_e32 v10, v12
	v_mov_b64_e32 v[4:5], v[0:1]
                                        ; implicit-def: $sgpr38_sgpr39
	s_branch .LBB126_159
.LBB126_156:                            ;   in Loop: Header=BB126_159 Depth=2
	s_or_b64 exec, exec, s[40:41]
	s_waitcnt lgkmcnt(0)
	s_barrier
	ds_read_b64 v[24:25], v3 offset:3072
	s_waitcnt lgkmcnt(0)
	s_barrier
	v_cmp_neq_f32_e32 vcc, 0, v24
	s_cbranch_vccnz .LBB126_162
; %bb.157:                              ;   in Loop: Header=BB126_159 Depth=2
	v_lshl_add_u64 v[4:5], v[4:5], 0, s[96:97]
	v_cmp_le_u64_e32 vcc, s[36:37], v[4:5]
	v_add_u32_e32 v10, s87, v10
	s_mov_b64 s[40:41], 0
	s_orn2_b64 s[42:43], vcc, exec
.LBB126_158:                            ;   in Loop: Header=BB126_159 Depth=2
	s_and_b64 s[42:43], exec, s[42:43]
	s_or_b64 s[34:35], s[42:43], s[34:35]
	s_andn2_b64 s[38:39], s[38:39], exec
	s_and_b64 s[40:41], s[40:41], exec
	s_or_b64 s[38:39], s[38:39], s[40:41]
	s_andn2_b64 exec, exec, s[34:35]
	s_cbranch_execz .LBB126_168
.LBB126_159:                            ;   Parent Loop BB126_30 Depth=1
                                        ; =>  This Inner Loop Header: Depth=2
	v_cmp_gt_u64_e32 vcc, s[8:9], v[4:5]
	s_and_saveexec_b64 s[40:41], vcc
	s_cbranch_execz .LBB126_156
; %bb.160:                              ;   in Loop: Header=BB126_159 Depth=2
	ds_read_b32 v23, v10
	s_waitcnt lgkmcnt(0)
	v_cmp_lt_i32_e32 vcc, -1, v23
	s_nop 1
	v_cndmask_b32_e32 v11, -1, v37, vcc
	v_xor_b32_e32 v11, v11, v23
	v_cmp_o_f32_e32 vcc, v23, v23
	s_nop 1
	v_cndmask_b32_e32 v11, -1, v11, vcc
	v_and_b32_e32 v11, v11, v39
	v_cmp_eq_u32_e32 vcc, v11, v34
	s_and_b64 exec, exec, vcc
	s_cbranch_execz .LBB126_156
; %bb.161:                              ;   in Loop: Header=BB126_159 Depth=2
	ds_write_b64 v3, v[22:23] offset:3072
	s_branch .LBB126_156
.LBB126_162:                            ;   in Loop: Header=BB126_159 Depth=2
	s_mov_b64 s[42:43], -1
                                        ; implicit-def: $vgpr4_vgpr5
                                        ; implicit-def: $vgpr10
	s_mov_b64 s[40:41], -1
	s_branch .LBB126_158
.LBB126_163:                            ;   in Loop: Header=BB126_30 Depth=1
                                        ; implicit-def: $sgpr26_sgpr27
	s_branch .LBB126_108
.LBB126_164:                            ;   in Loop: Header=BB126_30 Depth=1
	s_or_b64 exec, exec, s[14:15]
	s_waitcnt lgkmcnt(0)
	s_barrier
	s_mov_b64 s[0:1], exec
	v_readlane_b32 s2, v54, 36
	v_readlane_b32 s3, v54, 37
	s_and_b64 s[2:3], s[0:1], s[2:3]
	s_mov_b64 exec, s[2:3]
	s_cbranch_execz .LBB126_166
; %bb.165:                              ;   in Loop: Header=BB126_30 Depth=1
	ds_read_b32 v4, v3 offset:5144
	s_waitcnt lgkmcnt(0)
	v_ashrrev_i32_e32 v5, 31, v4
	ds_write_b64 v3, v[4:5] offset:5120
.LBB126_166:                            ;   in Loop: Header=BB126_30 Depth=1
	s_or_b64 exec, exec, s[0:1]
	s_waitcnt lgkmcnt(0)
	s_barrier
	s_mov_b64 s[0:1], -1
	s_and_b64 vcc, exec, s[8:9]
	s_cbranch_vccnz .LBB126_46
	s_branch .LBB126_61
.LBB126_167:                            ;   in Loop: Header=BB126_30 Depth=1
                                        ; implicit-def: $sgpr8_sgpr9
	s_branch .LBB126_123
.LBB126_168:                            ;   in Loop: Header=BB126_30 Depth=1
	s_or_b64 exec, exec, s[34:35]
	s_and_b64 s[34:35], s[38:39], exec
.LBB126_169:                            ;   in Loop: Header=BB126_30 Depth=1
	s_or_b64 exec, exec, s[30:31]
.LBB126_170:                            ;   in Loop: Header=BB126_30 Depth=1
	s_and_b64 vcc, exec, s[14:15]
	s_cbranch_vccz .LBB126_185
; %bb.171:                              ;   in Loop: Header=BB126_30 Depth=1
	s_mov_b32 s68, s99
	s_cmp_lg_u64 s[68:69], 0
	s_cbranch_scc0 .LBB126_215
; %bb.172:                              ;   in Loop: Header=BB126_30 Depth=1
	v_cvt_f32_u32_e32 v4, s96
	s_sub_u32 s8, 0, s96
	s_subb_u32 s9, 0, 0
	v_fmac_f32_e32 v4, 0, v38
	v_rcp_f32_e32 v4, v4
	s_nop 0
	v_mul_f32_e32 v4, 0x5f7ffffc, v4
	v_mul_f32_e32 v5, 0x2f800000, v4
	v_trunc_f32_e32 v5, v5
	v_fmac_f32_e32 v4, 0xcf800000, v5
	v_cvt_u32_f32_e32 v5, v5
	v_cvt_u32_f32_e32 v4, v4
	v_readfirstlane_b32 s14, v5
	v_readfirstlane_b32 s0, v4
	s_mul_i32 s1, s8, s14
	s_mul_hi_u32 s24, s8, s0
	s_mul_i32 s15, s9, s0
	s_add_i32 s1, s24, s1
	s_mul_i32 s25, s8, s0
	s_add_i32 s1, s1, s15
	s_mul_hi_u32 s24, s0, s25
	s_mul_i32 s30, s0, s1
	s_mul_hi_u32 s15, s0, s1
	s_add_u32 s24, s24, s30
	s_addc_u32 s15, 0, s15
	s_mul_hi_u32 s31, s14, s25
	s_mul_i32 s25, s14, s25
	s_add_u32 s24, s24, s25
	s_mul_hi_u32 s30, s14, s1
	s_addc_u32 s15, s15, s31
	s_addc_u32 s24, s30, 0
	s_mul_i32 s1, s14, s1
	s_add_u32 s1, s15, s1
	s_addc_u32 s15, 0, s24
	s_add_u32 s24, s0, s1
	s_cselect_b64 s[0:1], -1, 0
	s_cmp_lg_u64 s[0:1], 0
	s_addc_u32 s14, s14, s15
	s_mul_i32 s0, s8, s14
	s_mul_hi_u32 s1, s8, s24
	s_add_i32 s0, s1, s0
	s_mul_i32 s9, s9, s24
	s_add_i32 s0, s0, s9
	s_mul_i32 s8, s8, s24
	s_mul_hi_u32 s9, s14, s8
	s_mul_i32 s15, s14, s8
	s_mul_i32 s30, s24, s0
	s_mul_hi_u32 s8, s24, s8
	s_mul_hi_u32 s25, s24, s0
	s_add_u32 s8, s8, s30
	s_addc_u32 s25, 0, s25
	s_add_u32 s8, s8, s15
	s_mul_hi_u32 s1, s14, s0
	s_addc_u32 s8, s25, s9
	s_addc_u32 s1, s1, 0
	s_mul_i32 s0, s14, s0
	s_add_u32 s0, s8, s0
	s_addc_u32 s8, 0, s1
	s_add_u32 s9, s24, s0
	s_cselect_b64 s[0:1], -1, 0
	s_cmp_lg_u64 s[0:1], 0
	s_addc_u32 s0, s14, s8
	s_mul_i32 s8, s76, s0
	s_mul_hi_u32 s14, s76, s9
	s_mul_hi_u32 s1, s76, s0
	s_add_u32 s8, s14, s8
	s_addc_u32 s1, 0, s1
	s_mul_hi_u32 s15, s69, s9
	s_mul_i32 s9, s69, s9
	s_add_u32 s8, s8, s9
	s_mul_hi_u32 s14, s69, s0
	s_addc_u32 s1, s1, s15
	s_addc_u32 s8, s14, 0
	s_mul_i32 s0, s69, s0
	s_add_u32 s0, s1, s0
	s_addc_u32 s1, 0, s8
	s_mul_i32 s1, s96, s1
	s_mul_hi_u32 s8, s96, s0
	s_add_i32 s8, s8, s1
	s_mul_i32 s0, s96, s0
	s_sub_u32 s9, s76, s0
	s_cselect_b64 s[0:1], -1, 0
	s_cmp_lg_u64 s[0:1], 0
	s_subb_u32 s8, s69, s8
	s_sub_u32 s14, s9, s96
	s_cselect_b64 s[0:1], -1, 0
	s_cmp_lg_u64 s[0:1], 0
	s_subb_u32 s15, s8, 0
	;; [unrolled: 4-line block ×3, first 2 shown]
	s_cmp_ge_u32 s14, s96
	s_cselect_b32 s1, -1, 0
	s_cmp_eq_u32 s15, 0
	s_cselect_b32 s1, s1, -1
	s_cmp_lg_u32 s1, 0
	s_cselect_b32 s0, s0, s15
	s_cselect_b32 s14, s24, s14
	s_cmp_ge_u32 s9, s96
	s_cselect_b32 s1, -1, 0
	s_cmp_eq_u32 s8, 0
	s_cselect_b32 s1, s1, -1
	s_cmp_lg_u32 s1, 0
	s_cselect_b32 s1, s0, s8
	s_cselect_b32 s0, s14, s9
	s_cbranch_execnz .LBB126_174
.LBB126_173:                            ;   in Loop: Header=BB126_30 Depth=1
	v_cvt_f32_u32_e32 v4, s96
	s_sub_i32 s0, 0, s96
	v_rcp_iflag_f32_e32 v4, v4
	s_nop 0
	v_mul_f32_e32 v4, 0x4f7ffffe, v4
	v_cvt_u32_f32_e32 v4, v4
	s_nop 0
	v_readfirstlane_b32 s1, v4
	s_mul_i32 s0, s0, s1
	s_mul_hi_u32 s0, s1, s0
	s_add_i32 s1, s1, s0
	s_mul_hi_u32 s0, s76, s1
	s_mul_i32 s0, s0, s96
	s_sub_i32 s0, s76, s0
	s_sub_i32 s1, s0, s96
	s_cmp_ge_u32 s0, s96
	s_cselect_b32 s0, s1, s0
	s_sub_i32 s1, s0, s96
	s_cmp_ge_u32 s0, s96
	s_cselect_b32 s98, s1, s0
	s_mov_b64 s[0:1], s[98:99]
.LBB126_174:                            ;   in Loop: Header=BB126_30 Depth=1
	s_sub_u32 s8, s76, s0
	s_subb_u32 s9, s69, s1
	v_cmp_gt_u64_e32 vcc, s[8:9], v[0:1]
                                        ; implicit-def: $vgpr25
	s_and_saveexec_b64 s[0:1], vcc
	s_cbranch_execz .LBB126_184
; %bb.175:                              ;   in Loop: Header=BB126_30 Depth=1
	s_mov_b64 s[14:15], 0
	v_mov_b64_e32 v[4:5], v[0:1]
                                        ; implicit-def: $sgpr24_sgpr25
	s_branch .LBB126_179
.LBB126_176:                            ;   in Loop: Header=BB126_179 Depth=2
	s_or_b64 exec, exec, s[30:31]
	s_waitcnt lgkmcnt(0)
	s_barrier
	ds_read_b64 v[24:25], v3 offset:3072
	s_waitcnt lgkmcnt(0)
	s_barrier
	v_cmp_eq_f32_e32 vcc, 0, v24
	s_cbranch_vccz .LBB126_182
; %bb.177:                              ;   in Loop: Header=BB126_179 Depth=2
	v_lshl_add_u64 v[4:5], v[4:5], 0, s[96:97]
	v_cmp_le_u64_e32 vcc, s[8:9], v[4:5]
	s_mov_b64 s[30:31], 0
	s_orn2_b64 s[36:37], vcc, exec
.LBB126_178:                            ;   in Loop: Header=BB126_179 Depth=2
	s_and_b64 s[36:37], exec, s[36:37]
	s_or_b64 s[14:15], s[36:37], s[14:15]
	s_andn2_b64 s[24:25], s[24:25], exec
	s_and_b64 s[30:31], s[30:31], exec
	s_or_b64 s[24:25], s[24:25], s[30:31]
	s_andn2_b64 exec, exec, s[14:15]
	s_cbranch_execz .LBB126_183
.LBB126_179:                            ;   Parent Loop BB126_30 Depth=1
                                        ; =>  This Inner Loop Header: Depth=2
	v_cmp_gt_u64_e32 vcc, s[56:57], v[4:5]
	s_and_saveexec_b64 s[30:31], vcc
	s_cbranch_execz .LBB126_176
; %bb.180:                              ;   in Loop: Header=BB126_179 Depth=2
	v_mul_lo_u32 v23, v5, s82
	v_mul_lo_u32 v24, v4, s83
	v_mad_u64_u32 v[10:11], s[36:37], v4, s82, 0
	v_add3_u32 v11, v11, v24, v23
	v_lshl_add_u64 v[10:11], v[10:11], 2, s[90:91]
	global_load_dword v23, v[10:11], off
	s_waitcnt vmcnt(0)
	v_cmp_lt_i32_e32 vcc, -1, v23
	s_nop 1
	v_cndmask_b32_e32 v10, -1, v37, vcc
	v_xor_b32_e32 v10, v10, v23
	v_cmp_o_f32_e32 vcc, v23, v23
	s_nop 1
	v_cndmask_b32_e32 v10, -1, v10, vcc
	v_and_b32_e32 v10, v10, v39
	v_cmp_eq_u32_e32 vcc, v10, v34
	s_and_b64 exec, exec, vcc
	s_cbranch_execz .LBB126_176
; %bb.181:                              ;   in Loop: Header=BB126_179 Depth=2
	ds_write_b64 v3, v[22:23] offset:3072
	s_branch .LBB126_176
.LBB126_182:                            ;   in Loop: Header=BB126_179 Depth=2
	s_mov_b64 s[36:37], -1
                                        ; implicit-def: $vgpr4_vgpr5
	s_mov_b64 s[30:31], -1
	s_branch .LBB126_178
.LBB126_183:                            ;   in Loop: Header=BB126_30 Depth=1
	s_or_b64 exec, exec, s[14:15]
	s_andn2_b64 s[8:9], s[34:35], exec
	s_and_b64 s[14:15], s[24:25], exec
	s_or_b64 s[34:35], s[8:9], s[14:15]
.LBB126_184:                            ;   in Loop: Header=BB126_30 Depth=1
	s_or_b64 exec, exec, s[0:1]
	s_mov_b64 s[0:1], 0
	s_mov_b64 s[24:25], -1
.LBB126_185:                            ;   in Loop: Header=BB126_30 Depth=1
	s_orn2_b64 s[8:9], s[34:35], exec
.LBB126_186:                            ;   in Loop: Header=BB126_30 Depth=1
	s_or_b64 exec, exec, s[26:27]
	s_mov_b64 s[14:15], 0
	s_and_saveexec_b64 s[26:27], s[8:9]
	s_cbranch_execz .LBB126_296
; %bb.187:                              ;   in Loop: Header=BB126_30 Depth=1
	s_xor_b64 s[28:29], s[28:29], -1
	v_mov_b32_e32 v2, 1
	v_mov_b64_e32 v[4:5], 1
	s_and_saveexec_b64 s[8:9], s[28:29]
	s_cbranch_execz .LBB126_197
; %bb.188:                              ;   in Loop: Header=BB126_30 Depth=1
	v_cmp_le_u64_e32 vcc, v[8:9], v[6:7]
	s_and_saveexec_b64 s[14:15], vcc
	s_xor_b64 s[14:15], exec, s[14:15]
	s_cbranch_execz .LBB126_194
; %bb.189:                              ;   in Loop: Header=BB126_30 Depth=1
	ds_read_b64 v[4:5], v3 offset:5120
	v_and_b32_e32 v2, s52, v34
	v_lshl_or_b32 v34, 1, s6, v2
	v_or_b32_e32 v39, s62, v39
	s_waitcnt lgkmcnt(0)
	v_cmp_ne_u64_e32 vcc, 0, v[4:5]
	s_cbranch_vccnz .LBB126_193
; %bb.190:                              ;   in Loop: Header=BB126_30 Depth=1
	s_mov_b64 s[28:29], exec
	v_readlane_b32 s30, v54, 36
	v_readlane_b32 s31, v54, 37
	s_and_b64 s[30:31], s[28:29], s[30:31]
	s_mov_b64 exec, s[30:31]
; %bb.191:                              ;   in Loop: Header=BB126_30 Depth=1
	ds_write_b64 v3, v[6:7] offset:5128
; %bb.192:                              ;   in Loop: Header=BB126_30 Depth=1
	s_or_b64 exec, exec, s[28:29]
	s_waitcnt lgkmcnt(0)
	s_barrier
.LBB126_193:                            ;   in Loop: Header=BB126_30 Depth=1
                                        ; implicit-def: $vgpr4_vgpr5_vgpr6_vgpr7
.LBB126_194:                            ;   in Loop: Header=BB126_30 Depth=1
	s_or_saveexec_b64 s[14:15], s[14:15]
	s_mov_b64 s[28:29], 0
	v_mov_b32_e32 v2, 8
	s_xor_b64 exec, exec, s[14:15]
; %bb.195:                              ;   in Loop: Header=BB126_30 Depth=1
	v_sub_co_u32_e32 v8, vcc, v8, v6
	s_mov_b64 s[28:29], exec
	s_nop 0
	v_subb_co_u32_e32 v9, vcc, v9, v7, vcc
	v_mov_b32_e32 v2, 0
; %bb.196:                              ;   in Loop: Header=BB126_30 Depth=1
	s_or_b64 exec, exec, s[14:15]
	s_and_b64 s[14:15], s[28:29], exec
	v_mov_b64_e32 v[4:5], v[8:9]
.LBB126_197:                            ;   in Loop: Header=BB126_30 Depth=1
	s_or_b64 exec, exec, s[8:9]
	s_mov_b64 s[8:9], -1
                                        ; implicit-def: $sgpr34_sgpr35
                                        ; implicit-def: $sgpr36_sgpr37
	s_and_saveexec_b64 s[28:29], s[14:15]
	s_cbranch_execz .LBB126_295
; %bb.198:                              ;   in Loop: Header=BB126_30 Depth=1
	s_cmp_eq_u64 s[22:23], 1
	s_cselect_b64 s[8:9], -1, 0
	v_cmp_eq_u64_e32 vcc, 1, v[4:5]
	s_and_b64 s[40:41], s[8:9], vcc
	s_mov_b64 s[8:9], -1
                                        ; implicit-def: $sgpr36_sgpr37
                                        ; implicit-def: $sgpr34_sgpr35
	s_and_saveexec_b64 s[38:39], s[40:41]
	s_cbranch_execz .LBB126_234
; %bb.199:                              ;   in Loop: Header=BB126_30 Depth=1
	ds_read_b64 v[6:7], v3 offset:5120
	s_waitcnt lgkmcnt(0)
	s_barrier
	v_readfirstlane_b32 s8, v6
	v_readfirstlane_b32 s9, v7
	s_mov_b64 s[14:15], exec
	v_readlane_b32 s30, v54, 38
	v_readlane_b32 s31, v54, 39
	s_and_b64 s[30:31], s[14:15], s[30:31]
	s_mov_b64 exec, s[30:31]
; %bb.200:                              ;   in Loop: Header=BB126_30 Depth=1
	ds_write_b32 v31, v3
; %bb.201:                              ;   in Loop: Header=BB126_30 Depth=1
	s_or_b64 exec, exec, s[14:15]
	v_and_b32_e32 v6, s52, v34
	v_lshl_or_b32 v34, 2, s6, v6
	v_or_b32_e32 v39, s62, v39
	s_mov_b64 s[34:35], -1
	s_mov_b64 s[36:37], 0
	s_cmp_eq_u64 s[8:9], 0
	s_mov_b64 s[42:43], 0
	s_mov_b64 s[14:15], -1
	s_waitcnt lgkmcnt(0)
	s_barrier
                                        ; implicit-def: $vgpr25
	s_cbranch_scc1 .LBB126_218
; %bb.202:                              ;   in Loop: Header=BB126_30 Depth=1
	v_readlane_b32 s14, v54, 44
	s_add_u32 s44, s8, s14
	v_readlane_b32 s14, v54, 45
	s_addc_u32 s15, s9, s14
	s_mov_b32 s14, s99
	s_cmp_lg_u64 s[14:15], 0
	s_cbranch_scc0 .LBB126_261
; %bb.203:                              ;   in Loop: Header=BB126_30 Depth=1
	v_cvt_f32_u32_e32 v6, s96
	s_sub_u32 s14, 0, s96
	s_subb_u32 s42, 0, 0
	v_fmac_f32_e32 v6, 0, v38
	v_rcp_f32_e32 v6, v6
	s_nop 0
	v_mul_f32_e32 v6, 0x5f7ffffc, v6
	v_mul_f32_e32 v7, 0x2f800000, v6
	v_trunc_f32_e32 v7, v7
	v_fmac_f32_e32 v6, 0xcf800000, v7
	v_cvt_u32_f32_e32 v7, v7
	v_cvt_u32_f32_e32 v6, v6
	v_readfirstlane_b32 s43, v7
	v_readfirstlane_b32 s30, v6
	s_mul_i32 s31, s14, s43
	s_mul_hi_u32 s46, s14, s30
	s_mul_i32 s45, s42, s30
	s_add_i32 s31, s46, s31
	s_mul_i32 s47, s14, s30
	s_add_i32 s31, s31, s45
	s_mul_hi_u32 s46, s30, s47
	s_mul_i32 s48, s30, s31
	s_mul_hi_u32 s45, s30, s31
	s_add_u32 s46, s46, s48
	s_addc_u32 s45, 0, s45
	s_mul_hi_u32 s49, s43, s47
	s_mul_i32 s47, s43, s47
	s_add_u32 s46, s46, s47
	s_mul_hi_u32 s48, s43, s31
	s_addc_u32 s45, s45, s49
	s_addc_u32 s46, s48, 0
	s_mul_i32 s31, s43, s31
	s_add_u32 s31, s45, s31
	s_addc_u32 s45, 0, s46
	s_add_u32 s46, s30, s31
	s_cselect_b64 s[30:31], -1, 0
	s_cmp_lg_u64 s[30:31], 0
	s_addc_u32 s43, s43, s45
	s_mul_i32 s30, s14, s43
	s_mul_hi_u32 s31, s14, s46
	s_add_i32 s30, s31, s30
	s_mul_i32 s42, s42, s46
	s_add_i32 s30, s30, s42
	s_mul_i32 s14, s14, s46
	s_mul_hi_u32 s42, s43, s14
	s_mul_i32 s45, s43, s14
	s_mul_i32 s48, s46, s30
	s_mul_hi_u32 s14, s46, s14
	s_mul_hi_u32 s47, s46, s30
	s_add_u32 s14, s14, s48
	s_addc_u32 s47, 0, s47
	s_add_u32 s14, s14, s45
	s_mul_hi_u32 s31, s43, s30
	s_addc_u32 s14, s47, s42
	s_addc_u32 s31, s31, 0
	s_mul_i32 s30, s43, s30
	s_add_u32 s14, s14, s30
	s_addc_u32 s42, 0, s31
	s_add_u32 s14, s46, s14
	s_cselect_b64 s[30:31], -1, 0
	s_cmp_lg_u64 s[30:31], 0
	s_addc_u32 s30, s43, s42
	s_mul_i32 s42, s44, s30
	s_mul_hi_u32 s43, s44, s14
	s_mul_hi_u32 s31, s44, s30
	s_add_u32 s42, s43, s42
	s_addc_u32 s31, 0, s31
	s_mul_hi_u32 s45, s15, s14
	s_mul_i32 s14, s15, s14
	s_add_u32 s14, s42, s14
	s_mul_hi_u32 s43, s15, s30
	s_addc_u32 s14, s31, s45
	s_addc_u32 s31, s43, 0
	s_mul_i32 s30, s15, s30
	s_add_u32 s14, s14, s30
	s_addc_u32 s30, 0, s31
	s_mul_i32 s30, s96, s30
	s_mul_hi_u32 s31, s96, s14
	s_add_i32 s42, s31, s30
	s_mul_i32 s14, s96, s14
	s_sub_u32 s14, s44, s14
	s_cselect_b64 s[30:31], -1, 0
	s_cmp_lg_u64 s[30:31], 0
	s_subb_u32 s42, s15, s42
	s_sub_u32 s43, s14, s96
	s_cselect_b64 s[30:31], -1, 0
	s_cmp_lg_u64 s[30:31], 0
	s_subb_u32 s45, s42, 0
	;; [unrolled: 4-line block ×3, first 2 shown]
	s_cmp_ge_u32 s43, s96
	s_cselect_b32 s31, -1, 0
	s_cmp_eq_u32 s45, 0
	s_cselect_b32 s31, s31, -1
	s_cmp_lg_u32 s31, 0
	s_cselect_b32 s30, s30, s45
	s_cselect_b32 s43, s46, s43
	s_cmp_ge_u32 s14, s96
	s_cselect_b32 s31, -1, 0
	s_cmp_eq_u32 s42, 0
	s_cselect_b32 s31, s31, -1
	s_cmp_lg_u32 s31, 0
	s_cselect_b32 s31, s30, s42
	s_cselect_b32 s30, s43, s14
	s_cbranch_execnz .LBB126_205
.LBB126_204:                            ;   in Loop: Header=BB126_30 Depth=1
	v_cvt_f32_u32_e32 v6, s96
	s_sub_i32 s14, 0, s96
	v_rcp_iflag_f32_e32 v6, v6
	s_nop 0
	v_mul_f32_e32 v6, 0x4f7ffffe, v6
	v_cvt_u32_f32_e32 v6, v6
	s_nop 0
	v_readfirstlane_b32 s30, v6
	s_mul_i32 s14, s14, s30
	s_mul_hi_u32 s14, s30, s14
	s_add_i32 s30, s30, s14
	s_mul_hi_u32 s14, s44, s30
	s_mul_i32 s14, s14, s96
	s_sub_i32 s14, s44, s14
	s_sub_i32 s30, s14, s96
	s_cmp_ge_u32 s14, s96
	s_cselect_b32 s14, s30, s14
	s_sub_i32 s30, s14, s96
	s_cmp_ge_u32 s14, s96
	s_cselect_b32 s98, s30, s14
	s_mov_b64 s[30:31], s[98:99]
.LBB126_205:                            ;   in Loop: Header=BB126_30 Depth=1
	s_sub_u32 s44, s44, s30
	s_subb_u32 s45, s15, s31
	v_cmp_gt_u64_e32 vcc, s[44:45], v[0:1]
	s_mov_b64 s[14:15], 0
	s_mov_b64 s[42:43], 0
                                        ; implicit-def: $vgpr25
	s_and_saveexec_b64 s[30:31], vcc
	s_cbranch_execz .LBB126_217
; %bb.206:                              ;   in Loop: Header=BB126_30 Depth=1
	v_mov_b32_e32 v8, v12
	v_mov_b64_e32 v[6:7], v[0:1]
                                        ; implicit-def: $sgpr46_sgpr47
	s_branch .LBB126_210
.LBB126_207:                            ;   in Loop: Header=BB126_210 Depth=2
	s_or_b64 exec, exec, s[48:49]
	s_waitcnt lgkmcnt(0)
	s_barrier
	ds_read_b64 v[24:25], v3 offset:3072
	s_waitcnt lgkmcnt(0)
	s_barrier
	v_cmp_neq_f32_e32 vcc, 0, v24
	s_cbranch_vccnz .LBB126_213
; %bb.208:                              ;   in Loop: Header=BB126_210 Depth=2
	v_lshl_add_u64 v[6:7], v[6:7], 0, s[96:97]
	v_cmp_le_u64_e32 vcc, s[44:45], v[6:7]
	v_add_u32_e32 v8, s87, v8
	s_mov_b64 s[48:49], 0
	s_orn2_b64 s[50:51], vcc, exec
.LBB126_209:                            ;   in Loop: Header=BB126_210 Depth=2
	s_and_b64 s[50:51], exec, s[50:51]
	s_or_b64 s[42:43], s[50:51], s[42:43]
	s_andn2_b64 s[46:47], s[46:47], exec
	s_and_b64 s[48:49], s[48:49], exec
	s_or_b64 s[46:47], s[46:47], s[48:49]
	s_andn2_b64 exec, exec, s[42:43]
	s_cbranch_execz .LBB126_216
.LBB126_210:                            ;   Parent Loop BB126_30 Depth=1
                                        ; =>  This Inner Loop Header: Depth=2
	v_cmp_gt_u64_e32 vcc, s[8:9], v[6:7]
	s_and_saveexec_b64 s[48:49], vcc
	s_cbranch_execz .LBB126_207
; %bb.211:                              ;   in Loop: Header=BB126_210 Depth=2
	ds_read_b32 v23, v8
	s_waitcnt lgkmcnt(0)
	v_cmp_lt_i32_e32 vcc, -1, v23
	s_nop 1
	v_cndmask_b32_e32 v9, -1, v37, vcc
	v_xor_b32_e32 v9, v9, v23
	v_cmp_o_f32_e32 vcc, v23, v23
	s_nop 1
	v_cndmask_b32_e32 v9, -1, v9, vcc
	v_and_b32_e32 v9, v9, v39
	v_cmp_eq_u32_e32 vcc, v9, v34
	s_and_b64 exec, exec, vcc
	s_cbranch_execz .LBB126_207
; %bb.212:                              ;   in Loop: Header=BB126_210 Depth=2
	ds_write_b64 v3, v[22:23] offset:3072
	s_branch .LBB126_207
.LBB126_213:                            ;   in Loop: Header=BB126_210 Depth=2
	s_mov_b64 s[50:51], -1
                                        ; implicit-def: $vgpr6_vgpr7
                                        ; implicit-def: $vgpr8
	s_mov_b64 s[48:49], -1
	s_branch .LBB126_209
.LBB126_214:                            ;   in Loop: Header=BB126_30 Depth=1
                                        ; implicit-def: $sgpr30_sgpr31
	s_branch .LBB126_153
.LBB126_215:                            ;   in Loop: Header=BB126_30 Depth=1
                                        ; implicit-def: $sgpr0_sgpr1
	s_branch .LBB126_173
.LBB126_216:                            ;   in Loop: Header=BB126_30 Depth=1
	s_or_b64 exec, exec, s[42:43]
	s_and_b64 s[42:43], s[46:47], exec
.LBB126_217:                            ;   in Loop: Header=BB126_30 Depth=1
	s_or_b64 exec, exec, s[30:31]
.LBB126_218:                            ;   in Loop: Header=BB126_30 Depth=1
	s_and_b64 vcc, exec, s[14:15]
	s_cbranch_vccz .LBB126_233
; %bb.219:                              ;   in Loop: Header=BB126_30 Depth=1
	s_mov_b32 s68, s99
	s_cmp_lg_u64 s[68:69], 0
	s_cbranch_scc0 .LBB126_262
; %bb.220:                              ;   in Loop: Header=BB126_30 Depth=1
	v_cvt_f32_u32_e32 v6, s96
	s_sub_u32 s14, 0, s96
	s_subb_u32 s15, 0, 0
	v_fmac_f32_e32 v6, 0, v38
	v_rcp_f32_e32 v6, v6
	s_nop 0
	v_mul_f32_e32 v6, 0x5f7ffffc, v6
	v_mul_f32_e32 v7, 0x2f800000, v6
	v_trunc_f32_e32 v7, v7
	v_fmac_f32_e32 v6, 0xcf800000, v7
	v_cvt_u32_f32_e32 v7, v7
	v_cvt_u32_f32_e32 v6, v6
	v_readfirstlane_b32 s30, v7
	v_readfirstlane_b32 s8, v6
	s_mul_i32 s9, s14, s30
	s_mul_hi_u32 s34, s14, s8
	s_mul_i32 s31, s15, s8
	s_add_i32 s9, s34, s9
	s_mul_i32 s35, s14, s8
	s_add_i32 s9, s9, s31
	s_mul_hi_u32 s34, s8, s35
	s_mul_i32 s36, s8, s9
	s_mul_hi_u32 s31, s8, s9
	s_add_u32 s34, s34, s36
	s_addc_u32 s31, 0, s31
	s_mul_hi_u32 s37, s30, s35
	s_mul_i32 s35, s30, s35
	s_add_u32 s34, s34, s35
	s_mul_hi_u32 s36, s30, s9
	s_addc_u32 s31, s31, s37
	s_addc_u32 s34, s36, 0
	s_mul_i32 s9, s30, s9
	s_add_u32 s9, s31, s9
	s_addc_u32 s31, 0, s34
	s_add_u32 s34, s8, s9
	s_cselect_b64 s[8:9], -1, 0
	s_cmp_lg_u64 s[8:9], 0
	s_addc_u32 s30, s30, s31
	s_mul_i32 s8, s14, s30
	s_mul_hi_u32 s9, s14, s34
	s_add_i32 s8, s9, s8
	s_mul_i32 s15, s15, s34
	s_add_i32 s8, s8, s15
	s_mul_i32 s14, s14, s34
	s_mul_hi_u32 s15, s30, s14
	s_mul_i32 s31, s30, s14
	s_mul_i32 s36, s34, s8
	s_mul_hi_u32 s14, s34, s14
	s_mul_hi_u32 s35, s34, s8
	s_add_u32 s14, s14, s36
	s_addc_u32 s35, 0, s35
	s_add_u32 s14, s14, s31
	s_mul_hi_u32 s9, s30, s8
	s_addc_u32 s14, s35, s15
	s_addc_u32 s9, s9, 0
	s_mul_i32 s8, s30, s8
	s_add_u32 s8, s14, s8
	s_addc_u32 s14, 0, s9
	s_add_u32 s15, s34, s8
	s_cselect_b64 s[8:9], -1, 0
	s_cmp_lg_u64 s[8:9], 0
	s_addc_u32 s8, s30, s14
	s_mul_i32 s14, s76, s8
	s_mul_hi_u32 s30, s76, s15
	s_mul_hi_u32 s9, s76, s8
	s_add_u32 s14, s30, s14
	s_addc_u32 s9, 0, s9
	s_mul_hi_u32 s31, s69, s15
	s_mul_i32 s15, s69, s15
	s_add_u32 s14, s14, s15
	s_mul_hi_u32 s30, s69, s8
	s_addc_u32 s9, s9, s31
	s_addc_u32 s14, s30, 0
	s_mul_i32 s8, s69, s8
	s_add_u32 s8, s9, s8
	s_addc_u32 s9, 0, s14
	s_mul_i32 s9, s96, s9
	s_mul_hi_u32 s14, s96, s8
	s_add_i32 s14, s14, s9
	s_mul_i32 s8, s96, s8
	s_sub_u32 s15, s76, s8
	s_cselect_b64 s[8:9], -1, 0
	s_cmp_lg_u64 s[8:9], 0
	s_subb_u32 s14, s69, s14
	s_sub_u32 s30, s15, s96
	s_cselect_b64 s[8:9], -1, 0
	s_cmp_lg_u64 s[8:9], 0
	s_subb_u32 s31, s14, 0
	;; [unrolled: 4-line block ×3, first 2 shown]
	s_cmp_ge_u32 s30, s96
	s_cselect_b32 s9, -1, 0
	s_cmp_eq_u32 s31, 0
	s_cselect_b32 s9, s9, -1
	s_cmp_lg_u32 s9, 0
	s_cselect_b32 s8, s8, s31
	s_cselect_b32 s30, s34, s30
	s_cmp_ge_u32 s15, s96
	s_cselect_b32 s9, -1, 0
	s_cmp_eq_u32 s14, 0
	s_cselect_b32 s9, s9, -1
	s_cmp_lg_u32 s9, 0
	s_cselect_b32 s9, s8, s14
	s_cselect_b32 s8, s30, s15
	s_cbranch_execnz .LBB126_222
.LBB126_221:                            ;   in Loop: Header=BB126_30 Depth=1
	v_cvt_f32_u32_e32 v6, s96
	s_sub_i32 s8, 0, s96
	v_rcp_iflag_f32_e32 v6, v6
	s_nop 0
	v_mul_f32_e32 v6, 0x4f7ffffe, v6
	v_cvt_u32_f32_e32 v6, v6
	s_nop 0
	v_readfirstlane_b32 s9, v6
	s_mul_i32 s8, s8, s9
	s_mul_hi_u32 s8, s9, s8
	s_add_i32 s9, s9, s8
	s_mul_hi_u32 s8, s76, s9
	s_mul_i32 s8, s8, s96
	s_sub_i32 s8, s76, s8
	s_sub_i32 s9, s8, s96
	s_cmp_ge_u32 s8, s96
	s_cselect_b32 s8, s9, s8
	s_sub_i32 s9, s8, s96
	s_cmp_ge_u32 s8, s96
	s_cselect_b32 s98, s9, s8
	s_mov_b64 s[8:9], s[98:99]
.LBB126_222:                            ;   in Loop: Header=BB126_30 Depth=1
	s_sub_u32 s14, s76, s8
	s_subb_u32 s15, s69, s9
	v_cmp_gt_u64_e32 vcc, s[14:15], v[0:1]
                                        ; implicit-def: $vgpr25
	s_and_saveexec_b64 s[8:9], vcc
	s_cbranch_execz .LBB126_232
; %bb.223:                              ;   in Loop: Header=BB126_30 Depth=1
	s_mov_b64 s[30:31], 0
	v_mov_b64_e32 v[6:7], v[0:1]
                                        ; implicit-def: $sgpr34_sgpr35
	s_branch .LBB126_227
.LBB126_224:                            ;   in Loop: Header=BB126_227 Depth=2
	s_or_b64 exec, exec, s[36:37]
	s_waitcnt lgkmcnt(0)
	s_barrier
	ds_read_b64 v[24:25], v3 offset:3072
	s_waitcnt lgkmcnt(0)
	s_barrier
	v_cmp_eq_f32_e32 vcc, 0, v24
	s_cbranch_vccz .LBB126_230
; %bb.225:                              ;   in Loop: Header=BB126_227 Depth=2
	v_lshl_add_u64 v[6:7], v[6:7], 0, s[96:97]
	v_cmp_le_u64_e32 vcc, s[14:15], v[6:7]
	s_mov_b64 s[36:37], 0
	s_orn2_b64 s[44:45], vcc, exec
.LBB126_226:                            ;   in Loop: Header=BB126_227 Depth=2
	s_and_b64 s[44:45], exec, s[44:45]
	s_or_b64 s[30:31], s[44:45], s[30:31]
	s_andn2_b64 s[34:35], s[34:35], exec
	s_and_b64 s[36:37], s[36:37], exec
	s_or_b64 s[34:35], s[34:35], s[36:37]
	s_andn2_b64 exec, exec, s[30:31]
	s_cbranch_execz .LBB126_231
.LBB126_227:                            ;   Parent Loop BB126_30 Depth=1
                                        ; =>  This Inner Loop Header: Depth=2
	v_cmp_gt_u64_e32 vcc, s[56:57], v[6:7]
	s_and_saveexec_b64 s[36:37], vcc
	s_cbranch_execz .LBB126_224
; %bb.228:                              ;   in Loop: Header=BB126_227 Depth=2
	v_mul_lo_u32 v10, v7, s82
	v_mul_lo_u32 v11, v6, s83
	v_mad_u64_u32 v[8:9], s[44:45], v6, s82, 0
	v_add3_u32 v9, v9, v11, v10
	v_lshl_add_u64 v[8:9], v[8:9], 2, s[90:91]
	global_load_dword v23, v[8:9], off
	s_waitcnt vmcnt(0)
	v_cmp_lt_i32_e32 vcc, -1, v23
	s_nop 1
	v_cndmask_b32_e32 v8, -1, v37, vcc
	v_xor_b32_e32 v8, v8, v23
	v_cmp_o_f32_e32 vcc, v23, v23
	s_nop 1
	v_cndmask_b32_e32 v8, -1, v8, vcc
	v_and_b32_e32 v8, v8, v39
	v_cmp_eq_u32_e32 vcc, v8, v34
	s_and_b64 exec, exec, vcc
	s_cbranch_execz .LBB126_224
; %bb.229:                              ;   in Loop: Header=BB126_227 Depth=2
	ds_write_b64 v3, v[22:23] offset:3072
	s_branch .LBB126_224
.LBB126_230:                            ;   in Loop: Header=BB126_227 Depth=2
	s_mov_b64 s[44:45], -1
                                        ; implicit-def: $vgpr6_vgpr7
	s_mov_b64 s[36:37], -1
	s_branch .LBB126_226
.LBB126_231:                            ;   in Loop: Header=BB126_30 Depth=1
	s_or_b64 exec, exec, s[30:31]
	s_andn2_b64 s[14:15], s[42:43], exec
	s_and_b64 s[30:31], s[34:35], exec
	s_or_b64 s[42:43], s[14:15], s[30:31]
.LBB126_232:                            ;   in Loop: Header=BB126_30 Depth=1
	s_or_b64 exec, exec, s[8:9]
	s_mov_b64 s[34:35], 0
	s_mov_b64 s[36:37], -1
.LBB126_233:                            ;   in Loop: Header=BB126_30 Depth=1
	s_orn2_b64 s[8:9], s[42:43], exec
.LBB126_234:                            ;   in Loop: Header=BB126_30 Depth=1
	s_or_b64 exec, exec, s[38:39]
	s_mov_b64 s[14:15], 0
	s_and_saveexec_b64 s[38:39], s[8:9]
	s_cbranch_execz .LBB126_294
; %bb.235:                              ;   in Loop: Header=BB126_30 Depth=1
	s_xor_b64 s[30:31], s[40:41], -1
	v_mov_b32_e32 v2, 1
	v_mov_b64_e32 v[6:7], 1
	s_and_saveexec_b64 s[8:9], s[30:31]
	s_cbranch_execz .LBB126_244
; %bb.236:                              ;   in Loop: Header=BB126_30 Depth=1
	v_cmp_ge_u64_e32 vcc, s[22:23], v[4:5]
	s_and_saveexec_b64 s[14:15], vcc
	s_xor_b64 s[14:15], exec, s[14:15]
	s_cbranch_execz .LBB126_241
; %bb.237:                              ;   in Loop: Header=BB126_30 Depth=1
	ds_read_b64 v[6:7], v3 offset:5120
	v_and_b32_e32 v2, s52, v34
	v_lshl_or_b32 v34, 2, s6, v2
	v_or_b32_e32 v39, s62, v39
	s_waitcnt lgkmcnt(0)
	v_cmp_ne_u64_e32 vcc, 0, v[6:7]
	s_cbranch_vccnz .LBB126_241
; %bb.238:                              ;   in Loop: Header=BB126_30 Depth=1
	s_mov_b64 s[30:31], exec
	v_readlane_b32 s40, v54, 36
	v_readlane_b32 s41, v54, 37
	s_and_b64 s[40:41], s[30:31], s[40:41]
	s_mov_b64 exec, s[40:41]
; %bb.239:                              ;   in Loop: Header=BB126_30 Depth=1
	v_mov_b64_e32 v[6:7], s[22:23]
	ds_write_b64 v3, v[6:7] offset:5128
; %bb.240:                              ;   in Loop: Header=BB126_30 Depth=1
	s_or_b64 exec, exec, s[30:31]
	s_waitcnt lgkmcnt(0)
	s_barrier
.LBB126_241:                            ;   in Loop: Header=BB126_30 Depth=1
	s_or_saveexec_b64 s[14:15], s[14:15]
	s_mov_b64 s[30:31], 0
	v_mov_b32_e32 v2, 8
	s_xor_b64 exec, exec, s[14:15]
; %bb.242:                              ;   in Loop: Header=BB126_30 Depth=1
	v_mov_b32_e32 v2, s23
	v_subrev_co_u32_e32 v4, vcc, s22, v4
	s_mov_b64 s[30:31], exec
	s_nop 0
	v_subb_co_u32_e32 v5, vcc, v5, v2, vcc
	v_mov_b32_e32 v2, 0
; %bb.243:                              ;   in Loop: Header=BB126_30 Depth=1
	s_or_b64 exec, exec, s[14:15]
	s_and_b64 s[14:15], s[30:31], exec
	v_mov_b64_e32 v[6:7], v[4:5]
.LBB126_244:                            ;   in Loop: Header=BB126_30 Depth=1
	s_or_b64 exec, exec, s[8:9]
	s_mov_b64 s[8:9], -1
                                        ; implicit-def: $sgpr46_sgpr47
                                        ; implicit-def: $sgpr44_sgpr45
	s_and_saveexec_b64 s[22:23], s[14:15]
	s_cbranch_execz .LBB126_293
; %bb.245:                              ;   in Loop: Header=BB126_30 Depth=1
	s_cmp_eq_u64 s[2:3], 1
	s_cselect_b64 s[8:9], -1, 0
	v_cmp_eq_u64_e32 vcc, 1, v[6:7]
	s_and_b64 s[40:41], s[8:9], vcc
	s_mov_b64 s[14:15], -1
                                        ; implicit-def: $sgpr46_sgpr47
                                        ; implicit-def: $sgpr44_sgpr45
	s_and_saveexec_b64 s[42:43], s[40:41]
	s_cbranch_execz .LBB126_281
; %bb.246:                              ;   in Loop: Header=BB126_30 Depth=1
	ds_read_b64 v[4:5], v3 offset:5120
	s_waitcnt lgkmcnt(0)
	s_barrier
	v_readfirstlane_b32 s8, v4
	v_readfirstlane_b32 s9, v5
	s_mov_b64 s[14:15], exec
	v_readlane_b32 s30, v54, 38
	v_readlane_b32 s31, v54, 39
	s_and_b64 s[30:31], s[14:15], s[30:31]
	s_mov_b64 exec, s[30:31]
; %bb.247:                              ;   in Loop: Header=BB126_30 Depth=1
	ds_write_b32 v31, v3
; %bb.248:                              ;   in Loop: Header=BB126_30 Depth=1
	s_or_b64 exec, exec, s[14:15]
	v_or_b32_e32 v34, s62, v34
	v_or_b32_e32 v39, s62, v39
	s_mov_b64 s[44:45], -1
	s_mov_b64 s[46:47], 0
	s_cmp_eq_u64 s[8:9], 0
	s_mov_b64 s[48:49], 0
	s_mov_b64 s[14:15], -1
	s_waitcnt lgkmcnt(0)
	s_barrier
                                        ; implicit-def: $vgpr25
	s_cbranch_scc1 .LBB126_265
; %bb.249:                              ;   in Loop: Header=BB126_30 Depth=1
	v_readlane_b32 s14, v54, 44
	s_add_u32 s50, s8, s14
	v_readlane_b32 s14, v54, 45
	s_addc_u32 s15, s9, s14
	s_mov_b32 s14, s99
	s_cmp_lg_u64 s[14:15], 0
	s_cbranch_scc0 .LBB126_300
; %bb.250:                              ;   in Loop: Header=BB126_30 Depth=1
	v_cvt_f32_u32_e32 v4, s96
	s_sub_u32 s14, 0, s96
	s_subb_u32 s48, 0, 0
	v_fmac_f32_e32 v4, 0, v38
	v_rcp_f32_e32 v4, v4
	s_nop 0
	v_mul_f32_e32 v4, 0x5f7ffffc, v4
	v_mul_f32_e32 v5, 0x2f800000, v4
	v_trunc_f32_e32 v5, v5
	v_fmac_f32_e32 v4, 0xcf800000, v5
	v_cvt_u32_f32_e32 v5, v5
	v_cvt_u32_f32_e32 v4, v4
	v_readfirstlane_b32 s49, v5
	v_readfirstlane_b32 s30, v4
	s_mul_i32 s31, s14, s49
	s_mul_hi_u32 s52, s14, s30
	s_mul_i32 s51, s48, s30
	s_add_i32 s31, s52, s31
	s_mul_i32 s53, s14, s30
	s_add_i32 s31, s31, s51
	s_mul_hi_u32 s52, s30, s53
	s_mul_i32 s54, s30, s31
	s_mul_hi_u32 s51, s30, s31
	s_add_u32 s52, s52, s54
	s_addc_u32 s51, 0, s51
	s_mul_hi_u32 s55, s49, s53
	s_mul_i32 s53, s49, s53
	s_add_u32 s52, s52, s53
	s_mul_hi_u32 s54, s49, s31
	s_addc_u32 s51, s51, s55
	s_addc_u32 s52, s54, 0
	s_mul_i32 s31, s49, s31
	s_add_u32 s31, s51, s31
	s_addc_u32 s51, 0, s52
	s_add_u32 s52, s30, s31
	s_cselect_b64 s[30:31], -1, 0
	s_cmp_lg_u64 s[30:31], 0
	s_addc_u32 s49, s49, s51
	s_mul_i32 s30, s14, s49
	s_mul_hi_u32 s31, s14, s52
	s_add_i32 s30, s31, s30
	s_mul_i32 s48, s48, s52
	s_add_i32 s30, s30, s48
	s_mul_i32 s14, s14, s52
	s_mul_hi_u32 s48, s49, s14
	s_mul_i32 s51, s49, s14
	s_mul_i32 s54, s52, s30
	s_mul_hi_u32 s14, s52, s14
	s_mul_hi_u32 s53, s52, s30
	s_add_u32 s14, s14, s54
	s_addc_u32 s53, 0, s53
	s_add_u32 s14, s14, s51
	s_mul_hi_u32 s31, s49, s30
	s_addc_u32 s14, s53, s48
	s_addc_u32 s31, s31, 0
	s_mul_i32 s30, s49, s30
	s_add_u32 s14, s14, s30
	s_addc_u32 s48, 0, s31
	s_add_u32 s14, s52, s14
	s_cselect_b64 s[30:31], -1, 0
	s_cmp_lg_u64 s[30:31], 0
	s_addc_u32 s30, s49, s48
	s_mul_i32 s48, s50, s30
	s_mul_hi_u32 s49, s50, s14
	s_mul_hi_u32 s31, s50, s30
	s_add_u32 s48, s49, s48
	s_addc_u32 s31, 0, s31
	s_mul_hi_u32 s51, s15, s14
	s_mul_i32 s14, s15, s14
	s_add_u32 s14, s48, s14
	s_mul_hi_u32 s49, s15, s30
	s_addc_u32 s14, s31, s51
	s_addc_u32 s31, s49, 0
	s_mul_i32 s30, s15, s30
	s_add_u32 s14, s14, s30
	s_addc_u32 s30, 0, s31
	s_mul_i32 s30, s96, s30
	s_mul_hi_u32 s31, s96, s14
	s_add_i32 s48, s31, s30
	s_mul_i32 s14, s96, s14
	s_sub_u32 s14, s50, s14
	s_cselect_b64 s[30:31], -1, 0
	s_cmp_lg_u64 s[30:31], 0
	s_subb_u32 s48, s15, s48
	s_sub_u32 s49, s14, s96
	s_cselect_b64 s[30:31], -1, 0
	s_cmp_lg_u64 s[30:31], 0
	s_subb_u32 s51, s48, 0
	s_sub_u32 s52, s49, s96
	s_cselect_b64 s[30:31], -1, 0
	s_cmp_lg_u64 s[30:31], 0
	s_subb_u32 s30, s51, 0
	s_cmp_ge_u32 s49, s96
	s_cselect_b32 s31, -1, 0
	s_cmp_eq_u32 s51, 0
	s_cselect_b32 s31, s31, -1
	s_cmp_lg_u32 s31, 0
	s_cselect_b32 s30, s30, s51
	s_cselect_b32 s49, s52, s49
	s_cmp_ge_u32 s14, s96
	s_cselect_b32 s31, -1, 0
	s_cmp_eq_u32 s48, 0
	s_cselect_b32 s31, s31, -1
	s_cmp_lg_u32 s31, 0
	s_cselect_b32 s31, s30, s48
	s_cselect_b32 s30, s49, s14
	s_cbranch_execnz .LBB126_252
.LBB126_251:                            ;   in Loop: Header=BB126_30 Depth=1
	v_cvt_f32_u32_e32 v4, s96
	s_sub_i32 s14, 0, s96
	v_rcp_iflag_f32_e32 v4, v4
	s_nop 0
	v_mul_f32_e32 v4, 0x4f7ffffe, v4
	v_cvt_u32_f32_e32 v4, v4
	s_nop 0
	v_readfirstlane_b32 s30, v4
	s_mul_i32 s14, s14, s30
	s_mul_hi_u32 s14, s30, s14
	s_add_i32 s30, s30, s14
	s_mul_hi_u32 s14, s50, s30
	s_mul_i32 s14, s14, s96
	s_sub_i32 s14, s50, s14
	s_sub_i32 s30, s14, s96
	s_cmp_ge_u32 s14, s96
	s_cselect_b32 s14, s30, s14
	s_sub_i32 s30, s14, s96
	s_cmp_ge_u32 s14, s96
	s_cselect_b32 s98, s30, s14
	s_mov_b64 s[30:31], s[98:99]
.LBB126_252:                            ;   in Loop: Header=BB126_30 Depth=1
	s_sub_u32 s50, s50, s30
	s_subb_u32 s51, s15, s31
	v_cmp_gt_u64_e32 vcc, s[50:51], v[0:1]
	s_mov_b64 s[14:15], 0
	s_mov_b64 s[48:49], 0
                                        ; implicit-def: $vgpr25
	s_and_saveexec_b64 s[30:31], vcc
	s_cbranch_execz .LBB126_264
; %bb.253:                              ;   in Loop: Header=BB126_30 Depth=1
	v_mov_b32_e32 v8, v12
	v_mov_b64_e32 v[4:5], v[0:1]
                                        ; implicit-def: $sgpr52_sgpr53
	s_branch .LBB126_257
.LBB126_254:                            ;   in Loop: Header=BB126_257 Depth=2
	s_or_b64 exec, exec, s[54:55]
	s_waitcnt lgkmcnt(0)
	s_barrier
	ds_read_b64 v[24:25], v3 offset:3072
	s_waitcnt lgkmcnt(0)
	s_barrier
	v_cmp_neq_f32_e32 vcc, 0, v24
	s_cbranch_vccnz .LBB126_260
; %bb.255:                              ;   in Loop: Header=BB126_257 Depth=2
	v_lshl_add_u64 v[4:5], v[4:5], 0, s[96:97]
	v_cmp_le_u64_e32 vcc, s[50:51], v[4:5]
	v_add_u32_e32 v8, s87, v8
	s_mov_b64 s[54:55], 0
	s_orn2_b64 s[60:61], vcc, exec
.LBB126_256:                            ;   in Loop: Header=BB126_257 Depth=2
	s_and_b64 s[60:61], exec, s[60:61]
	s_or_b64 s[48:49], s[60:61], s[48:49]
	s_andn2_b64 s[52:53], s[52:53], exec
	s_and_b64 s[54:55], s[54:55], exec
	s_or_b64 s[52:53], s[52:53], s[54:55]
	s_andn2_b64 exec, exec, s[48:49]
	s_cbranch_execz .LBB126_263
.LBB126_257:                            ;   Parent Loop BB126_30 Depth=1
                                        ; =>  This Inner Loop Header: Depth=2
	v_cmp_gt_u64_e32 vcc, s[8:9], v[4:5]
	s_and_saveexec_b64 s[54:55], vcc
	s_cbranch_execz .LBB126_254
; %bb.258:                              ;   in Loop: Header=BB126_257 Depth=2
	ds_read_b32 v23, v8
	s_waitcnt lgkmcnt(0)
	v_cmp_lt_i32_e32 vcc, -1, v23
	s_nop 1
	v_cndmask_b32_e32 v9, -1, v37, vcc
	v_xor_b32_e32 v9, v9, v23
	v_cmp_o_f32_e32 vcc, v23, v23
	s_nop 1
	v_cndmask_b32_e32 v9, -1, v9, vcc
	v_and_b32_e32 v9, v9, v39
	v_cmp_eq_u32_e32 vcc, v9, v34
	s_and_b64 exec, exec, vcc
	s_cbranch_execz .LBB126_254
; %bb.259:                              ;   in Loop: Header=BB126_257 Depth=2
	ds_write_b64 v3, v[22:23] offset:3072
	s_branch .LBB126_254
.LBB126_260:                            ;   in Loop: Header=BB126_257 Depth=2
	s_mov_b64 s[60:61], -1
                                        ; implicit-def: $vgpr4_vgpr5
                                        ; implicit-def: $vgpr8
	s_mov_b64 s[54:55], -1
	s_branch .LBB126_256
.LBB126_261:                            ;   in Loop: Header=BB126_30 Depth=1
                                        ; implicit-def: $sgpr30_sgpr31
	s_branch .LBB126_204
.LBB126_262:                            ;   in Loop: Header=BB126_30 Depth=1
                                        ; implicit-def: $sgpr8_sgpr9
	s_branch .LBB126_221
.LBB126_263:                            ;   in Loop: Header=BB126_30 Depth=1
	s_or_b64 exec, exec, s[48:49]
	s_and_b64 s[48:49], s[52:53], exec
.LBB126_264:                            ;   in Loop: Header=BB126_30 Depth=1
	s_or_b64 exec, exec, s[30:31]
.LBB126_265:                            ;   in Loop: Header=BB126_30 Depth=1
	s_and_b64 vcc, exec, s[14:15]
	s_cbranch_vccz .LBB126_280
; %bb.266:                              ;   in Loop: Header=BB126_30 Depth=1
	s_mov_b32 s68, s99
	s_cmp_lg_u64 s[68:69], 0
	s_cbranch_scc0 .LBB126_301
; %bb.267:                              ;   in Loop: Header=BB126_30 Depth=1
	v_cvt_f32_u32_e32 v4, s96
	s_sub_u32 s14, 0, s96
	s_subb_u32 s15, 0, 0
	v_fmac_f32_e32 v4, 0, v38
	v_rcp_f32_e32 v4, v4
	s_nop 0
	v_mul_f32_e32 v4, 0x5f7ffffc, v4
	v_mul_f32_e32 v5, 0x2f800000, v4
	v_trunc_f32_e32 v5, v5
	v_fmac_f32_e32 v4, 0xcf800000, v5
	v_cvt_u32_f32_e32 v5, v5
	v_cvt_u32_f32_e32 v4, v4
	v_readfirstlane_b32 s30, v5
	v_readfirstlane_b32 s8, v4
	s_mul_i32 s9, s14, s30
	s_mul_hi_u32 s44, s14, s8
	s_mul_i32 s31, s15, s8
	s_add_i32 s9, s44, s9
	s_mul_i32 s45, s14, s8
	s_add_i32 s9, s9, s31
	s_mul_hi_u32 s44, s8, s45
	s_mul_i32 s46, s8, s9
	s_mul_hi_u32 s31, s8, s9
	s_add_u32 s44, s44, s46
	s_addc_u32 s31, 0, s31
	s_mul_hi_u32 s47, s30, s45
	s_mul_i32 s45, s30, s45
	s_add_u32 s44, s44, s45
	s_mul_hi_u32 s46, s30, s9
	s_addc_u32 s31, s31, s47
	s_addc_u32 s44, s46, 0
	s_mul_i32 s9, s30, s9
	s_add_u32 s9, s31, s9
	s_addc_u32 s31, 0, s44
	s_add_u32 s44, s8, s9
	s_cselect_b64 s[8:9], -1, 0
	s_cmp_lg_u64 s[8:9], 0
	s_addc_u32 s30, s30, s31
	s_mul_i32 s8, s14, s30
	s_mul_hi_u32 s9, s14, s44
	s_add_i32 s8, s9, s8
	s_mul_i32 s15, s15, s44
	s_add_i32 s8, s8, s15
	s_mul_i32 s14, s14, s44
	s_mul_hi_u32 s15, s30, s14
	s_mul_i32 s31, s30, s14
	s_mul_i32 s46, s44, s8
	s_mul_hi_u32 s14, s44, s14
	s_mul_hi_u32 s45, s44, s8
	s_add_u32 s14, s14, s46
	s_addc_u32 s45, 0, s45
	s_add_u32 s14, s14, s31
	s_mul_hi_u32 s9, s30, s8
	s_addc_u32 s14, s45, s15
	s_addc_u32 s9, s9, 0
	s_mul_i32 s8, s30, s8
	s_add_u32 s8, s14, s8
	s_addc_u32 s14, 0, s9
	s_add_u32 s15, s44, s8
	s_cselect_b64 s[8:9], -1, 0
	s_cmp_lg_u64 s[8:9], 0
	s_addc_u32 s8, s30, s14
	s_mul_i32 s14, s76, s8
	s_mul_hi_u32 s30, s76, s15
	s_mul_hi_u32 s9, s76, s8
	s_add_u32 s14, s30, s14
	s_addc_u32 s9, 0, s9
	s_mul_hi_u32 s31, s69, s15
	s_mul_i32 s15, s69, s15
	s_add_u32 s14, s14, s15
	s_mul_hi_u32 s30, s69, s8
	s_addc_u32 s9, s9, s31
	s_addc_u32 s14, s30, 0
	s_mul_i32 s8, s69, s8
	s_add_u32 s8, s9, s8
	s_addc_u32 s9, 0, s14
	s_mul_i32 s9, s96, s9
	s_mul_hi_u32 s14, s96, s8
	s_add_i32 s14, s14, s9
	s_mul_i32 s8, s96, s8
	s_sub_u32 s15, s76, s8
	s_cselect_b64 s[8:9], -1, 0
	s_cmp_lg_u64 s[8:9], 0
	s_subb_u32 s14, s69, s14
	s_sub_u32 s30, s15, s96
	s_cselect_b64 s[8:9], -1, 0
	s_cmp_lg_u64 s[8:9], 0
	s_subb_u32 s31, s14, 0
	;; [unrolled: 4-line block ×3, first 2 shown]
	s_cmp_ge_u32 s30, s96
	s_cselect_b32 s9, -1, 0
	s_cmp_eq_u32 s31, 0
	s_cselect_b32 s9, s9, -1
	s_cmp_lg_u32 s9, 0
	s_cselect_b32 s8, s8, s31
	s_cselect_b32 s30, s44, s30
	s_cmp_ge_u32 s15, s96
	s_cselect_b32 s9, -1, 0
	s_cmp_eq_u32 s14, 0
	s_cselect_b32 s9, s9, -1
	s_cmp_lg_u32 s9, 0
	s_cselect_b32 s9, s8, s14
	s_cselect_b32 s8, s30, s15
	s_cbranch_execnz .LBB126_269
.LBB126_268:                            ;   in Loop: Header=BB126_30 Depth=1
	v_cvt_f32_u32_e32 v4, s96
	s_sub_i32 s8, 0, s96
	v_rcp_iflag_f32_e32 v4, v4
	s_nop 0
	v_mul_f32_e32 v4, 0x4f7ffffe, v4
	v_cvt_u32_f32_e32 v4, v4
	s_nop 0
	v_readfirstlane_b32 s9, v4
	s_mul_i32 s8, s8, s9
	s_mul_hi_u32 s8, s9, s8
	s_add_i32 s9, s9, s8
	s_mul_hi_u32 s8, s76, s9
	s_mul_i32 s8, s8, s96
	s_sub_i32 s8, s76, s8
	s_sub_i32 s9, s8, s96
	s_cmp_ge_u32 s8, s96
	s_cselect_b32 s8, s9, s8
	s_sub_i32 s9, s8, s96
	s_cmp_ge_u32 s8, s96
	s_cselect_b32 s98, s9, s8
	s_mov_b64 s[8:9], s[98:99]
.LBB126_269:                            ;   in Loop: Header=BB126_30 Depth=1
	s_sub_u32 s14, s76, s8
	s_subb_u32 s15, s69, s9
	v_cmp_gt_u64_e32 vcc, s[14:15], v[0:1]
                                        ; implicit-def: $vgpr25
	s_and_saveexec_b64 s[8:9], vcc
	s_cbranch_execz .LBB126_279
; %bb.270:                              ;   in Loop: Header=BB126_30 Depth=1
	s_mov_b64 s[30:31], 0
	v_mov_b64_e32 v[4:5], v[0:1]
                                        ; implicit-def: $sgpr44_sgpr45
	s_branch .LBB126_274
.LBB126_271:                            ;   in Loop: Header=BB126_274 Depth=2
	s_or_b64 exec, exec, s[46:47]
	s_waitcnt lgkmcnt(0)
	s_barrier
	ds_read_b64 v[24:25], v3 offset:3072
	s_waitcnt lgkmcnt(0)
	s_barrier
	v_cmp_eq_f32_e32 vcc, 0, v24
	s_cbranch_vccz .LBB126_277
; %bb.272:                              ;   in Loop: Header=BB126_274 Depth=2
	v_lshl_add_u64 v[4:5], v[4:5], 0, s[96:97]
	v_cmp_le_u64_e32 vcc, s[14:15], v[4:5]
	s_mov_b64 s[46:47], 0
	s_orn2_b64 s[50:51], vcc, exec
.LBB126_273:                            ;   in Loop: Header=BB126_274 Depth=2
	s_and_b64 s[50:51], exec, s[50:51]
	s_or_b64 s[30:31], s[50:51], s[30:31]
	s_andn2_b64 s[44:45], s[44:45], exec
	s_and_b64 s[46:47], s[46:47], exec
	s_or_b64 s[44:45], s[44:45], s[46:47]
	s_andn2_b64 exec, exec, s[30:31]
	s_cbranch_execz .LBB126_278
.LBB126_274:                            ;   Parent Loop BB126_30 Depth=1
                                        ; =>  This Inner Loop Header: Depth=2
	v_cmp_gt_u64_e32 vcc, s[56:57], v[4:5]
	s_and_saveexec_b64 s[46:47], vcc
	s_cbranch_execz .LBB126_271
; %bb.275:                              ;   in Loop: Header=BB126_274 Depth=2
	v_mul_lo_u32 v10, v5, s82
	v_mul_lo_u32 v11, v4, s83
	v_mad_u64_u32 v[8:9], s[50:51], v4, s82, 0
	v_add3_u32 v9, v9, v11, v10
	v_lshl_add_u64 v[8:9], v[8:9], 2, s[90:91]
	global_load_dword v23, v[8:9], off
	s_waitcnt vmcnt(0)
	v_cmp_lt_i32_e32 vcc, -1, v23
	s_nop 1
	v_cndmask_b32_e32 v8, -1, v37, vcc
	v_xor_b32_e32 v8, v8, v23
	v_cmp_o_f32_e32 vcc, v23, v23
	s_nop 1
	v_cndmask_b32_e32 v8, -1, v8, vcc
	v_and_b32_e32 v8, v8, v39
	v_cmp_eq_u32_e32 vcc, v8, v34
	s_and_b64 exec, exec, vcc
	s_cbranch_execz .LBB126_271
; %bb.276:                              ;   in Loop: Header=BB126_274 Depth=2
	ds_write_b64 v3, v[22:23] offset:3072
	s_branch .LBB126_271
.LBB126_277:                            ;   in Loop: Header=BB126_274 Depth=2
	s_mov_b64 s[50:51], -1
                                        ; implicit-def: $vgpr4_vgpr5
	s_mov_b64 s[46:47], -1
	s_branch .LBB126_273
.LBB126_278:                            ;   in Loop: Header=BB126_30 Depth=1
	s_or_b64 exec, exec, s[30:31]
	s_andn2_b64 s[14:15], s[48:49], exec
	s_and_b64 s[30:31], s[44:45], exec
	s_or_b64 s[48:49], s[14:15], s[30:31]
.LBB126_279:                            ;   in Loop: Header=BB126_30 Depth=1
	s_or_b64 exec, exec, s[8:9]
	s_mov_b64 s[44:45], 0
	s_mov_b64 s[46:47], -1
.LBB126_280:                            ;   in Loop: Header=BB126_30 Depth=1
	s_orn2_b64 s[14:15], s[48:49], exec
.LBB126_281:                            ;   in Loop: Header=BB126_30 Depth=1
	s_or_b64 exec, exec, s[42:43]
	s_mov_b64 s[30:31], 0
	s_and_saveexec_b64 s[8:9], s[14:15]
	s_cbranch_execz .LBB126_292
; %bb.282:                              ;   in Loop: Header=BB126_30 Depth=1
	s_xor_b64 s[30:31], s[40:41], -1
	v_mov_b64_e32 v[4:5], 1
	v_mov_b32_e32 v2, 1
	s_and_saveexec_b64 s[14:15], s[30:31]
	s_cbranch_execz .LBB126_291
; %bb.283:                              ;   in Loop: Header=BB126_30 Depth=1
	v_cmp_ge_u64_e32 vcc, s[2:3], v[6:7]
	s_and_saveexec_b64 s[30:31], vcc
	s_xor_b64 s[30:31], exec, s[30:31]
	s_cbranch_execz .LBB126_288
; %bb.284:                              ;   in Loop: Header=BB126_30 Depth=1
	ds_read_b64 v[4:5], v3 offset:5120
	v_or_b32_e32 v34, s62, v34
	v_or_b32_e32 v39, s62, v39
	s_waitcnt lgkmcnt(0)
	v_cmp_ne_u64_e32 vcc, 0, v[4:5]
	s_cbranch_vccnz .LBB126_288
; %bb.285:                              ;   in Loop: Header=BB126_30 Depth=1
	s_mov_b64 s[40:41], exec
	v_readlane_b32 s42, v54, 36
	v_readlane_b32 s43, v54, 37
	s_and_b64 s[42:43], s[40:41], s[42:43]
	s_mov_b64 exec, s[42:43]
; %bb.286:                              ;   in Loop: Header=BB126_30 Depth=1
	v_mov_b64_e32 v[4:5], s[2:3]
	ds_write_b64 v3, v[4:5] offset:5128
; %bb.287:                              ;   in Loop: Header=BB126_30 Depth=1
	s_or_b64 exec, exec, s[40:41]
	s_waitcnt lgkmcnt(0)
	s_barrier
.LBB126_288:                            ;   in Loop: Header=BB126_30 Depth=1
	s_andn2_saveexec_b64 s[30:31], s[30:31]
; %bb.289:                              ;   in Loop: Header=BB126_30 Depth=1
	v_mov_b32_e32 v2, s3
	v_subrev_co_u32_e32 v6, vcc, s2, v6
	s_nop 1
	v_subb_co_u32_e32 v7, vcc, v7, v2, vcc
; %bb.290:                              ;   in Loop: Header=BB126_30 Depth=1
	s_or_b64 exec, exec, s[30:31]
	v_mov_b32_e32 v2, 8
	v_mov_b64_e32 v[4:5], v[6:7]
.LBB126_291:                            ;   in Loop: Header=BB126_30 Depth=1
	s_or_b64 exec, exec, s[14:15]
	s_mov_b64 s[30:31], exec
	v_mov_b64_e32 v[6:7], v[4:5]
.LBB126_292:                            ;   in Loop: Header=BB126_30 Depth=1
	s_or_b64 exec, exec, s[8:9]
	s_orn2_b64 s[8:9], s[30:31], exec
.LBB126_293:                            ;   in Loop: Header=BB126_30 Depth=1
	s_or_b64 exec, exec, s[22:23]
	s_andn2_b64 s[2:3], s[36:37], exec
	s_and_b64 s[14:15], s[46:47], exec
	s_or_b64 s[36:37], s[2:3], s[14:15]
	s_andn2_b64 s[2:3], s[34:35], exec
	s_and_b64 s[14:15], s[44:45], exec
	s_or_b64 s[34:35], s[2:3], s[14:15]
	s_and_b64 s[14:15], s[8:9], exec
	v_mov_b64_e32 v[4:5], v[6:7]
.LBB126_294:                            ;   in Loop: Header=BB126_30 Depth=1
	s_or_b64 exec, exec, s[38:39]
	s_orn2_b64 s[8:9], s[14:15], exec
.LBB126_295:                            ;   in Loop: Header=BB126_30 Depth=1
	s_or_b64 exec, exec, s[28:29]
	s_andn2_b64 s[2:3], s[24:25], exec
	s_and_b64 s[14:15], s[36:37], exec
	s_or_b64 s[24:25], s[2:3], s[14:15]
	s_andn2_b64 s[0:1], s[0:1], exec
	s_and_b64 s[2:3], s[34:35], exec
	s_or_b64 s[0:1], s[0:1], s[2:3]
	s_and_b64 s[14:15], s[8:9], exec
	v_mov_b64_e32 v[8:9], v[4:5]
.LBB126_296:                            ;   in Loop: Header=BB126_30 Depth=1
	s_or_b64 exec, exec, s[26:27]
	s_orn2_b64 s[8:9], s[14:15], exec
.LBB126_297:                            ;   in Loop: Header=BB126_30 Depth=1
	s_or_b64 exec, exec, s[20:21]
	s_mov_b64 s[14:15], 0
	s_and_saveexec_b64 s[2:3], s[8:9]
	s_xor_b64 s[2:3], exec, s[2:3]
	s_cbranch_execz .LBB126_28
; %bb.298:                              ;   in Loop: Header=BB126_30 Depth=1
	v_and_b32_e32 v2, 7, v2
	v_cmp_eq_u32_e32 vcc, 0, v2
	s_mov_b64 s[8:9], -1
	s_mov_b64 s[14:15], -1
	s_and_saveexec_b64 s[18:19], vcc
	s_cbranch_execz .LBB126_27
; %bb.299:                              ;   in Loop: Header=BB126_30 Depth=1
	s_xor_b32 s7, s7, 1
	s_add_i32 s20, s6, -2
	s_cmp_eq_u32 s6, 0
	s_cselect_b64 s[8:9], -1, 0
	s_xor_b64 s[14:15], exec, -1
	s_orn2_b64 s[8:9], s[8:9], exec
	s_mov_b32 s6, s20
	s_branch .LBB126_27
.LBB126_300:                            ;   in Loop: Header=BB126_30 Depth=1
                                        ; implicit-def: $sgpr30_sgpr31
	s_branch .LBB126_251
.LBB126_301:                            ;   in Loop: Header=BB126_30 Depth=1
                                        ; implicit-def: $sgpr8_sgpr9
	s_branch .LBB126_268
.LBB126_302:
	s_or_b64 exec, exec, s[12:13]
	s_xor_b64 s[4:5], s[72:73], -1
	s_xor_b64 s[2:3], s[92:93], -1
	;; [unrolled: 1-line block ×3, first 2 shown]
	s_mov_b64 s[0:1], 0
	s_and_saveexec_b64 s[8:9], s[2:3]
	s_xor_b64 s[2:3], exec, s[8:9]
	s_cbranch_execnz .LBB126_307
; %bb.303:
	s_andn2_saveexec_b64 s[2:3], s[2:3]
	s_cbranch_execnz .LBB126_320
.LBB126_304:
	s_or_b64 exec, exec, s[2:3]
	s_and_saveexec_b64 s[2:3], s[0:1]
.LBB126_305:
	; divergent unreachable
.LBB126_306:
	s_endpgm
.LBB126_307:
	s_and_saveexec_b64 s[0:1], s[4:5]
	s_xor_b64 s[4:5], exec, s[0:1]
	s_cbranch_execz .LBB126_318
; %bb.308:
	s_and_saveexec_b64 s[0:1], s[6:7]
	s_xor_b64 s[0:1], exec, s[0:1]
; %bb.309:
	v_bfrev_b32_e32 v2, 1
	v_cmp_lt_i32_e32 vcc, -1, v34
	s_nop 1
	v_cndmask_b32_e64 v2, v2, -1, vcc
	v_xor_b32_e32 v25, v2, v34
; %bb.310:
	s_or_b64 exec, exec, s[0:1]
	v_readlane_b32 s8, v54, 8
	v_readlane_b32 s0, v54, 4
	;; [unrolled: 1-line block ×4, first 2 shown]
	s_mov_b32 s14, s0
	s_mul_i32 s0, s0, s9
	s_mul_hi_u32 s1, s14, s8
	s_add_i32 s1, s1, s0
	s_mul_i32 s0, s14, s8
	v_readlane_b32 s12, v54, 6
	v_readlane_b32 s16, v54, 24
	;; [unrolled: 1-line block ×3, first 2 shown]
	s_sub_u32 s0, s12, s0
	v_readlane_b32 s18, v54, 26
	v_readlane_b32 s19, v54, 27
	s_subb_u32 s1, s13, s1
	s_mul_i32 s6, s0, s19
	s_mul_hi_u32 s7, s0, s18
	v_readlane_b32 s10, v54, 10
	v_readlane_b32 s11, v54, 11
	;; [unrolled: 1-line block ×3, first 2 shown]
	s_add_i32 s6, s7, s6
	s_mul_i32 s1, s1, s18
	s_add_i32 s1, s6, s1
	s_mul_i32 s6, s14, s17
	s_mul_hi_u32 s7, s14, s16
	s_mul_i32 s8, s12, s11
	s_mul_hi_u32 s9, s12, s10
	s_add_i32 s7, s7, s6
	s_add_i32 s9, s9, s8
	s_mul_i32 s8, s12, s10
	v_readlane_b32 s10, v54, 32
	v_readlane_b32 s12, v54, 22
	;; [unrolled: 1-line block ×3, first 2 shown]
	s_sub_u32 s8, s10, s8
	v_readlane_b32 s13, v54, 23
	s_subb_u32 s9, 0, s9
	s_mul_i32 s10, s8, s13
	s_mul_hi_u32 s11, s8, s12
	s_mul_i32 s6, s14, s16
	s_add_i32 s10, s11, s10
	s_mul_i32 s9, s9, s12
	s_add_i32 s9, s10, s9
	s_lshl_b64 s[6:7], s[6:7], 2
	v_readlane_b32 s10, v54, 30
	s_mul_i32 s0, s0, s18
	v_readlane_b32 s11, v54, 31
	s_add_u32 s6, s10, s6
	s_addc_u32 s7, s11, s7
	s_lshl_b64 s[0:1], s[0:1], 2
	s_mul_i32 s8, s8, s12
	s_add_u32 s6, s6, s0
	s_addc_u32 s7, s7, s1
	s_lshl_b64 s[0:1], s[8:9], 2
	s_add_u32 s0, s6, s0
	s_addc_u32 s1, s7, s1
	v_mov_b32_e32 v2, 0
	global_store_dword v2, v25, s[0:1]
	s_mov_b64 s[6:7], exec
	v_readlane_b32 s0, v54, 34
	v_readlane_b32 s1, v54, 35
	s_and_b64 s[0:1], s[6:7], s[0:1]
	s_mov_b64 exec, s[0:1]
	s_cbranch_execz .LBB126_317
; %bb.311:
	v_cmp_u_f32_e32 vcc, v25, v25
	s_mov_b64 s[8:9], 0
	s_xor_b64 s[12:13], vcc, -1
                                        ; implicit-def: $sgpr10_sgpr11
                                        ; implicit-def: $sgpr16_sgpr17
                                        ; implicit-def: $sgpr14_sgpr15
	s_branch .LBB126_313
.LBB126_312:                            ;   in Loop: Header=BB126_313 Depth=1
	s_or_b64 exec, exec, s[0:1]
	s_and_b64 s[0:1], exec, s[16:17]
	s_or_b64 s[8:9], s[0:1], s[8:9]
	s_andn2_b64 s[0:1], s[10:11], exec
	s_and_b64 s[10:11], s[14:15], exec
	s_or_b64 s[10:11], s[0:1], s[10:11]
	s_andn2_b64 exec, exec, s[8:9]
	s_cbranch_execz .LBB126_315
.LBB126_313:                            ; =>This Inner Loop Header: Depth=1
	v_mov_b64_e32 v[2:3], v[0:1]
	v_mul_lo_u32 v4, v3, s82
	v_mul_lo_u32 v5, v2, s83
	v_mad_u64_u32 v[0:1], s[0:1], v2, s82, 0
	v_add3_u32 v1, v1, v5, v4
	v_lshl_add_u64 v[0:1], v[0:1], 2, s[90:91]
	global_load_dword v0, v[0:1], off
	s_or_b64 s[14:15], s[14:15], exec
	s_or_b64 s[16:17], s[16:17], exec
	s_waitcnt vmcnt(0)
	v_cmp_o_f32_e64 s[0:1], v0, v0
	v_cmp_neq_f32_e32 vcc, v0, v25
	s_or_b64 s[0:1], s[0:1], s[12:13]
	s_and_b64 s[18:19], vcc, s[0:1]
                                        ; implicit-def: $vgpr0_vgpr1
	s_and_saveexec_b64 s[0:1], s[18:19]
	s_cbranch_execz .LBB126_312
; %bb.314:                              ;   in Loop: Header=BB126_313 Depth=1
	v_lshl_add_u64 v[0:1], v[2:3], 0, s[96:97]
	v_cmp_le_u64_e32 vcc, s[56:57], v[0:1]
	s_andn2_b64 s[16:17], s[16:17], exec
	s_and_b64 s[18:19], vcc, exec
	s_andn2_b64 s[14:15], s[14:15], exec
	s_or_b64 s[16:17], s[16:17], s[18:19]
	s_branch .LBB126_312
.LBB126_315:
	s_or_b64 exec, exec, s[8:9]
	s_and_saveexec_b64 s[0:1], s[10:11]
	s_xor_b64 s[0:1], exec, s[0:1]
	s_cbranch_execz .LBB126_317
; %bb.316:
	v_readlane_b32 s12, v54, 0
	v_readlane_b32 s0, v54, 12
	;; [unrolled: 1-line block ×4, first 2 shown]
	s_mov_b32 s10, s0
	s_mul_i32 s0, s0, s13
	s_mul_hi_u32 s1, s10, s12
	s_add_i32 s1, s1, s0
	s_mul_i32 s0, s10, s12
	v_readlane_b32 s12, v54, 14
	v_readlane_b32 s16, v54, 18
	;; [unrolled: 1-line block ×3, first 2 shown]
	s_sub_u32 s0, s12, s0
	v_readlane_b32 s18, v54, 20
	v_readlane_b32 s19, v54, 21
	s_subb_u32 s1, s13, s1
	s_mul_i32 s8, s0, s19
	s_mul_hi_u32 s9, s0, s18
	v_readlane_b32 s17, v54, 19
	s_add_i32 s8, s9, s8
	s_mul_i32 s1, s1, s18
	v_readlane_b32 s14, v54, 2
	v_readlane_b32 s15, v54, 3
	s_add_i32 s1, s8, s1
	s_mul_i32 s8, s10, s17
	s_mul_hi_u32 s9, s10, s16
	s_add_i32 s9, s9, s8
	s_mul_i32 s8, s10, s16
	s_mul_i32 s10, s12, s15
	s_mul_hi_u32 s11, s12, s14
	s_add_i32 s11, s11, s10
	s_mul_i32 s10, s12, s14
	v_readlane_b32 s12, v54, 32
	v_readlane_b32 s14, v54, 16
	;; [unrolled: 1-line block ×3, first 2 shown]
	s_sub_u32 s10, s12, s10
	v_readlane_b32 s15, v54, 17
	s_subb_u32 s11, 0, s11
	s_mul_i32 s12, s10, s15
	s_mul_hi_u32 s13, s10, s14
	s_add_i32 s12, s13, s12
	s_mul_i32 s11, s11, s14
	s_add_i32 s11, s12, s11
	s_lshl_b64 s[8:9], s[8:9], 3
	v_readlane_b32 s12, v54, 28
	s_mul_i32 s0, s0, s18
	v_readlane_b32 s13, v54, 29
	s_add_u32 s8, s12, s8
	s_addc_u32 s9, s13, s9
	s_lshl_b64 s[0:1], s[0:1], 3
	s_mul_i32 s10, s10, s14
	s_add_u32 s8, s8, s0
	s_addc_u32 s9, s9, s1
	s_lshl_b64 s[0:1], s[10:11], 3
	s_add_u32 s0, s8, s0
	s_addc_u32 s1, s9, s1
	v_mov_b32_e32 v0, 0
	global_store_dwordx2 v0, v[2:3], s[0:1]
.LBB126_317:
	s_or_b64 exec, exec, s[6:7]
.LBB126_318:
	s_or_saveexec_b64 s[0:1], s[4:5]
	s_mov_b64 s[4:5], 0
	s_xor_b64 exec, exec, s[0:1]
	s_cbranch_execnz .LBB126_321
.LBB126_319:
	s_or_b64 exec, exec, s[0:1]
	s_and_b64 s[0:1], s[4:5], exec
	s_andn2_saveexec_b64 s[2:3], s[2:3]
	s_cbranch_execz .LBB126_304
.LBB126_320:
	s_or_b64 s[0:1], s[0:1], exec
	s_trap 2
	s_or_b64 exec, exec, s[2:3]
	s_and_saveexec_b64 s[2:3], s[0:1]
	s_cbranch_execnz .LBB126_305
	s_branch .LBB126_306
.LBB126_321:
	s_mov_b64 s[4:5], exec
	s_trap 2
	s_branch .LBB126_319
	.section	.rodata,"a",@progbits
	.p2align	6, 0x0
	.amdhsa_kernel _ZN2at6native12_GLOBAL__N_112gatherMedianIfmLi3EEEvNS_4cuda6detail10TensorInfoIT_T0_EENS5_IlS7_EENS5_IKS6_S7_EES7_S7_S7_b
		.amdhsa_group_segment_fixed_size 5152
		.amdhsa_private_segment_fixed_size 0
		.amdhsa_kernarg_size 1536
		.amdhsa_user_sgpr_count 2
		.amdhsa_user_sgpr_dispatch_ptr 0
		.amdhsa_user_sgpr_queue_ptr 0
		.amdhsa_user_sgpr_kernarg_segment_ptr 1
		.amdhsa_user_sgpr_dispatch_id 0
		.amdhsa_user_sgpr_kernarg_preload_length 0
		.amdhsa_user_sgpr_kernarg_preload_offset 0
		.amdhsa_user_sgpr_private_segment_size 0
		.amdhsa_uses_dynamic_stack 0
		.amdhsa_enable_private_segment 0
		.amdhsa_system_sgpr_workgroup_id_x 1
		.amdhsa_system_sgpr_workgroup_id_y 1
		.amdhsa_system_sgpr_workgroup_id_z 1
		.amdhsa_system_sgpr_workgroup_info 0
		.amdhsa_system_vgpr_workitem_id 0
		.amdhsa_next_free_vgpr 55
		.amdhsa_next_free_sgpr 100
		.amdhsa_accum_offset 56
		.amdhsa_reserve_vcc 1
		.amdhsa_float_round_mode_32 0
		.amdhsa_float_round_mode_16_64 0
		.amdhsa_float_denorm_mode_32 3
		.amdhsa_float_denorm_mode_16_64 3
		.amdhsa_dx10_clamp 1
		.amdhsa_ieee_mode 1
		.amdhsa_fp16_overflow 0
		.amdhsa_tg_split 0
		.amdhsa_exception_fp_ieee_invalid_op 0
		.amdhsa_exception_fp_denorm_src 0
		.amdhsa_exception_fp_ieee_div_zero 0
		.amdhsa_exception_fp_ieee_overflow 0
		.amdhsa_exception_fp_ieee_underflow 0
		.amdhsa_exception_fp_ieee_inexact 0
		.amdhsa_exception_int_div_zero 0
	.end_amdhsa_kernel
	.section	.text._ZN2at6native12_GLOBAL__N_112gatherMedianIfmLi3EEEvNS_4cuda6detail10TensorInfoIT_T0_EENS5_IlS7_EENS5_IKS6_S7_EES7_S7_S7_b,"axG",@progbits,_ZN2at6native12_GLOBAL__N_112gatherMedianIfmLi3EEEvNS_4cuda6detail10TensorInfoIT_T0_EENS5_IlS7_EENS5_IKS6_S7_EES7_S7_S7_b,comdat
.Lfunc_end126:
	.size	_ZN2at6native12_GLOBAL__N_112gatherMedianIfmLi3EEEvNS_4cuda6detail10TensorInfoIT_T0_EENS5_IlS7_EENS5_IKS6_S7_EES7_S7_S7_b, .Lfunc_end126-_ZN2at6native12_GLOBAL__N_112gatherMedianIfmLi3EEEvNS_4cuda6detail10TensorInfoIT_T0_EENS5_IlS7_EENS5_IKS6_S7_EES7_S7_S7_b
                                        ; -- End function
	.set _ZN2at6native12_GLOBAL__N_112gatherMedianIfmLi3EEEvNS_4cuda6detail10TensorInfoIT_T0_EENS5_IlS7_EENS5_IKS6_S7_EES7_S7_S7_b.num_vgpr, 55
	.set _ZN2at6native12_GLOBAL__N_112gatherMedianIfmLi3EEEvNS_4cuda6detail10TensorInfoIT_T0_EENS5_IlS7_EENS5_IKS6_S7_EES7_S7_S7_b.num_agpr, 0
	.set _ZN2at6native12_GLOBAL__N_112gatherMedianIfmLi3EEEvNS_4cuda6detail10TensorInfoIT_T0_EENS5_IlS7_EENS5_IKS6_S7_EES7_S7_S7_b.numbered_sgpr, 100
	.set _ZN2at6native12_GLOBAL__N_112gatherMedianIfmLi3EEEvNS_4cuda6detail10TensorInfoIT_T0_EENS5_IlS7_EENS5_IKS6_S7_EES7_S7_S7_b.num_named_barrier, 0
	.set _ZN2at6native12_GLOBAL__N_112gatherMedianIfmLi3EEEvNS_4cuda6detail10TensorInfoIT_T0_EENS5_IlS7_EENS5_IKS6_S7_EES7_S7_S7_b.private_seg_size, 0
	.set _ZN2at6native12_GLOBAL__N_112gatherMedianIfmLi3EEEvNS_4cuda6detail10TensorInfoIT_T0_EENS5_IlS7_EENS5_IKS6_S7_EES7_S7_S7_b.uses_vcc, 1
	.set _ZN2at6native12_GLOBAL__N_112gatherMedianIfmLi3EEEvNS_4cuda6detail10TensorInfoIT_T0_EENS5_IlS7_EENS5_IKS6_S7_EES7_S7_S7_b.uses_flat_scratch, 0
	.set _ZN2at6native12_GLOBAL__N_112gatherMedianIfmLi3EEEvNS_4cuda6detail10TensorInfoIT_T0_EENS5_IlS7_EENS5_IKS6_S7_EES7_S7_S7_b.has_dyn_sized_stack, 0
	.set _ZN2at6native12_GLOBAL__N_112gatherMedianIfmLi3EEEvNS_4cuda6detail10TensorInfoIT_T0_EENS5_IlS7_EENS5_IKS6_S7_EES7_S7_S7_b.has_recursion, 0
	.set _ZN2at6native12_GLOBAL__N_112gatherMedianIfmLi3EEEvNS_4cuda6detail10TensorInfoIT_T0_EENS5_IlS7_EENS5_IKS6_S7_EES7_S7_S7_b.has_indirect_call, 0
	.section	.AMDGPU.csdata,"",@progbits
; Kernel info:
; codeLenInByte = 16984
; TotalNumSgprs: 106
; NumVgprs: 55
; NumAgprs: 0
; TotalNumVgprs: 55
; ScratchSize: 0
; MemoryBound: 0
; FloatMode: 240
; IeeeMode: 1
; LDSByteSize: 5152 bytes/workgroup (compile time only)
; SGPRBlocks: 13
; VGPRBlocks: 6
; NumSGPRsForWavesPerEU: 106
; NumVGPRsForWavesPerEU: 55
; AccumOffset: 56
; Occupancy: 7
; WaveLimiterHint : 1
; COMPUTE_PGM_RSRC2:SCRATCH_EN: 0
; COMPUTE_PGM_RSRC2:USER_SGPR: 2
; COMPUTE_PGM_RSRC2:TRAP_HANDLER: 0
; COMPUTE_PGM_RSRC2:TGID_X_EN: 1
; COMPUTE_PGM_RSRC2:TGID_Y_EN: 1
; COMPUTE_PGM_RSRC2:TGID_Z_EN: 1
; COMPUTE_PGM_RSRC2:TIDIG_COMP_CNT: 0
; COMPUTE_PGM_RSRC3_GFX90A:ACCUM_OFFSET: 13
; COMPUTE_PGM_RSRC3_GFX90A:TG_SPLIT: 0
	.section	.text._ZN2at6native12_GLOBAL__N_112gatherMedianIfmLin1EEEvNS_4cuda6detail10TensorInfoIT_T0_EENS5_IlS7_EENS5_IKS6_S7_EES7_S7_S7_b,"axG",@progbits,_ZN2at6native12_GLOBAL__N_112gatherMedianIfmLin1EEEvNS_4cuda6detail10TensorInfoIT_T0_EENS5_IlS7_EENS5_IKS6_S7_EES7_S7_S7_b,comdat
	.globl	_ZN2at6native12_GLOBAL__N_112gatherMedianIfmLin1EEEvNS_4cuda6detail10TensorInfoIT_T0_EENS5_IlS7_EENS5_IKS6_S7_EES7_S7_S7_b ; -- Begin function _ZN2at6native12_GLOBAL__N_112gatherMedianIfmLin1EEEvNS_4cuda6detail10TensorInfoIT_T0_EENS5_IlS7_EENS5_IKS6_S7_EES7_S7_S7_b
	.p2align	8
	.type	_ZN2at6native12_GLOBAL__N_112gatherMedianIfmLin1EEEvNS_4cuda6detail10TensorInfoIT_T0_EENS5_IlS7_EENS5_IKS6_S7_EES7_S7_S7_b,@function
_ZN2at6native12_GLOBAL__N_112gatherMedianIfmLin1EEEvNS_4cuda6detail10TensorInfoIT_T0_EENS5_IlS7_EENS5_IKS6_S7_EES7_S7_S7_b: ; @_ZN2at6native12_GLOBAL__N_112gatherMedianIfmLin1EEEvNS_4cuda6detail10TensorInfoIT_T0_EENS5_IlS7_EENS5_IKS6_S7_EES7_S7_S7_b
; %bb.0:
	s_load_dwordx2 s[10:11], s[0:1], 0x500
	s_load_dwordx4 s[56:59], s[0:1], 0x4e0
	s_add_u32 s12, s0, 0x500
	s_addc_u32 s13, s1, 0
	s_mov_b32 s5, 0
	s_waitcnt lgkmcnt(0)
	s_mul_i32 s4, s11, s4
	s_add_i32 s3, s4, s3
	s_mul_i32 s3, s3, s10
	s_add_i32 s4, s3, s2
	v_mov_b64_e32 v[2:3], s[4:5]
	v_cmp_le_u64_e32 vcc, s[58:59], v[2:3]
	s_cbranch_vccnz .LBB127_319
; %bb.1:
	s_load_dword s6, s[0:1], 0x198
	s_load_dwordx2 s[60:61], s[0:1], 0x4f0
	s_mov_b64 s[58:59], 0
	s_mov_b64 s[20:21], s[4:5]
	s_waitcnt lgkmcnt(0)
	s_cmp_lt_i32 s6, 2
	s_cbranch_scc1 .LBB127_9
; %bb.2:
	s_add_i32 s3, s6, 1
	s_add_i32 s8, s6, -1
	s_mov_b32 s6, 0
	s_mov_b32 s9, s6
	s_lshl_b64 s[8:9], s[8:9], 3
	s_add_u32 s7, s0, s8
	s_addc_u32 s9, s1, s9
	s_add_u32 s8, s7, 8
	s_addc_u32 s9, s9, 0
	s_mov_b64 s[14:15], s[4:5]
.LBB127_3:                              ; =>This Inner Loop Header: Depth=1
	s_load_dwordx2 s[16:17], s[8:9], 0x0
	s_waitcnt lgkmcnt(0)
	s_or_b64 s[18:19], s[14:15], s[16:17]
	s_mov_b32 s7, s19
	s_cmp_lg_u64 s[6:7], 0
	s_cbranch_scc0 .LBB127_8
; %bb.4:                                ;   in Loop: Header=BB127_3 Depth=1
	v_cvt_f32_u32_e32 v1, s16
	v_cvt_f32_u32_e32 v2, s17
	s_sub_u32 s7, 0, s16
	s_subb_u32 s11, 0, s17
	v_fmac_f32_e32 v1, 0x4f800000, v2
	v_rcp_f32_e32 v1, v1
	s_nop 0
	v_mul_f32_e32 v1, 0x5f7ffffc, v1
	v_mul_f32_e32 v2, 0x2f800000, v1
	v_trunc_f32_e32 v2, v2
	v_fmac_f32_e32 v1, 0xcf800000, v2
	v_cvt_u32_f32_e32 v2, v2
	v_cvt_u32_f32_e32 v1, v1
	v_readfirstlane_b32 s20, v2
	v_readfirstlane_b32 s18, v1
	s_mul_i32 s19, s7, s20
	s_mul_hi_u32 s22, s7, s18
	s_mul_i32 s21, s11, s18
	s_add_i32 s19, s22, s19
	s_mul_i32 s23, s7, s18
	s_add_i32 s19, s19, s21
	s_mul_i32 s22, s18, s19
	s_mul_hi_u32 s24, s18, s23
	s_mul_hi_u32 s21, s18, s19
	s_add_u32 s22, s24, s22
	s_addc_u32 s21, 0, s21
	s_mul_hi_u32 s25, s20, s23
	s_mul_i32 s23, s20, s23
	s_add_u32 s22, s22, s23
	s_mul_hi_u32 s24, s20, s19
	s_addc_u32 s21, s21, s25
	s_addc_u32 s22, s24, 0
	s_mul_i32 s19, s20, s19
	s_add_u32 s19, s21, s19
	s_addc_u32 s21, 0, s22
	s_add_u32 s22, s18, s19
	s_cselect_b64 s[18:19], -1, 0
	s_cmp_lg_u64 s[18:19], 0
	s_addc_u32 s20, s20, s21
	s_mul_i32 s18, s7, s20
	s_mul_hi_u32 s19, s7, s22
	s_add_i32 s18, s19, s18
	s_mul_i32 s11, s11, s22
	s_add_i32 s18, s18, s11
	s_mul_i32 s7, s7, s22
	s_mul_hi_u32 s19, s20, s7
	s_mul_i32 s21, s20, s7
	s_mul_i32 s24, s22, s18
	s_mul_hi_u32 s7, s22, s7
	s_mul_hi_u32 s23, s22, s18
	s_add_u32 s7, s7, s24
	s_addc_u32 s23, 0, s23
	s_add_u32 s7, s7, s21
	s_mul_hi_u32 s11, s20, s18
	s_addc_u32 s7, s23, s19
	s_addc_u32 s11, s11, 0
	s_mul_i32 s18, s20, s18
	s_add_u32 s7, s7, s18
	s_addc_u32 s11, 0, s11
	s_add_u32 s7, s22, s7
	s_cselect_b64 s[18:19], -1, 0
	s_cmp_lg_u64 s[18:19], 0
	s_addc_u32 s11, s20, s11
	s_mul_i32 s19, s14, s11
	s_mul_hi_u32 s20, s14, s7
	s_mul_hi_u32 s18, s14, s11
	s_add_u32 s19, s20, s19
	s_addc_u32 s18, 0, s18
	s_mul_hi_u32 s21, s15, s7
	s_mul_i32 s7, s15, s7
	s_add_u32 s7, s19, s7
	s_mul_hi_u32 s20, s15, s11
	s_addc_u32 s7, s18, s21
	s_addc_u32 s18, s20, 0
	s_mul_i32 s11, s15, s11
	s_add_u32 s7, s7, s11
	s_addc_u32 s11, 0, s18
	s_mul_i32 s18, s16, s11
	s_mul_hi_u32 s19, s16, s7
	s_add_i32 s18, s19, s18
	s_mul_i32 s19, s17, s7
	s_add_i32 s22, s18, s19
	s_sub_i32 s20, s15, s22
	s_mul_i32 s18, s16, s7
	s_sub_u32 s23, s14, s18
	s_cselect_b64 s[18:19], -1, 0
	s_cmp_lg_u64 s[18:19], 0
	s_subb_u32 s24, s20, s17
	s_sub_u32 s25, s23, s16
	s_cselect_b64 s[20:21], -1, 0
	s_cmp_lg_u64 s[20:21], 0
	s_subb_u32 s20, s24, 0
	s_cmp_ge_u32 s20, s17
	s_cselect_b32 s21, -1, 0
	s_cmp_ge_u32 s25, s16
	s_cselect_b32 s24, -1, 0
	s_cmp_eq_u32 s20, s17
	s_cselect_b32 s20, s24, s21
	s_add_u32 s21, s7, 1
	s_addc_u32 s24, s11, 0
	s_add_u32 s25, s7, 2
	s_addc_u32 s26, s11, 0
	s_cmp_lg_u32 s20, 0
	s_cselect_b32 s20, s25, s21
	s_cselect_b32 s21, s26, s24
	s_cmp_lg_u64 s[18:19], 0
	s_subb_u32 s18, s15, s22
	s_cmp_ge_u32 s18, s17
	s_cselect_b32 s19, -1, 0
	s_cmp_ge_u32 s23, s16
	s_cselect_b32 s22, -1, 0
	s_cmp_eq_u32 s18, s17
	s_cselect_b32 s18, s22, s19
	s_cmp_lg_u32 s18, 0
	s_cselect_b32 s21, s21, s11
	s_cselect_b32 s20, s20, s7
	s_cbranch_execnz .LBB127_6
.LBB127_5:                              ;   in Loop: Header=BB127_3 Depth=1
	v_cvt_f32_u32_e32 v1, s16
	s_sub_i32 s7, 0, s16
	s_mov_b32 s21, s6
	v_rcp_iflag_f32_e32 v1, v1
	s_nop 0
	v_mul_f32_e32 v1, 0x4f7ffffe, v1
	v_cvt_u32_f32_e32 v1, v1
	s_nop 0
	v_readfirstlane_b32 s11, v1
	s_mul_i32 s7, s7, s11
	s_mul_hi_u32 s7, s11, s7
	s_add_i32 s11, s11, s7
	s_mul_hi_u32 s7, s14, s11
	s_mul_i32 s18, s7, s16
	s_sub_i32 s18, s14, s18
	s_add_i32 s11, s7, 1
	s_sub_i32 s19, s18, s16
	s_cmp_ge_u32 s18, s16
	s_cselect_b32 s7, s11, s7
	s_cselect_b32 s18, s19, s18
	s_add_i32 s11, s7, 1
	s_cmp_ge_u32 s18, s16
	s_cselect_b32 s20, s11, s7
.LBB127_6:                              ;   in Loop: Header=BB127_3 Depth=1
	s_mul_i32 s7, s20, s17
	s_mul_hi_u32 s11, s20, s16
	s_load_dwordx2 s[18:19], s[8:9], 0xc8
	s_add_i32 s7, s11, s7
	s_mul_i32 s11, s21, s16
	s_add_i32 s7, s7, s11
	s_mul_i32 s11, s20, s16
	s_sub_u32 s11, s14, s11
	s_subb_u32 s7, s15, s7
	s_waitcnt lgkmcnt(0)
	s_mul_i32 s7, s18, s7
	s_mul_hi_u32 s14, s18, s11
	s_add_i32 s7, s14, s7
	s_mul_i32 s14, s19, s11
	s_add_i32 s7, s7, s14
	s_mul_i32 s11, s18, s11
	s_add_u32 s58, s11, s58
	s_addc_u32 s59, s7, s59
	s_add_i32 s3, s3, -1
	s_add_u32 s8, s8, -8
	s_addc_u32 s9, s9, -1
	s_cmp_gt_u32 s3, 2
	s_cbranch_scc0 .LBB127_9
; %bb.7:                                ;   in Loop: Header=BB127_3 Depth=1
	s_mov_b64 s[14:15], s[20:21]
	s_branch .LBB127_3
.LBB127_8:                              ;   in Loop: Header=BB127_3 Depth=1
                                        ; implicit-def: $sgpr20_sgpr21
	s_branch .LBB127_5
.LBB127_9:
	s_load_dword s8, s[0:1], 0x338
	s_load_dwordx2 s[6:7], s[0:1], 0xd0
                                        ; implicit-def: $vgpr64 : SGPR spill to VGPR lane
	s_mov_b64 s[62:63], 0
	v_writelane_b32 v64, s20, 0
	s_mov_b64 s[68:69], s[4:5]
	s_nop 0
	v_writelane_b32 v64, s21, 1
	s_waitcnt lgkmcnt(0)
	v_writelane_b32 v64, s6, 2
	s_nop 1
	v_writelane_b32 v64, s7, 3
	s_add_u32 s6, s0, 0x1a0
	s_addc_u32 s7, s1, 0
	s_cmp_lt_i32 s8, 2
	s_cbranch_scc1 .LBB127_17
; %bb.10:
	s_add_i32 s3, s8, 1
	s_add_i32 s14, s8, -1
	s_mov_b32 s8, 0
	s_mov_b32 s15, s8
	s_lshl_b64 s[14:15], s[14:15], 3
	s_add_u32 s9, s6, s14
	s_addc_u32 s11, s7, s15
	s_add_u32 s14, s9, 8
	s_addc_u32 s15, s11, 0
	s_mov_b64 s[16:17], s[4:5]
.LBB127_11:                             ; =>This Inner Loop Header: Depth=1
	s_load_dwordx2 s[18:19], s[14:15], 0x0
	s_waitcnt lgkmcnt(0)
	s_or_b64 s[20:21], s[16:17], s[18:19]
	s_mov_b32 s9, s21
	s_cmp_lg_u64 s[8:9], 0
	s_cbranch_scc0 .LBB127_16
; %bb.12:                               ;   in Loop: Header=BB127_11 Depth=1
	v_cvt_f32_u32_e32 v1, s18
	v_cvt_f32_u32_e32 v2, s19
	s_sub_u32 s9, 0, s18
	s_subb_u32 s11, 0, s19
	v_fmac_f32_e32 v1, 0x4f800000, v2
	v_rcp_f32_e32 v1, v1
	s_nop 0
	v_mul_f32_e32 v1, 0x5f7ffffc, v1
	v_mul_f32_e32 v2, 0x2f800000, v1
	v_trunc_f32_e32 v2, v2
	v_fmac_f32_e32 v1, 0xcf800000, v2
	v_cvt_u32_f32_e32 v2, v2
	v_cvt_u32_f32_e32 v1, v1
	v_readfirstlane_b32 s22, v2
	v_readfirstlane_b32 s20, v1
	s_mul_i32 s21, s9, s22
	s_mul_hi_u32 s24, s9, s20
	s_mul_i32 s23, s11, s20
	s_add_i32 s21, s24, s21
	s_mul_i32 s25, s9, s20
	s_add_i32 s21, s21, s23
	s_mul_i32 s24, s20, s21
	s_mul_hi_u32 s26, s20, s25
	s_mul_hi_u32 s23, s20, s21
	s_add_u32 s24, s26, s24
	s_addc_u32 s23, 0, s23
	s_mul_hi_u32 s27, s22, s25
	s_mul_i32 s25, s22, s25
	s_add_u32 s24, s24, s25
	s_mul_hi_u32 s26, s22, s21
	s_addc_u32 s23, s23, s27
	s_addc_u32 s24, s26, 0
	s_mul_i32 s21, s22, s21
	s_add_u32 s21, s23, s21
	s_addc_u32 s23, 0, s24
	s_add_u32 s24, s20, s21
	s_cselect_b64 s[20:21], -1, 0
	s_cmp_lg_u64 s[20:21], 0
	s_addc_u32 s22, s22, s23
	s_mul_i32 s20, s9, s22
	s_mul_hi_u32 s21, s9, s24
	s_add_i32 s20, s21, s20
	s_mul_i32 s11, s11, s24
	s_add_i32 s20, s20, s11
	s_mul_i32 s9, s9, s24
	s_mul_hi_u32 s21, s22, s9
	s_mul_i32 s23, s22, s9
	s_mul_i32 s26, s24, s20
	s_mul_hi_u32 s9, s24, s9
	s_mul_hi_u32 s25, s24, s20
	s_add_u32 s9, s9, s26
	s_addc_u32 s25, 0, s25
	s_add_u32 s9, s9, s23
	s_mul_hi_u32 s11, s22, s20
	s_addc_u32 s9, s25, s21
	s_addc_u32 s11, s11, 0
	s_mul_i32 s20, s22, s20
	s_add_u32 s9, s9, s20
	s_addc_u32 s11, 0, s11
	s_add_u32 s9, s24, s9
	s_cselect_b64 s[20:21], -1, 0
	s_cmp_lg_u64 s[20:21], 0
	s_addc_u32 s11, s22, s11
	s_mul_i32 s21, s16, s11
	s_mul_hi_u32 s22, s16, s9
	s_mul_hi_u32 s20, s16, s11
	s_add_u32 s21, s22, s21
	s_addc_u32 s20, 0, s20
	s_mul_hi_u32 s23, s17, s9
	s_mul_i32 s9, s17, s9
	s_add_u32 s9, s21, s9
	s_mul_hi_u32 s22, s17, s11
	s_addc_u32 s9, s20, s23
	s_addc_u32 s20, s22, 0
	s_mul_i32 s11, s17, s11
	s_add_u32 s9, s9, s11
	s_addc_u32 s11, 0, s20
	s_mul_i32 s20, s18, s11
	s_mul_hi_u32 s21, s18, s9
	s_add_i32 s20, s21, s20
	s_mul_i32 s21, s19, s9
	s_add_i32 s24, s20, s21
	s_sub_i32 s22, s17, s24
	s_mul_i32 s20, s18, s9
	s_sub_u32 s25, s16, s20
	s_cselect_b64 s[20:21], -1, 0
	s_cmp_lg_u64 s[20:21], 0
	s_subb_u32 s26, s22, s19
	s_sub_u32 s27, s25, s18
	s_cselect_b64 s[22:23], -1, 0
	s_cmp_lg_u64 s[22:23], 0
	s_subb_u32 s22, s26, 0
	s_cmp_ge_u32 s22, s19
	s_cselect_b32 s23, -1, 0
	s_cmp_ge_u32 s27, s18
	s_cselect_b32 s26, -1, 0
	s_cmp_eq_u32 s22, s19
	s_cselect_b32 s22, s26, s23
	s_add_u32 s23, s9, 1
	s_addc_u32 s26, s11, 0
	s_add_u32 s27, s9, 2
	s_addc_u32 s28, s11, 0
	s_cmp_lg_u32 s22, 0
	s_cselect_b32 s22, s27, s23
	s_cselect_b32 s23, s28, s26
	s_cmp_lg_u64 s[20:21], 0
	s_subb_u32 s20, s17, s24
	s_cmp_ge_u32 s20, s19
	s_cselect_b32 s21, -1, 0
	s_cmp_ge_u32 s25, s18
	s_cselect_b32 s24, -1, 0
	s_cmp_eq_u32 s20, s19
	s_cselect_b32 s20, s24, s21
	s_cmp_lg_u32 s20, 0
	s_cselect_b32 s69, s23, s11
	s_cselect_b32 s68, s22, s9
	s_cbranch_execnz .LBB127_14
.LBB127_13:                             ;   in Loop: Header=BB127_11 Depth=1
	v_cvt_f32_u32_e32 v1, s18
	s_sub_i32 s9, 0, s18
	s_mov_b32 s69, s8
	v_rcp_iflag_f32_e32 v1, v1
	s_nop 0
	v_mul_f32_e32 v1, 0x4f7ffffe, v1
	v_cvt_u32_f32_e32 v1, v1
	s_nop 0
	v_readfirstlane_b32 s11, v1
	s_mul_i32 s9, s9, s11
	s_mul_hi_u32 s9, s11, s9
	s_add_i32 s11, s11, s9
	s_mul_hi_u32 s9, s16, s11
	s_mul_i32 s20, s9, s18
	s_sub_i32 s20, s16, s20
	s_add_i32 s11, s9, 1
	s_sub_i32 s21, s20, s18
	s_cmp_ge_u32 s20, s18
	s_cselect_b32 s9, s11, s9
	s_cselect_b32 s20, s21, s20
	s_add_i32 s11, s9, 1
	s_cmp_ge_u32 s20, s18
	s_cselect_b32 s68, s11, s9
.LBB127_14:                             ;   in Loop: Header=BB127_11 Depth=1
	s_mul_i32 s9, s68, s19
	s_mul_hi_u32 s11, s68, s18
	s_load_dwordx2 s[20:21], s[14:15], 0xc8
	s_add_i32 s9, s11, s9
	s_mul_i32 s11, s69, s18
	s_add_i32 s9, s9, s11
	s_mul_i32 s11, s68, s18
	s_sub_u32 s11, s16, s11
	s_subb_u32 s9, s17, s9
	s_waitcnt lgkmcnt(0)
	s_mul_i32 s9, s20, s9
	s_mul_hi_u32 s16, s20, s11
	s_add_i32 s9, s16, s9
	s_mul_i32 s16, s21, s11
	s_add_i32 s9, s9, s16
	s_mul_i32 s11, s20, s11
	s_add_u32 s62, s11, s62
	s_addc_u32 s63, s9, s63
	s_add_i32 s3, s3, -1
	s_add_u32 s14, s14, -8
	s_addc_u32 s15, s15, -1
	s_cmp_gt_u32 s3, 2
	s_cbranch_scc0 .LBB127_17
; %bb.15:                               ;   in Loop: Header=BB127_11 Depth=1
	s_mov_b64 s[16:17], s[68:69]
	s_branch .LBB127_11
.LBB127_16:                             ;   in Loop: Header=BB127_11 Depth=1
                                        ; implicit-def: $sgpr68_sgpr69
	s_branch .LBB127_13
.LBB127_17:
	s_load_dword s8, s[0:1], 0x4d8
	s_load_dwordx2 s[14:15], s[6:7], 0xd0
	s_add_u32 s9, s0, 0x340
	s_addc_u32 s11, s1, 0
                                        ; kill: killed $sgpr6 killed $sgpr7
	s_mov_b64 s[6:7], 0
	s_waitcnt lgkmcnt(0)
	s_cmp_lt_i32 s8, 2
	v_writelane_b32 v64, s14, 4
	s_nop 1
	v_writelane_b32 v64, s15, 5
	s_cbranch_scc1 .LBB127_25
; %bb.18:
	s_add_i32 s3, s8, 1
	s_add_i32 s6, s8, -1
	s_mov_b32 s8, 0
	s_mov_b32 s7, s8
	s_lshl_b64 s[6:7], s[6:7], 3
	s_add_u32 s6, s9, s6
	s_addc_u32 s7, s11, s7
	s_add_u32 s14, s6, 8
	s_addc_u32 s15, s7, 0
	s_mov_b64 s[6:7], 0
.LBB127_19:                             ; =>This Inner Loop Header: Depth=1
	s_load_dwordx2 s[16:17], s[14:15], 0x0
	s_waitcnt lgkmcnt(0)
	s_or_b64 s[18:19], s[4:5], s[16:17]
	s_mov_b32 s9, s19
	s_cmp_lg_u64 s[8:9], 0
	s_cbranch_scc0 .LBB127_24
; %bb.20:                               ;   in Loop: Header=BB127_19 Depth=1
	v_cvt_f32_u32_e32 v1, s16
	v_cvt_f32_u32_e32 v2, s17
	s_sub_u32 s9, 0, s16
	s_subb_u32 s11, 0, s17
	v_fmac_f32_e32 v1, 0x4f800000, v2
	v_rcp_f32_e32 v1, v1
	s_nop 0
	v_mul_f32_e32 v1, 0x5f7ffffc, v1
	v_mul_f32_e32 v2, 0x2f800000, v1
	v_trunc_f32_e32 v2, v2
	v_fmac_f32_e32 v1, 0xcf800000, v2
	v_cvt_u32_f32_e32 v2, v2
	v_cvt_u32_f32_e32 v1, v1
	v_readfirstlane_b32 s20, v2
	v_readfirstlane_b32 s18, v1
	s_mul_i32 s19, s9, s20
	s_mul_hi_u32 s22, s9, s18
	s_mul_i32 s21, s11, s18
	s_add_i32 s19, s22, s19
	s_mul_i32 s23, s9, s18
	s_add_i32 s19, s19, s21
	s_mul_i32 s22, s18, s19
	s_mul_hi_u32 s24, s18, s23
	s_mul_hi_u32 s21, s18, s19
	s_add_u32 s22, s24, s22
	s_addc_u32 s21, 0, s21
	s_mul_hi_u32 s25, s20, s23
	s_mul_i32 s23, s20, s23
	s_add_u32 s22, s22, s23
	s_mul_hi_u32 s24, s20, s19
	s_addc_u32 s21, s21, s25
	s_addc_u32 s22, s24, 0
	s_mul_i32 s19, s20, s19
	s_add_u32 s19, s21, s19
	s_addc_u32 s21, 0, s22
	s_add_u32 s22, s18, s19
	s_cselect_b64 s[18:19], -1, 0
	s_cmp_lg_u64 s[18:19], 0
	s_addc_u32 s20, s20, s21
	s_mul_i32 s18, s9, s20
	s_mul_hi_u32 s19, s9, s22
	s_add_i32 s18, s19, s18
	s_mul_i32 s11, s11, s22
	s_add_i32 s18, s18, s11
	s_mul_i32 s9, s9, s22
	s_mul_hi_u32 s19, s20, s9
	s_mul_i32 s21, s20, s9
	s_mul_i32 s24, s22, s18
	s_mul_hi_u32 s9, s22, s9
	s_mul_hi_u32 s23, s22, s18
	s_add_u32 s9, s9, s24
	s_addc_u32 s23, 0, s23
	s_add_u32 s9, s9, s21
	s_mul_hi_u32 s11, s20, s18
	s_addc_u32 s9, s23, s19
	s_addc_u32 s11, s11, 0
	s_mul_i32 s18, s20, s18
	s_add_u32 s9, s9, s18
	s_addc_u32 s11, 0, s11
	s_add_u32 s9, s22, s9
	s_cselect_b64 s[18:19], -1, 0
	s_cmp_lg_u64 s[18:19], 0
	s_addc_u32 s11, s20, s11
	s_mul_i32 s19, s4, s11
	s_mul_hi_u32 s20, s4, s9
	s_mul_hi_u32 s18, s4, s11
	s_add_u32 s19, s20, s19
	s_addc_u32 s18, 0, s18
	s_mul_hi_u32 s21, s5, s9
	s_mul_i32 s9, s5, s9
	s_add_u32 s9, s19, s9
	s_mul_hi_u32 s20, s5, s11
	s_addc_u32 s9, s18, s21
	s_addc_u32 s18, s20, 0
	s_mul_i32 s11, s5, s11
	s_add_u32 s9, s9, s11
	s_addc_u32 s11, 0, s18
	s_mul_i32 s18, s16, s11
	s_mul_hi_u32 s19, s16, s9
	s_add_i32 s18, s19, s18
	s_mul_i32 s19, s17, s9
	s_add_i32 s22, s18, s19
	s_sub_i32 s20, s5, s22
	s_mul_i32 s18, s16, s9
	s_sub_u32 s23, s4, s18
	s_cselect_b64 s[18:19], -1, 0
	s_cmp_lg_u64 s[18:19], 0
	s_subb_u32 s24, s20, s17
	s_sub_u32 s25, s23, s16
	s_cselect_b64 s[20:21], -1, 0
	s_cmp_lg_u64 s[20:21], 0
	s_subb_u32 s20, s24, 0
	s_cmp_ge_u32 s20, s17
	s_cselect_b32 s21, -1, 0
	s_cmp_ge_u32 s25, s16
	s_cselect_b32 s24, -1, 0
	s_cmp_eq_u32 s20, s17
	s_cselect_b32 s20, s24, s21
	s_add_u32 s21, s9, 1
	s_addc_u32 s24, s11, 0
	s_add_u32 s25, s9, 2
	s_addc_u32 s26, s11, 0
	s_cmp_lg_u32 s20, 0
	s_cselect_b32 s20, s25, s21
	s_cselect_b32 s21, s26, s24
	s_cmp_lg_u64 s[18:19], 0
	s_subb_u32 s18, s5, s22
	s_cmp_ge_u32 s18, s17
	s_cselect_b32 s19, -1, 0
	s_cmp_ge_u32 s23, s16
	s_cselect_b32 s22, -1, 0
	s_cmp_eq_u32 s18, s17
	s_cselect_b32 s18, s22, s19
	s_cmp_lg_u32 s18, 0
	s_cselect_b32 s19, s21, s11
	s_cselect_b32 s18, s20, s9
	s_cbranch_execnz .LBB127_22
.LBB127_21:                             ;   in Loop: Header=BB127_19 Depth=1
	v_cvt_f32_u32_e32 v1, s16
	s_sub_i32 s9, 0, s16
	v_rcp_iflag_f32_e32 v1, v1
	s_nop 0
	v_mul_f32_e32 v1, 0x4f7ffffe, v1
	v_cvt_u32_f32_e32 v1, v1
	s_nop 0
	v_readfirstlane_b32 s11, v1
	s_mul_i32 s9, s9, s11
	s_mul_hi_u32 s9, s11, s9
	s_add_i32 s11, s11, s9
	s_mul_hi_u32 s9, s4, s11
	s_mul_i32 s18, s9, s16
	s_sub_i32 s18, s4, s18
	s_add_i32 s11, s9, 1
	s_sub_i32 s19, s18, s16
	s_cmp_ge_u32 s18, s16
	s_cselect_b32 s9, s11, s9
	s_cselect_b32 s18, s19, s18
	s_add_i32 s11, s9, 1
	s_cmp_ge_u32 s18, s16
	s_cselect_b32 s18, s11, s9
	s_mov_b32 s19, s8
.LBB127_22:                             ;   in Loop: Header=BB127_19 Depth=1
	s_mul_i32 s9, s18, s17
	s_mul_hi_u32 s11, s18, s16
	s_load_dwordx2 s[20:21], s[14:15], 0xc8
	s_add_i32 s9, s11, s9
	s_mul_i32 s11, s19, s16
	s_add_i32 s9, s9, s11
	s_mul_i32 s11, s18, s16
	s_sub_u32 s4, s4, s11
	s_subb_u32 s5, s5, s9
	s_waitcnt lgkmcnt(0)
	s_mul_i32 s5, s20, s5
	s_mul_hi_u32 s9, s20, s4
	s_add_i32 s5, s9, s5
	s_mul_i32 s9, s21, s4
	s_add_i32 s5, s5, s9
	s_mul_i32 s4, s20, s4
	s_add_u32 s6, s4, s6
	s_addc_u32 s7, s5, s7
	s_add_i32 s3, s3, -1
	s_add_u32 s14, s14, -8
	s_addc_u32 s15, s15, -1
	s_cmp_gt_u32 s3, 2
	s_cbranch_scc0 .LBB127_26
; %bb.23:                               ;   in Loop: Header=BB127_19 Depth=1
	s_mov_b64 s[4:5], s[18:19]
	s_branch .LBB127_19
.LBB127_24:                             ;   in Loop: Header=BB127_19 Depth=1
                                        ; implicit-def: $sgpr18_sgpr19
	s_branch .LBB127_21
.LBB127_25:
	s_mov_b64 s[18:19], s[4:5]
.LBB127_26:
	s_load_dwordx2 s[4:5], s[0:1], 0x410
	s_load_dwordx2 s[8:9], s[0:1], 0x0
	v_mov_b32_e32 v1, 0
	v_mov_b64_e32 v[2:3], 0
	v_cmp_gt_u64_e64 s[16:17], s[56:57], v[0:1]
	s_waitcnt lgkmcnt(0)
	s_mul_i32 s3, s4, s19
	v_writelane_b32 v64, s8, 6
	s_mul_hi_u32 s11, s4, s18
	s_add_i32 s3, s11, s3
	v_writelane_b32 v64, s9, 7
	s_load_dwordx2 s[8:9], s[0:1], 0x1a0
	s_mul_i32 s5, s5, s18
	s_add_i32 s5, s3, s5
	s_mul_i32 s4, s4, s18
	s_waitcnt lgkmcnt(0)
	v_writelane_b32 v64, s8, 8
	s_nop 1
	v_writelane_b32 v64, s9, 9
	s_load_dwordx2 s[8:9], s[0:1], 0x340
	s_mov_b64 s[14:15], exec
	v_writelane_b32 v64, s16, 10
	s_nop 1
	v_writelane_b32 v64, s17, 11
	s_and_b64 s[16:17], s[14:15], s[16:17]
	s_mov_b64 exec, s[16:17]
	s_cbranch_execz .LBB127_30
; %bb.27:
	s_load_dword s3, s[12:13], 0xc
	v_mad_u64_u32 v[2:3], s[20:21], s60, v0, 0
	v_mov_b32_e32 v4, v3
	v_mad_u64_u32 v[4:5], s[20:21], s61, v0, v[4:5]
	s_lshl_b64 s[18:19], s[4:5], 2
	s_waitcnt lgkmcnt(0)
	s_and_b32 s16, s3, 0xffff
	s_lshl_b64 s[20:21], s[6:7], 2
	s_add_u32 s3, s8, s20
	s_addc_u32 s11, s9, s21
	s_add_u32 s18, s3, s18
	v_mov_b32_e32 v3, v4
	s_addc_u32 s19, s11, s19
	s_mul_i32 s3, s61, s16
	s_mul_hi_u32 s11, s60, s16
	v_lshl_add_u64 v[4:5], v[2:3], 2, s[18:19]
	s_add_i32 s19, s11, s3
	s_mul_i32 s18, s60, s16
	s_mov_b32 s17, 0
	s_lshl_b64 s[20:21], s[18:19], 2
	s_mov_b64 s[18:19], 0
	v_mov_b64_e32 v[2:3], 0
	v_mov_b64_e32 v[6:7], v[0:1]
.LBB127_28:                             ; =>This Inner Loop Header: Depth=1
	global_load_dword v8, v[4:5], off
	v_lshl_add_u64 v[6:7], v[6:7], 0, s[16:17]
	v_cmp_le_u64_e32 vcc, s[56:57], v[6:7]
	s_or_b64 s[18:19], vcc, s[18:19]
	v_mov_b32_e32 v9, s17
	v_lshl_add_u64 v[4:5], v[4:5], 0, s[20:21]
	s_waitcnt vmcnt(0)
	v_cmp_u_f32_e32 vcc, v8, v8
	s_nop 1
	v_cndmask_b32_e64 v8, 0, 1, vcc
	v_lshl_add_u64 v[2:3], v[2:3], 0, v[8:9]
	s_andn2_b64 exec, exec, s[18:19]
	s_cbranch_execnz .LBB127_28
; %bb.29:
	s_or_b64 exec, exec, s[18:19]
.LBB127_30:
	s_or_b64 exec, exec, s[14:15]
	v_cmp_eq_u32_e64 s[16:17], 0, v0
	s_mov_b64 s[14:15], exec
	s_nop 0
	v_writelane_b32 v64, s16, 12
	s_nop 1
	v_writelane_b32 v64, s17, 13
	s_and_b64 s[16:17], s[14:15], s[16:17]
	s_mov_b64 exec, s[16:17]
; %bb.31:
	v_mov_b32_e32 v4, 0
	v_mov_b32_e32 v5, v4
	ds_write_b64 v4, v[4:5] offset:5136
; %bb.32:
	s_or_b64 exec, exec, s[14:15]
	s_mov_b64 s[16:17], 0
	v_cmp_ne_u64_e32 vcc, 0, v[2:3]
	s_waitcnt lgkmcnt(0)
	s_barrier
	s_and_saveexec_b64 s[14:15], vcc
	s_cbranch_execz .LBB127_37
; %bb.33:
	s_mov_b64 s[18:19], exec
.LBB127_34:                             ; =>This Inner Loop Header: Depth=1
	s_ff1_i32_b64 s3, s[18:19]
	v_readlane_b32 s20, v2, s3
	v_readlane_b32 s11, v3, s3
	s_add_u32 s16, s16, s20
	s_addc_u32 s17, s17, s11
	s_lshl_b64 s[20:21], 1, s3
	s_andn2_b64 s[18:19], s[18:19], s[20:21]
	s_cmp_lg_u64 s[18:19], 0
	s_cbranch_scc1 .LBB127_34
; %bb.35:
	v_mbcnt_lo_u32_b32 v2, exec_lo, 0
	v_mbcnt_hi_u32_b32 v2, exec_hi, v2
	v_cmp_eq_u32_e32 vcc, 0, v2
	s_and_saveexec_b64 s[18:19], vcc
	s_xor_b64 s[18:19], exec, s[18:19]
; %bb.36:
	v_mov_b32_e32 v2, 0
	v_mov_b64_e32 v[4:5], s[16:17]
	ds_add_u64 v2, v[4:5] offset:5136
.LBB127_37:
	s_or_b64 exec, exec, s[14:15]
	v_mov_b32_e32 v3, 0
	s_waitcnt lgkmcnt(0)
	s_barrier
	ds_read_b64 v[4:5], v3 offset:5136
	s_waitcnt lgkmcnt(0)
	v_readfirstlane_b32 s14, v4
	v_readfirstlane_b32 s15, v5
	s_mov_b64 s[16:17], exec
	v_readlane_b32 s18, v64, 12
	v_readlane_b32 s19, v64, 13
	s_and_b64 s[18:19], s[16:17], s[18:19]
	s_mov_b64 exec, s[18:19]
	s_cbranch_execz .LBB127_39
; %bb.38:
	v_mov_b32_e32 v4, 0
	v_mov_b32_e32 v6, s56
	;; [unrolled: 1-line block ×4, first 2 shown]
	ds_write_b32 v4, v4 offset:5144
	ds_write_b128 v4, v[4:7] offset:5120
.LBB127_39:
	s_or_b64 exec, exec, s[16:17]
	s_load_dword s3, s[0:1], 0x4f8
	v_cmp_lt_i64_e64 s[0:1], s[14:15], 1
	v_mbcnt_lo_u32_b32 v2, -1, 0
	v_mbcnt_hi_u32_b32 v48, -1, v2
	v_cmp_gt_u32_e32 vcc, 64, v0
	s_waitcnt lgkmcnt(0)
	s_bitcmp1_b32 s3, 0
	s_cselect_b64 s[16:17], -1, 0
	s_not_b64 s[14:15], s[14:15]
	s_or_b64 s[0:1], s[16:17], s[0:1]
	s_add_u32 s14, s56, s14
	s_addc_u32 s15, s57, s15
	s_lshr_b64 s[14:15], s[14:15], 1
	s_add_u32 s3, s14, 1
	s_addc_u32 s11, s15, 0
	s_and_b64 s[0:1], s[0:1], exec
	s_cselect_b32 s15, s11, s57
	s_cselect_b32 s14, s3, s56
	s_lshl_b64 s[16:17], s[4:5], 2
	s_add_u32 s18, s8, s16
	s_addc_u32 s19, s9, s17
	s_lshl_b64 s[78:79], s[6:7], 2
	s_add_u32 s80, s18, s78
	v_cmp_gt_i32_e64 s[0:1], 4, v48
	s_addc_u32 s81, s19, s79
	s_and_b64 s[88:89], vcc, s[0:1]
	v_cmp_gt_u32_e64 s[0:1], 2, v0
	v_mov_b64_e32 v[4:5], 0x300
	s_nop 0
	v_writelane_b32 v64, s0, 14
	s_barrier
	s_nop 0
	v_writelane_b32 v64, s1, 15
	v_cmp_gt_u64_e64 s[0:1], s[56:57], v[4:5]
	v_lshlrev_b64 v[8:9], v48, -1
	v_not_b32_e32 v18, v8
	v_writelane_b32 v64, s0, 16
	v_mov_b32_e32 v8, s57
	v_not_b32_e32 v19, v9
	v_writelane_b32 v64, s1, 17
	v_mad_u64_u32 v[6:7], s[0:1], s60, v0, 0
	v_mov_b32_e32 v2, v7
	v_mad_u64_u32 v[4:5], s[0:1], s61, v0, v[2:3]
	s_load_dword s0, s[12:13], 0xc
	v_lshlrev_b32_e32 v2, 2, v48
	v_and_b32_e32 v50, 0x100, v2
	v_lshrrev_b32_e32 v2, 1, v0
	v_and_b32_e32 v2, 0x1e0, v2
	s_waitcnt lgkmcnt(0)
	s_and_b32 s76, s0, 0xffff
	s_bfe_u32 s0, s0, 0xa0006
	s_cmp_gt_u32 s76, 63
	s_cselect_b64 s[4:5], -1, 0
	v_or_b32_e32 v51, 0xc00, v2
	v_add_u32_e32 v2, 2, v0
	v_writelane_b32 v64, s4, 18
	s_add_u32 s1, s76, -1
	v_cmp_gt_u64_e32 vcc, s[56:57], v[2:3]
	v_writelane_b32 v64, s5, 19
	s_addc_u32 s3, 0, -1
	v_cndmask_b32_e32 v9, 0, v8, vcc
	v_mov_b32_e32 v8, s56
	v_writelane_b32 v64, s1, 20
	s_add_u32 s1, s1, s56
	v_cndmask_b32_e32 v8, v2, v8, vcc
	v_mov_b32_e32 v11, -1
	v_not_b32_e32 v10, v0
	v_writelane_b32 v64, s1, 21
	s_addc_u32 s91, s3, s57
	v_lshl_add_u64 v[8:9], v[8:9], 0, v[10:11]
	v_writelane_b32 v64, s3, 22
	s_cmp_lt_u32 s2, s10
	v_cmp_lt_u64_e64 s[2:3], 1, v[8:9]
	s_cselect_b32 s1, 12, 18
	v_and_b32_e32 v20, -2, v8
	v_writelane_b32 v64, s2, 23
	v_mov_b32_e32 v21, v9
	s_add_u32 s92, s12, s1
	v_writelane_b32 v64, s3, 24
	v_cmp_ne_u64_e64 s[2:3], v[8:9], v[20:21]
	s_addc_u32 s93, s13, 0
	s_add_i32 s1, s0, -1
	v_writelane_b32 v64, s2, 25
	s_and_b32 s1, s1, 0xffff
	v_lshlrev_b32_e32 v14, 4, v0
	v_writelane_b32 v64, s3, 26
	s_bfe_u32 s2, s76, 0x30006
	s_cmp_gt_u32 s1, 6
	s_cselect_b64 s[4:5], -1, 0
	v_writelane_b32 v64, s4, 27
	s_and_b32 s33, s0, 0x3f8
	s_cmp_lg_u32 s2, 0
	v_writelane_b32 v64, s5, 28
	v_writelane_b32 v64, s2, 29
	s_cselect_b64 s[0:1], -1, 0
	v_writelane_b32 v64, s0, 30
	v_or_b32_e32 v10, 12, v14
	v_mov_b64_e32 v[8:9], s[18:19]
	v_writelane_b32 v64, s1, 31
	s_add_u32 s0, s16, s78
	s_addc_u32 s1, s17, s79
	s_add_u32 s0, s8, s0
	s_addc_u32 s1, s9, s1
	v_writelane_b32 v64, s0, 32
	s_lshl_b32 s4, s76, 2
	v_cmp_eq_u32_e64 s[84:85], 0, v48
	v_writelane_b32 v64, s1, 33
	s_lshl_b64 s[0:1], s[60:61], 2
	v_writelane_b32 v64, s0, 34
	v_mov_b32_e32 v7, v4
	v_lshlrev_b64 v[4:5], 2, v[6:7]
	v_writelane_b32 v64, s1, 35
	v_mad_u64_u32 v[24:25], s[0:1], s60, v10, v[8:9]
	v_mov_b32_e32 v2, v25
	v_mad_u64_u32 v[10:11], s[0:1], s61, v10, v[2:3]
	s_lshl_b64 s[0:1], s[60:61], 4
	v_mov_b32_e32 v25, v10
	v_writelane_b32 v64, s0, 36
	v_or_b32_e32 v10, 8, v14
	s_mov_b32 s83, 0
	v_writelane_b32 v64, s1, 37
	v_mad_u64_u32 v[26:27], s[0:1], s60, v10, v[8:9]
	v_mov_b32_e32 v2, v27
	v_mad_u64_u32 v[10:11], s[0:1], s61, v10, v[2:3]
	v_mov_b32_e32 v27, v10
	v_or_b32_e32 v10, 4, v14
	v_mad_u64_u32 v[28:29], s[0:1], s60, v10, v[8:9]
	v_mov_b32_e32 v2, v29
	v_mad_u64_u32 v[8:9], s[0:1], s61, v10, v[2:3]
	s_add_u32 s0, s8, s78
	s_addc_u32 s1, s9, s79
	s_add_u32 s0, s0, s16
	s_addc_u32 s1, s1, s17
	v_writelane_b32 v64, s84, 38
	v_lshl_add_u64 v[14:15], s[0:1], 0, v[4:5]
	s_mul_i32 s0, s61, s76
	s_mul_hi_u32 s1, s60, s76
	v_writelane_b32 v64, s85, 39
	s_add_i32 s1, s1, s0
	s_mul_i32 s0, s60, s76
	v_writelane_b32 v64, s88, 40
	s_lshl_b64 s[86:87], s[0:1], 2
	v_lshlrev_b32_e32 v12, 2, v0
	v_writelane_b32 v64, s89, 41
	v_writelane_b32 v64, s86, 42
	s_mov_b32 s54, s60
	v_mov_b32_e32 v2, 0xc00
	v_writelane_b32 v64, s87, 43
	v_writelane_b32 v64, s92, 44
	v_add_u32_e32 v49, 0xc00, v12
	v_lshl_add_u64 v[16:17], s[80:81], 0, v[4:5]
	v_writelane_b32 v64, s93, 45
	v_mov_b32_e32 v13, v3
	s_mov_b32 s77, s83
	v_lshl_add_u64 v[22:23], v[20:21], 0, v[0:1]
	s_mov_b32 s55, s61
	v_mov_b32_e32 v29, v8
	v_lshl_add_u64 v[30:31], v[6:7], 4, s[18:19]
	v_lshlrev_b32_e32 v52, 4, v0
	v_lshl_or_b32 v53, v48, 3, v2
	s_mov_b32 s5, 30
	s_mov_b64 s[74:75], 0
	v_mov_b64_e32 v[36:37], s[14:15]
	v_mov_b64_e32 v[58:59], s[56:57]
	v_mov_b32_e32 v32, 1.0
	v_bfrev_b32_e32 v55, 1
	v_mov_b32_e32 v56, 0x4f800000
	v_mov_b32_e32 v35, 0
	s_mov_b32 s64, 0
	v_mov_b32_e32 v54, 0
	v_mov_b32_e32 v57, 0
	v_writelane_b32 v64, s54, 46
                                        ; implicit-def: $sgpr66_sgpr67
                                        ; implicit-def: $sgpr10_sgpr11
                                        ; implicit-def: $sgpr12_sgpr13
                                        ; implicit-def: $sgpr94_sgpr95
                                        ; implicit-def: $sgpr96_sgpr97
                                        ; implicit-def: $sgpr98_sgpr99
	v_writelane_b32 v64, s55, 47
	s_branch .LBB127_43
.LBB127_40:                             ;   in Loop: Header=BB127_43 Depth=1
	s_or_b64 exec, exec, s[14:15]
	s_and_b64 s[8:9], s[8:9], exec
	s_andn2_b64 s[24:25], s[24:25], exec
	s_andn2_b64 s[0:1], s[0:1], exec
	s_orn2_b64 s[18:19], s[6:7], exec
.LBB127_41:                             ;   in Loop: Header=BB127_43 Depth=1
	s_or_b64 exec, exec, s[2:3]
	s_andn2_b64 s[2:3], s[98:99], exec
	s_and_b64 s[6:7], s[8:9], exec
	s_or_b64 s[98:99], s[2:3], s[6:7]
	s_andn2_b64 s[2:3], s[96:97], exec
	s_and_b64 s[6:7], s[24:25], exec
	s_or_b64 s[96:97], s[2:3], s[6:7]
	;; [unrolled: 3-line block ×3, first 2 shown]
	s_orn2_b64 s[0:1], s[18:19], exec
.LBB127_42:                             ;   in Loop: Header=BB127_43 Depth=1
	s_or_b64 exec, exec, s[16:17]
	s_and_b64 s[0:1], exec, s[0:1]
	s_or_b64 s[74:75], s[0:1], s[74:75]
	s_andn2_b64 s[0:1], s[12:13], exec
	s_and_b64 s[2:3], s[98:99], exec
	s_or_b64 s[12:13], s[0:1], s[2:3]
	s_andn2_b64 s[0:1], s[10:11], exec
	s_and_b64 s[2:3], s[96:97], exec
	;; [unrolled: 3-line block ×3, first 2 shown]
	s_or_b64 s[66:67], s[0:1], s[2:3]
	v_mov_b64_e32 v[36:37], v[8:9]
	s_andn2_b64 exec, exec, s[74:75]
	s_cbranch_execz .LBB127_315
.LBB127_43:                             ; =>This Loop Header: Depth=1
                                        ;     Child Loop BB127_49 Depth 2
                                        ;     Child Loop BB127_63 Depth 2
	;; [unrolled: 1-line block ×17, first 2 shown]
	ds_read_b128 v[4:7], v3 offset:5120
	s_waitcnt lgkmcnt(0)
	v_readfirstlane_b32 s15, v5
	v_readfirstlane_b32 s14, v4
	s_cmp_lg_u64 s[14:15], 0
	s_cbranch_scc1 .LBB127_76
; %bb.44:                               ;   in Loop: Header=BB127_43 Depth=1
	v_readlane_b32 s0, v64, 16
	v_readlane_b32 s1, v64, 17
	s_and_b64 vcc, exec, s[0:1]
	s_cbranch_vccz .LBB127_57
; %bb.45:                               ;   in Loop: Header=BB127_43 Depth=1
	s_mov_b64 s[0:1], 0x301
	v_cmp_gt_u64_e32 vcc, s[0:1], v[6:7]
	s_mov_b64 s[6:7], 0
	s_mov_b64 s[0:1], 0
	s_cbranch_vccz .LBB127_58
; %bb.46:                               ;   in Loop: Header=BB127_43 Depth=1
	s_mov_b64 s[8:9], exec
	v_readlane_b32 s0, v64, 10
	v_readlane_b32 s1, v64, 11
	s_and_b64 s[0:1], s[8:9], s[0:1]
	s_mov_b64 exec, s[0:1]
	s_cbranch_execz .LBB127_177
; %bb.47:                               ;   in Loop: Header=BB127_43 Depth=1
	global_load_ushort v6, v3, s[92:93]
	global_load_dword v8, v[16:17], off
	v_readlane_b32 s0, v64, 32
	v_readlane_b32 s1, v64, 33
	;; [unrolled: 1-line block ×4, first 2 shown]
	v_mov_b64_e32 v[4:5], s[0:1]
	s_mov_b64 s[14:15], 0
	s_waitcnt vmcnt(1)
	v_readfirstlane_b32 s0, v6
	s_and_b32 s0, 0xffff, s0
	s_nop 0
	v_add_u32_e32 v7, s0, v0
	s_mul_i32 s2, s19, s0
	s_mul_hi_u32 s3, s18, s0
	s_mul_i32 s16, s18, s0
	v_mad_u64_u32 v[4:5], s[0:1], s18, v7, v[4:5]
	v_and_b32_e32 v2, 0xffff, v6
	v_mov_b32_e32 v6, v5
	v_mad_u64_u32 v[6:7], s[0:1], s19, v7, v[6:7]
	s_add_i32 s17, s3, s2
	v_mov_b32_e32 v5, v6
	v_mov_b64_e32 v[6:7], v[0:1]
	s_branch .LBB127_49
.LBB127_48:                             ;   in Loop: Header=BB127_49 Depth=2
	s_or_b64 exec, exec, s[2:3]
	v_lshl_add_u64 v[4:5], v[4:5], 0, s[16:17]
	v_mov_b32_e32 v8, v9
	s_andn2_b64 exec, exec, s[14:15]
	s_cbranch_execz .LBB127_177
.LBB127_49:                             ;   Parent Loop BB127_43 Depth=1
                                        ; =>  This Inner Loop Header: Depth=2
	v_lshl_add_u64 v[6:7], v[6:7], 0, v[2:3]
	v_cmp_gt_u64_e64 s[0:1], s[56:57], v[6:7]
	v_cmp_le_u64_e32 vcc, s[56:57], v[6:7]
	s_waitcnt lgkmcnt(0)
	v_mov_b32_e32 v10, 0
	v_mov_b32_e32 v9, 0
	s_and_saveexec_b64 s[2:3], s[0:1]
	s_cbranch_execz .LBB127_51
; %bb.50:                               ;   in Loop: Header=BB127_49 Depth=2
	global_load_dword v9, v[4:5], off
.LBB127_51:                             ;   in Loop: Header=BB127_49 Depth=2
	s_or_b64 exec, exec, s[2:3]
	s_waitcnt vmcnt(0)
	v_cmp_lt_i32_e64 s[0:1], -1, v8
	s_nop 1
	v_cndmask_b32_e64 v11, -1, v55, s[0:1]
	v_xor_b32_e32 v11, v11, v8
	v_cmp_o_f32_e64 s[0:1], v8, v8
	s_nop 1
	v_cndmask_b32_e64 v11, -1, v11, s[0:1]
	v_and_b32_e32 v11, v11, v57
	v_cmp_eq_u32_e64 s[0:1], v11, v54
	s_cmp_lg_u64 s[0:1], 0
	s_cselect_b64 s[2:3], -1, 0
	s_and_b64 s[2:3], s[84:85], s[2:3]
	s_and_saveexec_b64 s[18:19], s[2:3]
	s_cbranch_execz .LBB127_55
; %bb.52:                               ;   in Loop: Header=BB127_49 Depth=2
	s_mov_b64 s[22:23], exec
	v_mbcnt_lo_u32_b32 v10, s22, 0
	v_mbcnt_hi_u32_b32 v10, s23, v10
	s_bcnt1_i32_b64 s24, s[0:1]
	v_cmp_eq_u32_e64 s[2:3], 0, v10
                                        ; implicit-def: $vgpr11
	s_and_saveexec_b64 s[20:21], s[2:3]
; %bb.53:                               ;   in Loop: Header=BB127_49 Depth=2
	s_bcnt1_i32_b64 s2, s[22:23]
	s_mul_i32 s2, s24, s2
	v_mov_b32_e32 v11, s2
	ds_add_rtn_u32 v11, v3, v11 offset:5144
; %bb.54:                               ;   in Loop: Header=BB127_49 Depth=2
	s_or_b64 exec, exec, s[20:21]
	s_waitcnt lgkmcnt(0)
	v_readfirstlane_b32 s2, v11
	s_nop 1
	v_mov_b32_e32 v11, s2
	v_mad_u32_u24 v10, s24, v10, v11
.LBB127_55:                             ;   in Loop: Header=BB127_49 Depth=2
	s_or_b64 exec, exec, s[18:19]
	ds_bpermute_b32 v10, v50, v10
	s_and_b64 s[2:3], exec, vcc
	s_or_b64 s[14:15], s[2:3], s[14:15]
	s_and_saveexec_b64 s[2:3], s[0:1]
	s_cbranch_execz .LBB127_48
; %bb.56:                               ;   in Loop: Header=BB127_49 Depth=2
	v_and_b32_e32 v33, s0, v18
	v_and_b32_e32 v11, s1, v19
	v_bcnt_u32_b32 v33, v33, 0
	v_bcnt_u32_b32 v11, v11, v33
	v_lshlrev_b32_e32 v11, 2, v11
	s_waitcnt lgkmcnt(0)
	v_lshl_add_u32 v10, v10, 2, v11
	ds_write_b32 v10, v8
	s_branch .LBB127_48
.LBB127_57:                             ;   in Loop: Header=BB127_43 Depth=1
	s_mov_b64 s[6:7], -1
	s_mov_b64 s[0:1], 0
.LBB127_58:                             ;   in Loop: Header=BB127_43 Depth=1
	s_and_b64 vcc, exec, s[6:7]
	s_cbranch_vccz .LBB127_74
.LBB127_59:                             ;   in Loop: Header=BB127_43 Depth=1
	s_mov_b64 s[0:1], exec
	v_readlane_b32 s2, v64, 10
	v_readlane_b32 s3, v64, 11
	s_and_b64 s[2:3], s[0:1], s[2:3]
	s_mov_b64 exec, s[2:3]
	s_cbranch_execz .LBB127_71
; %bb.60:                               ;   in Loop: Header=BB127_43 Depth=1
	global_load_ushort v2, v3, s[92:93]
	global_load_dword v10, v[16:17], off
	v_mov_b32_e32 v8, v0
	s_waitcnt vmcnt(1)
	v_readfirstlane_b32 s6, v2
	v_add_u32_sdwa v2, v2, v0 dst_sel:DWORD dst_unused:UNUSED_PAD src0_sel:WORD_0 src1_sel:DWORD
	v_cmp_gt_u64_e32 vcc, s[56:57], v[2:3]
	s_and_saveexec_b64 s[2:3], vcc
	s_cbranch_execz .LBB127_70
; %bb.61:                               ;   in Loop: Header=BB127_43 Depth=1
	s_and_b32 s82, s6, 0xffff
	s_cmp_eq_u32 s82, 1
	v_readlane_b32 s8, v64, 23
	s_cselect_b64 s[6:7], -1, 0
	v_readlane_b32 s9, v64, 24
	s_and_b64 s[14:15], s[8:9], s[6:7]
	s_mov_b64 s[8:9], -1
	v_mov_b64_e32 v[6:7], v[0:1]
	v_mov_b64_e32 v[4:5], v[2:3]
                                        ; implicit-def: $vgpr11
                                        ; implicit-def: $vgpr8_vgpr9
	s_and_saveexec_b64 s[6:7], s[14:15]
	s_cbranch_execz .LBB127_65
; %bb.62:                               ;   in Loop: Header=BB127_43 Depth=1
	v_lshl_add_u64 v[4:5], v[2:3], 0, 1
	v_mov_b64_e32 v[6:7], v[4:5]
	s_mov_b64 s[8:9], 0
	v_mov_b64_e32 v[8:9], v[20:21]
	v_mov_b32_e32 v33, v12
	v_mov_b64_e32 v[4:5], v[2:3]
.LBB127_63:                             ;   Parent Loop BB127_43 Depth=1
                                        ; =>  This Inner Loop Header: Depth=2
	v_mul_lo_u32 v42, v5, s60
	v_mul_lo_u32 v43, v4, s61
	v_mad_u64_u32 v[40:41], s[14:15], v4, s60, 0
	v_mul_lo_u32 v11, v7, s54
	v_mul_lo_u32 v34, v6, s55
	v_mad_u64_u32 v[38:39], s[14:15], v6, s54, 0
	v_add3_u32 v41, v41, v43, v42
	v_add3_u32 v39, v39, v34, v11
	v_lshl_add_u64 v[40:41], v[40:41], 2, s[80:81]
	v_lshl_add_u64 v[38:39], v[38:39], 2, s[80:81]
	global_load_dword v34, v[40:41], off
	global_load_dword v11, v[38:39], off
	v_lshl_add_u64 v[8:9], v[8:9], 0, -2
	v_cmp_eq_u64_e32 vcc, 0, v[8:9]
	v_lshl_add_u64 v[6:7], v[6:7], 0, 2
	v_lshl_add_u64 v[4:5], v[4:5], 0, 2
	s_or_b64 s[8:9], vcc, s[8:9]
	s_waitcnt vmcnt(1)
	ds_write2_b32 v33, v10, v34 offset1:1
	v_add_u32_e32 v33, 8, v33
	s_waitcnt vmcnt(0)
	v_mov_b32_e32 v10, v11
	s_andn2_b64 exec, exec, s[8:9]
	s_cbranch_execnz .LBB127_63
; %bb.64:                               ;   in Loop: Header=BB127_43 Depth=1
	s_or_b64 exec, exec, s[8:9]
	v_readlane_b32 s8, v64, 25
	v_lshl_add_u64 v[4:5], v[2:3], 0, v[20:21]
	v_readlane_b32 s9, v64, 26
	v_lshl_add_u64 v[8:9], v[4:5], 0, -1
	s_orn2_b64 s[8:9], s[8:9], exec
	v_mov_b32_e32 v10, v11
	v_mov_b64_e32 v[6:7], v[22:23]
.LBB127_65:                             ;   in Loop: Header=BB127_43 Depth=1
	s_or_b64 exec, exec, s[6:7]
	s_and_saveexec_b64 s[6:7], s[8:9]
	s_cbranch_execz .LBB127_69
; %bb.66:                               ;   in Loop: Header=BB127_43 Depth=1
	v_readlane_b32 s16, v64, 32
	v_readlane_b32 s17, v64, 33
	;; [unrolled: 1-line block ×4, first 2 shown]
	v_mov_b64_e32 v[8:9], s[16:17]
	v_mad_u64_u32 v[8:9], s[16:17], s18, v4, v[8:9]
	s_sub_u32 s8, 0, s82
	v_mul_lo_u32 v2, s18, v5
	v_mul_lo_u32 v7, s19, v4
	s_mul_i32 s16, s19, s82
	s_mul_hi_u32 s17, s18, s82
	s_mov_b64 s[14:15], 0
	s_subb_u32 s9, 0, 0
	v_add3_u32 v9, v7, v9, v2
	s_add_i32 s17, s17, s16
	s_mul_i32 s16, s18, s82
.LBB127_67:                             ;   Parent Loop BB127_43 Depth=1
                                        ; =>  This Inner Loop Header: Depth=2
	global_load_dword v11, v[8:9], off
	v_mov_b64_e32 v[38:39], v[4:5]
	v_lshl_add_u64 v[4:5], v[38:39], 0, s[82:83]
	v_lshlrev_b32_e32 v2, 2, v6
	v_cmp_le_u64_e32 vcc, s[56:57], v[4:5]
	v_lshl_add_u64 v[8:9], v[8:9], 0, s[16:17]
	s_waitcnt vmcnt(1)
	ds_write_b32 v2, v10
	v_mov_b64_e32 v[6:7], v[38:39]
	s_or_b64 s[14:15], vcc, s[14:15]
	s_waitcnt vmcnt(0)
	v_mov_b32_e32 v10, v11
	s_andn2_b64 exec, exec, s[14:15]
	s_cbranch_execnz .LBB127_67
; %bb.68:                               ;   in Loop: Header=BB127_43 Depth=1
	s_or_b64 exec, exec, s[14:15]
	v_lshl_add_u64 v[8:9], s[8:9], 0, v[4:5]
.LBB127_69:                             ;   in Loop: Header=BB127_43 Depth=1
	s_or_b64 exec, exec, s[6:7]
	s_waitcnt vmcnt(0)
	v_mov_b32_e32 v10, v11
.LBB127_70:                             ;   in Loop: Header=BB127_43 Depth=1
	s_or_b64 exec, exec, s[2:3]
	v_lshlrev_b32_e32 v2, 2, v8
	s_waitcnt vmcnt(0)
	ds_write_b32 v2, v10
.LBB127_71:                             ;   in Loop: Header=BB127_43 Depth=1
	s_or_b64 exec, exec, s[0:1]
	s_waitcnt lgkmcnt(0)
	s_barrier
	s_mov_b64 s[0:1], exec
	v_readlane_b32 s2, v64, 12
	v_readlane_b32 s3, v64, 13
	s_and_b64 s[2:3], s[0:1], s[2:3]
	s_mov_b64 exec, s[2:3]
; %bb.72:                               ;   in Loop: Header=BB127_43 Depth=1
	ds_write_b64 v3, v[58:59] offset:5120
; %bb.73:                               ;   in Loop: Header=BB127_43 Depth=1
	s_or_b64 exec, exec, s[0:1]
	s_mov_b64 s[0:1], -1
	s_waitcnt lgkmcnt(0)
	s_barrier
.LBB127_74:                             ;   in Loop: Header=BB127_43 Depth=1
	s_mov_b64 s[14:15], 0
	s_and_b64 vcc, exec, s[0:1]
	s_cbranch_vccz .LBB127_76
; %bb.75:                               ;   in Loop: Header=BB127_43 Depth=1
	ds_read_b64 v[4:5], v3 offset:5120
	s_waitcnt lgkmcnt(0)
	v_readfirstlane_b32 s14, v4
.LBB127_76:                             ;   in Loop: Header=BB127_43 Depth=1
	s_cmp_lt_i32 s14, 1
	s_mov_b64 s[0:1], -1
                                        ; implicit-def: $vgpr4_vgpr5
                                        ; implicit-def: $vgpr8_vgpr9
	s_cbranch_scc1 .LBB127_86
; %bb.77:                               ;   in Loop: Header=BB127_43 Depth=1
	s_and_b64 vcc, exec, s[0:1]
	s_cbranch_vccnz .LBB127_100
.LBB127_78:                             ;   in Loop: Header=BB127_43 Depth=1
	s_lshl_b32 s2, s64, 6
	s_and_saveexec_b64 s[0:1], s[84:85]
	s_cbranch_execz .LBB127_80
.LBB127_79:                             ;   in Loop: Header=BB127_43 Depth=1
	v_lshl_add_u32 v2, s2, 3, v51
	ds_write_b128 v2, v[4:7]
	ds_write_b128 v2, v[8:11] offset:16
.LBB127_80:                             ;   in Loop: Header=BB127_43 Depth=1
	s_or_b64 exec, exec, s[0:1]
	s_waitcnt lgkmcnt(0)
	s_barrier
	s_and_saveexec_b64 s[0:1], s[88:89]
	s_cbranch_execz .LBB127_115
; %bb.81:                               ;   in Loop: Header=BB127_43 Depth=1
	v_readlane_b32 s6, v64, 18
	v_readlane_b32 s7, v64, 19
	s_andn2_b64 vcc, exec, s[6:7]
	v_mov_b64_e32 v[4:5], 0
	s_cbranch_vccnz .LBB127_114
; %bb.82:                               ;   in Loop: Header=BB127_43 Depth=1
	v_readlane_b32 s6, v64, 27
	v_readlane_b32 s7, v64, 28
	s_andn2_b64 vcc, exec, s[6:7]
	s_cbranch_vccnz .LBB127_110
; %bb.83:                               ;   in Loop: Header=BB127_43 Depth=1
	v_lshl_add_u32 v2, s64, 9, v53
	v_mov_b64_e32 v[4:5], 0
	s_mov_b32 s3, 0
.LBB127_84:                             ;   Parent Loop BB127_43 Depth=1
                                        ; =>  This Inner Loop Header: Depth=2
	ds_read2_b64 v[6:9], v2 offset1:4
	ds_read2_b64 v[38:41], v2 offset0:8 offset1:12
	ds_read2_b64 v[42:45], v2 offset0:16 offset1:20
	;; [unrolled: 1-line block ×3, first 2 shown]
	s_add_i32 s3, s3, 8
	s_waitcnt lgkmcnt(3)
	v_lshl_add_u64 v[4:5], v[6:7], 0, v[4:5]
	v_lshl_add_u64 v[4:5], v[8:9], 0, v[4:5]
	s_waitcnt lgkmcnt(2)
	v_lshl_add_u64 v[4:5], v[38:39], 0, v[4:5]
	v_lshl_add_u64 v[4:5], v[40:41], 0, v[4:5]
	;; [unrolled: 3-line block ×3, first 2 shown]
	s_waitcnt lgkmcnt(0)
	v_lshl_add_u64 v[4:5], v[60:61], 0, v[4:5]
	v_add_u32_e32 v2, 0x100, v2
	s_cmp_eq_u32 s33, s3
	v_lshl_add_u64 v[4:5], v[62:63], 0, v[4:5]
	s_cbranch_scc0 .LBB127_84
; %bb.85:                               ;   in Loop: Header=BB127_43 Depth=1
	s_mov_b32 s3, s33
	s_branch .LBB127_111
.LBB127_86:                             ;   in Loop: Header=BB127_43 Depth=1
	global_load_ushort v2, v3, s[92:93]
	s_mov_b32 s0, s83
	s_waitcnt vmcnt(0)
	v_readfirstlane_b32 s1, v2
	s_and_b32 s8, s1, 0xffff
	s_lshl_b32 s82, s8, 2
	s_mov_b32 s1, s57
	s_cmp_lg_u64 s[0:1], 0
	s_cbranch_scc0 .LBB127_109
; %bb.87:                               ;   in Loop: Header=BB127_43 Depth=1
	v_cvt_f32_u32_e32 v2, s82
	s_sub_u32 s2, 0, s82
	s_subb_u32 s3, 0, 0
	v_fmac_f32_e32 v2, 0, v56
	v_rcp_f32_e32 v2, v2
	s_nop 0
	v_mul_f32_e32 v2, 0x5f7ffffc, v2
	v_mul_f32_e32 v4, 0x2f800000, v2
	v_trunc_f32_e32 v4, v4
	v_fmac_f32_e32 v2, 0xcf800000, v4
	v_cvt_u32_f32_e32 v4, v4
	v_cvt_u32_f32_e32 v2, v2
	v_readfirstlane_b32 s6, v4
	v_readfirstlane_b32 s0, v2
	s_mul_i32 s1, s2, s6
	s_mul_hi_u32 s9, s2, s0
	s_mul_i32 s7, s3, s0
	s_add_i32 s1, s9, s1
	s_mul_i32 s15, s2, s0
	s_add_i32 s1, s1, s7
	s_mul_hi_u32 s9, s0, s15
	s_mul_i32 s16, s0, s1
	s_mul_hi_u32 s7, s0, s1
	s_add_u32 s9, s9, s16
	s_addc_u32 s7, 0, s7
	s_mul_hi_u32 s17, s6, s15
	s_mul_i32 s15, s6, s15
	s_add_u32 s9, s9, s15
	s_mul_hi_u32 s16, s6, s1
	s_addc_u32 s7, s7, s17
	s_addc_u32 s9, s16, 0
	s_mul_i32 s1, s6, s1
	s_add_u32 s1, s7, s1
	s_addc_u32 s7, 0, s9
	s_add_u32 s9, s0, s1
	s_cselect_b64 s[0:1], -1, 0
	s_cmp_lg_u64 s[0:1], 0
	s_addc_u32 s6, s6, s7
	s_mul_i32 s0, s2, s6
	s_mul_hi_u32 s1, s2, s9
	s_add_i32 s0, s1, s0
	s_mul_i32 s3, s3, s9
	s_add_i32 s0, s0, s3
	s_mul_i32 s2, s2, s9
	s_mul_hi_u32 s3, s6, s2
	s_mul_i32 s7, s6, s2
	s_mul_i32 s16, s9, s0
	s_mul_hi_u32 s2, s9, s2
	s_mul_hi_u32 s15, s9, s0
	s_add_u32 s2, s2, s16
	s_addc_u32 s15, 0, s15
	s_add_u32 s2, s2, s7
	s_mul_hi_u32 s1, s6, s0
	s_addc_u32 s2, s15, s3
	s_addc_u32 s1, s1, 0
	s_mul_i32 s0, s6, s0
	s_add_u32 s0, s2, s0
	s_addc_u32 s2, 0, s1
	s_add_u32 s3, s9, s0
	s_cselect_b64 s[0:1], -1, 0
	s_cmp_lg_u64 s[0:1], 0
	s_addc_u32 s0, s6, s2
	s_mul_i32 s2, s56, s0
	s_mul_hi_u32 s6, s56, s3
	s_mul_hi_u32 s1, s56, s0
	s_add_u32 s2, s6, s2
	s_addc_u32 s1, 0, s1
	s_mul_hi_u32 s7, s57, s3
	s_mul_i32 s3, s57, s3
	s_add_u32 s2, s2, s3
	s_mul_hi_u32 s6, s57, s0
	s_addc_u32 s1, s1, s7
	s_addc_u32 s2, s6, 0
	s_mul_i32 s0, s57, s0
	s_add_u32 s0, s1, s0
	s_addc_u32 s1, 0, s2
	s_mul_i32 s1, s82, s1
	s_mul_hi_u32 s2, s82, s0
	s_add_i32 s2, s2, s1
	s_mul_i32 s0, s82, s0
	s_sub_u32 s3, s56, s0
	s_cselect_b64 s[0:1], -1, 0
	s_cmp_lg_u64 s[0:1], 0
	s_subb_u32 s2, s57, s2
	s_sub_u32 s6, s3, s82
	s_cselect_b64 s[0:1], -1, 0
	s_cmp_lg_u64 s[0:1], 0
	s_subb_u32 s7, s2, 0
	;; [unrolled: 4-line block ×3, first 2 shown]
	s_cmp_ge_u32 s6, s82
	s_cselect_b32 s1, -1, 0
	s_cmp_eq_u32 s7, 0
	s_cselect_b32 s1, s1, -1
	s_cmp_lg_u32 s1, 0
	s_cselect_b32 s0, s0, s7
	s_cselect_b32 s6, s9, s6
	s_cmp_ge_u32 s3, s82
	s_cselect_b32 s1, -1, 0
	s_cmp_eq_u32 s2, 0
	s_cselect_b32 s1, s1, -1
	s_cmp_lg_u32 s1, 0
	s_cselect_b32 s1, s0, s2
	s_cselect_b32 s0, s6, s3
	s_cbranch_execnz .LBB127_89
.LBB127_88:                             ;   in Loop: Header=BB127_43 Depth=1
	v_cvt_f32_u32_e32 v2, s82
	s_sub_i32 s0, 0, s82
	v_rcp_iflag_f32_e32 v2, v2
	s_nop 0
	v_mul_f32_e32 v2, 0x4f7ffffe, v2
	v_cvt_u32_f32_e32 v2, v2
	s_nop 0
	v_readfirstlane_b32 s1, v2
	s_mul_i32 s0, s0, s1
	s_mul_hi_u32 s0, s1, s0
	s_add_i32 s1, s1, s0
	s_mul_hi_u32 s0, s56, s1
	s_mul_i32 s0, s0, s82
	s_sub_i32 s0, s56, s0
	s_sub_i32 s1, s0, s82
	s_cmp_ge_u32 s0, s82
	s_cselect_b32 s0, s1, s0
	s_sub_i32 s1, s0, s82
	s_cmp_ge_u32 s0, s82
	s_cselect_b32 s0, s1, s0
	s_mov_b32 s1, s83
.LBB127_89:                             ;   in Loop: Header=BB127_43 Depth=1
	s_sub_u32 s72, s56, s0
	s_subb_u32 s73, s57, s1
	s_mov_b32 s9, s83
	v_cmp_gt_u64_e32 vcc, s[72:73], v[12:13]
	v_mov_b64_e32 v[4:5], 0
	v_mov_b64_e32 v[6:7], 0
	;; [unrolled: 1-line block ×4, first 2 shown]
	s_and_saveexec_b64 s[30:31], vcc
	s_cbranch_execz .LBB127_93
; %bb.90:                               ;   in Loop: Header=BB127_43 Depth=1
	v_readlane_b32 s2, v64, 36
	v_readlane_b32 s3, v64, 37
	s_mul_i32 s0, s3, s8
	s_mul_hi_u32 s1, s2, s8
	s_mov_b32 s87, s91
	s_add_i32 s89, s1, s0
	s_mul_i32 s88, s2, s8
	s_mov_b64 s[6:7], 0
	v_mov_b64_e32 v[38:39], v[30:31]
	v_mov_b64_e32 v[40:41], v[28:29]
	;; [unrolled: 1-line block ×4, first 2 shown]
	s_mov_b64 s[70:71], 0
	s_mov_b64 s[84:85], 0
	;; [unrolled: 1-line block ×4, first 2 shown]
	v_mov_b64_e32 v[46:47], v[12:13]
.LBB127_91:                             ;   Parent Loop BB127_43 Depth=1
                                        ; =>  This Inner Loop Header: Depth=2
	v_lshl_add_u64 v[4:5], v[38:39], 0, s[78:79]
	v_lshl_add_u64 v[6:7], v[40:41], 0, s[78:79]
	;; [unrolled: 1-line block ×4, first 2 shown]
	global_load_dword v2, v[4:5], off
	s_nop 0
	global_load_dword v4, v[6:7], off
	global_load_dword v5, v[8:9], off
	s_nop 0
	global_load_dword v6, v[10:11], off
	v_lshl_add_u64 v[46:47], v[46:47], 0, s[82:83]
	v_cmp_le_u64_e32 vcc, s[72:73], v[46:47]
	v_lshl_add_u64 v[44:45], v[44:45], 0, s[88:89]
	v_lshl_add_u64 v[42:43], v[42:43], 0, s[88:89]
	;; [unrolled: 1-line block ×4, first 2 shown]
	s_waitcnt vmcnt(3)
	v_cmp_lt_i32_e64 s[0:1], -1, v2
	s_nop 1
	v_cndmask_b32_e64 v7, -1, v55, s[0:1]
	s_waitcnt vmcnt(2)
	v_cmp_lt_i32_e64 s[0:1], -1, v4
	s_waitcnt vmcnt(1)
	v_cmp_o_f32_e64 s[2:3], v5, v5
	s_waitcnt vmcnt(0)
	v_cmp_o_f32_e64 s[16:17], v6, v6
	v_cndmask_b32_e64 v8, -1, v55, s[0:1]
	v_cmp_lt_i32_e64 s[0:1], -1, v5
	v_xor_b32_e32 v8, v8, v4
	v_cmp_o_f32_e64 s[18:19], v2, v2
	v_cndmask_b32_e64 v9, -1, v55, s[0:1]
	v_cmp_lt_i32_e64 s[0:1], -1, v6
	s_nop 1
	v_cndmask_b32_e64 v10, -1, v55, s[0:1]
	v_cmp_o_f32_e64 s[0:1], v4, v4
	v_xor_b32_e32 v4, v9, v5
	v_xor_b32_e32 v5, v10, v6
	;; [unrolled: 1-line block ×3, first 2 shown]
	v_cndmask_b32_e64 v2, -1, v6, s[18:19]
	v_cndmask_b32_e64 v6, -1, v8, s[0:1]
	v_and_b32_e32 v7, v2, v57
	v_bfe_u32 v2, v2, s5, 2
	v_cndmask_b32_e64 v4, -1, v4, s[2:3]
	v_and_b32_e32 v8, v6, v57
	v_bfe_u32 v6, v6, s5, 2
	v_cmp_eq_u32_e64 s[20:21], v7, v54
	v_cmp_eq_u32_e64 s[2:3], 0, v2
	v_cndmask_b32_e64 v5, -1, v5, s[16:17]
	v_and_b32_e32 v9, v4, v57
	v_bfe_u32 v4, v4, s5, 2
	v_cmp_eq_u32_e64 s[18:19], v8, v54
	v_cmp_eq_u32_e64 s[34:35], 0, v6
	s_and_b64 s[2:3], s[20:21], s[2:3]
	v_and_b32_e32 v10, v5, v57
	v_bfe_u32 v5, v5, s5, 2
	v_cmp_eq_u32_e64 s[16:17], v9, v54
	v_cmp_eq_u32_e64 s[36:37], 0, v4
	v_cmp_eq_u32_e64 s[40:41], 1, v2
	v_cmp_eq_u32_e64 s[48:49], 2, v2
	v_cmp_eq_u32_e64 s[28:29], 3, v2
	v_cndmask_b32_e64 v2, 0, 1, s[2:3]
	s_and_b64 s[2:3], s[18:19], s[34:35]
	v_cmp_eq_u32_e64 s[0:1], v10, v54
	v_cmp_eq_u32_e64 s[38:39], 0, v5
	;; [unrolled: 1-line block ×5, first 2 shown]
	v_cndmask_b32_e64 v4, 0, 1, s[2:3]
	s_and_b64 s[2:3], s[16:17], s[36:37]
	v_cmp_eq_u32_e64 s[46:47], 1, v5
	v_cmp_eq_u32_e64 s[54:55], 2, v5
	;; [unrolled: 1-line block ×3, first 2 shown]
	v_cndmask_b32_e64 v5, 0, 1, s[2:3]
	s_and_b64 s[2:3], s[0:1], s[38:39]
	v_cmp_eq_u32_e64 s[42:43], 1, v6
	v_cmp_eq_u32_e64 s[50:51], 2, v6
	v_cmp_eq_u32_e64 s[26:27], 3, v6
	v_cndmask_b32_e64 v6, 0, 1, s[2:3]
	v_cmp_ne_u32_e64 s[2:3], 0, v2
	v_cmp_ne_u32_e64 s[34:35], 0, v4
	;; [unrolled: 1-line block ×4, first 2 shown]
	s_bcnt1_i32_b64 s2, s[2:3]
	s_bcnt1_i32_b64 s3, s[34:35]
	;; [unrolled: 1-line block ×4, first 2 shown]
	s_add_u32 s2, s2, s90
	s_addc_u32 s35, 0, s91
	s_add_u32 s2, s2, s3
	s_addc_u32 s3, s35, 0
	;; [unrolled: 2-line block ×4, first 2 shown]
	s_and_b64 s[2:3], s[20:21], s[40:41]
	v_cndmask_b32_e64 v2, 0, 1, s[2:3]
	s_and_b64 s[2:3], s[18:19], s[42:43]
	v_cndmask_b32_e64 v6, 0, 1, s[2:3]
	;; [unrolled: 2-line block ×4, first 2 shown]
	v_cmp_ne_u32_e64 s[2:3], 0, v2
	v_cmp_ne_u32_e64 s[34:35], 0, v6
	;; [unrolled: 1-line block ×4, first 2 shown]
	s_bcnt1_i32_b64 s2, s[2:3]
	s_bcnt1_i32_b64 s3, s[34:35]
	;; [unrolled: 1-line block ×4, first 2 shown]
	s_add_u32 s2, s2, s92
	s_addc_u32 s35, 0, s93
	s_add_u32 s2, s2, s3
	s_addc_u32 s3, s35, 0
	;; [unrolled: 2-line block ×4, first 2 shown]
	s_and_b64 s[2:3], s[20:21], s[48:49]
	v_cndmask_b32_e64 v2, 0, 1, s[2:3]
	s_and_b64 s[2:3], s[18:19], s[50:51]
	v_cndmask_b32_e64 v8, 0, 1, s[2:3]
	;; [unrolled: 2-line block ×4, first 2 shown]
	v_cmp_ne_u32_e64 s[2:3], 0, v2
	v_cmp_ne_u32_e64 s[34:35], 0, v8
	;; [unrolled: 1-line block ×4, first 2 shown]
	s_bcnt1_i32_b64 s2, s[2:3]
	s_bcnt1_i32_b64 s3, s[34:35]
	;; [unrolled: 1-line block ×4, first 2 shown]
	s_add_u32 s2, s2, s84
	s_addc_u32 s35, 0, s85
	s_add_u32 s2, s2, s3
	s_addc_u32 s3, s35, 0
	s_add_u32 s2, s2, s15
	s_addc_u32 s3, s3, 0
	s_add_u32 s84, s2, s34
	s_addc_u32 s85, s3, 0
	s_and_b64 s[2:3], s[20:21], s[28:29]
	v_cndmask_b32_e64 v2, 0, 1, s[2:3]
	s_and_b64 s[2:3], s[18:19], s[26:27]
	v_cndmask_b32_e64 v10, 0, 1, s[2:3]
	s_and_b64 s[2:3], s[16:17], s[24:25]
	s_and_b64 s[0:1], s[0:1], s[22:23]
	v_cndmask_b32_e64 v11, 0, 1, s[2:3]
	v_cndmask_b32_e64 v33, 0, 1, s[0:1]
	v_cmp_ne_u32_e64 s[0:1], 0, v2
	v_cmp_ne_u32_e64 s[2:3], 0, v10
	;; [unrolled: 1-line block ×4, first 2 shown]
	s_bcnt1_i32_b64 s0, s[0:1]
	s_bcnt1_i32_b64 s1, s[2:3]
	;; [unrolled: 1-line block ×4, first 2 shown]
	s_add_u32 s0, s0, s70
	s_addc_u32 s15, 0, s71
	s_add_u32 s0, s0, s1
	s_addc_u32 s1, s15, 0
	;; [unrolled: 2-line block ×4, first 2 shown]
	v_mov_b64_e32 v[4:5], s[90:91]
	v_mov_b64_e32 v[6:7], s[92:93]
	;; [unrolled: 1-line block ×3, first 2 shown]
	s_or_b64 s[6:7], vcc, s[6:7]
	v_mov_b64_e32 v[10:11], s[70:71]
	s_andn2_b64 exec, exec, s[6:7]
	s_cbranch_execnz .LBB127_91
; %bb.92:                               ;   in Loop: Header=BB127_43 Depth=1
	s_or_b64 exec, exec, s[6:7]
	v_readlane_b32 s84, v64, 38
	v_readlane_b32 s88, v64, 40
	s_mov_b32 s91, s87
	v_readlane_b32 s86, v64, 42
	v_readlane_b32 s92, v64, 44
	;; [unrolled: 1-line block ×8, first 2 shown]
.LBB127_93:                             ;   in Loop: Header=BB127_43 Depth=1
	s_or_b64 exec, exec, s[30:31]
	v_lshl_add_u64 v[38:39], s[72:73], 0, v[0:1]
	v_cmp_gt_u64_e32 vcc, s[56:57], v[38:39]
	s_and_saveexec_b64 s[2:3], vcc
	s_cbranch_execz .LBB127_99
; %bb.94:                               ;   in Loop: Header=BB127_43 Depth=1
	v_mul_lo_u32 v2, v39, s60
	v_mul_lo_u32 v33, v38, s61
	v_mad_u64_u32 v[40:41], s[0:1], v38, s60, 0
	v_add3_u32 v41, v41, v33, v2
	v_lshl_add_u64 v[40:41], v[40:41], 2, s[80:81]
	global_load_dword v33, v[40:41], off
	s_mov_b64 s[6:7], 0
	s_branch .LBB127_96
.LBB127_95:                             ;   in Loop: Header=BB127_96 Depth=2
	s_or_b64 exec, exec, s[16:17]
	s_and_b64 s[0:1], exec, vcc
	s_waitcnt vmcnt(0)
	v_cmp_lt_i32_e32 vcc, -1, v33
	s_or_b64 s[6:7], s[0:1], s[6:7]
	s_nop 0
	v_cndmask_b32_e32 v34, -1, v55, vcc
	v_xor_b32_e32 v34, v34, v33
	v_cmp_o_f32_e32 vcc, v33, v33
	s_nop 1
	v_cndmask_b32_e32 v33, -1, v34, vcc
	v_and_b32_e32 v34, v33, v57
	v_bfe_u32 v33, v33, s5, 2
	v_cmp_eq_u32_e32 vcc, v34, v54
	v_cmp_eq_u32_e64 s[0:1], 0, v33
	s_and_b64 s[0:1], vcc, s[0:1]
	s_nop 0
	v_cndmask_b32_e64 v34, 0, 1, s[0:1]
	v_cmp_ne_u32_e64 s[0:1], 0, v34
	s_bcnt1_i32_b64 s82, s[0:1]
	v_cmp_eq_u32_e64 s[0:1], 1, v33
	s_and_b64 s[0:1], vcc, s[0:1]
	v_lshl_add_u64 v[4:5], s[82:83], 0, v[4:5]
	v_cndmask_b32_e64 v34, 0, 1, s[0:1]
	v_cmp_ne_u32_e64 s[0:1], 0, v34
	s_bcnt1_i32_b64 s82, s[0:1]
	v_cmp_eq_u32_e64 s[0:1], 2, v33
	s_and_b64 s[0:1], vcc, s[0:1]
	v_lshl_add_u64 v[6:7], s[82:83], 0, v[6:7]
	;; [unrolled: 6-line block ×3, first 2 shown]
	v_cndmask_b32_e64 v33, 0, 1, s[0:1]
	v_cmp_ne_u32_e32 vcc, 0, v33
	s_bcnt1_i32_b64 s82, vcc
	v_lshl_add_u64 v[10:11], s[82:83], 0, v[10:11]
	v_mov_b32_e32 v33, v2
	s_andn2_b64 exec, exec, s[6:7]
	s_cbranch_execz .LBB127_98
.LBB127_96:                             ;   Parent Loop BB127_43 Depth=1
                                        ; =>  This Inner Loop Header: Depth=2
	v_lshl_add_u64 v[38:39], v[38:39], 0, s[8:9]
	v_cmp_gt_u64_e64 s[0:1], s[56:57], v[38:39]
	v_cmp_le_u64_e32 vcc, s[56:57], v[38:39]
	v_mov_b32_e32 v2, 0
	s_and_saveexec_b64 s[16:17], s[0:1]
	s_cbranch_execz .LBB127_95
; %bb.97:                               ;   in Loop: Header=BB127_96 Depth=2
	v_mul_lo_u32 v2, v39, s60
	v_mul_lo_u32 v34, v38, s61
	v_mad_u64_u32 v[40:41], s[0:1], v38, s60, 0
	v_add3_u32 v41, v41, v34, v2
	v_lshl_add_u64 v[40:41], v[40:41], 2, s[80:81]
	global_load_dword v2, v[40:41], off
	s_branch .LBB127_95
.LBB127_98:                             ;   in Loop: Header=BB127_43 Depth=1
	s_or_b64 exec, exec, s[6:7]
.LBB127_99:                             ;   in Loop: Header=BB127_43 Depth=1
	s_or_b64 exec, exec, s[2:3]
	s_branch .LBB127_78
.LBB127_100:                            ;   in Loop: Header=BB127_43 Depth=1
	global_load_ushort v2, v3, s[92:93]
	v_mov_b64_e32 v[8:9], 0
	s_waitcnt vmcnt(0)
	v_readfirstlane_b32 s0, v2
	s_and_b32 s0, 0xffff, s0
	s_lshl_b32 s8, s0, 2
	v_cvt_f32_u32_e32 v4, s8
	s_sub_i32 s1, 0, s8
	v_rcp_iflag_f32_e32 v6, v4
	v_mov_b64_e32 v[4:5], 0
	v_mul_f32_e32 v6, 0x4f7ffffe, v6
	v_cvt_u32_f32_e32 v10, v6
	v_mov_b64_e32 v[6:7], 0
	v_readfirstlane_b32 s2, v10
	s_mul_i32 s1, s1, s2
	s_mul_hi_u32 s1, s2, s1
	s_add_i32 s2, s2, s1
	s_mul_hi_u32 s1, s14, s2
	s_mul_i32 s2, s1, s8
	s_sub_i32 s2, s14, s2
	s_add_i32 s3, s1, 1
	s_sub_i32 s6, s2, s8
	s_cmp_ge_u32 s2, s8
	s_cselect_b32 s1, s3, s1
	s_cselect_b32 s2, s6, s2
	s_add_i32 s3, s1, 1
	s_cmp_ge_u32 s2, s8
	s_cselect_b32 s1, s3, s1
	s_mul_hi_u32 s31, s0, s1
	s_mul_i32 s30, s0, s1
	s_lshl_b64 s[72:73], s[30:31], 2
	v_cmp_gt_u64_e32 vcc, s[72:73], v[12:13]
	v_mov_b64_e32 v[10:11], 0
	s_and_saveexec_b64 s[6:7], vcc
	s_cbranch_execz .LBB127_104
; %bb.101:                              ;   in Loop: Header=BB127_43 Depth=1
	s_mov_b32 s9, s83
	s_mov_b32 s87, s91
	;; [unrolled: 1-line block ×3, first 2 shown]
	s_lshl_b32 s31, s0, 4
	s_mov_b64 s[70:71], 0
	v_mov_b32_e32 v33, v52
	s_mov_b64 s[84:85], 0
	s_mov_b64 s[92:93], 0
	;; [unrolled: 1-line block ×4, first 2 shown]
	v_mov_b64_e32 v[38:39], v[12:13]
.LBB127_102:                            ;   Parent Loop BB127_43 Depth=1
                                        ; =>  This Inner Loop Header: Depth=2
	ds_read_b128 v[4:7], v33
	v_lshl_add_u64 v[38:39], v[38:39], 0, s[8:9]
	v_cmp_le_u64_e32 vcc, s[72:73], v[38:39]
	v_add_u32_e32 v33, s31, v33
	s_waitcnt lgkmcnt(0)
	v_cmp_lt_i32_e64 s[0:1], -1, v5
	v_cmp_o_f32_e64 s[2:3], v6, v6
	s_nop 0
	v_cndmask_b32_e64 v8, -1, v55, s[0:1]
	v_cmp_lt_i32_e64 s[0:1], -1, v4
	v_cmp_o_f32_e64 s[16:17], v7, v7
	v_cmp_o_f32_e64 s[18:19], v5, v5
	v_cndmask_b32_e64 v9, -1, v55, s[0:1]
	v_cmp_lt_i32_e64 s[0:1], -1, v7
	v_xor_b32_e32 v9, v9, v4
	s_nop 0
	v_cndmask_b32_e64 v10, -1, v55, s[0:1]
	v_cmp_lt_i32_e64 s[0:1], -1, v6
	s_nop 1
	v_cndmask_b32_e64 v11, -1, v55, s[0:1]
	v_cmp_o_f32_e64 s[0:1], v4, v4
	v_xor_b32_e32 v4, v11, v6
	v_xor_b32_e32 v6, v10, v7
	;; [unrolled: 1-line block ×3, first 2 shown]
	v_cndmask_b32_e64 v5, -1, v7, s[18:19]
	v_cndmask_b32_e64 v7, -1, v9, s[0:1]
	v_and_b32_e32 v8, v7, v57
	v_lshrrev_b32_e32 v7, s5, v7
	v_cndmask_b32_e64 v4, -1, v4, s[2:3]
	v_and_b32_e32 v9, v5, v57
	v_lshrrev_b32_e32 v5, s15, v5
	v_and_b32_e32 v7, 3, v7
	v_and_b32_e32 v10, v4, v57
	v_lshrrev_b32_e32 v4, s5, v4
	v_cmp_eq_u32_e64 s[2:3], v8, v54
	v_and_b32_e32 v5, 3, v5
	v_cmp_eq_u32_e64 s[24:25], 0, v7
	v_cmp_eq_u32_e64 s[22:23], v9, v54
	v_and_b32_e32 v4, 3, v4
	v_cmp_eq_u32_e64 s[26:27], 0, v5
	s_and_b64 s[24:25], s[2:3], s[24:25]
	v_cmp_eq_u32_e64 s[44:45], 0, v4
	v_cmp_eq_u32_e64 s[48:49], 1, v4
	;; [unrolled: 1-line block ×4, first 2 shown]
	v_cndmask_b32_e64 v4, 0, 1, s[24:25]
	s_and_b64 s[24:25], s[22:23], s[26:27]
	v_cmp_eq_u32_e64 s[34:35], 1, v5
	v_cmp_eq_u32_e64 s[38:39], 2, v5
	;; [unrolled: 1-line block ×3, first 2 shown]
	v_cndmask_b32_e64 v5, 0, 1, s[24:25]
	v_cmp_ne_u32_e64 s[24:25], 0, v4
	v_cmp_ne_u32_e64 s[26:27], 0, v5
	s_bcnt1_i32_b64 s24, s[24:25]
	s_bcnt1_i32_b64 s25, s[26:27]
	s_add_u32 s24, s24, s88
	s_addc_u32 s26, 0, s89
	v_cmp_eq_u32_e64 s[28:29], 1, v7
	s_add_u32 s82, s24, s25
	s_addc_u32 s88, s26, 0
	s_and_b64 s[24:25], s[2:3], s[28:29]
	v_cndmask_b32_e64 v4, 0, 1, s[24:25]
	s_and_b64 s[24:25], s[22:23], s[34:35]
	v_cndmask_b32_e64 v5, 0, 1, s[24:25]
	v_cmp_ne_u32_e64 s[24:25], 0, v4
	v_cmp_ne_u32_e64 s[26:27], 0, v5
	s_bcnt1_i32_b64 s24, s[24:25]
	s_bcnt1_i32_b64 s25, s[26:27]
	s_add_u32 s24, s24, s90
	s_addc_u32 s26, 0, s91
	v_cmp_eq_u32_e64 s[36:37], 2, v7
	s_add_u32 s28, s24, s25
	s_addc_u32 s29, s26, 0
	s_and_b64 s[24:25], s[2:3], s[36:37]
	v_cndmask_b32_e64 v4, 0, 1, s[24:25]
	s_and_b64 s[24:25], s[22:23], s[38:39]
	v_cndmask_b32_e64 v5, 0, 1, s[24:25]
	v_cmp_ne_u32_e64 s[24:25], 0, v4
	v_cmp_ne_u32_e64 s[26:27], 0, v5
	s_bcnt1_i32_b64 s24, s[24:25]
	s_bcnt1_i32_b64 s25, s[26:27]
	v_cndmask_b32_e64 v6, -1, v6, s[16:17]
	s_add_u32 s24, s24, s92
	v_and_b32_e32 v11, v6, v57
	v_lshrrev_b32_e32 v6, s15, v6
	s_addc_u32 s26, 0, s93
	v_cmp_eq_u32_e64 s[16:17], v10, v54
	v_and_b32_e32 v6, 3, v6
	s_add_u32 s34, s24, s25
	v_cmp_eq_u32_e64 s[0:1], v11, v54
	v_cmp_eq_u32_e64 s[42:43], 3, v7
	;; [unrolled: 1-line block ×3, first 2 shown]
	s_addc_u32 s35, s26, 0
	s_and_b64 s[24:25], s[16:17], s[44:45]
	v_cndmask_b32_e64 v4, 0, 1, s[24:25]
	s_and_b64 s[24:25], s[0:1], s[46:47]
	s_and_b64 s[2:3], s[2:3], s[42:43]
	v_cmp_eq_u32_e64 s[50:51], 1, v6
	v_cmp_eq_u32_e64 s[54:55], 2, v6
	;; [unrolled: 1-line block ×3, first 2 shown]
	v_cndmask_b32_e64 v5, 0, 1, s[24:25]
	v_cndmask_b32_e64 v6, 0, 1, s[2:3]
	s_and_b64 s[2:3], s[22:23], s[40:41]
	v_cndmask_b32_e64 v7, 0, 1, s[2:3]
	v_cmp_ne_u32_e64 s[2:3], 0, v4
	v_cmp_ne_u32_e64 s[22:23], 0, v5
	s_bcnt1_i32_b64 s2, s[2:3]
	s_bcnt1_i32_b64 s3, s[22:23]
	s_add_u32 s2, s82, s2
	s_addc_u32 s22, s88, 0
	s_add_u32 s88, s2, s3
	s_addc_u32 s89, s22, 0
	s_and_b64 s[2:3], s[16:17], s[48:49]
	v_cmp_ne_u32_e64 s[24:25], 0, v6
	v_cndmask_b32_e64 v6, 0, 1, s[2:3]
	s_and_b64 s[2:3], s[0:1], s[50:51]
	v_cmp_ne_u32_e64 s[26:27], 0, v7
	v_cndmask_b32_e64 v7, 0, 1, s[2:3]
	v_cmp_ne_u32_e64 s[2:3], 0, v6
	v_cmp_ne_u32_e64 s[22:23], 0, v7
	s_bcnt1_i32_b64 s2, s[2:3]
	s_bcnt1_i32_b64 s3, s[22:23]
	s_add_u32 s2, s28, s2
	s_addc_u32 s22, s29, 0
	s_add_u32 s90, s2, s3
	s_addc_u32 s91, s22, 0
	s_and_b64 s[2:3], s[16:17], s[52:53]
	v_cndmask_b32_e64 v8, 0, 1, s[2:3]
	s_and_b64 s[2:3], s[0:1], s[54:55]
	v_cndmask_b32_e64 v9, 0, 1, s[2:3]
	v_cmp_ne_u32_e64 s[2:3], 0, v8
	v_cmp_ne_u32_e64 s[22:23], 0, v9
	s_bcnt1_i32_b64 s2, s[2:3]
	s_bcnt1_i32_b64 s3, s[22:23]
	s_add_u32 s2, s34, s2
	s_addc_u32 s22, s35, 0
	s_add_u32 s92, s2, s3
	s_addc_u32 s93, s22, 0
	s_and_b64 s[2:3], s[16:17], s[20:21]
	s_and_b64 s[0:1], s[0:1], s[18:19]
	v_cndmask_b32_e64 v10, 0, 1, s[2:3]
	v_cndmask_b32_e64 v11, 0, 1, s[0:1]
	v_cmp_ne_u32_e64 s[0:1], 0, v10
	v_cmp_ne_u32_e64 s[2:3], 0, v11
	s_bcnt1_i32_b64 s22, s[24:25]
	s_bcnt1_i32_b64 s23, s[26:27]
	;; [unrolled: 1-line block ×4, first 2 shown]
	s_add_u32 s2, s22, s84
	s_addc_u32 s3, 0, s85
	s_add_u32 s2, s2, s23
	s_addc_u32 s3, s3, 0
	;; [unrolled: 2-line block ×4, first 2 shown]
	v_mov_b64_e32 v[4:5], s[88:89]
	v_mov_b64_e32 v[6:7], s[90:91]
	;; [unrolled: 1-line block ×3, first 2 shown]
	s_or_b64 s[70:71], vcc, s[70:71]
	v_mov_b64_e32 v[10:11], s[84:85]
	s_andn2_b64 exec, exec, s[70:71]
	s_cbranch_execnz .LBB127_102
; %bb.103:                              ;   in Loop: Header=BB127_43 Depth=1
	s_or_b64 exec, exec, s[70:71]
	v_readlane_b32 s84, v64, 38
	v_readlane_b32 s88, v64, 40
	s_mov_b32 s91, s87
	v_readlane_b32 s86, v64, 42
	v_readlane_b32 s92, v64, 44
	v_readlane_b32 s85, v64, 39
	v_readlane_b32 s89, v64, 41
	v_readlane_b32 s87, v64, 43
	v_readlane_b32 s93, v64, 45
	v_readlane_b32 s54, v64, 46
	v_readlane_b32 s55, v64, 47
.LBB127_104:                            ;   in Loop: Header=BB127_43 Depth=1
	s_or_b64 exec, exec, s[6:7]
	s_and_b32 s6, s14, 0x7fffffff
	s_mov_b32 s7, s83
	v_lshl_add_u64 v[38:39], s[72:73], 0, v[0:1]
	v_and_b32_e32 v2, 0xffff, v2
	v_cmp_gt_u64_e32 vcc, s[6:7], v[38:39]
	s_and_saveexec_b64 s[14:15], vcc
	s_cbranch_execz .LBB127_108
; %bb.105:                              ;   in Loop: Header=BB127_43 Depth=1
	v_lshl_add_u32 v33, s30, 4, v12
	s_mov_b64 s[22:23], 0
.LBB127_106:                            ;   Parent Loop BB127_43 Depth=1
                                        ; =>  This Inner Loop Header: Depth=2
	ds_read_b32 v34, v33
	v_lshl_add_u64 v[38:39], v[38:39], 0, v[2:3]
	v_cmp_le_u64_e32 vcc, s[6:7], v[38:39]
	v_add_u32_e32 v33, s8, v33
	s_waitcnt lgkmcnt(0)
	v_cmp_lt_i32_e64 s[0:1], -1, v34
	s_nop 1
	v_cndmask_b32_e64 v40, -1, v55, s[0:1]
	v_xor_b32_e32 v40, v40, v34
	v_cmp_o_f32_e64 s[0:1], v34, v34
	s_nop 1
	v_cndmask_b32_e64 v34, -1, v40, s[0:1]
	v_and_b32_e32 v40, v34, v57
	v_bfe_u32 v34, v34, s5, 2
	v_cmp_eq_u32_e64 s[0:1], v40, v54
	v_cmp_eq_u32_e64 s[2:3], 0, v34
	;; [unrolled: 1-line block ×3, first 2 shown]
	s_and_b64 s[2:3], s[0:1], s[2:3]
	v_cmp_eq_u32_e64 s[18:19], 2, v34
	v_cmp_eq_u32_e64 s[20:21], 3, v34
	v_cndmask_b32_e64 v34, 0, 1, s[2:3]
	s_and_b64 s[2:3], s[0:1], s[16:17]
	v_cndmask_b32_e64 v40, 0, 1, s[2:3]
	s_and_b64 s[2:3], s[0:1], s[18:19]
	s_and_b64 s[0:1], s[0:1], s[20:21]
	v_cndmask_b32_e64 v42, 0, 1, s[0:1]
	v_cmp_ne_u32_e64 s[0:1], 0, v34
	v_cndmask_b32_e64 v41, 0, 1, s[2:3]
	v_cmp_ne_u32_e64 s[2:3], 0, v40
	s_bcnt1_i32_b64 s82, s[0:1]
	v_cmp_ne_u32_e64 s[16:17], 0, v41
	v_lshl_add_u64 v[4:5], s[82:83], 0, v[4:5]
	s_bcnt1_i32_b64 s82, s[2:3]
	v_cmp_ne_u32_e64 s[18:19], 0, v42
	v_lshl_add_u64 v[6:7], s[82:83], 0, v[6:7]
	s_bcnt1_i32_b64 s82, s[16:17]
	v_lshl_add_u64 v[8:9], s[82:83], 0, v[8:9]
	s_bcnt1_i32_b64 s82, s[18:19]
	s_or_b64 s[22:23], vcc, s[22:23]
	v_lshl_add_u64 v[10:11], s[82:83], 0, v[10:11]
	s_andn2_b64 exec, exec, s[22:23]
	s_cbranch_execnz .LBB127_106
; %bb.107:                              ;   in Loop: Header=BB127_43 Depth=1
	s_or_b64 exec, exec, s[22:23]
.LBB127_108:                            ;   in Loop: Header=BB127_43 Depth=1
	s_or_b64 exec, exec, s[14:15]
	s_lshl_b32 s2, s64, 6
	s_and_saveexec_b64 s[0:1], s[84:85]
	s_cbranch_execnz .LBB127_79
	s_branch .LBB127_80
.LBB127_109:                            ;   in Loop: Header=BB127_43 Depth=1
                                        ; implicit-def: $sgpr0_sgpr1
	s_branch .LBB127_88
.LBB127_110:                            ;   in Loop: Header=BB127_43 Depth=1
	s_mov_b32 s3, 0
	v_mov_b64_e32 v[4:5], 0
.LBB127_111:                            ;   in Loop: Header=BB127_43 Depth=1
	v_readlane_b32 s6, v64, 30
	v_readlane_b32 s7, v64, 31
	s_andn2_b64 vcc, exec, s[6:7]
	s_cbranch_vccnz .LBB127_114
; %bb.112:                              ;   in Loop: Header=BB127_43 Depth=1
	s_lshl_b32 s6, s64, 9
	s_lshl_b32 s3, s3, 5
	s_add_i32 s6, s6, s3
	v_add_u32_e32 v2, s6, v53
	v_readlane_b32 s3, v64, 29
.LBB127_113:                            ;   Parent Loop BB127_43 Depth=1
                                        ; =>  This Inner Loop Header: Depth=2
	ds_read_b64 v[6:7], v2
	s_add_i32 s3, s3, -1
	v_add_u32_e32 v2, 32, v2
	s_cmp_lg_u32 s3, 0
	s_waitcnt lgkmcnt(0)
	v_lshl_add_u64 v[4:5], v[6:7], 0, v[4:5]
	s_cbranch_scc1 .LBB127_113
.LBB127_114:                            ;   in Loop: Header=BB127_43 Depth=1
	v_add_lshl_u32 v2, s2, v48, 3
	ds_write_b64 v2, v[4:5] offset:3072
.LBB127_115:                            ;   in Loop: Header=BB127_43 Depth=1
	s_or_b64 exec, exec, s[0:1]
	s_lshl_b32 s0, s2, 3
	v_mov_b32_e32 v2, s0
	s_waitcnt lgkmcnt(0)
	s_barrier
	ds_read_b128 v[8:11], v2 offset:3088
	ds_read_b128 v[4:7], v2 offset:3072
	s_lshl_b32 s70, 3, s5
	v_cmp_eq_u64_e64 s[0:1], 1, v[36:37]
	s_not_b32 s50, s70
	s_waitcnt lgkmcnt(1)
	v_readfirstlane_b32 s22, v8
	s_waitcnt lgkmcnt(0)
	v_cmp_eq_u64_e32 vcc, 1, v[4:5]
	v_readfirstlane_b32 s23, v9
	v_readfirstlane_b32 s2, v10
	;; [unrolled: 1-line block ×3, first 2 shown]
	s_and_b64 s[8:9], vcc, s[0:1]
	s_mov_b64 s[0:1], -1
	s_mov_b64 s[18:19], -1
                                        ; implicit-def: $sgpr16_sgpr17
                                        ; implicit-def: $sgpr6_sgpr7
	s_and_saveexec_b64 s[14:15], s[8:9]
	s_cbranch_execz .LBB127_149
; %bb.116:                              ;   in Loop: Header=BB127_43 Depth=1
	ds_read_b64 v[8:9], v3 offset:5120
	s_waitcnt lgkmcnt(0)
	s_barrier
	v_readfirstlane_b32 s20, v8
	v_readfirstlane_b32 s21, v9
	s_mov_b64 s[6:7], exec
	v_readlane_b32 s16, v64, 14
	v_readlane_b32 s17, v64, 15
	s_and_b64 s[16:17], s[6:7], s[16:17]
	s_mov_b64 exec, s[16:17]
; %bb.117:                              ;   in Loop: Header=BB127_43 Depth=1
	ds_write_b32 v49, v3
; %bb.118:                              ;   in Loop: Header=BB127_43 Depth=1
	s_or_b64 exec, exec, s[6:7]
	v_and_b32_e32 v54, s50, v54
	v_or_b32_e32 v57, s70, v57
	s_mov_b64 s[6:7], -1
	s_mov_b64 s[16:17], 0
	s_cmp_eq_u64 s[20:21], 0
	s_mov_b64 s[18:19], 0
	s_mov_b64 s[24:25], -1
	s_waitcnt lgkmcnt(0)
	s_barrier
                                        ; implicit-def: $vgpr35
	s_cbranch_scc1 .LBB127_133
; %bb.119:                              ;   in Loop: Header=BB127_43 Depth=1
	v_readlane_b32 s18, v64, 20
	s_add_u32 s28, s20, s18
	v_readlane_b32 s18, v64, 22
	s_addc_u32 s19, s21, s18
	s_mov_b32 s18, s83
	s_cmp_lg_u64 s[18:19], 0
	s_cbranch_scc0 .LBB127_176
; %bb.120:                              ;   in Loop: Header=BB127_43 Depth=1
	v_cvt_f32_u32_e32 v2, s76
	s_sub_u32 s18, 0, s76
	s_subb_u32 s26, 0, 0
	v_fmac_f32_e32 v2, 0, v56
	v_rcp_f32_e32 v2, v2
	s_nop 0
	v_mul_f32_e32 v2, 0x5f7ffffc, v2
	v_mul_f32_e32 v8, 0x2f800000, v2
	v_trunc_f32_e32 v8, v8
	v_fmac_f32_e32 v2, 0xcf800000, v8
	v_cvt_u32_f32_e32 v8, v8
	v_cvt_u32_f32_e32 v2, v2
	v_readfirstlane_b32 s27, v8
	v_readfirstlane_b32 s24, v2
	s_mul_i32 s25, s18, s27
	s_mul_hi_u32 s30, s18, s24
	s_mul_i32 s29, s26, s24
	s_add_i32 s25, s30, s25
	s_mul_i32 s31, s18, s24
	s_add_i32 s25, s25, s29
	s_mul_hi_u32 s30, s24, s31
	s_mul_i32 s34, s24, s25
	s_mul_hi_u32 s29, s24, s25
	s_add_u32 s30, s30, s34
	s_addc_u32 s29, 0, s29
	s_mul_hi_u32 s35, s27, s31
	s_mul_i32 s31, s27, s31
	s_add_u32 s30, s30, s31
	s_mul_hi_u32 s34, s27, s25
	s_addc_u32 s29, s29, s35
	s_addc_u32 s30, s34, 0
	s_mul_i32 s25, s27, s25
	s_add_u32 s25, s29, s25
	s_addc_u32 s29, 0, s30
	s_add_u32 s30, s24, s25
	s_cselect_b64 s[24:25], -1, 0
	s_cmp_lg_u64 s[24:25], 0
	s_addc_u32 s27, s27, s29
	s_mul_i32 s24, s18, s27
	s_mul_hi_u32 s25, s18, s30
	s_add_i32 s24, s25, s24
	s_mul_i32 s26, s26, s30
	s_add_i32 s24, s24, s26
	s_mul_i32 s18, s18, s30
	s_mul_hi_u32 s26, s27, s18
	s_mul_i32 s29, s27, s18
	s_mul_i32 s34, s30, s24
	s_mul_hi_u32 s18, s30, s18
	s_mul_hi_u32 s31, s30, s24
	s_add_u32 s18, s18, s34
	s_addc_u32 s31, 0, s31
	s_add_u32 s18, s18, s29
	s_mul_hi_u32 s25, s27, s24
	s_addc_u32 s18, s31, s26
	s_addc_u32 s25, s25, 0
	s_mul_i32 s24, s27, s24
	s_add_u32 s18, s18, s24
	s_addc_u32 s26, 0, s25
	s_add_u32 s18, s30, s18
	s_cselect_b64 s[24:25], -1, 0
	s_cmp_lg_u64 s[24:25], 0
	s_addc_u32 s24, s27, s26
	s_mul_i32 s26, s28, s24
	s_mul_hi_u32 s27, s28, s18
	s_mul_hi_u32 s25, s28, s24
	s_add_u32 s26, s27, s26
	s_addc_u32 s25, 0, s25
	s_mul_hi_u32 s29, s19, s18
	s_mul_i32 s18, s19, s18
	s_add_u32 s18, s26, s18
	s_mul_hi_u32 s27, s19, s24
	s_addc_u32 s18, s25, s29
	s_addc_u32 s25, s27, 0
	s_mul_i32 s24, s19, s24
	s_add_u32 s18, s18, s24
	s_addc_u32 s24, 0, s25
	s_mul_i32 s24, s76, s24
	s_mul_hi_u32 s25, s76, s18
	s_add_i32 s26, s25, s24
	s_mul_i32 s18, s76, s18
	s_sub_u32 s18, s28, s18
	s_cselect_b64 s[24:25], -1, 0
	s_cmp_lg_u64 s[24:25], 0
	s_subb_u32 s26, s19, s26
	s_sub_u32 s27, s18, s76
	s_cselect_b64 s[24:25], -1, 0
	s_cmp_lg_u64 s[24:25], 0
	s_subb_u32 s29, s26, 0
	;; [unrolled: 4-line block ×3, first 2 shown]
	s_cmp_ge_u32 s27, s76
	s_cselect_b32 s25, -1, 0
	s_cmp_eq_u32 s29, 0
	s_cselect_b32 s25, s25, -1
	s_cmp_lg_u32 s25, 0
	s_cselect_b32 s24, s24, s29
	s_cselect_b32 s27, s30, s27
	s_cmp_ge_u32 s18, s76
	s_cselect_b32 s25, -1, 0
	s_cmp_eq_u32 s26, 0
	s_cselect_b32 s25, s25, -1
	s_cmp_lg_u32 s25, 0
	s_cselect_b32 s25, s24, s26
	s_cselect_b32 s24, s27, s18
	s_cbranch_execnz .LBB127_122
.LBB127_121:                            ;   in Loop: Header=BB127_43 Depth=1
	v_cvt_f32_u32_e32 v2, s76
	s_sub_i32 s18, 0, s76
	v_rcp_iflag_f32_e32 v2, v2
	s_nop 0
	v_mul_f32_e32 v2, 0x4f7ffffe, v2
	v_cvt_u32_f32_e32 v2, v2
	s_nop 0
	v_readfirstlane_b32 s24, v2
	s_mul_i32 s18, s18, s24
	s_mul_hi_u32 s18, s24, s18
	s_add_i32 s24, s24, s18
	s_mul_hi_u32 s18, s28, s24
	s_mul_i32 s18, s18, s76
	s_sub_i32 s18, s28, s18
	s_sub_i32 s24, s18, s76
	s_cmp_ge_u32 s18, s76
	s_cselect_b32 s18, s24, s18
	s_sub_i32 s24, s18, s76
	s_cmp_ge_u32 s18, s76
	s_cselect_b32 s82, s24, s18
	s_mov_b64 s[24:25], s[82:83]
.LBB127_122:                            ;   in Loop: Header=BB127_43 Depth=1
	s_sub_u32 s28, s28, s24
	s_subb_u32 s29, s19, s25
	v_cmp_gt_u64_e32 vcc, s[28:29], v[0:1]
	s_mov_b64 s[24:25], 0
	s_mov_b64 s[18:19], 0
                                        ; implicit-def: $vgpr35
	s_and_saveexec_b64 s[26:27], vcc
	s_cbranch_execz .LBB127_132
; %bb.123:                              ;   in Loop: Header=BB127_43 Depth=1
	v_mov_b32_e32 v2, v12
	v_mov_b64_e32 v[8:9], v[0:1]
                                        ; implicit-def: $sgpr30_sgpr31
	s_branch .LBB127_127
.LBB127_124:                            ;   in Loop: Header=BB127_127 Depth=2
	s_or_b64 exec, exec, s[34:35]
	s_waitcnt lgkmcnt(0)
	s_barrier
	ds_read_b64 v[34:35], v3 offset:3072
	s_waitcnt lgkmcnt(0)
	s_barrier
	v_cmp_neq_f32_e32 vcc, 0, v34
	s_cbranch_vccnz .LBB127_130
; %bb.125:                              ;   in Loop: Header=BB127_127 Depth=2
	v_lshl_add_u64 v[8:9], v[8:9], 0, s[76:77]
	v_cmp_le_u64_e32 vcc, s[28:29], v[8:9]
	v_add_u32_e32 v2, s4, v2
	s_mov_b64 s[34:35], 0
	s_orn2_b64 s[36:37], vcc, exec
.LBB127_126:                            ;   in Loop: Header=BB127_127 Depth=2
	s_and_b64 s[36:37], exec, s[36:37]
	s_or_b64 s[18:19], s[36:37], s[18:19]
	s_andn2_b64 s[30:31], s[30:31], exec
	s_and_b64 s[34:35], s[34:35], exec
	s_or_b64 s[30:31], s[30:31], s[34:35]
	s_andn2_b64 exec, exec, s[18:19]
	s_cbranch_execz .LBB127_131
.LBB127_127:                            ;   Parent Loop BB127_43 Depth=1
                                        ; =>  This Inner Loop Header: Depth=2
	v_cmp_gt_u64_e32 vcc, s[20:21], v[8:9]
	s_and_saveexec_b64 s[34:35], vcc
	s_cbranch_execz .LBB127_124
; %bb.128:                              ;   in Loop: Header=BB127_127 Depth=2
	ds_read_b32 v33, v2
	s_waitcnt lgkmcnt(0)
	v_cmp_lt_i32_e32 vcc, -1, v33
	s_nop 1
	v_cndmask_b32_e32 v10, -1, v55, vcc
	v_xor_b32_e32 v10, v10, v33
	v_cmp_o_f32_e32 vcc, v33, v33
	s_nop 1
	v_cndmask_b32_e32 v10, -1, v10, vcc
	v_and_b32_e32 v10, v10, v57
	v_cmp_eq_u32_e32 vcc, v10, v54
	s_and_b64 exec, exec, vcc
	s_cbranch_execz .LBB127_124
; %bb.129:                              ;   in Loop: Header=BB127_127 Depth=2
	ds_write_b64 v3, v[32:33] offset:3072
	s_branch .LBB127_124
.LBB127_130:                            ;   in Loop: Header=BB127_127 Depth=2
	s_mov_b64 s[36:37], -1
                                        ; implicit-def: $vgpr8_vgpr9
                                        ; implicit-def: $vgpr2
	s_mov_b64 s[34:35], -1
	s_branch .LBB127_126
.LBB127_131:                            ;   in Loop: Header=BB127_43 Depth=1
	s_or_b64 exec, exec, s[18:19]
	s_and_b64 s[18:19], s[30:31], exec
.LBB127_132:                            ;   in Loop: Header=BB127_43 Depth=1
	s_or_b64 exec, exec, s[26:27]
.LBB127_133:                            ;   in Loop: Header=BB127_43 Depth=1
	s_and_b64 vcc, exec, s[24:25]
	s_cbranch_vccz .LBB127_148
; %bb.134:                              ;   in Loop: Header=BB127_43 Depth=1
	s_mov_b32 s90, s83
	s_cmp_lg_u64 s[90:91], 0
	s_cbranch_scc0 .LBB127_180
; %bb.135:                              ;   in Loop: Header=BB127_43 Depth=1
	v_cvt_f32_u32_e32 v2, s76
	s_sub_u32 s16, 0, s76
	s_subb_u32 s17, 0, 0
	v_fmac_f32_e32 v2, 0, v56
	v_rcp_f32_e32 v2, v2
	s_nop 0
	v_mul_f32_e32 v2, 0x5f7ffffc, v2
	v_mul_f32_e32 v8, 0x2f800000, v2
	v_trunc_f32_e32 v8, v8
	v_fmac_f32_e32 v2, 0xcf800000, v8
	v_cvt_u32_f32_e32 v8, v8
	v_cvt_u32_f32_e32 v2, v2
	v_readfirstlane_b32 s20, v8
	v_readfirstlane_b32 s6, v2
	s_mul_i32 s7, s16, s20
	s_mul_hi_u32 s24, s16, s6
	s_mul_i32 s21, s17, s6
	s_add_i32 s7, s24, s7
	s_mul_i32 s25, s16, s6
	s_add_i32 s7, s7, s21
	s_mul_hi_u32 s24, s6, s25
	s_mul_i32 s26, s6, s7
	s_mul_hi_u32 s21, s6, s7
	s_add_u32 s24, s24, s26
	s_addc_u32 s21, 0, s21
	s_mul_hi_u32 s27, s20, s25
	s_mul_i32 s25, s20, s25
	s_add_u32 s24, s24, s25
	s_mul_hi_u32 s26, s20, s7
	s_addc_u32 s21, s21, s27
	s_addc_u32 s24, s26, 0
	s_mul_i32 s7, s20, s7
	s_add_u32 s7, s21, s7
	s_addc_u32 s21, 0, s24
	s_add_u32 s24, s6, s7
	s_cselect_b64 s[6:7], -1, 0
	s_cmp_lg_u64 s[6:7], 0
	s_addc_u32 s20, s20, s21
	s_mul_i32 s6, s16, s20
	s_mul_hi_u32 s7, s16, s24
	s_add_i32 s6, s7, s6
	s_mul_i32 s17, s17, s24
	s_add_i32 s6, s6, s17
	s_mul_i32 s16, s16, s24
	s_mul_hi_u32 s17, s20, s16
	s_mul_i32 s21, s20, s16
	s_mul_i32 s26, s24, s6
	s_mul_hi_u32 s16, s24, s16
	s_mul_hi_u32 s25, s24, s6
	s_add_u32 s16, s16, s26
	s_addc_u32 s25, 0, s25
	s_add_u32 s16, s16, s21
	s_mul_hi_u32 s7, s20, s6
	s_addc_u32 s16, s25, s17
	s_addc_u32 s7, s7, 0
	s_mul_i32 s6, s20, s6
	s_add_u32 s6, s16, s6
	s_addc_u32 s16, 0, s7
	s_add_u32 s17, s24, s6
	s_cselect_b64 s[6:7], -1, 0
	s_cmp_lg_u64 s[6:7], 0
	s_addc_u32 s6, s20, s16
	v_readlane_b32 s24, v64, 21
	s_mul_i32 s16, s24, s6
	s_mul_hi_u32 s20, s24, s17
	s_mul_hi_u32 s7, s24, s6
	s_add_u32 s16, s20, s16
	s_addc_u32 s7, 0, s7
	s_mul_hi_u32 s21, s91, s17
	s_mul_i32 s17, s91, s17
	s_add_u32 s16, s16, s17
	s_mul_hi_u32 s20, s91, s6
	s_addc_u32 s7, s7, s21
	s_addc_u32 s16, s20, 0
	s_mul_i32 s6, s91, s6
	s_add_u32 s6, s7, s6
	s_addc_u32 s7, 0, s16
	s_mul_i32 s7, s76, s7
	s_mul_hi_u32 s16, s76, s6
	s_add_i32 s16, s16, s7
	s_mul_i32 s6, s76, s6
	s_sub_u32 s17, s24, s6
	s_cselect_b64 s[6:7], -1, 0
	s_cmp_lg_u64 s[6:7], 0
	s_subb_u32 s16, s91, s16
	s_sub_u32 s20, s17, s76
	s_cselect_b64 s[6:7], -1, 0
	s_cmp_lg_u64 s[6:7], 0
	s_subb_u32 s21, s16, 0
	;; [unrolled: 4-line block ×3, first 2 shown]
	s_cmp_ge_u32 s20, s76
	s_cselect_b32 s7, -1, 0
	s_cmp_eq_u32 s21, 0
	s_cselect_b32 s7, s7, -1
	s_cmp_lg_u32 s7, 0
	s_cselect_b32 s6, s6, s21
	s_cselect_b32 s20, s24, s20
	s_cmp_ge_u32 s17, s76
	s_cselect_b32 s7, -1, 0
	s_cmp_eq_u32 s16, 0
	s_cselect_b32 s7, s7, -1
	s_cmp_lg_u32 s7, 0
	s_cselect_b32 s7, s6, s16
	s_cselect_b32 s6, s20, s17
	s_cbranch_execnz .LBB127_137
.LBB127_136:                            ;   in Loop: Header=BB127_43 Depth=1
	v_cvt_f32_u32_e32 v2, s76
	s_sub_i32 s6, 0, s76
	v_readlane_b32 s16, v64, 21
	v_rcp_iflag_f32_e32 v2, v2
	s_nop 0
	v_mul_f32_e32 v2, 0x4f7ffffe, v2
	v_cvt_u32_f32_e32 v2, v2
	s_nop 0
	v_readfirstlane_b32 s7, v2
	s_mul_i32 s6, s6, s7
	s_mul_hi_u32 s6, s7, s6
	s_add_i32 s7, s7, s6
	s_mul_hi_u32 s6, s16, s7
	s_mul_i32 s6, s6, s76
	s_sub_i32 s6, s16, s6
	s_sub_i32 s7, s6, s76
	s_cmp_ge_u32 s6, s76
	s_cselect_b32 s6, s7, s6
	s_sub_i32 s7, s6, s76
	s_cmp_ge_u32 s6, s76
	s_cselect_b32 s82, s7, s6
	s_mov_b64 s[6:7], s[82:83]
.LBB127_137:                            ;   in Loop: Header=BB127_43 Depth=1
	v_readlane_b32 s16, v64, 21
	s_sub_u32 s16, s16, s6
	s_subb_u32 s17, s91, s7
	v_cmp_gt_u64_e32 vcc, s[16:17], v[0:1]
                                        ; implicit-def: $vgpr35
	s_and_saveexec_b64 s[6:7], vcc
	s_cbranch_execz .LBB127_147
; %bb.138:                              ;   in Loop: Header=BB127_43 Depth=1
	s_mov_b64 s[20:21], 0
	v_mov_b64_e32 v[8:9], v[14:15]
	v_mov_b64_e32 v[10:11], v[0:1]
                                        ; implicit-def: $sgpr24_sgpr25
	s_branch .LBB127_142
.LBB127_139:                            ;   in Loop: Header=BB127_142 Depth=2
	s_or_b64 exec, exec, s[26:27]
	s_waitcnt lgkmcnt(0)
	s_barrier
	ds_read_b64 v[34:35], v3 offset:3072
	s_waitcnt lgkmcnt(0)
	s_barrier
	v_cmp_neq_f32_e32 vcc, 0, v34
	s_cbranch_vccnz .LBB127_145
; %bb.140:                              ;   in Loop: Header=BB127_142 Depth=2
	v_lshl_add_u64 v[10:11], v[10:11], 0, s[76:77]
	v_cmp_le_u64_e32 vcc, s[16:17], v[10:11]
	v_lshl_add_u64 v[8:9], v[8:9], 0, s[86:87]
	s_mov_b64 s[26:27], 0
	s_orn2_b64 s[28:29], vcc, exec
.LBB127_141:                            ;   in Loop: Header=BB127_142 Depth=2
	s_and_b64 s[28:29], exec, s[28:29]
	s_or_b64 s[20:21], s[28:29], s[20:21]
	s_andn2_b64 s[24:25], s[24:25], exec
	s_and_b64 s[26:27], s[26:27], exec
	s_or_b64 s[24:25], s[24:25], s[26:27]
	s_andn2_b64 exec, exec, s[20:21]
	s_cbranch_execz .LBB127_146
.LBB127_142:                            ;   Parent Loop BB127_43 Depth=1
                                        ; =>  This Inner Loop Header: Depth=2
	v_cmp_gt_u64_e32 vcc, s[56:57], v[10:11]
	s_and_saveexec_b64 s[26:27], vcc
	s_cbranch_execz .LBB127_139
; %bb.143:                              ;   in Loop: Header=BB127_142 Depth=2
	global_load_dword v33, v[8:9], off
	s_waitcnt vmcnt(0)
	v_cmp_lt_i32_e32 vcc, -1, v33
	s_nop 1
	v_cndmask_b32_e32 v2, -1, v55, vcc
	v_xor_b32_e32 v2, v2, v33
	v_cmp_o_f32_e32 vcc, v33, v33
	s_nop 1
	v_cndmask_b32_e32 v2, -1, v2, vcc
	v_and_b32_e32 v2, v2, v57
	v_cmp_eq_u32_e32 vcc, v2, v54
	s_and_b64 exec, exec, vcc
	s_cbranch_execz .LBB127_139
; %bb.144:                              ;   in Loop: Header=BB127_142 Depth=2
	ds_write_b64 v3, v[32:33] offset:3072
	s_branch .LBB127_139
.LBB127_145:                            ;   in Loop: Header=BB127_142 Depth=2
	s_mov_b64 s[28:29], -1
                                        ; implicit-def: $vgpr10_vgpr11
                                        ; implicit-def: $vgpr8_vgpr9
	s_mov_b64 s[26:27], -1
	s_branch .LBB127_141
.LBB127_146:                            ;   in Loop: Header=BB127_43 Depth=1
	s_or_b64 exec, exec, s[20:21]
	s_andn2_b64 s[16:17], s[18:19], exec
	s_and_b64 s[18:19], s[24:25], exec
	s_or_b64 s[18:19], s[16:17], s[18:19]
.LBB127_147:                            ;   in Loop: Header=BB127_43 Depth=1
	s_or_b64 exec, exec, s[6:7]
	s_mov_b64 s[6:7], 0
	s_mov_b64 s[16:17], -1
.LBB127_148:                            ;   in Loop: Header=BB127_43 Depth=1
	s_orn2_b64 s[18:19], s[18:19], exec
.LBB127_149:                            ;   in Loop: Header=BB127_43 Depth=1
	s_or_b64 exec, exec, s[14:15]
	s_andn2_b64 s[14:15], s[96:97], exec
	s_and_b64 s[16:17], s[16:17], exec
	s_or_b64 s[96:97], s[14:15], s[16:17]
	s_andn2_b64 s[14:15], s[94:95], exec
	s_and_b64 s[6:7], s[6:7], exec
	s_andn2_b64 s[98:99], s[98:99], exec
	s_or_b64 s[94:95], s[14:15], s[6:7]
                                        ; implicit-def: $vgpr8_vgpr9
	s_and_saveexec_b64 s[16:17], s[18:19]
	s_cbranch_execz .LBB127_42
; %bb.150:                              ;   in Loop: Header=BB127_43 Depth=1
	s_xor_b64 s[6:7], s[8:9], -1
	v_mov_b32_e32 v2, 1
	s_mov_b64 s[8:9], 0
	v_mov_b64_e32 v[8:9], 1
	s_and_saveexec_b64 s[0:1], s[6:7]
	s_cbranch_execz .LBB127_159
; %bb.151:                              ;   in Loop: Header=BB127_43 Depth=1
	v_cmp_le_u64_e32 vcc, v[36:37], v[4:5]
	s_and_saveexec_b64 s[6:7], vcc
	s_xor_b64 s[6:7], exec, s[6:7]
	s_cbranch_execz .LBB127_156
; %bb.152:                              ;   in Loop: Header=BB127_43 Depth=1
	ds_read_b64 v[8:9], v3 offset:5120
	v_and_b32_e32 v54, s50, v54
	v_or_b32_e32 v57, s70, v57
	s_waitcnt lgkmcnt(0)
	v_cmp_ne_u64_e32 vcc, 0, v[8:9]
	s_cbranch_vccnz .LBB127_156
; %bb.153:                              ;   in Loop: Header=BB127_43 Depth=1
	s_mov_b64 s[8:9], exec
	v_readlane_b32 s14, v64, 12
	v_readlane_b32 s15, v64, 13
	s_and_b64 s[14:15], s[8:9], s[14:15]
	s_mov_b64 exec, s[14:15]
; %bb.154:                              ;   in Loop: Header=BB127_43 Depth=1
	ds_write_b64 v3, v[4:5] offset:5128
; %bb.155:                              ;   in Loop: Header=BB127_43 Depth=1
	s_or_b64 exec, exec, s[8:9]
	s_waitcnt lgkmcnt(0)
	s_barrier
.LBB127_156:                            ;   in Loop: Header=BB127_43 Depth=1
	s_or_saveexec_b64 s[6:7], s[6:7]
	s_mov_b64 s[8:9], 0
	v_mov_b32_e32 v2, 8
	s_xor_b64 exec, exec, s[6:7]
; %bb.157:                              ;   in Loop: Header=BB127_43 Depth=1
	v_sub_co_u32_e32 v36, vcc, v36, v4
	s_mov_b64 s[8:9], exec
	s_nop 0
	v_subb_co_u32_e32 v37, vcc, v37, v5, vcc
	v_mov_b32_e32 v2, 0
; %bb.158:                              ;   in Loop: Header=BB127_43 Depth=1
	s_or_b64 exec, exec, s[6:7]
	s_and_b64 s[8:9], s[8:9], exec
	v_mov_b64_e32 v[8:9], v[36:37]
.LBB127_159:                            ;   in Loop: Header=BB127_43 Depth=1
	s_or_b64 exec, exec, s[0:1]
	s_mov_b64 s[18:19], -1
	s_mov_b64 s[6:7], -1
                                        ; implicit-def: $sgpr0_sgpr1
                                        ; implicit-def: $sgpr24_sgpr25
	s_and_saveexec_b64 s[14:15], s[8:9]
	s_xor_b64 s[20:21], exec, s[14:15]
	s_cbranch_execz .LBB127_310
; %bb.160:                              ;   in Loop: Header=BB127_43 Depth=1
	v_cmp_eq_u64_e32 vcc, 1, v[6:7]
	v_cmp_eq_u64_e64 s[0:1], 1, v[8:9]
	s_and_b64 s[8:9], vcc, s[0:1]
                                        ; implicit-def: $sgpr24_sgpr25
                                        ; implicit-def: $sgpr0_sgpr1
	s_and_saveexec_b64 s[14:15], s[8:9]
	s_cbranch_execz .LBB127_199
; %bb.161:                              ;   in Loop: Header=BB127_43 Depth=1
	ds_read_b64 v[4:5], v3 offset:5120
	s_waitcnt lgkmcnt(0)
	s_barrier
	v_readfirstlane_b32 s26, v4
	v_readfirstlane_b32 s27, v5
	s_mov_b64 s[0:1], exec
	v_readlane_b32 s6, v64, 14
	v_readlane_b32 s7, v64, 15
	s_and_b64 s[6:7], s[0:1], s[6:7]
	s_mov_b64 exec, s[6:7]
; %bb.162:                              ;   in Loop: Header=BB127_43 Depth=1
	ds_write_b32 v49, v3
; %bb.163:                              ;   in Loop: Header=BB127_43 Depth=1
	s_or_b64 exec, exec, s[0:1]
	v_and_b32_e32 v4, s50, v54
	v_lshl_or_b32 v54, 1, s5, v4
	v_or_b32_e32 v57, s70, v57
	s_mov_b64 s[0:1], -1
	s_mov_b64 s[24:25], 0
	s_cmp_eq_u64 s[26:27], 0
	s_mov_b64 s[6:7], 0
	s_mov_b64 s[28:29], -1
	s_waitcnt lgkmcnt(0)
	s_barrier
                                        ; implicit-def: $vgpr35
	s_cbranch_scc1 .LBB127_183
; %bb.164:                              ;   in Loop: Header=BB127_43 Depth=1
	v_readlane_b32 s6, v64, 20
	s_add_u32 s34, s26, s6
	v_readlane_b32 s6, v64, 22
	s_addc_u32 s7, s27, s6
	s_mov_b32 s6, s83
	s_cmp_lg_u64 s[6:7], 0
	s_cbranch_scc0 .LBB127_227
; %bb.165:                              ;   in Loop: Header=BB127_43 Depth=1
	v_cvt_f32_u32_e32 v4, s76
	s_sub_u32 s6, 0, s76
	s_subb_u32 s30, 0, 0
	v_fmac_f32_e32 v4, 0, v56
	v_rcp_f32_e32 v4, v4
	s_nop 0
	v_mul_f32_e32 v4, 0x5f7ffffc, v4
	v_mul_f32_e32 v5, 0x2f800000, v4
	v_trunc_f32_e32 v5, v5
	v_fmac_f32_e32 v4, 0xcf800000, v5
	v_cvt_u32_f32_e32 v5, v5
	v_cvt_u32_f32_e32 v4, v4
	v_readfirstlane_b32 s31, v5
	v_readfirstlane_b32 s28, v4
	s_mul_i32 s29, s6, s31
	s_mul_hi_u32 s36, s6, s28
	s_mul_i32 s35, s30, s28
	s_add_i32 s29, s36, s29
	s_mul_i32 s37, s6, s28
	s_add_i32 s29, s29, s35
	s_mul_hi_u32 s36, s28, s37
	s_mul_i32 s38, s28, s29
	s_mul_hi_u32 s35, s28, s29
	s_add_u32 s36, s36, s38
	s_addc_u32 s35, 0, s35
	s_mul_hi_u32 s39, s31, s37
	s_mul_i32 s37, s31, s37
	s_add_u32 s36, s36, s37
	s_mul_hi_u32 s38, s31, s29
	s_addc_u32 s35, s35, s39
	s_addc_u32 s36, s38, 0
	s_mul_i32 s29, s31, s29
	s_add_u32 s29, s35, s29
	s_addc_u32 s35, 0, s36
	s_add_u32 s36, s28, s29
	s_cselect_b64 s[28:29], -1, 0
	s_cmp_lg_u64 s[28:29], 0
	s_addc_u32 s31, s31, s35
	s_mul_i32 s28, s6, s31
	s_mul_hi_u32 s29, s6, s36
	s_add_i32 s28, s29, s28
	s_mul_i32 s30, s30, s36
	s_add_i32 s28, s28, s30
	s_mul_i32 s6, s6, s36
	s_mul_hi_u32 s30, s31, s6
	s_mul_i32 s35, s31, s6
	s_mul_i32 s38, s36, s28
	s_mul_hi_u32 s6, s36, s6
	s_mul_hi_u32 s37, s36, s28
	s_add_u32 s6, s6, s38
	s_addc_u32 s37, 0, s37
	s_add_u32 s6, s6, s35
	s_mul_hi_u32 s29, s31, s28
	s_addc_u32 s6, s37, s30
	s_addc_u32 s29, s29, 0
	s_mul_i32 s28, s31, s28
	s_add_u32 s6, s6, s28
	s_addc_u32 s30, 0, s29
	s_add_u32 s6, s36, s6
	s_cselect_b64 s[28:29], -1, 0
	s_cmp_lg_u64 s[28:29], 0
	s_addc_u32 s28, s31, s30
	s_mul_i32 s30, s34, s28
	s_mul_hi_u32 s31, s34, s6
	s_mul_hi_u32 s29, s34, s28
	s_add_u32 s30, s31, s30
	s_addc_u32 s29, 0, s29
	s_mul_hi_u32 s35, s7, s6
	s_mul_i32 s6, s7, s6
	s_add_u32 s6, s30, s6
	s_mul_hi_u32 s31, s7, s28
	s_addc_u32 s6, s29, s35
	s_addc_u32 s29, s31, 0
	s_mul_i32 s28, s7, s28
	s_add_u32 s6, s6, s28
	s_addc_u32 s28, 0, s29
	s_mul_i32 s28, s76, s28
	s_mul_hi_u32 s29, s76, s6
	s_add_i32 s30, s29, s28
	s_mul_i32 s6, s76, s6
	s_sub_u32 s6, s34, s6
	s_cselect_b64 s[28:29], -1, 0
	s_cmp_lg_u64 s[28:29], 0
	s_subb_u32 s30, s7, s30
	s_sub_u32 s31, s6, s76
	s_cselect_b64 s[28:29], -1, 0
	s_cmp_lg_u64 s[28:29], 0
	s_subb_u32 s35, s30, 0
	;; [unrolled: 4-line block ×3, first 2 shown]
	s_cmp_ge_u32 s31, s76
	s_cselect_b32 s29, -1, 0
	s_cmp_eq_u32 s35, 0
	s_cselect_b32 s29, s29, -1
	s_cmp_lg_u32 s29, 0
	s_cselect_b32 s28, s28, s35
	s_cselect_b32 s31, s36, s31
	s_cmp_ge_u32 s6, s76
	s_cselect_b32 s29, -1, 0
	s_cmp_eq_u32 s30, 0
	s_cselect_b32 s29, s29, -1
	s_cmp_lg_u32 s29, 0
	s_cselect_b32 s29, s28, s30
	s_cselect_b32 s28, s31, s6
	s_cbranch_execnz .LBB127_167
.LBB127_166:                            ;   in Loop: Header=BB127_43 Depth=1
	v_cvt_f32_u32_e32 v4, s76
	s_sub_i32 s6, 0, s76
	v_rcp_iflag_f32_e32 v4, v4
	s_nop 0
	v_mul_f32_e32 v4, 0x4f7ffffe, v4
	v_cvt_u32_f32_e32 v4, v4
	s_nop 0
	v_readfirstlane_b32 s28, v4
	s_mul_i32 s6, s6, s28
	s_mul_hi_u32 s6, s28, s6
	s_add_i32 s28, s28, s6
	s_mul_hi_u32 s6, s34, s28
	s_mul_i32 s6, s6, s76
	s_sub_i32 s6, s34, s6
	s_sub_i32 s28, s6, s76
	s_cmp_ge_u32 s6, s76
	s_cselect_b32 s6, s28, s6
	s_sub_i32 s28, s6, s76
	s_cmp_ge_u32 s6, s76
	s_cselect_b32 s82, s28, s6
	s_mov_b64 s[28:29], s[82:83]
.LBB127_167:                            ;   in Loop: Header=BB127_43 Depth=1
	s_sub_u32 s34, s34, s28
	s_subb_u32 s35, s7, s29
	v_cmp_gt_u64_e32 vcc, s[34:35], v[0:1]
	s_mov_b64 s[28:29], 0
	s_mov_b64 s[6:7], 0
                                        ; implicit-def: $vgpr35
	s_and_saveexec_b64 s[30:31], vcc
	s_cbranch_execz .LBB127_182
; %bb.168:                              ;   in Loop: Header=BB127_43 Depth=1
	v_mov_b32_e32 v10, v12
	v_mov_b64_e32 v[4:5], v[0:1]
                                        ; implicit-def: $sgpr36_sgpr37
	s_branch .LBB127_172
.LBB127_169:                            ;   in Loop: Header=BB127_172 Depth=2
	s_or_b64 exec, exec, s[38:39]
	s_waitcnt lgkmcnt(0)
	s_barrier
	ds_read_b64 v[34:35], v3 offset:3072
	s_waitcnt lgkmcnt(0)
	s_barrier
	v_cmp_neq_f32_e32 vcc, 0, v34
	s_cbranch_vccnz .LBB127_175
; %bb.170:                              ;   in Loop: Header=BB127_172 Depth=2
	v_lshl_add_u64 v[4:5], v[4:5], 0, s[76:77]
	v_cmp_le_u64_e32 vcc, s[34:35], v[4:5]
	v_add_u32_e32 v10, s4, v10
	s_mov_b64 s[38:39], 0
	s_orn2_b64 s[40:41], vcc, exec
.LBB127_171:                            ;   in Loop: Header=BB127_172 Depth=2
	s_and_b64 s[40:41], exec, s[40:41]
	s_or_b64 s[6:7], s[40:41], s[6:7]
	s_andn2_b64 s[36:37], s[36:37], exec
	s_and_b64 s[38:39], s[38:39], exec
	s_or_b64 s[36:37], s[36:37], s[38:39]
	s_andn2_b64 exec, exec, s[6:7]
	s_cbranch_execz .LBB127_181
.LBB127_172:                            ;   Parent Loop BB127_43 Depth=1
                                        ; =>  This Inner Loop Header: Depth=2
	v_cmp_gt_u64_e32 vcc, s[26:27], v[4:5]
	s_and_saveexec_b64 s[38:39], vcc
	s_cbranch_execz .LBB127_169
; %bb.173:                              ;   in Loop: Header=BB127_172 Depth=2
	ds_read_b32 v33, v10
	s_waitcnt lgkmcnt(0)
	v_cmp_lt_i32_e32 vcc, -1, v33
	s_nop 1
	v_cndmask_b32_e32 v11, -1, v55, vcc
	v_xor_b32_e32 v11, v11, v33
	v_cmp_o_f32_e32 vcc, v33, v33
	s_nop 1
	v_cndmask_b32_e32 v11, -1, v11, vcc
	v_and_b32_e32 v11, v11, v57
	v_cmp_eq_u32_e32 vcc, v11, v54
	s_and_b64 exec, exec, vcc
	s_cbranch_execz .LBB127_169
; %bb.174:                              ;   in Loop: Header=BB127_172 Depth=2
	ds_write_b64 v3, v[32:33] offset:3072
	s_branch .LBB127_169
.LBB127_175:                            ;   in Loop: Header=BB127_172 Depth=2
	s_mov_b64 s[40:41], -1
                                        ; implicit-def: $vgpr4_vgpr5
                                        ; implicit-def: $vgpr10
	s_mov_b64 s[38:39], -1
	s_branch .LBB127_171
.LBB127_176:                            ;   in Loop: Header=BB127_43 Depth=1
                                        ; implicit-def: $sgpr24_sgpr25
	s_branch .LBB127_121
.LBB127_177:                            ;   in Loop: Header=BB127_43 Depth=1
	s_or_b64 exec, exec, s[8:9]
	s_waitcnt lgkmcnt(0)
	s_barrier
	s_mov_b64 s[0:1], exec
	v_readlane_b32 s2, v64, 12
	v_readlane_b32 s3, v64, 13
	s_and_b64 s[2:3], s[0:1], s[2:3]
	s_mov_b64 exec, s[2:3]
	s_cbranch_execz .LBB127_179
; %bb.178:                              ;   in Loop: Header=BB127_43 Depth=1
	ds_read_b32 v4, v3 offset:5144
	s_waitcnt lgkmcnt(0)
	v_ashrrev_i32_e32 v5, 31, v4
	ds_write_b64 v3, v[4:5] offset:5120
.LBB127_179:                            ;   in Loop: Header=BB127_43 Depth=1
	s_or_b64 exec, exec, s[0:1]
	s_waitcnt lgkmcnt(0)
	s_barrier
	s_mov_b64 s[0:1], -1
	s_and_b64 vcc, exec, s[6:7]
	s_cbranch_vccnz .LBB127_59
	s_branch .LBB127_74
.LBB127_180:                            ;   in Loop: Header=BB127_43 Depth=1
                                        ; implicit-def: $sgpr6_sgpr7
	s_branch .LBB127_136
.LBB127_181:                            ;   in Loop: Header=BB127_43 Depth=1
	s_or_b64 exec, exec, s[6:7]
	s_and_b64 s[6:7], s[36:37], exec
.LBB127_182:                            ;   in Loop: Header=BB127_43 Depth=1
	s_or_b64 exec, exec, s[30:31]
.LBB127_183:                            ;   in Loop: Header=BB127_43 Depth=1
	s_and_b64 vcc, exec, s[28:29]
	s_cbranch_vccz .LBB127_198
; %bb.184:                              ;   in Loop: Header=BB127_43 Depth=1
	s_mov_b32 s90, s83
	s_cmp_lg_u64 s[90:91], 0
	s_cbranch_scc0 .LBB127_228
; %bb.185:                              ;   in Loop: Header=BB127_43 Depth=1
	v_cvt_f32_u32_e32 v4, s76
	s_sub_u32 s24, 0, s76
	s_subb_u32 s25, 0, 0
	v_fmac_f32_e32 v4, 0, v56
	v_rcp_f32_e32 v4, v4
	s_nop 0
	v_mul_f32_e32 v4, 0x5f7ffffc, v4
	v_mul_f32_e32 v5, 0x2f800000, v4
	v_trunc_f32_e32 v5, v5
	v_fmac_f32_e32 v4, 0xcf800000, v5
	v_cvt_u32_f32_e32 v5, v5
	v_cvt_u32_f32_e32 v4, v4
	v_readfirstlane_b32 s26, v5
	v_readfirstlane_b32 s0, v4
	s_mul_i32 s1, s24, s26
	s_mul_hi_u32 s28, s24, s0
	s_mul_i32 s27, s25, s0
	s_add_i32 s1, s28, s1
	s_mul_i32 s29, s24, s0
	s_add_i32 s1, s1, s27
	s_mul_hi_u32 s28, s0, s29
	s_mul_i32 s30, s0, s1
	s_mul_hi_u32 s27, s0, s1
	s_add_u32 s28, s28, s30
	s_addc_u32 s27, 0, s27
	s_mul_hi_u32 s31, s26, s29
	s_mul_i32 s29, s26, s29
	s_add_u32 s28, s28, s29
	s_mul_hi_u32 s30, s26, s1
	s_addc_u32 s27, s27, s31
	s_addc_u32 s28, s30, 0
	s_mul_i32 s1, s26, s1
	s_add_u32 s1, s27, s1
	s_addc_u32 s27, 0, s28
	s_add_u32 s28, s0, s1
	s_cselect_b64 s[0:1], -1, 0
	s_cmp_lg_u64 s[0:1], 0
	s_addc_u32 s26, s26, s27
	s_mul_i32 s0, s24, s26
	s_mul_hi_u32 s1, s24, s28
	s_add_i32 s0, s1, s0
	s_mul_i32 s25, s25, s28
	s_add_i32 s0, s0, s25
	s_mul_i32 s24, s24, s28
	s_mul_hi_u32 s25, s26, s24
	s_mul_i32 s27, s26, s24
	s_mul_i32 s30, s28, s0
	s_mul_hi_u32 s24, s28, s24
	s_mul_hi_u32 s29, s28, s0
	s_add_u32 s24, s24, s30
	s_addc_u32 s29, 0, s29
	s_add_u32 s24, s24, s27
	s_mul_hi_u32 s1, s26, s0
	s_addc_u32 s24, s29, s25
	s_addc_u32 s1, s1, 0
	s_mul_i32 s0, s26, s0
	s_add_u32 s0, s24, s0
	s_addc_u32 s24, 0, s1
	s_add_u32 s25, s28, s0
	s_cselect_b64 s[0:1], -1, 0
	s_cmp_lg_u64 s[0:1], 0
	s_addc_u32 s0, s26, s24
	v_readlane_b32 s28, v64, 21
	s_mul_i32 s24, s28, s0
	s_mul_hi_u32 s26, s28, s25
	s_mul_hi_u32 s1, s28, s0
	s_add_u32 s24, s26, s24
	s_addc_u32 s1, 0, s1
	s_mul_hi_u32 s27, s91, s25
	s_mul_i32 s25, s91, s25
	s_add_u32 s24, s24, s25
	s_mul_hi_u32 s26, s91, s0
	s_addc_u32 s1, s1, s27
	s_addc_u32 s24, s26, 0
	s_mul_i32 s0, s91, s0
	s_add_u32 s0, s1, s0
	s_addc_u32 s1, 0, s24
	s_mul_i32 s1, s76, s1
	s_mul_hi_u32 s24, s76, s0
	s_add_i32 s24, s24, s1
	s_mul_i32 s0, s76, s0
	s_sub_u32 s25, s28, s0
	s_cselect_b64 s[0:1], -1, 0
	s_cmp_lg_u64 s[0:1], 0
	s_subb_u32 s24, s91, s24
	s_sub_u32 s26, s25, s76
	s_cselect_b64 s[0:1], -1, 0
	s_cmp_lg_u64 s[0:1], 0
	s_subb_u32 s27, s24, 0
	;; [unrolled: 4-line block ×3, first 2 shown]
	s_cmp_ge_u32 s26, s76
	s_cselect_b32 s1, -1, 0
	s_cmp_eq_u32 s27, 0
	s_cselect_b32 s1, s1, -1
	s_cmp_lg_u32 s1, 0
	s_cselect_b32 s0, s0, s27
	s_cselect_b32 s26, s28, s26
	s_cmp_ge_u32 s25, s76
	s_cselect_b32 s1, -1, 0
	s_cmp_eq_u32 s24, 0
	s_cselect_b32 s1, s1, -1
	s_cmp_lg_u32 s1, 0
	s_cselect_b32 s1, s0, s24
	s_cselect_b32 s0, s26, s25
	s_cbranch_execnz .LBB127_187
.LBB127_186:                            ;   in Loop: Header=BB127_43 Depth=1
	v_cvt_f32_u32_e32 v4, s76
	s_sub_i32 s0, 0, s76
	v_readlane_b32 s24, v64, 21
	v_rcp_iflag_f32_e32 v4, v4
	s_nop 0
	v_mul_f32_e32 v4, 0x4f7ffffe, v4
	v_cvt_u32_f32_e32 v4, v4
	s_nop 0
	v_readfirstlane_b32 s1, v4
	s_mul_i32 s0, s0, s1
	s_mul_hi_u32 s0, s1, s0
	s_add_i32 s1, s1, s0
	s_mul_hi_u32 s0, s24, s1
	s_mul_i32 s0, s0, s76
	s_sub_i32 s0, s24, s0
	s_sub_i32 s1, s0, s76
	s_cmp_ge_u32 s0, s76
	s_cselect_b32 s0, s1, s0
	s_sub_i32 s1, s0, s76
	s_cmp_ge_u32 s0, s76
	s_cselect_b32 s82, s1, s0
	s_mov_b64 s[0:1], s[82:83]
.LBB127_187:                            ;   in Loop: Header=BB127_43 Depth=1
	v_readlane_b32 s24, v64, 21
	s_sub_u32 s24, s24, s0
	s_subb_u32 s25, s91, s1
	v_cmp_gt_u64_e32 vcc, s[24:25], v[0:1]
                                        ; implicit-def: $vgpr35
	s_and_saveexec_b64 s[0:1], vcc
	s_cbranch_execz .LBB127_197
; %bb.188:                              ;   in Loop: Header=BB127_43 Depth=1
	s_mov_b64 s[26:27], 0
	v_mov_b64_e32 v[4:5], v[14:15]
	v_mov_b64_e32 v[10:11], v[0:1]
                                        ; implicit-def: $sgpr28_sgpr29
	s_branch .LBB127_192
.LBB127_189:                            ;   in Loop: Header=BB127_192 Depth=2
	s_or_b64 exec, exec, s[30:31]
	s_waitcnt lgkmcnt(0)
	s_barrier
	ds_read_b64 v[34:35], v3 offset:3072
	s_waitcnt lgkmcnt(0)
	s_barrier
	v_cmp_eq_f32_e32 vcc, 0, v34
	s_cbranch_vccz .LBB127_195
; %bb.190:                              ;   in Loop: Header=BB127_192 Depth=2
	v_lshl_add_u64 v[10:11], v[10:11], 0, s[76:77]
	v_cmp_le_u64_e32 vcc, s[24:25], v[10:11]
	v_lshl_add_u64 v[4:5], v[4:5], 0, s[86:87]
	s_mov_b64 s[30:31], 0
	s_orn2_b64 s[34:35], vcc, exec
.LBB127_191:                            ;   in Loop: Header=BB127_192 Depth=2
	s_and_b64 s[34:35], exec, s[34:35]
	s_or_b64 s[26:27], s[34:35], s[26:27]
	s_andn2_b64 s[28:29], s[28:29], exec
	s_and_b64 s[30:31], s[30:31], exec
	s_or_b64 s[28:29], s[28:29], s[30:31]
	s_andn2_b64 exec, exec, s[26:27]
	s_cbranch_execz .LBB127_196
.LBB127_192:                            ;   Parent Loop BB127_43 Depth=1
                                        ; =>  This Inner Loop Header: Depth=2
	v_cmp_gt_u64_e32 vcc, s[56:57], v[10:11]
	s_and_saveexec_b64 s[30:31], vcc
	s_cbranch_execz .LBB127_189
; %bb.193:                              ;   in Loop: Header=BB127_192 Depth=2
	global_load_dword v33, v[4:5], off
	s_waitcnt vmcnt(0)
	v_cmp_lt_i32_e32 vcc, -1, v33
	s_nop 1
	v_cndmask_b32_e32 v34, -1, v55, vcc
	v_xor_b32_e32 v34, v34, v33
	v_cmp_o_f32_e32 vcc, v33, v33
	s_nop 1
	v_cndmask_b32_e32 v34, -1, v34, vcc
	v_and_b32_e32 v34, v34, v57
	v_cmp_eq_u32_e32 vcc, v34, v54
	s_and_b64 exec, exec, vcc
	s_cbranch_execz .LBB127_189
; %bb.194:                              ;   in Loop: Header=BB127_192 Depth=2
	ds_write_b64 v3, v[32:33] offset:3072
	s_branch .LBB127_189
.LBB127_195:                            ;   in Loop: Header=BB127_192 Depth=2
	s_mov_b64 s[34:35], -1
                                        ; implicit-def: $vgpr10_vgpr11
                                        ; implicit-def: $vgpr4_vgpr5
	s_mov_b64 s[30:31], -1
	s_branch .LBB127_191
.LBB127_196:                            ;   in Loop: Header=BB127_43 Depth=1
	s_or_b64 exec, exec, s[26:27]
	s_andn2_b64 s[6:7], s[6:7], exec
	s_and_b64 s[24:25], s[28:29], exec
	s_or_b64 s[6:7], s[6:7], s[24:25]
.LBB127_197:                            ;   in Loop: Header=BB127_43 Depth=1
	s_or_b64 exec, exec, s[0:1]
	s_mov_b64 s[0:1], 0
	s_mov_b64 s[24:25], -1
.LBB127_198:                            ;   in Loop: Header=BB127_43 Depth=1
	s_orn2_b64 s[6:7], s[6:7], exec
.LBB127_199:                            ;   in Loop: Header=BB127_43 Depth=1
	s_or_b64 exec, exec, s[14:15]
	s_mov_b64 s[14:15], 0
	s_and_saveexec_b64 s[26:27], s[6:7]
	s_cbranch_execz .LBB127_309
; %bb.200:                              ;   in Loop: Header=BB127_43 Depth=1
	s_xor_b64 s[14:15], s[8:9], -1
	v_mov_b32_e32 v2, 1
	s_mov_b64 s[8:9], 0
	v_mov_b64_e32 v[4:5], 1
	s_and_saveexec_b64 s[6:7], s[14:15]
	s_cbranch_execz .LBB127_210
; %bb.201:                              ;   in Loop: Header=BB127_43 Depth=1
	v_cmp_le_u64_e32 vcc, v[8:9], v[6:7]
	s_and_saveexec_b64 s[8:9], vcc
	s_xor_b64 s[8:9], exec, s[8:9]
	s_cbranch_execz .LBB127_207
; %bb.202:                              ;   in Loop: Header=BB127_43 Depth=1
	ds_read_b64 v[4:5], v3 offset:5120
	v_and_b32_e32 v2, s50, v54
	v_lshl_or_b32 v54, 1, s5, v2
	v_or_b32_e32 v57, s70, v57
	s_waitcnt lgkmcnt(0)
	v_cmp_ne_u64_e32 vcc, 0, v[4:5]
	s_cbranch_vccnz .LBB127_206
; %bb.203:                              ;   in Loop: Header=BB127_43 Depth=1
	s_mov_b64 s[14:15], exec
	v_readlane_b32 s28, v64, 12
	v_readlane_b32 s29, v64, 13
	s_and_b64 s[28:29], s[14:15], s[28:29]
	s_mov_b64 exec, s[28:29]
; %bb.204:                              ;   in Loop: Header=BB127_43 Depth=1
	ds_write_b64 v3, v[6:7] offset:5128
; %bb.205:                              ;   in Loop: Header=BB127_43 Depth=1
	s_or_b64 exec, exec, s[14:15]
	s_waitcnt lgkmcnt(0)
	s_barrier
.LBB127_206:                            ;   in Loop: Header=BB127_43 Depth=1
                                        ; implicit-def: $vgpr4_vgpr5_vgpr6_vgpr7
.LBB127_207:                            ;   in Loop: Header=BB127_43 Depth=1
	s_or_saveexec_b64 s[8:9], s[8:9]
	s_mov_b64 s[14:15], 0
	v_mov_b32_e32 v2, 8
	s_xor_b64 exec, exec, s[8:9]
; %bb.208:                              ;   in Loop: Header=BB127_43 Depth=1
	v_sub_co_u32_e32 v8, vcc, v8, v6
	s_mov_b64 s[14:15], exec
	s_nop 0
	v_subb_co_u32_e32 v9, vcc, v9, v7, vcc
	v_mov_b32_e32 v2, 0
; %bb.209:                              ;   in Loop: Header=BB127_43 Depth=1
	s_or_b64 exec, exec, s[8:9]
	s_and_b64 s[8:9], s[14:15], exec
	v_mov_b64_e32 v[4:5], v[8:9]
.LBB127_210:                            ;   in Loop: Header=BB127_43 Depth=1
	s_or_b64 exec, exec, s[6:7]
	s_mov_b64 s[6:7], -1
                                        ; implicit-def: $sgpr34_sgpr35
                                        ; implicit-def: $sgpr36_sgpr37
	s_and_saveexec_b64 s[28:29], s[8:9]
	s_cbranch_execz .LBB127_308
; %bb.211:                              ;   in Loop: Header=BB127_43 Depth=1
	s_cmp_eq_u64 s[22:23], 1
	s_cselect_b64 s[6:7], -1, 0
	v_cmp_eq_u64_e32 vcc, 1, v[4:5]
	s_and_b64 s[8:9], s[6:7], vcc
	s_mov_b64 s[6:7], -1
                                        ; implicit-def: $sgpr36_sgpr37
                                        ; implicit-def: $sgpr34_sgpr35
	s_and_saveexec_b64 s[14:15], s[8:9]
	s_cbranch_execz .LBB127_247
; %bb.212:                              ;   in Loop: Header=BB127_43 Depth=1
	ds_read_b64 v[6:7], v3 offset:5120
	s_waitcnt lgkmcnt(0)
	s_barrier
	v_readfirstlane_b32 s30, v6
	v_readfirstlane_b32 s31, v7
	s_mov_b64 s[6:7], exec
	v_readlane_b32 s34, v64, 14
	v_readlane_b32 s35, v64, 15
	s_and_b64 s[34:35], s[6:7], s[34:35]
	s_mov_b64 exec, s[34:35]
; %bb.213:                              ;   in Loop: Header=BB127_43 Depth=1
	ds_write_b32 v49, v3
; %bb.214:                              ;   in Loop: Header=BB127_43 Depth=1
	s_or_b64 exec, exec, s[6:7]
	v_and_b32_e32 v6, s50, v54
	v_lshl_or_b32 v54, 2, s5, v6
	v_or_b32_e32 v57, s70, v57
	s_mov_b64 s[34:35], -1
	s_mov_b64 s[36:37], 0
	s_cmp_eq_u64 s[30:31], 0
	s_mov_b64 s[6:7], 0
	s_mov_b64 s[38:39], -1
	s_waitcnt lgkmcnt(0)
	s_barrier
                                        ; implicit-def: $vgpr35
	s_cbranch_scc1 .LBB127_231
; %bb.215:                              ;   in Loop: Header=BB127_43 Depth=1
	v_readlane_b32 s6, v64, 20
	s_add_u32 s42, s30, s6
	v_readlane_b32 s6, v64, 22
	s_addc_u32 s7, s31, s6
	s_mov_b32 s6, s83
	s_cmp_lg_u64 s[6:7], 0
	s_cbranch_scc0 .LBB127_274
; %bb.216:                              ;   in Loop: Header=BB127_43 Depth=1
	v_cvt_f32_u32_e32 v6, s76
	s_sub_u32 s6, 0, s76
	s_subb_u32 s40, 0, 0
	v_fmac_f32_e32 v6, 0, v56
	v_rcp_f32_e32 v6, v6
	s_nop 0
	v_mul_f32_e32 v6, 0x5f7ffffc, v6
	v_mul_f32_e32 v7, 0x2f800000, v6
	v_trunc_f32_e32 v7, v7
	v_fmac_f32_e32 v6, 0xcf800000, v7
	v_cvt_u32_f32_e32 v7, v7
	v_cvt_u32_f32_e32 v6, v6
	v_readfirstlane_b32 s41, v7
	v_readfirstlane_b32 s38, v6
	s_mul_i32 s39, s6, s41
	s_mul_hi_u32 s44, s6, s38
	s_mul_i32 s43, s40, s38
	s_add_i32 s39, s44, s39
	s_mul_i32 s45, s6, s38
	s_add_i32 s39, s39, s43
	s_mul_hi_u32 s44, s38, s45
	s_mul_i32 s46, s38, s39
	s_mul_hi_u32 s43, s38, s39
	s_add_u32 s44, s44, s46
	s_addc_u32 s43, 0, s43
	s_mul_hi_u32 s47, s41, s45
	s_mul_i32 s45, s41, s45
	s_add_u32 s44, s44, s45
	s_mul_hi_u32 s46, s41, s39
	s_addc_u32 s43, s43, s47
	s_addc_u32 s44, s46, 0
	s_mul_i32 s39, s41, s39
	s_add_u32 s39, s43, s39
	s_addc_u32 s43, 0, s44
	s_add_u32 s44, s38, s39
	s_cselect_b64 s[38:39], -1, 0
	s_cmp_lg_u64 s[38:39], 0
	s_addc_u32 s41, s41, s43
	s_mul_i32 s38, s6, s41
	s_mul_hi_u32 s39, s6, s44
	s_add_i32 s38, s39, s38
	s_mul_i32 s40, s40, s44
	s_add_i32 s38, s38, s40
	s_mul_i32 s6, s6, s44
	s_mul_hi_u32 s40, s41, s6
	s_mul_i32 s43, s41, s6
	s_mul_i32 s46, s44, s38
	s_mul_hi_u32 s6, s44, s6
	s_mul_hi_u32 s45, s44, s38
	s_add_u32 s6, s6, s46
	s_addc_u32 s45, 0, s45
	s_add_u32 s6, s6, s43
	s_mul_hi_u32 s39, s41, s38
	s_addc_u32 s6, s45, s40
	s_addc_u32 s39, s39, 0
	s_mul_i32 s38, s41, s38
	s_add_u32 s6, s6, s38
	s_addc_u32 s40, 0, s39
	s_add_u32 s6, s44, s6
	s_cselect_b64 s[38:39], -1, 0
	s_cmp_lg_u64 s[38:39], 0
	s_addc_u32 s38, s41, s40
	s_mul_i32 s40, s42, s38
	s_mul_hi_u32 s41, s42, s6
	s_mul_hi_u32 s39, s42, s38
	s_add_u32 s40, s41, s40
	s_addc_u32 s39, 0, s39
	s_mul_hi_u32 s43, s7, s6
	s_mul_i32 s6, s7, s6
	s_add_u32 s6, s40, s6
	s_mul_hi_u32 s41, s7, s38
	s_addc_u32 s6, s39, s43
	s_addc_u32 s39, s41, 0
	s_mul_i32 s38, s7, s38
	s_add_u32 s6, s6, s38
	s_addc_u32 s38, 0, s39
	s_mul_i32 s38, s76, s38
	s_mul_hi_u32 s39, s76, s6
	s_add_i32 s40, s39, s38
	s_mul_i32 s6, s76, s6
	s_sub_u32 s6, s42, s6
	s_cselect_b64 s[38:39], -1, 0
	s_cmp_lg_u64 s[38:39], 0
	s_subb_u32 s40, s7, s40
	s_sub_u32 s41, s6, s76
	s_cselect_b64 s[38:39], -1, 0
	s_cmp_lg_u64 s[38:39], 0
	s_subb_u32 s43, s40, 0
	;; [unrolled: 4-line block ×3, first 2 shown]
	s_cmp_ge_u32 s41, s76
	s_cselect_b32 s39, -1, 0
	s_cmp_eq_u32 s43, 0
	s_cselect_b32 s39, s39, -1
	s_cmp_lg_u32 s39, 0
	s_cselect_b32 s38, s38, s43
	s_cselect_b32 s41, s44, s41
	s_cmp_ge_u32 s6, s76
	s_cselect_b32 s39, -1, 0
	s_cmp_eq_u32 s40, 0
	s_cselect_b32 s39, s39, -1
	s_cmp_lg_u32 s39, 0
	s_cselect_b32 s39, s38, s40
	s_cselect_b32 s38, s41, s6
	s_cbranch_execnz .LBB127_218
.LBB127_217:                            ;   in Loop: Header=BB127_43 Depth=1
	v_cvt_f32_u32_e32 v6, s76
	s_sub_i32 s6, 0, s76
	v_rcp_iflag_f32_e32 v6, v6
	s_nop 0
	v_mul_f32_e32 v6, 0x4f7ffffe, v6
	v_cvt_u32_f32_e32 v6, v6
	s_nop 0
	v_readfirstlane_b32 s38, v6
	s_mul_i32 s6, s6, s38
	s_mul_hi_u32 s6, s38, s6
	s_add_i32 s38, s38, s6
	s_mul_hi_u32 s6, s42, s38
	s_mul_i32 s6, s6, s76
	s_sub_i32 s6, s42, s6
	s_sub_i32 s38, s6, s76
	s_cmp_ge_u32 s6, s76
	s_cselect_b32 s6, s38, s6
	s_sub_i32 s38, s6, s76
	s_cmp_ge_u32 s6, s76
	s_cselect_b32 s82, s38, s6
	s_mov_b64 s[38:39], s[82:83]
.LBB127_218:                            ;   in Loop: Header=BB127_43 Depth=1
	s_sub_u32 s42, s42, s38
	s_subb_u32 s43, s7, s39
	v_cmp_gt_u64_e32 vcc, s[42:43], v[0:1]
	s_mov_b64 s[38:39], 0
	s_mov_b64 s[6:7], 0
                                        ; implicit-def: $vgpr35
	s_and_saveexec_b64 s[40:41], vcc
	s_cbranch_execz .LBB127_230
; %bb.219:                              ;   in Loop: Header=BB127_43 Depth=1
	v_mov_b32_e32 v8, v12
	v_mov_b64_e32 v[6:7], v[0:1]
                                        ; implicit-def: $sgpr44_sgpr45
	s_branch .LBB127_223
.LBB127_220:                            ;   in Loop: Header=BB127_223 Depth=2
	s_or_b64 exec, exec, s[46:47]
	s_waitcnt lgkmcnt(0)
	s_barrier
	ds_read_b64 v[34:35], v3 offset:3072
	s_waitcnt lgkmcnt(0)
	s_barrier
	v_cmp_neq_f32_e32 vcc, 0, v34
	s_cbranch_vccnz .LBB127_226
; %bb.221:                              ;   in Loop: Header=BB127_223 Depth=2
	v_lshl_add_u64 v[6:7], v[6:7], 0, s[76:77]
	v_cmp_le_u64_e32 vcc, s[42:43], v[6:7]
	v_add_u32_e32 v8, s4, v8
	s_mov_b64 s[46:47], 0
	s_orn2_b64 s[48:49], vcc, exec
.LBB127_222:                            ;   in Loop: Header=BB127_223 Depth=2
	s_and_b64 s[48:49], exec, s[48:49]
	s_or_b64 s[6:7], s[48:49], s[6:7]
	s_andn2_b64 s[44:45], s[44:45], exec
	s_and_b64 s[46:47], s[46:47], exec
	s_or_b64 s[44:45], s[44:45], s[46:47]
	s_andn2_b64 exec, exec, s[6:7]
	s_cbranch_execz .LBB127_229
.LBB127_223:                            ;   Parent Loop BB127_43 Depth=1
                                        ; =>  This Inner Loop Header: Depth=2
	v_cmp_gt_u64_e32 vcc, s[30:31], v[6:7]
	s_and_saveexec_b64 s[46:47], vcc
	s_cbranch_execz .LBB127_220
; %bb.224:                              ;   in Loop: Header=BB127_223 Depth=2
	ds_read_b32 v33, v8
	s_waitcnt lgkmcnt(0)
	v_cmp_lt_i32_e32 vcc, -1, v33
	s_nop 1
	v_cndmask_b32_e32 v9, -1, v55, vcc
	v_xor_b32_e32 v9, v9, v33
	v_cmp_o_f32_e32 vcc, v33, v33
	s_nop 1
	v_cndmask_b32_e32 v9, -1, v9, vcc
	v_and_b32_e32 v9, v9, v57
	v_cmp_eq_u32_e32 vcc, v9, v54
	s_and_b64 exec, exec, vcc
	s_cbranch_execz .LBB127_220
; %bb.225:                              ;   in Loop: Header=BB127_223 Depth=2
	ds_write_b64 v3, v[32:33] offset:3072
	s_branch .LBB127_220
.LBB127_226:                            ;   in Loop: Header=BB127_223 Depth=2
	s_mov_b64 s[48:49], -1
                                        ; implicit-def: $vgpr6_vgpr7
                                        ; implicit-def: $vgpr8
	s_mov_b64 s[46:47], -1
	s_branch .LBB127_222
.LBB127_227:                            ;   in Loop: Header=BB127_43 Depth=1
                                        ; implicit-def: $sgpr28_sgpr29
	s_branch .LBB127_166
.LBB127_228:                            ;   in Loop: Header=BB127_43 Depth=1
                                        ; implicit-def: $sgpr0_sgpr1
	s_branch .LBB127_186
.LBB127_229:                            ;   in Loop: Header=BB127_43 Depth=1
	s_or_b64 exec, exec, s[6:7]
	s_and_b64 s[6:7], s[44:45], exec
.LBB127_230:                            ;   in Loop: Header=BB127_43 Depth=1
	s_or_b64 exec, exec, s[40:41]
.LBB127_231:                            ;   in Loop: Header=BB127_43 Depth=1
	s_and_b64 vcc, exec, s[38:39]
	s_cbranch_vccz .LBB127_246
; %bb.232:                              ;   in Loop: Header=BB127_43 Depth=1
	s_mov_b32 s90, s83
	s_cmp_lg_u64 s[90:91], 0
	s_cbranch_scc0 .LBB127_275
; %bb.233:                              ;   in Loop: Header=BB127_43 Depth=1
	v_cvt_f32_u32_e32 v6, s76
	s_sub_u32 s34, 0, s76
	s_subb_u32 s35, 0, 0
	v_fmac_f32_e32 v6, 0, v56
	v_rcp_f32_e32 v6, v6
	s_nop 0
	v_mul_f32_e32 v6, 0x5f7ffffc, v6
	v_mul_f32_e32 v7, 0x2f800000, v6
	v_trunc_f32_e32 v7, v7
	v_fmac_f32_e32 v6, 0xcf800000, v7
	v_cvt_u32_f32_e32 v7, v7
	v_cvt_u32_f32_e32 v6, v6
	v_readfirstlane_b32 s36, v7
	v_readfirstlane_b32 s30, v6
	s_mul_i32 s31, s34, s36
	s_mul_hi_u32 s38, s34, s30
	s_mul_i32 s37, s35, s30
	s_add_i32 s31, s38, s31
	s_mul_i32 s39, s34, s30
	s_add_i32 s31, s31, s37
	s_mul_hi_u32 s38, s30, s39
	s_mul_i32 s40, s30, s31
	s_mul_hi_u32 s37, s30, s31
	s_add_u32 s38, s38, s40
	s_addc_u32 s37, 0, s37
	s_mul_hi_u32 s41, s36, s39
	s_mul_i32 s39, s36, s39
	s_add_u32 s38, s38, s39
	s_mul_hi_u32 s40, s36, s31
	s_addc_u32 s37, s37, s41
	s_addc_u32 s38, s40, 0
	s_mul_i32 s31, s36, s31
	s_add_u32 s31, s37, s31
	s_addc_u32 s37, 0, s38
	s_add_u32 s38, s30, s31
	s_cselect_b64 s[30:31], -1, 0
	s_cmp_lg_u64 s[30:31], 0
	s_addc_u32 s36, s36, s37
	s_mul_i32 s30, s34, s36
	s_mul_hi_u32 s31, s34, s38
	s_add_i32 s30, s31, s30
	s_mul_i32 s35, s35, s38
	s_add_i32 s30, s30, s35
	s_mul_i32 s34, s34, s38
	s_mul_hi_u32 s35, s36, s34
	s_mul_i32 s37, s36, s34
	s_mul_i32 s40, s38, s30
	s_mul_hi_u32 s34, s38, s34
	s_mul_hi_u32 s39, s38, s30
	s_add_u32 s34, s34, s40
	s_addc_u32 s39, 0, s39
	s_add_u32 s34, s34, s37
	s_mul_hi_u32 s31, s36, s30
	s_addc_u32 s34, s39, s35
	s_addc_u32 s31, s31, 0
	s_mul_i32 s30, s36, s30
	s_add_u32 s30, s34, s30
	s_addc_u32 s34, 0, s31
	s_add_u32 s35, s38, s30
	s_cselect_b64 s[30:31], -1, 0
	s_cmp_lg_u64 s[30:31], 0
	s_addc_u32 s30, s36, s34
	v_readlane_b32 s38, v64, 21
	s_mul_i32 s34, s38, s30
	s_mul_hi_u32 s36, s38, s35
	s_mul_hi_u32 s31, s38, s30
	s_add_u32 s34, s36, s34
	s_addc_u32 s31, 0, s31
	s_mul_hi_u32 s37, s91, s35
	s_mul_i32 s35, s91, s35
	s_add_u32 s34, s34, s35
	s_mul_hi_u32 s36, s91, s30
	s_addc_u32 s31, s31, s37
	s_addc_u32 s34, s36, 0
	s_mul_i32 s30, s91, s30
	s_add_u32 s30, s31, s30
	s_addc_u32 s31, 0, s34
	s_mul_i32 s31, s76, s31
	s_mul_hi_u32 s34, s76, s30
	s_add_i32 s34, s34, s31
	s_mul_i32 s30, s76, s30
	s_sub_u32 s35, s38, s30
	s_cselect_b64 s[30:31], -1, 0
	s_cmp_lg_u64 s[30:31], 0
	s_subb_u32 s34, s91, s34
	s_sub_u32 s36, s35, s76
	s_cselect_b64 s[30:31], -1, 0
	s_cmp_lg_u64 s[30:31], 0
	s_subb_u32 s37, s34, 0
	;; [unrolled: 4-line block ×3, first 2 shown]
	s_cmp_ge_u32 s36, s76
	s_cselect_b32 s31, -1, 0
	s_cmp_eq_u32 s37, 0
	s_cselect_b32 s31, s31, -1
	s_cmp_lg_u32 s31, 0
	s_cselect_b32 s30, s30, s37
	s_cselect_b32 s36, s38, s36
	s_cmp_ge_u32 s35, s76
	s_cselect_b32 s31, -1, 0
	s_cmp_eq_u32 s34, 0
	s_cselect_b32 s31, s31, -1
	s_cmp_lg_u32 s31, 0
	s_cselect_b32 s31, s30, s34
	s_cselect_b32 s30, s36, s35
	s_cbranch_execnz .LBB127_235
.LBB127_234:                            ;   in Loop: Header=BB127_43 Depth=1
	v_cvt_f32_u32_e32 v6, s76
	s_sub_i32 s30, 0, s76
	v_readlane_b32 s34, v64, 21
	v_rcp_iflag_f32_e32 v6, v6
	s_nop 0
	v_mul_f32_e32 v6, 0x4f7ffffe, v6
	v_cvt_u32_f32_e32 v6, v6
	s_nop 0
	v_readfirstlane_b32 s31, v6
	s_mul_i32 s30, s30, s31
	s_mul_hi_u32 s30, s31, s30
	s_add_i32 s31, s31, s30
	s_mul_hi_u32 s30, s34, s31
	s_mul_i32 s30, s30, s76
	s_sub_i32 s30, s34, s30
	s_sub_i32 s31, s30, s76
	s_cmp_ge_u32 s30, s76
	s_cselect_b32 s30, s31, s30
	s_sub_i32 s31, s30, s76
	s_cmp_ge_u32 s30, s76
	s_cselect_b32 s82, s31, s30
	s_mov_b64 s[30:31], s[82:83]
.LBB127_235:                            ;   in Loop: Header=BB127_43 Depth=1
	v_readlane_b32 s34, v64, 21
	s_sub_u32 s34, s34, s30
	s_subb_u32 s35, s91, s31
	v_cmp_gt_u64_e32 vcc, s[34:35], v[0:1]
                                        ; implicit-def: $vgpr35
	s_and_saveexec_b64 s[30:31], vcc
	s_cbranch_execz .LBB127_245
; %bb.236:                              ;   in Loop: Header=BB127_43 Depth=1
	s_mov_b64 s[36:37], 0
	v_mov_b64_e32 v[6:7], v[14:15]
	v_mov_b64_e32 v[8:9], v[0:1]
                                        ; implicit-def: $sgpr38_sgpr39
	s_branch .LBB127_240
.LBB127_237:                            ;   in Loop: Header=BB127_240 Depth=2
	s_or_b64 exec, exec, s[40:41]
	s_waitcnt lgkmcnt(0)
	s_barrier
	ds_read_b64 v[34:35], v3 offset:3072
	s_waitcnt lgkmcnt(0)
	s_barrier
	v_cmp_eq_f32_e32 vcc, 0, v34
	s_cbranch_vccz .LBB127_243
; %bb.238:                              ;   in Loop: Header=BB127_240 Depth=2
	v_lshl_add_u64 v[8:9], v[8:9], 0, s[76:77]
	v_cmp_le_u64_e32 vcc, s[34:35], v[8:9]
	v_lshl_add_u64 v[6:7], v[6:7], 0, s[86:87]
	s_mov_b64 s[40:41], 0
	s_orn2_b64 s[42:43], vcc, exec
.LBB127_239:                            ;   in Loop: Header=BB127_240 Depth=2
	s_and_b64 s[42:43], exec, s[42:43]
	s_or_b64 s[36:37], s[42:43], s[36:37]
	s_andn2_b64 s[38:39], s[38:39], exec
	s_and_b64 s[40:41], s[40:41], exec
	s_or_b64 s[38:39], s[38:39], s[40:41]
	s_andn2_b64 exec, exec, s[36:37]
	s_cbranch_execz .LBB127_244
.LBB127_240:                            ;   Parent Loop BB127_43 Depth=1
                                        ; =>  This Inner Loop Header: Depth=2
	v_cmp_gt_u64_e32 vcc, s[56:57], v[8:9]
	s_and_saveexec_b64 s[40:41], vcc
	s_cbranch_execz .LBB127_237
; %bb.241:                              ;   in Loop: Header=BB127_240 Depth=2
	global_load_dword v33, v[6:7], off
	s_waitcnt vmcnt(0)
	v_cmp_lt_i32_e32 vcc, -1, v33
	s_nop 1
	v_cndmask_b32_e32 v10, -1, v55, vcc
	v_xor_b32_e32 v10, v10, v33
	v_cmp_o_f32_e32 vcc, v33, v33
	s_nop 1
	v_cndmask_b32_e32 v10, -1, v10, vcc
	v_and_b32_e32 v10, v10, v57
	v_cmp_eq_u32_e32 vcc, v10, v54
	s_and_b64 exec, exec, vcc
	s_cbranch_execz .LBB127_237
; %bb.242:                              ;   in Loop: Header=BB127_240 Depth=2
	ds_write_b64 v3, v[32:33] offset:3072
	s_branch .LBB127_237
.LBB127_243:                            ;   in Loop: Header=BB127_240 Depth=2
	s_mov_b64 s[42:43], -1
                                        ; implicit-def: $vgpr8_vgpr9
                                        ; implicit-def: $vgpr6_vgpr7
	s_mov_b64 s[40:41], -1
	s_branch .LBB127_239
.LBB127_244:                            ;   in Loop: Header=BB127_43 Depth=1
	s_or_b64 exec, exec, s[36:37]
	s_andn2_b64 s[6:7], s[6:7], exec
	s_and_b64 s[34:35], s[38:39], exec
	s_or_b64 s[6:7], s[6:7], s[34:35]
.LBB127_245:                            ;   in Loop: Header=BB127_43 Depth=1
	s_or_b64 exec, exec, s[30:31]
	s_mov_b64 s[34:35], 0
	s_mov_b64 s[36:37], -1
.LBB127_246:                            ;   in Loop: Header=BB127_43 Depth=1
	s_orn2_b64 s[6:7], s[6:7], exec
.LBB127_247:                            ;   in Loop: Header=BB127_43 Depth=1
	s_or_b64 exec, exec, s[14:15]
	s_mov_b64 s[30:31], 0
	s_and_saveexec_b64 s[14:15], s[6:7]
	s_cbranch_execz .LBB127_307
; %bb.248:                              ;   in Loop: Header=BB127_43 Depth=1
	s_xor_b64 s[30:31], s[8:9], -1
	v_mov_b32_e32 v2, 1
	s_mov_b64 s[8:9], 0
	v_mov_b64_e32 v[6:7], 1
	s_and_saveexec_b64 s[6:7], s[30:31]
	s_cbranch_execz .LBB127_257
; %bb.249:                              ;   in Loop: Header=BB127_43 Depth=1
	v_cmp_ge_u64_e32 vcc, s[22:23], v[4:5]
	s_and_saveexec_b64 s[8:9], vcc
	s_xor_b64 s[8:9], exec, s[8:9]
	s_cbranch_execz .LBB127_254
; %bb.250:                              ;   in Loop: Header=BB127_43 Depth=1
	ds_read_b64 v[6:7], v3 offset:5120
	v_and_b32_e32 v2, s50, v54
	v_lshl_or_b32 v54, 2, s5, v2
	v_or_b32_e32 v57, s70, v57
	s_waitcnt lgkmcnt(0)
	v_cmp_ne_u64_e32 vcc, 0, v[6:7]
	s_cbranch_vccnz .LBB127_254
; %bb.251:                              ;   in Loop: Header=BB127_43 Depth=1
	s_mov_b64 s[30:31], exec
	v_readlane_b32 s38, v64, 12
	v_readlane_b32 s39, v64, 13
	s_and_b64 s[38:39], s[30:31], s[38:39]
	s_mov_b64 exec, s[38:39]
; %bb.252:                              ;   in Loop: Header=BB127_43 Depth=1
	v_mov_b64_e32 v[6:7], s[22:23]
	ds_write_b64 v3, v[6:7] offset:5128
; %bb.253:                              ;   in Loop: Header=BB127_43 Depth=1
	s_or_b64 exec, exec, s[30:31]
	s_waitcnt lgkmcnt(0)
	s_barrier
.LBB127_254:                            ;   in Loop: Header=BB127_43 Depth=1
	s_or_saveexec_b64 s[8:9], s[8:9]
	s_mov_b64 s[30:31], 0
	v_mov_b32_e32 v2, 8
	s_xor_b64 exec, exec, s[8:9]
; %bb.255:                              ;   in Loop: Header=BB127_43 Depth=1
	v_mov_b32_e32 v2, s23
	v_subrev_co_u32_e32 v4, vcc, s22, v4
	s_mov_b64 s[30:31], exec
	s_nop 0
	v_subb_co_u32_e32 v5, vcc, v5, v2, vcc
	v_mov_b32_e32 v2, 0
; %bb.256:                              ;   in Loop: Header=BB127_43 Depth=1
	s_or_b64 exec, exec, s[8:9]
	s_and_b64 s[8:9], s[30:31], exec
	v_mov_b64_e32 v[6:7], v[4:5]
.LBB127_257:                            ;   in Loop: Header=BB127_43 Depth=1
	s_or_b64 exec, exec, s[6:7]
	s_mov_b64 s[6:7], -1
                                        ; implicit-def: $sgpr42_sgpr43
                                        ; implicit-def: $sgpr40_sgpr41
	s_and_saveexec_b64 s[22:23], s[8:9]
	s_cbranch_execz .LBB127_306
; %bb.258:                              ;   in Loop: Header=BB127_43 Depth=1
	s_cmp_eq_u64 s[2:3], 1
	s_cselect_b64 s[6:7], -1, 0
	v_cmp_eq_u64_e32 vcc, 1, v[6:7]
	s_and_b64 s[8:9], s[6:7], vcc
	s_mov_b64 s[30:31], -1
                                        ; implicit-def: $sgpr42_sgpr43
                                        ; implicit-def: $sgpr40_sgpr41
	s_and_saveexec_b64 s[38:39], s[8:9]
	s_cbranch_execz .LBB127_294
; %bb.259:                              ;   in Loop: Header=BB127_43 Depth=1
	ds_read_b64 v[4:5], v3 offset:5120
	s_waitcnt lgkmcnt(0)
	s_barrier
	v_readfirstlane_b32 s30, v4
	v_readfirstlane_b32 s31, v5
	s_mov_b64 s[6:7], exec
	v_readlane_b32 s40, v64, 14
	v_readlane_b32 s41, v64, 15
	s_and_b64 s[40:41], s[6:7], s[40:41]
	s_mov_b64 exec, s[40:41]
; %bb.260:                              ;   in Loop: Header=BB127_43 Depth=1
	ds_write_b32 v49, v3
; %bb.261:                              ;   in Loop: Header=BB127_43 Depth=1
	s_or_b64 exec, exec, s[6:7]
	v_or_b32_e32 v54, s70, v54
	v_or_b32_e32 v57, s70, v57
	s_mov_b64 s[40:41], -1
	s_mov_b64 s[42:43], 0
	s_cmp_eq_u64 s[30:31], 0
	s_mov_b64 s[6:7], 0
	s_mov_b64 s[44:45], -1
	s_waitcnt lgkmcnt(0)
	s_barrier
                                        ; implicit-def: $vgpr35
	s_cbranch_scc1 .LBB127_278
; %bb.262:                              ;   in Loop: Header=BB127_43 Depth=1
	v_readlane_b32 s6, v64, 20
	s_add_u32 s48, s30, s6
	v_readlane_b32 s6, v64, 22
	s_addc_u32 s7, s31, s6
	s_mov_b32 s6, s83
	s_cmp_lg_u64 s[6:7], 0
	s_cbranch_scc0 .LBB127_313
; %bb.263:                              ;   in Loop: Header=BB127_43 Depth=1
	v_cvt_f32_u32_e32 v4, s76
	s_sub_u32 s6, 0, s76
	s_subb_u32 s46, 0, 0
	v_fmac_f32_e32 v4, 0, v56
	v_rcp_f32_e32 v4, v4
	s_nop 0
	v_mul_f32_e32 v4, 0x5f7ffffc, v4
	v_mul_f32_e32 v5, 0x2f800000, v4
	v_trunc_f32_e32 v5, v5
	v_fmac_f32_e32 v4, 0xcf800000, v5
	v_cvt_u32_f32_e32 v5, v5
	v_cvt_u32_f32_e32 v4, v4
	v_readfirstlane_b32 s47, v5
	v_readfirstlane_b32 s44, v4
	s_mul_i32 s45, s6, s47
	s_mul_hi_u32 s50, s6, s44
	s_mul_i32 s49, s46, s44
	s_add_i32 s45, s50, s45
	s_mul_i32 s51, s6, s44
	s_add_i32 s45, s45, s49
	s_mul_hi_u32 s50, s44, s51
	s_mul_i32 s52, s44, s45
	s_mul_hi_u32 s49, s44, s45
	s_add_u32 s50, s50, s52
	s_addc_u32 s49, 0, s49
	s_mul_hi_u32 s53, s47, s51
	s_mul_i32 s51, s47, s51
	s_add_u32 s50, s50, s51
	s_mul_hi_u32 s52, s47, s45
	s_addc_u32 s49, s49, s53
	s_addc_u32 s50, s52, 0
	s_mul_i32 s45, s47, s45
	s_add_u32 s45, s49, s45
	s_addc_u32 s49, 0, s50
	s_add_u32 s50, s44, s45
	s_cselect_b64 s[44:45], -1, 0
	s_cmp_lg_u64 s[44:45], 0
	s_addc_u32 s47, s47, s49
	s_mul_i32 s44, s6, s47
	s_mul_hi_u32 s45, s6, s50
	s_add_i32 s44, s45, s44
	s_mul_i32 s46, s46, s50
	s_add_i32 s44, s44, s46
	s_mul_i32 s6, s6, s50
	s_mul_hi_u32 s46, s47, s6
	s_mul_i32 s49, s47, s6
	s_mul_i32 s52, s50, s44
	s_mul_hi_u32 s6, s50, s6
	s_mul_hi_u32 s51, s50, s44
	s_add_u32 s6, s6, s52
	s_addc_u32 s51, 0, s51
	s_add_u32 s6, s6, s49
	s_mul_hi_u32 s45, s47, s44
	s_addc_u32 s6, s51, s46
	s_addc_u32 s45, s45, 0
	s_mul_i32 s44, s47, s44
	s_add_u32 s6, s6, s44
	s_addc_u32 s46, 0, s45
	s_add_u32 s6, s50, s6
	s_cselect_b64 s[44:45], -1, 0
	s_cmp_lg_u64 s[44:45], 0
	s_addc_u32 s44, s47, s46
	s_mul_i32 s46, s48, s44
	s_mul_hi_u32 s47, s48, s6
	s_mul_hi_u32 s45, s48, s44
	s_add_u32 s46, s47, s46
	s_addc_u32 s45, 0, s45
	s_mul_hi_u32 s49, s7, s6
	s_mul_i32 s6, s7, s6
	s_add_u32 s6, s46, s6
	s_mul_hi_u32 s47, s7, s44
	s_addc_u32 s6, s45, s49
	s_addc_u32 s45, s47, 0
	s_mul_i32 s44, s7, s44
	s_add_u32 s6, s6, s44
	s_addc_u32 s44, 0, s45
	s_mul_i32 s44, s76, s44
	s_mul_hi_u32 s45, s76, s6
	s_add_i32 s46, s45, s44
	s_mul_i32 s6, s76, s6
	s_sub_u32 s6, s48, s6
	s_cselect_b64 s[44:45], -1, 0
	s_cmp_lg_u64 s[44:45], 0
	s_subb_u32 s46, s7, s46
	s_sub_u32 s47, s6, s76
	s_cselect_b64 s[44:45], -1, 0
	s_cmp_lg_u64 s[44:45], 0
	s_subb_u32 s49, s46, 0
	;; [unrolled: 4-line block ×3, first 2 shown]
	s_cmp_ge_u32 s47, s76
	s_cselect_b32 s45, -1, 0
	s_cmp_eq_u32 s49, 0
	s_cselect_b32 s45, s45, -1
	s_cmp_lg_u32 s45, 0
	s_cselect_b32 s44, s44, s49
	s_cselect_b32 s47, s50, s47
	s_cmp_ge_u32 s6, s76
	s_cselect_b32 s45, -1, 0
	s_cmp_eq_u32 s46, 0
	s_cselect_b32 s45, s45, -1
	s_cmp_lg_u32 s45, 0
	s_cselect_b32 s45, s44, s46
	s_cselect_b32 s44, s47, s6
	s_cbranch_execnz .LBB127_265
.LBB127_264:                            ;   in Loop: Header=BB127_43 Depth=1
	v_cvt_f32_u32_e32 v4, s76
	s_sub_i32 s6, 0, s76
	v_rcp_iflag_f32_e32 v4, v4
	s_nop 0
	v_mul_f32_e32 v4, 0x4f7ffffe, v4
	v_cvt_u32_f32_e32 v4, v4
	s_nop 0
	v_readfirstlane_b32 s44, v4
	s_mul_i32 s6, s6, s44
	s_mul_hi_u32 s6, s44, s6
	s_add_i32 s44, s44, s6
	s_mul_hi_u32 s6, s48, s44
	s_mul_i32 s6, s6, s76
	s_sub_i32 s6, s48, s6
	s_sub_i32 s44, s6, s76
	s_cmp_ge_u32 s6, s76
	s_cselect_b32 s6, s44, s6
	s_sub_i32 s44, s6, s76
	s_cmp_ge_u32 s6, s76
	s_cselect_b32 s82, s44, s6
	s_mov_b64 s[44:45], s[82:83]
.LBB127_265:                            ;   in Loop: Header=BB127_43 Depth=1
	s_sub_u32 s48, s48, s44
	s_subb_u32 s49, s7, s45
	v_cmp_gt_u64_e32 vcc, s[48:49], v[0:1]
	s_mov_b64 s[44:45], 0
	s_mov_b64 s[6:7], 0
                                        ; implicit-def: $vgpr35
	s_and_saveexec_b64 s[46:47], vcc
	s_cbranch_execz .LBB127_277
; %bb.266:                              ;   in Loop: Header=BB127_43 Depth=1
	v_mov_b32_e32 v8, v12
	v_mov_b64_e32 v[4:5], v[0:1]
                                        ; implicit-def: $sgpr50_sgpr51
	s_branch .LBB127_270
.LBB127_267:                            ;   in Loop: Header=BB127_270 Depth=2
	s_or_b64 exec, exec, s[52:53]
	s_waitcnt lgkmcnt(0)
	s_barrier
	ds_read_b64 v[34:35], v3 offset:3072
	s_waitcnt lgkmcnt(0)
	s_barrier
	v_cmp_neq_f32_e32 vcc, 0, v34
	s_cbranch_vccnz .LBB127_273
; %bb.268:                              ;   in Loop: Header=BB127_270 Depth=2
	v_lshl_add_u64 v[4:5], v[4:5], 0, s[76:77]
	v_cmp_le_u64_e32 vcc, s[48:49], v[4:5]
	v_add_u32_e32 v8, s4, v8
	s_mov_b64 s[52:53], 0
	s_orn2_b64 s[54:55], vcc, exec
.LBB127_269:                            ;   in Loop: Header=BB127_270 Depth=2
	s_and_b64 s[54:55], exec, s[54:55]
	s_or_b64 s[6:7], s[54:55], s[6:7]
	s_andn2_b64 s[50:51], s[50:51], exec
	s_and_b64 s[52:53], s[52:53], exec
	s_or_b64 s[50:51], s[50:51], s[52:53]
	s_andn2_b64 exec, exec, s[6:7]
	s_cbranch_execz .LBB127_276
.LBB127_270:                            ;   Parent Loop BB127_43 Depth=1
                                        ; =>  This Inner Loop Header: Depth=2
	v_cmp_gt_u64_e32 vcc, s[30:31], v[4:5]
	s_and_saveexec_b64 s[52:53], vcc
	s_cbranch_execz .LBB127_267
; %bb.271:                              ;   in Loop: Header=BB127_270 Depth=2
	ds_read_b32 v33, v8
	s_waitcnt lgkmcnt(0)
	v_cmp_lt_i32_e32 vcc, -1, v33
	s_nop 1
	v_cndmask_b32_e32 v9, -1, v55, vcc
	v_xor_b32_e32 v9, v9, v33
	v_cmp_o_f32_e32 vcc, v33, v33
	s_nop 1
	v_cndmask_b32_e32 v9, -1, v9, vcc
	v_and_b32_e32 v9, v9, v57
	v_cmp_eq_u32_e32 vcc, v9, v54
	s_and_b64 exec, exec, vcc
	s_cbranch_execz .LBB127_267
; %bb.272:                              ;   in Loop: Header=BB127_270 Depth=2
	ds_write_b64 v3, v[32:33] offset:3072
	s_branch .LBB127_267
.LBB127_273:                            ;   in Loop: Header=BB127_270 Depth=2
	s_mov_b64 s[54:55], -1
                                        ; implicit-def: $vgpr4_vgpr5
                                        ; implicit-def: $vgpr8
	s_mov_b64 s[52:53], -1
	s_branch .LBB127_269
.LBB127_274:                            ;   in Loop: Header=BB127_43 Depth=1
                                        ; implicit-def: $sgpr38_sgpr39
	s_branch .LBB127_217
.LBB127_275:                            ;   in Loop: Header=BB127_43 Depth=1
                                        ; implicit-def: $sgpr30_sgpr31
	s_branch .LBB127_234
.LBB127_276:                            ;   in Loop: Header=BB127_43 Depth=1
	s_or_b64 exec, exec, s[6:7]
	s_and_b64 s[6:7], s[50:51], exec
	v_readlane_b32 s54, v64, 46
	v_readlane_b32 s55, v64, 47
.LBB127_277:                            ;   in Loop: Header=BB127_43 Depth=1
	s_or_b64 exec, exec, s[46:47]
.LBB127_278:                            ;   in Loop: Header=BB127_43 Depth=1
	s_and_b64 vcc, exec, s[44:45]
	s_cbranch_vccz .LBB127_293
; %bb.279:                              ;   in Loop: Header=BB127_43 Depth=1
	s_mov_b32 s90, s83
	s_cmp_lg_u64 s[90:91], 0
	s_cbranch_scc0 .LBB127_314
; %bb.280:                              ;   in Loop: Header=BB127_43 Depth=1
	v_cvt_f32_u32_e32 v4, s76
	s_sub_u32 s40, 0, s76
	s_subb_u32 s41, 0, 0
	v_fmac_f32_e32 v4, 0, v56
	v_rcp_f32_e32 v4, v4
	s_nop 0
	v_mul_f32_e32 v4, 0x5f7ffffc, v4
	v_mul_f32_e32 v5, 0x2f800000, v4
	v_trunc_f32_e32 v5, v5
	v_fmac_f32_e32 v4, 0xcf800000, v5
	v_cvt_u32_f32_e32 v5, v5
	v_cvt_u32_f32_e32 v4, v4
	v_readfirstlane_b32 s42, v5
	v_readfirstlane_b32 s30, v4
	s_mul_i32 s31, s40, s42
	s_mul_hi_u32 s44, s40, s30
	s_mul_i32 s43, s41, s30
	s_add_i32 s31, s44, s31
	s_mul_i32 s45, s40, s30
	s_add_i32 s31, s31, s43
	s_mul_hi_u32 s44, s30, s45
	s_mul_i32 s46, s30, s31
	s_mul_hi_u32 s43, s30, s31
	s_add_u32 s44, s44, s46
	s_addc_u32 s43, 0, s43
	s_mul_hi_u32 s47, s42, s45
	s_mul_i32 s45, s42, s45
	s_add_u32 s44, s44, s45
	s_mul_hi_u32 s46, s42, s31
	s_addc_u32 s43, s43, s47
	s_addc_u32 s44, s46, 0
	s_mul_i32 s31, s42, s31
	s_add_u32 s31, s43, s31
	s_addc_u32 s43, 0, s44
	s_add_u32 s44, s30, s31
	s_cselect_b64 s[30:31], -1, 0
	s_cmp_lg_u64 s[30:31], 0
	s_addc_u32 s42, s42, s43
	s_mul_i32 s30, s40, s42
	s_mul_hi_u32 s31, s40, s44
	s_add_i32 s30, s31, s30
	s_mul_i32 s41, s41, s44
	s_add_i32 s30, s30, s41
	s_mul_i32 s40, s40, s44
	s_mul_hi_u32 s41, s42, s40
	s_mul_i32 s43, s42, s40
	s_mul_i32 s46, s44, s30
	s_mul_hi_u32 s40, s44, s40
	s_mul_hi_u32 s45, s44, s30
	s_add_u32 s40, s40, s46
	s_addc_u32 s45, 0, s45
	s_add_u32 s40, s40, s43
	s_mul_hi_u32 s31, s42, s30
	s_addc_u32 s40, s45, s41
	s_addc_u32 s31, s31, 0
	s_mul_i32 s30, s42, s30
	s_add_u32 s30, s40, s30
	s_addc_u32 s40, 0, s31
	s_add_u32 s41, s44, s30
	s_cselect_b64 s[30:31], -1, 0
	s_cmp_lg_u64 s[30:31], 0
	s_addc_u32 s30, s42, s40
	v_readlane_b32 s44, v64, 21
	s_mul_i32 s40, s44, s30
	s_mul_hi_u32 s42, s44, s41
	s_mul_hi_u32 s31, s44, s30
	s_add_u32 s40, s42, s40
	s_addc_u32 s31, 0, s31
	s_mul_hi_u32 s43, s91, s41
	s_mul_i32 s41, s91, s41
	s_add_u32 s40, s40, s41
	s_mul_hi_u32 s42, s91, s30
	s_addc_u32 s31, s31, s43
	s_addc_u32 s40, s42, 0
	s_mul_i32 s30, s91, s30
	s_add_u32 s30, s31, s30
	s_addc_u32 s31, 0, s40
	s_mul_i32 s31, s76, s31
	s_mul_hi_u32 s40, s76, s30
	s_add_i32 s40, s40, s31
	s_mul_i32 s30, s76, s30
	s_sub_u32 s41, s44, s30
	s_cselect_b64 s[30:31], -1, 0
	s_cmp_lg_u64 s[30:31], 0
	s_subb_u32 s40, s91, s40
	s_sub_u32 s42, s41, s76
	s_cselect_b64 s[30:31], -1, 0
	s_cmp_lg_u64 s[30:31], 0
	s_subb_u32 s43, s40, 0
	;; [unrolled: 4-line block ×3, first 2 shown]
	s_cmp_ge_u32 s42, s76
	s_cselect_b32 s31, -1, 0
	s_cmp_eq_u32 s43, 0
	s_cselect_b32 s31, s31, -1
	s_cmp_lg_u32 s31, 0
	s_cselect_b32 s30, s30, s43
	s_cselect_b32 s42, s44, s42
	s_cmp_ge_u32 s41, s76
	s_cselect_b32 s31, -1, 0
	s_cmp_eq_u32 s40, 0
	s_cselect_b32 s31, s31, -1
	s_cmp_lg_u32 s31, 0
	s_cselect_b32 s31, s30, s40
	s_cselect_b32 s30, s42, s41
	s_cbranch_execnz .LBB127_282
.LBB127_281:                            ;   in Loop: Header=BB127_43 Depth=1
	v_cvt_f32_u32_e32 v4, s76
	s_sub_i32 s30, 0, s76
	v_readlane_b32 s40, v64, 21
	v_rcp_iflag_f32_e32 v4, v4
	s_nop 0
	v_mul_f32_e32 v4, 0x4f7ffffe, v4
	v_cvt_u32_f32_e32 v4, v4
	s_nop 0
	v_readfirstlane_b32 s31, v4
	s_mul_i32 s30, s30, s31
	s_mul_hi_u32 s30, s31, s30
	s_add_i32 s31, s31, s30
	s_mul_hi_u32 s30, s40, s31
	s_mul_i32 s30, s30, s76
	s_sub_i32 s30, s40, s30
	s_sub_i32 s31, s30, s76
	s_cmp_ge_u32 s30, s76
	s_cselect_b32 s30, s31, s30
	s_sub_i32 s31, s30, s76
	s_cmp_ge_u32 s30, s76
	s_cselect_b32 s82, s31, s30
	s_mov_b64 s[30:31], s[82:83]
.LBB127_282:                            ;   in Loop: Header=BB127_43 Depth=1
	v_readlane_b32 s40, v64, 21
	s_sub_u32 s40, s40, s30
	s_subb_u32 s41, s91, s31
	v_cmp_gt_u64_e32 vcc, s[40:41], v[0:1]
                                        ; implicit-def: $vgpr35
	s_and_saveexec_b64 s[30:31], vcc
	s_cbranch_execz .LBB127_292
; %bb.283:                              ;   in Loop: Header=BB127_43 Depth=1
	s_mov_b64 s[42:43], 0
	v_mov_b64_e32 v[4:5], v[14:15]
	v_mov_b64_e32 v[8:9], v[0:1]
                                        ; implicit-def: $sgpr44_sgpr45
	s_branch .LBB127_287
.LBB127_284:                            ;   in Loop: Header=BB127_287 Depth=2
	s_or_b64 exec, exec, s[46:47]
	s_waitcnt lgkmcnt(0)
	s_barrier
	ds_read_b64 v[34:35], v3 offset:3072
	s_waitcnt lgkmcnt(0)
	s_barrier
	v_cmp_eq_f32_e32 vcc, 0, v34
	s_cbranch_vccz .LBB127_290
; %bb.285:                              ;   in Loop: Header=BB127_287 Depth=2
	v_lshl_add_u64 v[8:9], v[8:9], 0, s[76:77]
	v_cmp_le_u64_e32 vcc, s[40:41], v[8:9]
	v_lshl_add_u64 v[4:5], v[4:5], 0, s[86:87]
	s_mov_b64 s[46:47], 0
	s_orn2_b64 s[48:49], vcc, exec
.LBB127_286:                            ;   in Loop: Header=BB127_287 Depth=2
	s_and_b64 s[48:49], exec, s[48:49]
	s_or_b64 s[42:43], s[48:49], s[42:43]
	s_andn2_b64 s[44:45], s[44:45], exec
	s_and_b64 s[46:47], s[46:47], exec
	s_or_b64 s[44:45], s[44:45], s[46:47]
	s_andn2_b64 exec, exec, s[42:43]
	s_cbranch_execz .LBB127_291
.LBB127_287:                            ;   Parent Loop BB127_43 Depth=1
                                        ; =>  This Inner Loop Header: Depth=2
	v_cmp_gt_u64_e32 vcc, s[56:57], v[8:9]
	s_and_saveexec_b64 s[46:47], vcc
	s_cbranch_execz .LBB127_284
; %bb.288:                              ;   in Loop: Header=BB127_287 Depth=2
	global_load_dword v33, v[4:5], off
	s_waitcnt vmcnt(0)
	v_cmp_lt_i32_e32 vcc, -1, v33
	s_nop 1
	v_cndmask_b32_e32 v10, -1, v55, vcc
	v_xor_b32_e32 v10, v10, v33
	v_cmp_o_f32_e32 vcc, v33, v33
	s_nop 1
	v_cndmask_b32_e32 v10, -1, v10, vcc
	v_and_b32_e32 v10, v10, v57
	v_cmp_eq_u32_e32 vcc, v10, v54
	s_and_b64 exec, exec, vcc
	s_cbranch_execz .LBB127_284
; %bb.289:                              ;   in Loop: Header=BB127_287 Depth=2
	ds_write_b64 v3, v[32:33] offset:3072
	s_branch .LBB127_284
.LBB127_290:                            ;   in Loop: Header=BB127_287 Depth=2
	s_mov_b64 s[48:49], -1
                                        ; implicit-def: $vgpr8_vgpr9
                                        ; implicit-def: $vgpr4_vgpr5
	s_mov_b64 s[46:47], -1
	s_branch .LBB127_286
.LBB127_291:                            ;   in Loop: Header=BB127_43 Depth=1
	s_or_b64 exec, exec, s[42:43]
	s_andn2_b64 s[6:7], s[6:7], exec
	s_and_b64 s[40:41], s[44:45], exec
	s_or_b64 s[6:7], s[6:7], s[40:41]
.LBB127_292:                            ;   in Loop: Header=BB127_43 Depth=1
	s_or_b64 exec, exec, s[30:31]
	s_mov_b64 s[40:41], 0
	s_mov_b64 s[42:43], -1
.LBB127_293:                            ;   in Loop: Header=BB127_43 Depth=1
	s_orn2_b64 s[30:31], s[6:7], exec
.LBB127_294:                            ;   in Loop: Header=BB127_43 Depth=1
	s_or_b64 exec, exec, s[38:39]
	s_mov_b64 s[38:39], 0
	s_and_saveexec_b64 s[6:7], s[30:31]
	s_cbranch_execz .LBB127_305
; %bb.295:                              ;   in Loop: Header=BB127_43 Depth=1
	s_xor_b64 s[30:31], s[8:9], -1
	v_mov_b64_e32 v[4:5], 1
	v_mov_b32_e32 v2, 1
	s_and_saveexec_b64 s[8:9], s[30:31]
	s_cbranch_execz .LBB127_304
; %bb.296:                              ;   in Loop: Header=BB127_43 Depth=1
	v_cmp_ge_u64_e32 vcc, s[2:3], v[6:7]
	s_and_saveexec_b64 s[30:31], vcc
	s_xor_b64 s[30:31], exec, s[30:31]
	s_cbranch_execz .LBB127_301
; %bb.297:                              ;   in Loop: Header=BB127_43 Depth=1
	ds_read_b64 v[4:5], v3 offset:5120
	v_or_b32_e32 v54, s70, v54
	v_or_b32_e32 v57, s70, v57
	s_waitcnt lgkmcnt(0)
	v_cmp_ne_u64_e32 vcc, 0, v[4:5]
	s_cbranch_vccnz .LBB127_301
; %bb.298:                              ;   in Loop: Header=BB127_43 Depth=1
	s_mov_b64 s[38:39], exec
	v_readlane_b32 s44, v64, 12
	v_readlane_b32 s45, v64, 13
	s_and_b64 s[44:45], s[38:39], s[44:45]
	s_mov_b64 exec, s[44:45]
; %bb.299:                              ;   in Loop: Header=BB127_43 Depth=1
	v_mov_b64_e32 v[4:5], s[2:3]
	ds_write_b64 v3, v[4:5] offset:5128
; %bb.300:                              ;   in Loop: Header=BB127_43 Depth=1
	s_or_b64 exec, exec, s[38:39]
	s_waitcnt lgkmcnt(0)
	s_barrier
.LBB127_301:                            ;   in Loop: Header=BB127_43 Depth=1
	s_andn2_saveexec_b64 s[30:31], s[30:31]
; %bb.302:                              ;   in Loop: Header=BB127_43 Depth=1
	v_mov_b32_e32 v2, s3
	v_subrev_co_u32_e32 v6, vcc, s2, v6
	s_nop 1
	v_subb_co_u32_e32 v7, vcc, v7, v2, vcc
; %bb.303:                              ;   in Loop: Header=BB127_43 Depth=1
	s_or_b64 exec, exec, s[30:31]
	v_mov_b32_e32 v2, 8
	v_mov_b64_e32 v[4:5], v[6:7]
.LBB127_304:                            ;   in Loop: Header=BB127_43 Depth=1
	s_or_b64 exec, exec, s[8:9]
	s_mov_b64 s[38:39], exec
	v_mov_b64_e32 v[6:7], v[4:5]
.LBB127_305:                            ;   in Loop: Header=BB127_43 Depth=1
	s_or_b64 exec, exec, s[6:7]
	s_orn2_b64 s[6:7], s[38:39], exec
.LBB127_306:                            ;   in Loop: Header=BB127_43 Depth=1
	s_or_b64 exec, exec, s[22:23]
	s_andn2_b64 s[2:3], s[36:37], exec
	s_and_b64 s[8:9], s[42:43], exec
	s_or_b64 s[36:37], s[2:3], s[8:9]
	s_andn2_b64 s[2:3], s[34:35], exec
	s_and_b64 s[8:9], s[40:41], exec
	s_or_b64 s[34:35], s[2:3], s[8:9]
	s_and_b64 s[30:31], s[6:7], exec
	v_mov_b64_e32 v[4:5], v[6:7]
.LBB127_307:                            ;   in Loop: Header=BB127_43 Depth=1
	s_or_b64 exec, exec, s[14:15]
	s_orn2_b64 s[6:7], s[30:31], exec
.LBB127_308:                            ;   in Loop: Header=BB127_43 Depth=1
	s_or_b64 exec, exec, s[28:29]
	s_andn2_b64 s[2:3], s[24:25], exec
	s_and_b64 s[8:9], s[36:37], exec
	s_or_b64 s[24:25], s[2:3], s[8:9]
	s_andn2_b64 s[0:1], s[0:1], exec
	s_and_b64 s[2:3], s[34:35], exec
	s_or_b64 s[0:1], s[0:1], s[2:3]
	s_and_b64 s[14:15], s[6:7], exec
	v_mov_b64_e32 v[8:9], v[4:5]
.LBB127_309:                            ;   in Loop: Header=BB127_43 Depth=1
	s_or_b64 exec, exec, s[26:27]
	s_orn2_b64 s[6:7], s[14:15], exec
.LBB127_310:                            ;   in Loop: Header=BB127_43 Depth=1
	s_or_b64 exec, exec, s[20:21]
	s_mov_b64 s[8:9], 0
	s_and_saveexec_b64 s[2:3], s[6:7]
	s_xor_b64 s[2:3], exec, s[2:3]
	s_cbranch_execz .LBB127_41
; %bb.311:                              ;   in Loop: Header=BB127_43 Depth=1
	v_and_b32_e32 v2, 7, v2
	v_cmp_eq_u32_e32 vcc, 0, v2
	s_mov_b64 s[6:7], -1
	s_mov_b64 s[8:9], -1
	s_and_saveexec_b64 s[14:15], vcc
	s_cbranch_execz .LBB127_40
; %bb.312:                              ;   in Loop: Header=BB127_43 Depth=1
	s_xor_b32 s64, s64, 1
	s_add_i32 s18, s5, -2
	s_cmp_eq_u32 s5, 0
	s_cselect_b64 s[6:7], -1, 0
	s_xor_b64 s[8:9], exec, -1
	s_orn2_b64 s[6:7], s[6:7], exec
	s_mov_b32 s5, s18
	s_branch .LBB127_40
.LBB127_313:                            ;   in Loop: Header=BB127_43 Depth=1
                                        ; implicit-def: $sgpr44_sgpr45
	s_branch .LBB127_264
.LBB127_314:                            ;   in Loop: Header=BB127_43 Depth=1
                                        ; implicit-def: $sgpr30_sgpr31
	s_branch .LBB127_281
.LBB127_315:
	s_or_b64 exec, exec, s[74:75]
	s_xor_b64 s[4:5], s[10:11], -1
	s_xor_b64 s[2:3], s[66:67], -1
	;; [unrolled: 1-line block ×3, first 2 shown]
	s_mov_b64 s[0:1], 0
	s_and_saveexec_b64 s[8:9], s[2:3]
	s_xor_b64 s[2:3], exec, s[8:9]
	s_cbranch_execnz .LBB127_320
; %bb.316:
	s_andn2_saveexec_b64 s[2:3], s[2:3]
	s_cbranch_execnz .LBB127_333
.LBB127_317:
	s_or_b64 exec, exec, s[2:3]
	s_and_saveexec_b64 s[2:3], s[0:1]
.LBB127_318:
	; divergent unreachable
.LBB127_319:
	s_endpgm
.LBB127_320:
	s_and_saveexec_b64 s[0:1], s[4:5]
	s_xor_b64 s[4:5], exec, s[0:1]
	s_cbranch_execz .LBB127_331
; %bb.321:
	s_and_saveexec_b64 s[0:1], s[6:7]
	s_xor_b64 s[0:1], exec, s[0:1]
; %bb.322:
	v_bfrev_b32_e32 v2, 1
	v_cmp_lt_i32_e32 vcc, -1, v54
	s_nop 1
	v_cndmask_b32_e64 v2, v2, -1, vcc
	v_xor_b32_e32 v35, v2, v54
; %bb.323:
	s_or_b64 exec, exec, s[0:1]
	v_readlane_b32 s8, v64, 0
	v_readlane_b32 s6, v64, 2
	;; [unrolled: 1-line block ×4, first 2 shown]
	s_mul_i32 s0, s6, s9
	s_mul_hi_u32 s1, s6, s8
	s_add_i32 s0, s1, s0
	s_mul_i32 s1, s7, s8
	s_add_i32 s1, s0, s1
	s_mul_i32 s0, s6, s8
	s_lshl_b64 s[0:1], s[0:1], 2
	v_readlane_b32 s6, v64, 6
	v_readlane_b32 s7, v64, 7
	s_add_u32 s6, s6, s0
	s_addc_u32 s7, s7, s1
	s_lshl_b64 s[0:1], s[58:59], 2
	s_add_u32 s0, s6, s0
	s_addc_u32 s1, s7, s1
	v_mov_b32_e32 v2, 0
	global_store_dword v2, v35, s[0:1]
	s_mov_b64 s[6:7], exec
	v_readlane_b32 s0, v64, 10
	v_readlane_b32 s1, v64, 11
	s_and_b64 s[0:1], s[6:7], s[0:1]
	s_mov_b64 exec, s[0:1]
	s_cbranch_execz .LBB127_330
; %bb.324:
	v_cmp_u_f32_e32 vcc, v35, v35
	s_mov_b64 s[8:9], 0
	s_xor_b64 s[12:13], vcc, -1
                                        ; implicit-def: $sgpr10_sgpr11
                                        ; implicit-def: $sgpr16_sgpr17
                                        ; implicit-def: $sgpr14_sgpr15
	s_branch .LBB127_326
.LBB127_325:                            ;   in Loop: Header=BB127_326 Depth=1
	s_or_b64 exec, exec, s[0:1]
	s_and_b64 s[0:1], exec, s[16:17]
	s_or_b64 s[8:9], s[0:1], s[8:9]
	s_andn2_b64 s[0:1], s[10:11], exec
	s_and_b64 s[10:11], s[14:15], exec
	s_or_b64 s[10:11], s[0:1], s[10:11]
	s_andn2_b64 exec, exec, s[8:9]
	s_cbranch_execz .LBB127_328
.LBB127_326:                            ; =>This Inner Loop Header: Depth=1
	global_load_dword v4, v[14:15], off
	v_mov_b64_e32 v[2:3], v[0:1]
	s_or_b64 s[14:15], s[14:15], exec
	s_or_b64 s[16:17], s[16:17], exec
                                        ; implicit-def: $vgpr0_vgpr1
	s_waitcnt vmcnt(0)
	v_cmp_o_f32_e64 s[0:1], v4, v4
	v_cmp_neq_f32_e32 vcc, v4, v35
	s_or_b64 s[0:1], s[0:1], s[12:13]
	s_and_b64 s[18:19], vcc, s[0:1]
	s_and_saveexec_b64 s[0:1], s[18:19]
	s_cbranch_execz .LBB127_325
; %bb.327:                              ;   in Loop: Header=BB127_326 Depth=1
	v_lshl_add_u64 v[0:1], v[2:3], 0, s[76:77]
	v_cmp_le_u64_e32 vcc, s[56:57], v[0:1]
	s_andn2_b64 s[16:17], s[16:17], exec
	s_and_b64 s[18:19], vcc, exec
	v_lshl_add_u64 v[14:15], v[14:15], 0, s[86:87]
	s_andn2_b64 s[14:15], s[14:15], exec
	s_or_b64 s[16:17], s[16:17], s[18:19]
	s_branch .LBB127_325
.LBB127_328:
	s_or_b64 exec, exec, s[8:9]
	s_and_saveexec_b64 s[0:1], s[10:11]
	s_xor_b64 s[0:1], exec, s[0:1]
	s_cbranch_execz .LBB127_330
; %bb.329:
	v_readlane_b32 s8, v64, 4
	v_readlane_b32 s9, v64, 5
	s_mul_i32 s0, s8, s69
	s_mul_hi_u32 s1, s8, s68
	s_add_i32 s0, s1, s0
	s_mul_i32 s1, s9, s68
	s_add_i32 s1, s0, s1
	s_mul_i32 s0, s8, s68
	s_lshl_b64 s[0:1], s[0:1], 3
	v_readlane_b32 s8, v64, 8
	v_readlane_b32 s9, v64, 9
	s_add_u32 s8, s8, s0
	s_addc_u32 s9, s9, s1
	s_lshl_b64 s[0:1], s[62:63], 3
	s_add_u32 s0, s8, s0
	s_addc_u32 s1, s9, s1
	v_mov_b32_e32 v0, 0
	global_store_dwordx2 v0, v[2:3], s[0:1]
.LBB127_330:
	s_or_b64 exec, exec, s[6:7]
.LBB127_331:
	s_or_saveexec_b64 s[0:1], s[4:5]
	s_mov_b64 s[4:5], 0
	s_xor_b64 exec, exec, s[0:1]
	s_cbranch_execnz .LBB127_334
.LBB127_332:
	s_or_b64 exec, exec, s[0:1]
	s_and_b64 s[0:1], s[4:5], exec
	s_andn2_saveexec_b64 s[2:3], s[2:3]
	s_cbranch_execz .LBB127_317
.LBB127_333:
	s_or_b64 s[0:1], s[0:1], exec
	s_trap 2
	s_or_b64 exec, exec, s[2:3]
	s_and_saveexec_b64 s[2:3], s[0:1]
	s_cbranch_execnz .LBB127_318
	s_branch .LBB127_319
.LBB127_334:
	s_mov_b64 s[4:5], exec
	s_trap 2
	s_branch .LBB127_332
	.section	.rodata,"a",@progbits
	.p2align	6, 0x0
	.amdhsa_kernel _ZN2at6native12_GLOBAL__N_112gatherMedianIfmLin1EEEvNS_4cuda6detail10TensorInfoIT_T0_EENS5_IlS7_EENS5_IKS6_S7_EES7_S7_S7_b
		.amdhsa_group_segment_fixed_size 5152
		.amdhsa_private_segment_fixed_size 0
		.amdhsa_kernarg_size 1536
		.amdhsa_user_sgpr_count 2
		.amdhsa_user_sgpr_dispatch_ptr 0
		.amdhsa_user_sgpr_queue_ptr 0
		.amdhsa_user_sgpr_kernarg_segment_ptr 1
		.amdhsa_user_sgpr_dispatch_id 0
		.amdhsa_user_sgpr_kernarg_preload_length 0
		.amdhsa_user_sgpr_kernarg_preload_offset 0
		.amdhsa_user_sgpr_private_segment_size 0
		.amdhsa_uses_dynamic_stack 0
		.amdhsa_enable_private_segment 0
		.amdhsa_system_sgpr_workgroup_id_x 1
		.amdhsa_system_sgpr_workgroup_id_y 1
		.amdhsa_system_sgpr_workgroup_id_z 1
		.amdhsa_system_sgpr_workgroup_info 0
		.amdhsa_system_vgpr_workitem_id 0
		.amdhsa_next_free_vgpr 65
		.amdhsa_next_free_sgpr 100
		.amdhsa_accum_offset 68
		.amdhsa_reserve_vcc 1
		.amdhsa_float_round_mode_32 0
		.amdhsa_float_round_mode_16_64 0
		.amdhsa_float_denorm_mode_32 3
		.amdhsa_float_denorm_mode_16_64 3
		.amdhsa_dx10_clamp 1
		.amdhsa_ieee_mode 1
		.amdhsa_fp16_overflow 0
		.amdhsa_tg_split 0
		.amdhsa_exception_fp_ieee_invalid_op 0
		.amdhsa_exception_fp_denorm_src 0
		.amdhsa_exception_fp_ieee_div_zero 0
		.amdhsa_exception_fp_ieee_overflow 0
		.amdhsa_exception_fp_ieee_underflow 0
		.amdhsa_exception_fp_ieee_inexact 0
		.amdhsa_exception_int_div_zero 0
	.end_amdhsa_kernel
	.section	.text._ZN2at6native12_GLOBAL__N_112gatherMedianIfmLin1EEEvNS_4cuda6detail10TensorInfoIT_T0_EENS5_IlS7_EENS5_IKS6_S7_EES7_S7_S7_b,"axG",@progbits,_ZN2at6native12_GLOBAL__N_112gatherMedianIfmLin1EEEvNS_4cuda6detail10TensorInfoIT_T0_EENS5_IlS7_EENS5_IKS6_S7_EES7_S7_S7_b,comdat
.Lfunc_end127:
	.size	_ZN2at6native12_GLOBAL__N_112gatherMedianIfmLin1EEEvNS_4cuda6detail10TensorInfoIT_T0_EENS5_IlS7_EENS5_IKS6_S7_EES7_S7_S7_b, .Lfunc_end127-_ZN2at6native12_GLOBAL__N_112gatherMedianIfmLin1EEEvNS_4cuda6detail10TensorInfoIT_T0_EENS5_IlS7_EENS5_IKS6_S7_EES7_S7_S7_b
                                        ; -- End function
	.set _ZN2at6native12_GLOBAL__N_112gatherMedianIfmLin1EEEvNS_4cuda6detail10TensorInfoIT_T0_EENS5_IlS7_EENS5_IKS6_S7_EES7_S7_S7_b.num_vgpr, 65
	.set _ZN2at6native12_GLOBAL__N_112gatherMedianIfmLin1EEEvNS_4cuda6detail10TensorInfoIT_T0_EENS5_IlS7_EENS5_IKS6_S7_EES7_S7_S7_b.num_agpr, 0
	.set _ZN2at6native12_GLOBAL__N_112gatherMedianIfmLin1EEEvNS_4cuda6detail10TensorInfoIT_T0_EENS5_IlS7_EENS5_IKS6_S7_EES7_S7_S7_b.numbered_sgpr, 100
	.set _ZN2at6native12_GLOBAL__N_112gatherMedianIfmLin1EEEvNS_4cuda6detail10TensorInfoIT_T0_EENS5_IlS7_EENS5_IKS6_S7_EES7_S7_S7_b.num_named_barrier, 0
	.set _ZN2at6native12_GLOBAL__N_112gatherMedianIfmLin1EEEvNS_4cuda6detail10TensorInfoIT_T0_EENS5_IlS7_EENS5_IKS6_S7_EES7_S7_S7_b.private_seg_size, 0
	.set _ZN2at6native12_GLOBAL__N_112gatherMedianIfmLin1EEEvNS_4cuda6detail10TensorInfoIT_T0_EENS5_IlS7_EENS5_IKS6_S7_EES7_S7_S7_b.uses_vcc, 1
	.set _ZN2at6native12_GLOBAL__N_112gatherMedianIfmLin1EEEvNS_4cuda6detail10TensorInfoIT_T0_EENS5_IlS7_EENS5_IKS6_S7_EES7_S7_S7_b.uses_flat_scratch, 0
	.set _ZN2at6native12_GLOBAL__N_112gatherMedianIfmLin1EEEvNS_4cuda6detail10TensorInfoIT_T0_EENS5_IlS7_EENS5_IKS6_S7_EES7_S7_S7_b.has_dyn_sized_stack, 0
	.set _ZN2at6native12_GLOBAL__N_112gatherMedianIfmLin1EEEvNS_4cuda6detail10TensorInfoIT_T0_EENS5_IlS7_EENS5_IKS6_S7_EES7_S7_S7_b.has_recursion, 0
	.set _ZN2at6native12_GLOBAL__N_112gatherMedianIfmLin1EEEvNS_4cuda6detail10TensorInfoIT_T0_EENS5_IlS7_EENS5_IKS6_S7_EES7_S7_S7_b.has_indirect_call, 0
	.section	.AMDGPU.csdata,"",@progbits
; Kernel info:
; codeLenInByte = 18492
; TotalNumSgprs: 106
; NumVgprs: 65
; NumAgprs: 0
; TotalNumVgprs: 65
; ScratchSize: 0
; MemoryBound: 0
; FloatMode: 240
; IeeeMode: 1
; LDSByteSize: 5152 bytes/workgroup (compile time only)
; SGPRBlocks: 13
; VGPRBlocks: 8
; NumSGPRsForWavesPerEU: 106
; NumVGPRsForWavesPerEU: 65
; AccumOffset: 68
; Occupancy: 7
; WaveLimiterHint : 1
; COMPUTE_PGM_RSRC2:SCRATCH_EN: 0
; COMPUTE_PGM_RSRC2:USER_SGPR: 2
; COMPUTE_PGM_RSRC2:TRAP_HANDLER: 0
; COMPUTE_PGM_RSRC2:TGID_X_EN: 1
; COMPUTE_PGM_RSRC2:TGID_Y_EN: 1
; COMPUTE_PGM_RSRC2:TGID_Z_EN: 1
; COMPUTE_PGM_RSRC2:TIDIG_COMP_CNT: 0
; COMPUTE_PGM_RSRC3_GFX90A:ACCUM_OFFSET: 16
; COMPUTE_PGM_RSRC3_GFX90A:TG_SPLIT: 0
	.section	.text._ZN2at6native12_GLOBAL__N_112gatherMedianIN3c104HalfEjLi1EEEvNS_4cuda6detail10TensorInfoIT_T0_EENS7_IlS9_EENS7_IKS8_S9_EES9_S9_S9_b,"axG",@progbits,_ZN2at6native12_GLOBAL__N_112gatherMedianIN3c104HalfEjLi1EEEvNS_4cuda6detail10TensorInfoIT_T0_EENS7_IlS9_EENS7_IKS8_S9_EES9_S9_S9_b,comdat
	.globl	_ZN2at6native12_GLOBAL__N_112gatherMedianIN3c104HalfEjLi1EEEvNS_4cuda6detail10TensorInfoIT_T0_EENS7_IlS9_EENS7_IKS8_S9_EES9_S9_S9_b ; -- Begin function _ZN2at6native12_GLOBAL__N_112gatherMedianIN3c104HalfEjLi1EEEvNS_4cuda6detail10TensorInfoIT_T0_EENS7_IlS9_EENS7_IKS8_S9_EES9_S9_S9_b
	.p2align	8
	.type	_ZN2at6native12_GLOBAL__N_112gatherMedianIN3c104HalfEjLi1EEEvNS_4cuda6detail10TensorInfoIT_T0_EENS7_IlS9_EENS7_IKS8_S9_EES9_S9_S9_b,@function
_ZN2at6native12_GLOBAL__N_112gatherMedianIN3c104HalfEjLi1EEEvNS_4cuda6detail10TensorInfoIT_T0_EENS7_IlS9_EENS7_IKS8_S9_EES9_S9_S9_b: ; @_ZN2at6native12_GLOBAL__N_112gatherMedianIN3c104HalfEjLi1EEEvNS_4cuda6detail10TensorInfoIT_T0_EENS7_IlS9_EENS7_IKS8_S9_EES9_S9_S9_b
; %bb.0:
	s_load_dwordx2 s[10:11], s[0:1], 0x298
	s_load_dwordx4 s[64:67], s[0:1], 0x288
	s_add_u32 s8, s0, 0x298
	s_addc_u32 s9, s1, 0
	s_waitcnt lgkmcnt(0)
	s_mul_i32 s4, s11, s4
	s_add_i32 s3, s4, s3
	s_mul_i32 s3, s3, s10
	s_add_i32 s6, s3, s2
	s_cmp_ge_u32 s6, s65
	s_cbranch_scc1 .LBB128_271
; %bb.1:
	s_load_dword s3, s[0:1], 0x21c
	s_load_dwordx2 s[4:5], s[0:1], 0x1b0
	s_load_dwordx2 s[12:13], s[0:1], 0xd8
                                        ; implicit-def: $vgpr80 : SGPR spill to VGPR lane
	s_mov_b32 s7, 0
	v_mov_b32_e32 v2, 0
	s_waitcnt lgkmcnt(0)
	v_writelane_b32 v80, s12, 0
	s_nop 1
	v_writelane_b32 v80, s13, 1
	s_load_dwordx2 s[12:13], s[0:1], 0x0
	s_waitcnt lgkmcnt(0)
	v_writelane_b32 v80, s12, 2
	s_nop 1
	v_writelane_b32 v80, s13, 3
	v_writelane_b32 v80, s6, 4
	s_mul_i32 s6, s3, s6
	s_lshl_b64 s[6:7], s[6:7], 1
	s_add_u32 s70, s4, s6
	s_addc_u32 s71, s5, s7
	v_cmp_gt_u32_e64 s[6:7], s64, v0
	s_mov_b64 s[4:5], exec
	s_nop 0
	v_writelane_b32 v80, s6, 5
	s_nop 1
	v_writelane_b32 v80, s7, 6
	s_and_b64 s[6:7], s[4:5], s[6:7]
	s_mov_b64 exec, s[6:7]
	s_cbranch_execz .LBB128_5
; %bb.2:
	s_load_dword s3, s[8:9], 0xc
	v_mov_b32_e32 v5, 0
	v_mul_lo_u32 v4, v0, s66
	s_mov_b64 s[6:7], 0
	v_mov_b32_e32 v2, v5
	s_waitcnt lgkmcnt(0)
	s_and_b32 s3, s3, 0xffff
	s_mul_i32 s11, s66, s3
	v_mov_b32_e32 v1, v0
.LBB128_3:                              ; =>This Inner Loop Header: Depth=1
	v_lshl_add_u64 v[6:7], v[4:5], 1, s[70:71]
	global_load_ushort v3, v[6:7], off
	v_add_u32_e32 v1, s3, v1
	v_cmp_le_u32_e32 vcc, s64, v1
	s_or_b64 s[6:7], vcc, s[6:7]
	v_add_u32_e32 v4, s11, v4
	s_waitcnt vmcnt(0)
	v_cmp_u_f16_e32 vcc, v3, v3
	s_nop 1
	v_addc_co_u32_e32 v2, vcc, 0, v2, vcc
	s_andn2_b64 exec, exec, s[6:7]
	s_cbranch_execnz .LBB128_3
; %bb.4:
	s_or_b64 exec, exec, s[6:7]
.LBB128_5:
	s_or_b64 exec, exec, s[4:5]
	s_load_dword s3, s[0:1], 0x144
                                        ; kill: killed $sgpr0 killed $sgpr1
	v_cmp_eq_u32_e64 s[4:5], 0, v0
	s_waitcnt lgkmcnt(0)
	v_writelane_b32 v80, s3, 9
	s_load_dword s3, s[0:1], 0x6c
	s_waitcnt lgkmcnt(0)
	v_writelane_b32 v80, s3, 10
	s_mov_b64 s[0:1], exec
	v_writelane_b32 v80, s4, 7
	s_nop 1
	v_writelane_b32 v80, s5, 8
	s_and_b64 s[4:5], s[0:1], s[4:5]
	s_mov_b64 exec, s[4:5]
; %bb.6:
	v_mov_b32_e32 v4, 0
	v_mov_b32_e32 v5, v4
	ds_write_b64 v4, v[4:5] offset:4096
; %bb.7:
	s_or_b64 exec, exec, s[0:1]
	v_cmp_ne_u32_e32 vcc, 0, v2
	s_waitcnt lgkmcnt(0)
	s_barrier
	s_and_saveexec_b64 s[0:1], vcc
	s_cbranch_execz .LBB128_12
; %bb.8:
	s_mov_b64 s[6:7], exec
	v_mov_b32_e32 v1, 0
	s_mov_b64 s[4:5], 0
.LBB128_9:                              ; =>This Inner Loop Header: Depth=1
	s_ff1_i32_b64 s3, s[6:7]
	v_readlane_b32 s12, v2, s3
	v_readlane_b32 s11, v1, s3
	s_add_u32 s4, s4, s12
	s_addc_u32 s5, s5, s11
	s_lshl_b64 s[12:13], 1, s3
	s_andn2_b64 s[6:7], s[6:7], s[12:13]
	s_cmp_lg_u64 s[6:7], 0
	s_cbranch_scc1 .LBB128_9
; %bb.10:
	v_mbcnt_lo_u32_b32 v1, exec_lo, 0
	v_mbcnt_hi_u32_b32 v1, exec_hi, v1
	v_cmp_eq_u32_e32 vcc, 0, v1
	s_and_saveexec_b64 s[6:7], vcc
	s_xor_b64 s[6:7], exec, s[6:7]
; %bb.11:
	v_mov_b32_e32 v1, 0
	v_mov_b64_e32 v[2:3], s[4:5]
	ds_add_u64 v1, v[2:3] offset:4096
.LBB128_12:
	s_or_b64 exec, exec, s[0:1]
	v_mov_b32_e32 v1, 0
	s_waitcnt lgkmcnt(0)
	s_barrier
	ds_read_b64 v[2:3], v1 offset:4096
	s_bitcmp1_b32 s67, 0
	s_cselect_b64 s[4:5], -1, 0
	s_mov_b32 s3, s64
	s_waitcnt lgkmcnt(0)
	v_readfirstlane_b32 s0, v2
	v_readfirstlane_b32 s1, v3
	s_nop 1
	v_cmp_lt_i64_e64 s[6:7], s[0:1], 1
	s_or_b64 s[4:5], s[4:5], s[6:7]
	s_andn2_b64 vcc, exec, s[4:5]
	s_cbranch_vccnz .LBB128_14
; %bb.13:
	s_not_b64 s[0:1], s[0:1]
	s_add_u32 s0, s0, s64
	s_addc_u32 s1, s1, 0
	s_lshr_b32 s3, s1, 31
	s_add_u32 s0, s0, s3
	s_addc_u32 s1, s1, 0
	s_lshr_b64 s[0:1], s[0:1], 1
	s_add_i32 s3, s0, 1
.LBB128_14:
	s_mov_b64 s[0:1], exec
	v_readlane_b32 s4, v80, 7
	v_readlane_b32 s5, v80, 8
	s_and_b64 s[4:5], s[0:1], s[4:5]
	s_mov_b64 exec, s[4:5]
	s_cbranch_execz .LBB128_16
; %bb.15:
	v_mov_b32_e32 v2, 0
	v_mov_b32_e32 v3, s64
	ds_write_b32 v2, v2 offset:4112
	ds_write_b64 v2, v[2:3] offset:4104
.LBB128_16:
	s_or_b64 exec, exec, s[0:1]
	s_waitcnt lgkmcnt(0)
	s_barrier
	s_load_dword s11, s[8:9], 0xc
	v_mbcnt_lo_u32_b32 v1, -1, 0
	v_mbcnt_hi_u32_b32 v20, -1, v1
	v_cmp_gt_u32_e32 vcc, 64, v0
	v_cmp_gt_i32_e64 s[0:1], 4, v20
	s_waitcnt lgkmcnt(0)
	s_and_b32 s67, s11, 0xffff
	s_add_i32 s87, s67, -1
	s_lshl_b32 s33, s67, 2
	s_and_b64 s[76:77], vcc, s[0:1]
	s_add_i32 s0, s87, s64
	s_cmpk_gt_u32 s64, 0x600
	s_cselect_b64 s[14:15], -1, 0
	s_cmp_gt_u32 s67, 63
	v_lshlrev_b64 v[2:3], v20, -1
	s_cselect_b64 s[80:81], -1, 0
	v_not_b32_e32 v16, v2
	v_lshrrev_b32_e32 v2, 2, v0
	s_cmp_lt_u32 s2, s10
	v_and_b32_e32 v2, 0xf0, v2
	s_cselect_b32 s1, 12, 18
	v_writelane_b32 v80, s14, 11
	v_or_b32_e32 v23, 0xc00, v2
	s_add_u32 s8, s8, s1
	v_add_u32_e32 v2, 2, v0
	v_writelane_b32 v80, s15, 12
	s_addc_u32 s9, s9, 0
	v_max_u32_e32 v2, s64, v2
	v_writelane_b32 v80, s8, 13
	v_xad_u32 v2, v0, -1, v2
	v_not_b32_e32 v1, v3
	v_writelane_b32 v80, s9, 14
	v_add_u32_e32 v3, -4, v2
	s_bfe_u32 s8, s11, 0xa0006
	v_cmp_lt_u32_e64 s[10:11], 31, v2
	v_lshrrev_b32_e32 v5, 2, v3
	v_add_u32_e32 v5, 1, v5
	v_writelane_b32 v80, s10, 15
	v_and_b32_e32 v6, 3, v5
	s_add_i32 s1, s8, -2
	v_writelane_b32 v80, s11, 16
	v_cmp_lt_u32_e64 s[10:11], 11, v3
	s_lshr_b32 s2, s1, 1
	v_and_b32_e32 v24, -4, v2
	v_writelane_b32 v80, s10, 17
	s_add_i32 s2, s2, 1
	s_cmpk_gt_u32 s67, 0x7f
	v_writelane_b32 v80, s11, 18
	v_cmp_ne_u32_e64 s[10:11], 0, v6
	v_lshlrev_b32_e32 v17, 2, v0
	v_mov_b32_e32 v13, 0
	v_writelane_b32 v80, s10, 19
	s_mov_b32 s12, 0
	v_lshlrev_b32_e32 v21, 1, v0
	v_writelane_b32 v80, s11, 20
	v_cmp_ne_u32_e64 s[10:11], v2, v24
	v_cvt_f32_u32_e32 v2, s33
	v_mul_lo_u32 v10, s66, v0
	v_writelane_b32 v80, s10, 21
	v_mov_b32_e32 v11, v13
	v_rcp_iflag_f32_e32 v2, v2
	v_writelane_b32 v80, s11, 22
	s_cselect_b64 s[10:11], -1, 0
	v_writelane_b32 v80, s10, 23
	s_and_b32 s9, s8, 0x3fe
	v_mul_f32_e32 v2, 0x4f7ffffe, v2
	v_writelane_b32 v80, s11, 24
	s_and_b32 s10, s2, 7
	s_cmp_gt_u32 s1, 13
	s_cselect_b64 s[14:15], -1, 0
	v_writelane_b32 v80, s14, 25
	s_and_b32 s1, s2, -8
	s_cmp_lg_u32 s10, 0
	v_writelane_b32 v80, s15, 26
	v_writelane_b32 v80, s1, 27
	v_cvt_u32_f32_e32 v2, v2
	v_writelane_b32 v80, s10, 28
	s_cselect_b64 s[10:11], -1, 0
	v_writelane_b32 v80, s10, 29
	s_cmp_lg_u32 s9, s8
	v_readfirstlane_b32 s2, v2
	v_writelane_b32 v80, s11, 30
	v_writelane_b32 v80, s8, 31
	v_cvt_f32_u32_e32 v2, s67
	v_writelane_b32 v80, s9, 32
	s_cselect_b64 s[8:9], -1, 0
	s_sub_i32 s1, 0, s33
	s_mul_i32 s1, s1, s2
	s_mul_hi_u32 s1, s2, s1
	s_add_i32 s23, s2, s1
	v_rcp_iflag_f32_e32 v2, v2
	s_mul_hi_u32 s1, s64, s23
	s_mul_i32 s1, s1, s33
	s_sub_i32 s1, s64, s1
	s_sub_i32 s2, s1, s33
	v_mul_f32_e32 v2, 0x4f7ffffe, v2
	s_cmp_ge_u32 s1, s33
	v_cvt_u32_f32_e32 v2, v2
	s_cselect_b32 s1, s2, s1
	s_sub_i32 s2, s1, s33
	v_writelane_b32 v80, s8, 33
	s_cmp_ge_u32 s1, s33
	s_cselect_b32 s1, s2, s1
	v_writelane_b32 v80, s9, 34
	s_sub_i32 s2, 0, s67
	v_readfirstlane_b32 s8, v2
	s_mul_i32 s2, s2, s8
	s_mul_hi_u32 s2, s8, s2
	s_add_i32 s82, s8, s2
	s_mul_hi_u32 s2, s0, s82
	s_mul_i32 s2, s2, s67
	s_sub_i32 s2, s0, s2
	s_sub_i32 s88, s64, s1
	;; [unrolled: 1-line block ×3, first 2 shown]
	s_cmp_ge_u32 s2, s67
	s_cselect_b32 s2, s8, s2
	s_sub_i32 s8, s2, s67
	s_cmp_ge_u32 s2, s67
	v_mul_lo_u32 v2, s66, v17
	s_cselect_b32 s2, s8, s2
	v_add_u32_e32 v29, s66, v2
	v_or_b32_e32 v2, 2, v17
	s_sub_i32 s83, s0, s2
	v_mul_lo_u32 v30, s66, v2
	v_or_b32_e32 v2, 3, v17
	s_add_i32 s0, s67, s64
	v_add_u32_e32 v27, s88, v0
	v_mul_lo_u32 v31, s66, v2
	v_add_u32_e32 v2, s0, v0
	v_lshlrev_b32_e32 v4, 2, v20
	v_mul_lo_u32 v12, v27, s66
	v_cmp_gt_u32_e64 s[8:9], s83, v0
	s_mul_i32 s86, s66, s67
	v_subrev_u32_e32 v2, s1, v2
	s_mov_b32 s65, 0xffff
	s_mov_b32 s13, 1
	v_cmp_eq_u32_e64 s[4:5], 0, v20
	v_cmp_gt_u32_e64 s[6:7], 2, v0
	v_add_u32_e32 v22, 0xc00, v21
	v_lshl_add_u64 v[14:15], v[10:11], 1, s[70:71]
	v_and_b32_e32 v11, 0x100, v4
	v_add_u32_e32 v25, v0, v24
	s_mov_b32 s89, s66
	s_mov_b32 s90, s66
	;; [unrolled: 1-line block ×4, first 2 shown]
	v_and_b32_e32 v26, 0x7ffffffc, v5
	v_cmp_gt_u32_e64 s[16:17], s88, v17
	v_cmp_gt_u32_e64 s[18:19], s64, v27
	v_lshl_add_u64 v[18:19], v[12:13], 1, s[70:71]
	v_writelane_b32 v80, s8, 35
	v_lshlrev_b32_e32 v28, 3, v6
	s_lshl_b32 s84, s86, 2
	v_lshlrev_b32_e32 v32, 2, v10
	v_mul_lo_u32 v34, s66, v2
	v_lshlrev_b32_e32 v35, 3, v0
	s_lshl_b32 s85, s67, 3
	s_lshl_b32 s20, s67, 1
	v_or_b32_e32 v36, 0xc00, v4
	s_mov_b64 s[92:93], 0
	v_mov_b32_e32 v37, 14
	v_mov_b32_e32 v45, s3
	s_mov_b32 s21, 0x5040100
	v_mov_b32_e32 v50, s64
	s_movk_i32 s78, 0x3c00
	v_mov_b32_e32 v38, 0xffff
	v_mov_b32_e32 v39, 0x8000
	v_mov_b32_e32 v40, -1
	v_mov_b32_e32 v41, 0xc00
	v_mov_b32_e32 v42, 0x5040100
	;; [unrolled: 1-line block ×3, first 2 shown]
	s_mov_b32 s79, s12
	v_mov_b32_e32 v33, 0
	v_mov_b32_e32 v43, 0
	v_writelane_b32 v80, s9, 36
                                        ; implicit-def: $sgpr94_sgpr95
                                        ; implicit-def: $sgpr98_sgpr99
                                        ; implicit-def: $sgpr96_sgpr97
                                        ; implicit-def: $sgpr68_sgpr69
                                        ; implicit-def: $sgpr12_sgpr13
                                        ; implicit-def: $sgpr10_sgpr11
	s_branch .LBB128_20
.LBB128_17:                             ;   in Loop: Header=BB128_20 Depth=1
	s_or_b64 exec, exec, s[26:27]
	s_and_b64 s[14:15], s[14:15], exec
	s_andn2_b64 s[30:31], s[30:31], exec
	s_andn2_b64 s[28:29], s[28:29], exec
	s_orn2_b64 s[2:3], s[2:3], exec
.LBB128_18:                             ;   in Loop: Header=BB128_20 Depth=1
	s_or_b64 exec, exec, s[8:9]
	s_andn2_b64 s[8:9], s[10:11], exec
	s_and_b64 s[10:11], s[14:15], exec
	s_or_b64 s[10:11], s[8:9], s[10:11]
	s_andn2_b64 s[8:9], s[12:13], exec
	s_and_b64 s[12:13], s[30:31], exec
	s_or_b64 s[12:13], s[8:9], s[12:13]
	;; [unrolled: 3-line block ×3, first 2 shown]
	s_orn2_b64 s[2:3], s[2:3], exec
.LBB128_19:                             ;   in Loop: Header=BB128_20 Depth=1
	s_or_b64 exec, exec, s[0:1]
	s_and_b64 s[0:1], exec, s[2:3]
	s_or_b64 s[92:93], s[0:1], s[92:93]
	s_andn2_b64 s[0:1], s[96:97], exec
	s_and_b64 s[2:3], s[10:11], exec
	s_or_b64 s[96:97], s[0:1], s[2:3]
	s_andn2_b64 s[0:1], s[98:99], exec
	s_and_b64 s[2:3], s[12:13], exec
	;; [unrolled: 3-line block ×3, first 2 shown]
	s_or_b64 s[94:95], s[0:1], s[2:3]
	s_mov_b32 s79, s34
	v_mov_b32_e32 v45, v5
	s_andn2_b64 exec, exec, s[92:93]
	s_cbranch_execz .LBB128_267
.LBB128_20:                             ; =>This Loop Header: Depth=1
                                        ;     Child Loop BB128_25 Depth 2
                                        ;     Child Loop BB128_46 Depth 2
	;; [unrolled: 1-line block ×19, first 2 shown]
	ds_read_b64 v[2:3], v13 offset:4104
	s_waitcnt lgkmcnt(0)
	v_readfirstlane_b32 s24, v2
	s_cmp_lg_u32 s24, 0
	s_cbranch_scc1 .LBB128_65
; %bb.21:                               ;   in Loop: Header=BB128_20 Depth=1
	v_readlane_b32 s0, v80, 11
	v_readlane_b32 s1, v80, 12
	s_and_b64 vcc, exec, s[0:1]
	s_cbranch_vccz .LBB128_33
; %bb.22:                               ;   in Loop: Header=BB128_20 Depth=1
	s_movk_i32 s0, 0x601
	v_cmp_gt_u32_e32 vcc, s0, v3
	s_mov_b64 s[8:9], 0
	s_mov_b64 s[0:1], 0
	s_cbranch_vccz .LBB128_34
; %bb.23:                               ;   in Loop: Header=BB128_20 Depth=1
	v_readlane_b32 s0, v80, 13
	v_readlane_b32 s1, v80, 14
	s_nop 4
	global_load_ushort v2, v13, s[0:1]
	global_load_ushort v4, v[14:15], off
	s_mov_b64 s[14:15], 0
	s_waitcnt vmcnt(1)
	v_add_u32_e32 v5, v0, v2
	v_mul_lo_u32 v3, s66, v2
	v_mul_lo_u32 v12, s66, v5
	v_mov_b32_e32 v5, v0
	s_branch .LBB128_25
.LBB128_24:                             ;   in Loop: Header=BB128_25 Depth=2
	s_or_b64 exec, exec, s[2:3]
	v_add_u32_e32 v12, v12, v3
	v_mov_b32_e32 v4, v6
	s_andn2_b64 exec, exec, s[14:15]
	s_cbranch_execz .LBB128_40
.LBB128_25:                             ;   Parent Loop BB128_20 Depth=1
                                        ; =>  This Inner Loop Header: Depth=2
	v_add_u32_e32 v5, v5, v2
	v_cmp_gt_u32_e64 s[0:1], s64, v5
	v_cmp_le_u32_e32 vcc, s64, v5
	s_waitcnt lgkmcnt(0)
	v_mov_b32_e32 v7, 0
	v_mov_b32_e32 v6, 0
	s_and_saveexec_b64 s[2:3], s[0:1]
	s_cbranch_execz .LBB128_27
; %bb.26:                               ;   in Loop: Header=BB128_25 Depth=2
	v_lshl_add_u64 v[8:9], v[12:13], 1, s[70:71]
	global_load_ushort v6, v[8:9], off
.LBB128_27:                             ;   in Loop: Header=BB128_25 Depth=2
	s_or_b64 exec, exec, s[2:3]
	s_waitcnt vmcnt(0)
	v_cmp_lt_i16_e64 s[0:1], -1, v4
	s_nop 1
	v_cndmask_b32_e64 v8, v38, v39, s[0:1]
	v_xor_b32_sdwa v8, v8, v4 dst_sel:DWORD dst_unused:UNUSED_PAD src0_sel:DWORD src1_sel:WORD_0
	v_cmp_o_f16_e64 s[0:1], v4, v4
	s_nop 1
	v_cndmask_b32_e64 v8, v38, v8, s[0:1]
	v_and_b32_e32 v8, v8, v43
	v_cmp_eq_u32_e64 s[0:1], v8, v33
	s_cmp_lg_u64 s[0:1], 0
	s_cselect_b64 s[2:3], -1, 0
	s_and_b64 s[2:3], s[4:5], s[2:3]
	s_and_saveexec_b64 s[26:27], s[2:3]
	s_cbranch_execz .LBB128_31
; %bb.28:                               ;   in Loop: Header=BB128_25 Depth=2
	s_mov_b64 s[30:31], exec
	v_mbcnt_lo_u32_b32 v7, s30, 0
	v_mbcnt_hi_u32_b32 v7, s31, v7
	s_bcnt1_i32_b64 s24, s[0:1]
	v_cmp_eq_u32_e64 s[2:3], 0, v7
                                        ; implicit-def: $vgpr8
	s_and_saveexec_b64 s[28:29], s[2:3]
; %bb.29:                               ;   in Loop: Header=BB128_25 Depth=2
	s_bcnt1_i32_b64 s2, s[30:31]
	s_mul_i32 s2, s24, s2
	v_mov_b32_e32 v8, s2
	ds_add_rtn_u32 v8, v13, v8 offset:4112
; %bb.30:                               ;   in Loop: Header=BB128_25 Depth=2
	s_or_b64 exec, exec, s[28:29]
	s_waitcnt lgkmcnt(0)
	v_readfirstlane_b32 s2, v8
	s_nop 1
	v_mov_b32_e32 v8, s2
	v_mad_u32_u24 v7, s24, v7, v8
.LBB128_31:                             ;   in Loop: Header=BB128_25 Depth=2
	s_or_b64 exec, exec, s[26:27]
	ds_bpermute_b32 v7, v11, v7
	s_and_b64 s[2:3], exec, vcc
	s_or_b64 s[14:15], s[2:3], s[14:15]
	s_and_saveexec_b64 s[2:3], s[0:1]
	s_cbranch_execz .LBB128_24
; %bb.32:                               ;   in Loop: Header=BB128_25 Depth=2
	v_and_b32_e32 v9, s0, v16
	v_and_b32_e32 v8, s1, v1
	v_bcnt_u32_b32 v9, v9, 0
	v_bcnt_u32_b32 v8, v8, v9
	v_lshlrev_b32_e32 v8, 1, v8
	s_waitcnt lgkmcnt(0)
	v_lshl_add_u32 v7, v7, 1, v8
	ds_write_b16 v7, v4
	s_branch .LBB128_24
.LBB128_33:                             ;   in Loop: Header=BB128_20 Depth=1
	s_mov_b64 s[8:9], -1
	s_mov_b64 s[0:1], 0
.LBB128_34:                             ;   in Loop: Header=BB128_20 Depth=1
	s_and_b64 vcc, exec, s[8:9]
	s_cbranch_vccz .LBB128_63
.LBB128_35:                             ;   in Loop: Header=BB128_20 Depth=1
	s_mov_b64 s[2:3], exec
	v_readlane_b32 s0, v80, 5
	v_readlane_b32 s1, v80, 6
	s_and_b64 s[0:1], s[2:3], s[0:1]
	s_mov_b64 exec, s[0:1]
	s_cbranch_execz .LBB128_60
; %bb.36:                               ;   in Loop: Header=BB128_20 Depth=1
	v_readlane_b32 s0, v80, 13
	v_readlane_b32 s1, v80, 14
	s_nop 4
	global_load_ushort v2, v13, s[0:1]
	global_load_ushort v46, v[14:15], off
	v_mov_b32_e32 v3, v0
	s_waitcnt vmcnt(1)
	v_readfirstlane_b32 s24, v2
	v_add_u32_e32 v2, v0, v2
	v_cmp_gt_u32_e32 vcc, s64, v2
	s_and_saveexec_b64 s[26:27], vcc
	s_cbranch_execz .LBB128_59
; %bb.37:                               ;   in Loop: Header=BB128_20 Depth=1
	s_mov_b64 s[0:1], 0
	s_mul_i32 s25, s66, s24
                                        ; implicit-def: $vgpr3
                                        ; implicit-def: $vgpr4
                                        ; implicit-def: $vgpr5
	s_mov_b64 s[8:9], exec
	v_readlane_b32 s14, v80, 15
	v_readlane_b32 s15, v80, 16
	s_and_b64 s[14:15], s[8:9], s[14:15]
	s_xor_b64 s[28:29], s[14:15], s[8:9]
	s_mov_b64 exec, s[14:15]
	s_cbranch_execnz .LBB128_43
; %bb.38:                               ;   in Loop: Header=BB128_20 Depth=1
	s_andn2_saveexec_b64 s[8:9], s[28:29]
	s_cbranch_execnz .LBB128_54
.LBB128_39:                             ;   in Loop: Header=BB128_20 Depth=1
	s_or_b64 exec, exec, s[8:9]
	s_and_saveexec_b64 s[8:9], s[0:1]
	s_cbranch_execnz .LBB128_55
	s_branch .LBB128_58
.LBB128_40:                             ;   in Loop: Header=BB128_20 Depth=1
	s_or_b64 exec, exec, s[14:15]
	s_waitcnt lgkmcnt(0)
	s_barrier
	s_mov_b64 s[0:1], exec
	v_readlane_b32 s2, v80, 7
	v_readlane_b32 s3, v80, 8
	s_and_b64 s[2:3], s[0:1], s[2:3]
	s_mov_b64 exec, s[2:3]
	s_cbranch_execz .LBB128_42
; %bb.41:                               ;   in Loop: Header=BB128_20 Depth=1
	ds_read_b32 v2, v13 offset:4112
	s_waitcnt lgkmcnt(0)
	ds_write_b32 v13, v2 offset:4104
.LBB128_42:                             ;   in Loop: Header=BB128_20 Depth=1
	s_or_b64 exec, exec, s[0:1]
	s_waitcnt lgkmcnt(0)
	s_barrier
	s_mov_b64 s[0:1], -1
	s_and_b64 vcc, exec, s[8:9]
	s_cbranch_vccnz .LBB128_35
	s_branch .LBB128_63
.LBB128_43:                             ;   in Loop: Header=BB128_20 Depth=1
	v_cvt_f32_u32_e32 v3, s24
	v_add_u32_e32 v4, s24, v2
	v_max_u32_e32 v4, s64, v4
	s_lshl_b32 s0, s24, 1
	v_rcp_iflag_f32_e32 v3, v3
	v_sub_u32_e32 v4, v4, v0
	v_cmp_ne_u32_e32 vcc, s0, v4
	s_sub_i32 s1, 0, s24
	v_mul_f32_e32 v3, 0x4f7ffffe, v3
	v_cvt_u32_f32_e32 v3, v3
	v_cndmask_b32_e64 v5, 0, 1, vcc
	v_or_b32_e32 v5, s0, v5
	v_sub_u32_e32 v4, v4, v5
	v_mul_lo_u32 v5, s1, v3
	v_mul_hi_u32 v5, v3, v5
	v_add_u32_e32 v3, v3, v5
	v_mul_hi_u32 v3, v4, v3
	v_mul_lo_u32 v5, v3, s24
	v_sub_u32_e32 v4, v4, v5
	v_add_u32_e32 v5, 1, v3
	v_cmp_le_u32_e64 s[0:1], s24, v4
	s_nop 1
	v_cndmask_b32_e64 v3, v3, v5, s[0:1]
	v_subrev_u32_e32 v5, s24, v4
	v_cndmask_b32_e64 v4, v4, v5, s[0:1]
	v_add_u32_e32 v5, 1, v3
	v_cmp_le_u32_e64 s[0:1], s24, v4
	v_mul_lo_u32 v4, s66, v2
	s_nop 0
	v_cndmask_b32_e64 v3, v3, v5, s[0:1]
	v_addc_co_u32_e32 v3, vcc, 0, v3, vcc
	s_abs_i32 s0, s25
	v_mul_hi_u32 v5, s0, v3
	v_mul_lo_u32 v3, s0, v3
	s_not_b32 s0, s25
	s_ashr_i32 s0, s0, 31
	s_cmp_eq_u32 s24, 1
	v_cmp_eq_u32_e32 vcc, 0, v5
	v_xor_b32_e32 v4, s0, v4
	s_cselect_b64 s[8:9], -1, 0
	v_cmp_le_u32_e64 s[0:1], v3, v4
	s_and_b64 s[8:9], vcc, s[8:9]
	s_and_b64 s[14:15], s[8:9], s[0:1]
	s_mov_b64 s[8:9], -1
	v_mov_b32_e32 v4, v0
                                        ; implicit-def: $vgpr3
	s_and_saveexec_b64 s[0:1], s[14:15]
	s_cbranch_execz .LBB128_53
; %bb.44:                               ;   in Loop: Header=BB128_20 Depth=1
	v_add_u32_e32 v5, 3, v2
	v_add_u32_e32 v4, 2, v2
	;; [unrolled: 1-line block ×3, first 2 shown]
	v_mov_b64_e32 v[8:9], v[4:5]
	s_waitcnt vmcnt(0)
	v_lshlrev_b32_e32 v47, 16, v46
	v_mov_b32_e32 v12, 0
	v_mov_b64_e32 v[6:7], v[2:3]
                                        ; implicit-def: $vgpr46
	s_mov_b64 s[8:9], exec
	v_readlane_b32 s14, v80, 17
	v_readlane_b32 s15, v80, 18
	s_and_b64 s[14:15], s[8:9], s[14:15]
	s_mov_b64 exec, s[14:15]
	s_cbranch_execz .LBB128_48
; %bb.45:                               ;   in Loop: Header=BB128_20 Depth=1
	v_mov_b64_e32 v[8:9], v[4:5]
	s_mov_b32 s30, 0
	s_mov_b64 s[14:15], 0
	v_mov_b32_e32 v48, v26
	v_mov_b32_e32 v49, v21
	v_mov_b64_e32 v[6:7], v[2:3]
.LBB128_46:                             ;   Parent Loop BB128_20 Depth=1
                                        ; =>  This Inner Loop Header: Depth=2
	v_mul_lo_u32 v12, v6, s89
	v_add_u32_e32 v3, 4, v6
	v_add_u32_e32 v46, 4, v7
	;; [unrolled: 1-line block ×4, first 2 shown]
	v_mul_lo_u32 v4, v9, s22
	v_mul_lo_u32 v54, v7, s90
	v_mov_b32_e32 v55, v13
	v_mov_b32_e32 v5, v13
	;; [unrolled: 1-line block ×4, first 2 shown]
	v_add_u32_e32 v78, 8, v6
	v_lshl_add_u64 v[74:75], v[12:13], 1, s[70:71]
	v_mul_lo_u32 v60, v56, s22
	v_mul_lo_u32 v58, v51, s91
	v_mul_lo_u32 v56, v46, s90
	v_mul_lo_u32 v12, v3, s89
	v_mul_lo_u32 v52, v8, s91
	v_mov_b32_e32 v53, v13
	v_mov_b32_e32 v61, v13
	v_add_u32_e32 v62, 8, v7
	v_add_u32_e32 v79, 12, v6
	v_lshl_add_u64 v[54:55], v[54:55], 1, s[70:71]
	v_lshl_add_u64 v[4:5], v[4:5], 1, s[70:71]
	;; [unrolled: 1-line block ×5, first 2 shown]
	v_mul_lo_u32 v12, v78, s89
	v_add_u32_e32 v64, 8, v8
	v_add_u32_e32 v66, 8, v9
	v_mov_b32_e32 v63, v13
	v_add_u32_e32 v68, 12, v7
	v_add_u32_e32 v70, 12, v8
	;; [unrolled: 1-line block ×3, first 2 shown]
	v_lshl_add_u64 v[52:53], v[52:53], 1, s[70:71]
	v_mul_lo_u32 v62, v62, s90
	v_lshl_add_u64 v[60:61], v[60:61], 1, s[70:71]
	global_load_ushort v3, v[74:75], off
	global_load_ushort v51, v[54:55], off
	s_nop 0
	global_load_ushort v54, v[52:53], off
	global_load_ushort v74, v[4:5], off
	global_load_ushort v75, v[76:77], off
	global_load_ushort v55, v[56:57], off
	s_nop 0
	global_load_ushort v56, v[58:59], off
	s_nop 0
	global_load_ushort v58, v[60:61], off
	v_lshl_add_u64 v[4:5], v[12:13], 1, s[70:71]
	v_mul_lo_u32 v12, v79, s89
	v_mov_b32_e32 v65, v13
	v_mov_b32_e32 v67, v13
	;; [unrolled: 1-line block ×5, first 2 shown]
	v_mul_lo_u32 v66, v66, s22
	v_mul_lo_u32 v64, v64, s91
	v_mul_lo_u32 v72, v72, s22
	v_mul_lo_u32 v70, v70, s91
	v_mul_lo_u32 v68, v68, s90
	v_lshl_add_u64 v[62:63], v[62:63], 1, s[70:71]
	v_lshl_add_u64 v[52:53], v[12:13], 1, s[70:71]
	;; [unrolled: 1-line block ×7, first 2 shown]
	global_load_ushort v57, v[62:63], off
	global_load_ushort v59, v[64:65], off
	;; [unrolled: 1-line block ×4, first 2 shown]
	s_nop 0
	global_load_ushort v62, v[70:71], off
	global_load_ushort v46, v[72:73], off
	;; [unrolled: 1-line block ×3, first 2 shown]
	s_nop 0
	global_load_ushort v4, v[4:5], off
	v_add_u32_e32 v48, -4, v48
	s_add_i32 s30, s30, 16
	v_cmp_eq_u32_e32 vcc, 0, v48
	v_add_u32_e32 v9, 16, v9
	v_add_u32_e32 v8, 16, v8
	;; [unrolled: 1-line block ×4, first 2 shown]
	v_mov_b32_e32 v12, s30
	s_or_b64 s[14:15], vcc, s[14:15]
	s_waitcnt vmcnt(15)
	v_alignbit_b32 v52, v3, v47, 16
	s_waitcnt vmcnt(13)
	v_perm_b32 v53, v54, v51, s21
	s_waitcnt vmcnt(11)
	v_perm_b32 v54, v75, v74, s21
	;; [unrolled: 2-line block ×3, first 2 shown]
	ds_write_b128 v49, v[52:55]
	s_waitcnt vmcnt(6)
	v_perm_b32 v57, v59, v57, s21
	s_waitcnt vmcnt(3)
	v_perm_b32 v59, v62, v61, s21
	;; [unrolled: 2-line block ×4, first 2 shown]
	v_perm_b32 v58, v63, v60, s21
	ds_write_b128 v49, v[56:59] offset:16
	v_add_u32_e32 v49, 32, v49
	s_andn2_b64 exec, exec, s[14:15]
	s_cbranch_execnz .LBB128_46
; %bb.47:                               ;   in Loop: Header=BB128_20 Depth=1
	s_or_b64 exec, exec, s[14:15]
.LBB128_48:                             ;   in Loop: Header=BB128_20 Depth=1
	s_or_b64 exec, exec, s[8:9]
	s_mov_b64 s[8:9], exec
	v_readlane_b32 s14, v80, 19
	v_readlane_b32 s15, v80, 20
	s_and_b64 s[14:15], s[8:9], s[14:15]
	s_mov_b64 exec, s[14:15]
	s_cbranch_execz .LBB128_52
; %bb.49:                               ;   in Loop: Header=BB128_20 Depth=1
	v_lshl_add_u32 v3, v12, 1, v21
	s_mov_b64 s[14:15], 0
	v_mov_b32_e32 v4, v28
.LBB128_50:                             ;   Parent Loop BB128_20 Depth=1
                                        ; =>  This Inner Loop Header: Depth=2
	v_mul_lo_u32 v48, v9, s22
	v_mul_lo_u32 v52, v8, s91
	v_mov_b32_e32 v53, v13
	v_mov_b32_e32 v49, v13
	v_mul_lo_u32 v54, v7, s90
	v_mul_lo_u32 v12, v6, s89
	v_mov_b32_e32 v55, v13
	v_lshl_add_u64 v[52:53], v[52:53], 1, s[70:71]
	v_lshl_add_u64 v[48:49], v[48:49], 1, s[70:71]
	;; [unrolled: 1-line block ×4, first 2 shown]
	global_load_ushort v5, v[52:53], off
	global_load_ushort v46, v[48:49], off
	;; [unrolled: 1-line block ×3, first 2 shown]
	s_nop 0
	global_load_ushort v48, v[56:57], off
	v_add_u32_e32 v4, -8, v4
	v_cmp_eq_u32_e32 vcc, 0, v4
	v_add_u32_e32 v9, 4, v9
	v_add_u32_e32 v8, 4, v8
	;; [unrolled: 1-line block ×4, first 2 shown]
	s_or_b64 s[14:15], vcc, s[14:15]
	s_waitcnt vmcnt(2)
	v_perm_b32 v51, v46, v5, s21
	s_waitcnt vmcnt(1)
	v_perm_b32 v49, v5, v12, s21
	s_waitcnt vmcnt(0)
	v_alignbit_b32 v48, v48, v47, 16
	ds_write_b64 v3, v[48:49]
	v_add_u32_e32 v3, 8, v3
	v_mov_b32_e32 v47, v51
	s_andn2_b64 exec, exec, s[14:15]
	s_cbranch_execnz .LBB128_50
; %bb.51:                               ;   in Loop: Header=BB128_20 Depth=1
	s_or_b64 exec, exec, s[14:15]
.LBB128_52:                             ;   in Loop: Header=BB128_20 Depth=1
	s_or_b64 exec, exec, s[8:9]
	v_readlane_b32 s8, v80, 21
	v_add_u32_e32 v2, v2, v24
	v_readlane_b32 s9, v80, 22
	v_add_u32_e32 v3, -1, v2
	s_orn2_b64 s[8:9], s[8:9], exec
	v_mov_b32_e32 v4, v25
.LBB128_53:                             ;   in Loop: Header=BB128_20 Depth=1
	s_or_b64 exec, exec, s[0:1]
	v_mov_b32_e32 v5, s25
	s_and_b64 s[0:1], s[8:9], exec
	s_andn2_saveexec_b64 s[8:9], s[28:29]
	s_cbranch_execz .LBB128_39
.LBB128_54:                             ;   in Loop: Header=BB128_20 Depth=1
	v_mov_b32_e32 v5, s25
	s_or_b64 s[0:1], s[0:1], exec
	v_mov_b32_e32 v4, v0
	s_or_b64 exec, exec, s[8:9]
	s_and_saveexec_b64 s[8:9], s[0:1]
	s_cbranch_execz .LBB128_58
.LBB128_55:                             ;   in Loop: Header=BB128_20 Depth=1
	s_sub_i32 s14, 0, s24
	v_mul_lo_u32 v12, s66, v2
	s_mov_b64 s[0:1], 0
.LBB128_56:                             ;   Parent Loop BB128_20 Depth=1
                                        ; =>  This Inner Loop Header: Depth=2
	v_lshl_add_u64 v[6:7], v[12:13], 1, s[70:71]
	s_waitcnt vmcnt(0)
	v_mov_b32_e32 v3, v46
	global_load_ushort v46, v[6:7], off
	v_mov_b32_e32 v6, v2
	v_lshlrev_b32_e32 v2, 1, v4
	ds_write_b16 v2, v3
	v_add_u32_e32 v2, s24, v6
	v_cmp_le_u32_e32 vcc, s64, v2
	v_add_u32_e32 v12, v12, v5
	s_or_b64 s[0:1], vcc, s[0:1]
	v_mov_b32_e32 v4, v6
	s_andn2_b64 exec, exec, s[0:1]
	s_cbranch_execnz .LBB128_56
; %bb.57:                               ;   in Loop: Header=BB128_20 Depth=1
	s_or_b64 exec, exec, s[0:1]
	v_add_u32_e32 v3, s14, v2
.LBB128_58:                             ;   in Loop: Header=BB128_20 Depth=1
	s_or_b64 exec, exec, s[8:9]
.LBB128_59:                             ;   in Loop: Header=BB128_20 Depth=1
	s_or_b64 exec, exec, s[26:27]
	v_lshlrev_b32_e32 v2, 1, v3
	s_waitcnt vmcnt(0)
	ds_write_b16 v2, v46
.LBB128_60:                             ;   in Loop: Header=BB128_20 Depth=1
	s_or_b64 exec, exec, s[2:3]
	s_waitcnt lgkmcnt(0)
	s_barrier
	s_mov_b64 s[0:1], exec
	v_readlane_b32 s2, v80, 7
	v_readlane_b32 s3, v80, 8
	s_and_b64 s[2:3], s[0:1], s[2:3]
	s_mov_b64 exec, s[2:3]
; %bb.61:                               ;   in Loop: Header=BB128_20 Depth=1
	ds_write_b32 v13, v50 offset:4104
; %bb.62:                               ;   in Loop: Header=BB128_20 Depth=1
	s_or_b64 exec, exec, s[0:1]
	s_mov_b64 s[0:1], -1
	s_waitcnt lgkmcnt(0)
	s_barrier
.LBB128_63:                             ;   in Loop: Header=BB128_20 Depth=1
	s_mov_b32 s24, 0
	s_and_b64 vcc, exec, s[0:1]
	s_cbranch_vccz .LBB128_65
; %bb.64:                               ;   in Loop: Header=BB128_20 Depth=1
	ds_read_b32 v2, v13 offset:4104
	s_waitcnt lgkmcnt(0)
	v_readfirstlane_b32 s24, v2
.LBB128_65:                             ;   in Loop: Header=BB128_20 Depth=1
	s_cmp_lt_i32 s24, 1
	s_mov_b64 s[0:1], -1
                                        ; implicit-def: $vgpr4_vgpr5
	s_cbranch_scc1 .LBB128_75
; %bb.66:                               ;   in Loop: Header=BB128_20 Depth=1
	s_and_b64 vcc, exec, s[0:1]
	s_cbranch_vccnz .LBB128_86
.LBB128_67:                             ;   in Loop: Header=BB128_20 Depth=1
	s_lshl_b32 s8, s79, 6
	s_and_saveexec_b64 s[0:1], s[4:5]
.LBB128_68:                             ;   in Loop: Header=BB128_20 Depth=1
	v_lshl_add_u32 v6, s8, 2, v23
	ds_write_b128 v6, v[2:5]
.LBB128_69:                             ;   in Loop: Header=BB128_20 Depth=1
	s_or_b64 exec, exec, s[0:1]
	s_waitcnt lgkmcnt(0)
	s_barrier
	s_and_saveexec_b64 s[0:1], s[76:77]
	s_cbranch_execz .LBB128_103
; %bb.70:                               ;   in Loop: Header=BB128_20 Depth=1
	v_add_u32_e32 v4, s8, v20
	s_andn2_b64 vcc, exec, s[80:81]
	v_mov_b32_e32 v2, 0
	s_cbranch_vccnz .LBB128_102
; %bb.71:                               ;   in Loop: Header=BB128_20 Depth=1
	v_readlane_b32 s2, v80, 23
	v_readlane_b32 s3, v80, 24
	s_andn2_b64 vcc, exec, s[2:3]
	s_cbranch_vccnz .LBB128_95
; %bb.72:                               ;   in Loop: Header=BB128_20 Depth=1
	v_readlane_b32 s2, v80, 25
	v_readlane_b32 s3, v80, 26
	s_andn2_b64 vcc, exec, s[2:3]
	v_lshl_add_u32 v5, v4, 2, v41
	s_cbranch_vccnz .LBB128_96
; %bb.73:                               ;   in Loop: Header=BB128_20 Depth=1
	s_mov_b32 s3, 1
	s_mov_b32 s2, 0
	v_mov_b32_e32 v2, 0
	v_mov_b32_e32 v3, 0
	v_readlane_b32 s9, v80, 27
.LBB128_74:                             ;   Parent Loop BB128_20 Depth=1
                                        ; =>  This Inner Loop Header: Depth=2
	v_lshl_add_u32 v12, s2, 4, v5
	v_lshl_add_u32 v51, s3, 4, v5
	ds_read2_b32 v[6:7], v12 offset1:8
	ds_read2_b32 v[8:9], v51 offset1:8
	ds_read2_b32 v[46:47], v12 offset0:16 offset1:24
	ds_read2_b32 v[48:49], v51 offset0:16 offset1:24
	;; [unrolled: 1-line block ×6, first 2 shown]
	s_waitcnt lgkmcnt(7)
	v_add3_u32 v2, v6, v2, v7
	s_waitcnt lgkmcnt(6)
	v_add3_u32 v3, v8, v3, v9
	;; [unrolled: 2-line block ×3, first 2 shown]
	v_add3_u32 v2, v46, v2, v47
	s_add_i32 s3, s3, 16
	s_add_i32 s2, s2, 16
	s_add_i32 s9, s9, -8
	s_waitcnt lgkmcnt(3)
	v_add3_u32 v2, v52, v2, v53
	s_waitcnt lgkmcnt(2)
	v_add3_u32 v3, v54, v3, v55
	s_cmp_lg_u32 s9, 0
	s_waitcnt lgkmcnt(0)
	v_add3_u32 v3, v58, v3, v59
	v_add3_u32 v2, v56, v2, v57
	s_cbranch_scc1 .LBB128_74
	s_branch .LBB128_97
.LBB128_75:                             ;   in Loop: Header=BB128_20 Depth=1
	v_mov_b32_e32 v12, v13
	v_mov_b64_e32 v[4:5], v[12:13]
	v_mov_b64_e32 v[2:3], v[12:13]
	s_and_saveexec_b64 s[52:53], s[16:17]
	s_cbranch_execz .LBB128_79
; %bb.76:                               ;   in Loop: Header=BB128_20 Depth=1
	s_mov_b32 s8, 0
	s_mov_b64 s[54:55], 0
	v_mov_b32_e32 v6, v17
	s_mov_b32 s58, 0
	s_mov_b32 s59, s8
	;; [unrolled: 1-line block ×4, first 2 shown]
.LBB128_77:                             ;   Parent Loop BB128_20 Depth=1
                                        ; =>  This Inner Loop Header: Depth=2
	v_add_u32_e32 v12, s8, v32
	v_lshl_add_u64 v[2:3], v[12:13], 1, s[70:71]
	v_add_u32_e32 v12, s8, v29
	global_load_ushort v4, v[2:3], off
	v_lshl_add_u64 v[2:3], v[12:13], 1, s[70:71]
	v_add_u32_e32 v12, s8, v30
	global_load_ushort v5, v[2:3], off
	;; [unrolled: 3-line block ×3, first 2 shown]
	v_lshl_add_u64 v[2:3], v[12:13], 1, s[70:71]
	global_load_ushort v2, v[2:3], off
	v_add_u32_e32 v6, s33, v6
	v_cmp_le_u32_e32 vcc, s88, v6
	s_add_i32 s8, s8, s84
	s_waitcnt vmcnt(3)
	v_cmp_lt_i16_e64 s[0:1], -1, v4
	s_nop 1
	v_cndmask_b32_e64 v3, v38, v39, s[0:1]
	v_xor_b32_sdwa v3, v3, v4 dst_sel:DWORD dst_unused:UNUSED_PAD src0_sel:DWORD src1_sel:WORD_0
	s_waitcnt vmcnt(2)
	v_cmp_lt_i16_e64 s[0:1], -1, v5
	s_waitcnt vmcnt(0)
	v_cmp_o_f16_e64 s[34:35], v2, v2
	v_cndmask_b32_e64 v8, v38, v39, s[0:1]
	v_cmp_o_f16_e64 s[0:1], v4, v4
	v_xor_b32_sdwa v4, v8, v5 dst_sel:DWORD dst_unused:UNUSED_PAD src0_sel:DWORD src1_sel:WORD_0
	s_nop 0
	v_cndmask_b32_e64 v3, v38, v3, s[0:1]
	v_cmp_lt_i16_e64 s[0:1], -1, v7
	v_and_b32_e32 v9, v3, v43
	v_bfe_u32 v3, v3, v37, 2
	v_cndmask_b32_e64 v8, v38, v39, s[0:1]
	v_cmp_o_f16_e64 s[0:1], v5, v5
	v_xor_b32_sdwa v5, v8, v7 dst_sel:DWORD dst_unused:UNUSED_PAD src0_sel:DWORD src1_sel:WORD_0
	v_cmp_eq_u32_e64 s[2:3], 0, v3
	v_cndmask_b32_e64 v4, v38, v4, s[0:1]
	v_cmp_lt_i16_e64 s[0:1], -1, v2
	v_cmp_eq_u32_e64 s[26:27], 1, v3
	v_cmp_eq_u32_e64 s[28:29], 2, v3
	v_cndmask_b32_e64 v8, v38, v39, s[0:1]
	v_cmp_o_f16_e64 s[0:1], v7, v7
	v_xor_b32_sdwa v7, v8, v2 dst_sel:DWORD dst_unused:UNUSED_PAD src0_sel:DWORD src1_sel:WORD_0
	v_and_b32_e32 v8, v4, v43
	v_cndmask_b32_e64 v5, v38, v5, s[0:1]
	v_cmp_eq_u32_e64 s[0:1], v9, v33
	v_bfe_u32 v4, v4, v37, 2
	v_cndmask_b32_e64 v2, v38, v7, s[34:35]
	v_cmp_eq_u32_e64 s[34:35], v8, v33
	v_cmp_eq_u32_e64 s[36:37], 0, v4
	s_and_b64 s[2:3], s[0:1], s[2:3]
	v_cmp_eq_u32_e64 s[38:39], 1, v4
	v_cmp_eq_u32_e64 s[40:41], 2, v4
	;; [unrolled: 1-line block ×3, first 2 shown]
	v_cndmask_b32_e64 v4, 0, 1, s[2:3]
	s_and_b64 s[2:3], s[0:1], s[26:27]
	s_and_b64 s[14:15], s[34:35], s[36:37]
	v_cmp_eq_u32_e64 s[30:31], 3, v3
	v_and_b32_e32 v3, v5, v43
	v_bfe_u32 v5, v5, v37, 2
	v_cndmask_b32_e64 v7, 0, 1, s[2:3]
	s_and_b64 s[2:3], s[0:1], s[28:29]
	v_cmp_ne_u32_e64 s[44:45], 0, v4
	v_cndmask_b32_e64 v4, 0, 1, s[14:15]
	s_and_b64 s[14:15], s[34:35], s[38:39]
	v_cndmask_b32_e64 v8, 0, 1, s[2:3]
	s_and_b64 s[0:1], s[0:1], s[30:31]
	v_cmp_eq_u32_e64 s[2:3], 0, v5
	v_cmp_eq_u32_e64 s[26:27], 1, v5
	;; [unrolled: 1-line block ×4, first 2 shown]
	v_cndmask_b32_e64 v5, 0, 1, s[14:15]
	s_and_b64 s[14:15], s[34:35], s[40:41]
	v_cndmask_b32_e64 v9, 0, 1, s[0:1]
	v_cmp_eq_u32_e64 s[0:1], v3, v33
	v_cmp_ne_u32_e64 s[36:37], 0, v7
	v_cndmask_b32_e64 v7, 0, 1, s[14:15]
	s_and_b64 s[14:15], s[34:35], s[42:43]
	v_and_b32_e32 v3, v2, v43
	v_bfe_u32 v2, v2, v37, 2
	v_cmp_ne_u32_e64 s[38:39], 0, v8
	v_cndmask_b32_e64 v8, 0, 1, s[14:15]
	s_and_b64 s[14:15], s[0:1], s[26:27]
	v_cmp_eq_u32_e64 s[34:35], v3, v33
	v_cmp_eq_u32_e64 s[42:43], 0, v2
	s_and_b64 s[2:3], s[0:1], s[2:3]
	v_cndmask_b32_e64 v3, 0, 1, s[14:15]
	s_and_b64 s[14:15], s[0:1], s[28:29]
	v_cmp_eq_u32_e64 s[46:47], 1, v2
	v_cmp_eq_u32_e64 s[48:49], 2, v2
	;; [unrolled: 1-line block ×3, first 2 shown]
	s_bcnt1_i32_b64 s9, s[44:45]
	v_cmp_ne_u32_e64 s[44:45], 0, v4
	v_cndmask_b32_e64 v2, 0, 1, s[2:3]
	v_cndmask_b32_e64 v4, 0, 1, s[14:15]
	s_and_b64 s[0:1], s[0:1], s[30:31]
	s_and_b64 s[14:15], s[34:35], s[42:43]
	v_cmp_ne_u32_e64 s[2:3], 0, v5
	v_cndmask_b32_e64 v5, 0, 1, s[0:1]
	v_cmp_ne_u32_e64 s[0:1], 0, v2
	v_cndmask_b32_e64 v2, 0, 1, s[14:15]
	s_and_b64 s[14:15], s[34:35], s[46:47]
	v_cmp_ne_u32_e64 s[40:41], 0, v9
	v_cmp_ne_u32_e64 s[26:27], 0, v7
	s_bcnt1_i32_b64 s31, s[2:3]
	v_cmp_ne_u32_e64 s[2:3], 0, v3
	v_cndmask_b32_e64 v3, 0, 1, s[14:15]
	s_and_b64 s[14:15], s[34:35], s[48:49]
	s_bcnt1_i32_b64 s25, s[36:37]
	s_bcnt1_i32_b64 s36, s[38:39]
	;; [unrolled: 1-line block ×3, first 2 shown]
	v_cmp_ne_u32_e64 s[28:29], 0, v8
	s_bcnt1_i32_b64 s38, s[26:27]
	v_cmp_ne_u32_e64 s[26:27], 0, v4
	v_cndmask_b32_e64 v4, 0, 1, s[14:15]
	s_and_b64 s[14:15], s[34:35], s[50:51]
	s_bcnt1_i32_b64 s30, s[44:45]
	s_add_i32 s9, s58, s9
	s_add_i32 s25, s59, s25
	s_bcnt1_i32_b64 s39, s[28:29]
	v_cmp_ne_u32_e64 s[28:29], 0, v5
	v_cndmask_b32_e64 v5, 0, 1, s[14:15]
	s_add_i32 s14, s56, s36
	s_add_i32 s15, s57, s37
	s_bcnt1_i32_b64 s34, s[0:1]
	v_cmp_ne_u32_e64 s[0:1], 0, v2
	s_bcnt1_i32_b64 s35, s[2:3]
	v_cmp_ne_u32_e64 s[2:3], 0, v3
	s_add_i32 s25, s25, s31
	s_add_i32 s9, s9, s30
	s_bcnt1_i32_b64 s30, s[26:27]
	v_cmp_ne_u32_e64 s[26:27], 0, v4
	s_bcnt1_i32_b64 s31, s[28:29]
	v_cmp_ne_u32_e64 s[28:29], 0, v5
	s_add_i32 s15, s15, s39
	s_add_i32 s14, s14, s38
	s_bcnt1_i32_b64 s0, s[0:1]
	s_bcnt1_i32_b64 s1, s[2:3]
	s_add_i32 s2, s9, s34
	s_add_i32 s3, s25, s35
	s_bcnt1_i32_b64 s9, s[26:27]
	s_bcnt1_i32_b64 s25, s[28:29]
	s_add_i32 s14, s14, s30
	s_add_i32 s15, s15, s31
	;; [unrolled: 1-line block ×6, first 2 shown]
	s_or_b64 s[54:55], vcc, s[54:55]
	v_mov_b64_e32 v[2:3], s[58:59]
	v_mov_b64_e32 v[4:5], s[56:57]
	s_andn2_b64 exec, exec, s[54:55]
	s_cbranch_execnz .LBB128_77
; %bb.78:                               ;   in Loop: Header=BB128_20 Depth=1
	s_or_b64 exec, exec, s[54:55]
.LBB128_79:                             ;   in Loop: Header=BB128_20 Depth=1
	s_or_b64 exec, exec, s[52:53]
	s_and_saveexec_b64 s[2:3], s[18:19]
	s_cbranch_execz .LBB128_85
; %bb.80:                               ;   in Loop: Header=BB128_20 Depth=1
	global_load_ushort v8, v[18:19], off
	s_mov_b64 s[8:9], 0
	v_mov_b32_e32 v12, v34
	v_mov_b32_e32 v6, v27
	s_branch .LBB128_82
.LBB128_81:                             ;   in Loop: Header=BB128_82 Depth=2
	s_or_b64 exec, exec, s[14:15]
	s_and_b64 s[0:1], exec, vcc
	s_waitcnt vmcnt(0)
	v_cmp_lt_i16_e32 vcc, -1, v8
	s_or_b64 s[8:9], s[0:1], s[8:9]
	v_add_u32_e32 v12, s86, v12
	v_cndmask_b32_e32 v9, v38, v39, vcc
	v_xor_b32_sdwa v9, v9, v8 dst_sel:DWORD dst_unused:UNUSED_PAD src0_sel:DWORD src1_sel:WORD_0
	v_cmp_o_f16_e32 vcc, v8, v8
	s_nop 1
	v_cndmask_b32_e32 v8, v38, v9, vcc
	v_and_b32_e32 v9, v8, v43
	v_bfe_u32 v8, v8, v37, 2
	v_cmp_eq_u32_e32 vcc, v9, v33
	v_cmp_eq_u32_e64 s[0:1], 0, v8
	s_and_b64 s[0:1], vcc, s[0:1]
	s_nop 0
	v_cndmask_b32_e64 v9, 0, 1, s[0:1]
	v_cmp_ne_u32_e64 s[0:1], 0, v9
	s_bcnt1_i32_b64 s14, s[0:1]
	v_cmp_eq_u32_e64 s[0:1], 1, v8
	s_and_b64 s[0:1], vcc, s[0:1]
	v_add_u32_e32 v2, s14, v2
	v_cndmask_b32_e64 v9, 0, 1, s[0:1]
	v_cmp_ne_u32_e64 s[0:1], 0, v9
	s_bcnt1_i32_b64 s0, s[0:1]
	s_nop 0
	v_add_u32_e32 v3, s0, v3
	v_cmp_eq_u32_e64 s[0:1], 2, v8
	s_and_b64 s[0:1], vcc, s[0:1]
	s_nop 0
	v_cndmask_b32_e64 v9, 0, 1, s[0:1]
	v_cmp_ne_u32_e64 s[0:1], 0, v9
	s_bcnt1_i32_b64 s14, s[0:1]
	v_cmp_eq_u32_e64 s[0:1], 3, v8
	s_and_b64 s[0:1], vcc, s[0:1]
	v_add_u32_e32 v4, s14, v4
	v_cndmask_b32_e64 v8, 0, 1, s[0:1]
	v_cmp_ne_u32_e32 vcc, 0, v8
	s_bcnt1_i32_b64 s0, vcc
	v_add_u32_e32 v5, s0, v5
	v_mov_b32_e32 v8, v7
	s_andn2_b64 exec, exec, s[8:9]
	s_cbranch_execz .LBB128_84
.LBB128_82:                             ;   Parent Loop BB128_20 Depth=1
                                        ; =>  This Inner Loop Header: Depth=2
	v_add_u32_e32 v6, s67, v6
	v_cmp_gt_u32_e64 s[0:1], s64, v6
	v_cmp_le_u32_e32 vcc, s64, v6
	v_mov_b32_e32 v7, 0
	s_and_saveexec_b64 s[14:15], s[0:1]
	s_cbranch_execz .LBB128_81
; %bb.83:                               ;   in Loop: Header=BB128_82 Depth=2
	v_lshl_add_u64 v[46:47], v[12:13], 1, s[70:71]
	global_load_ushort v7, v[46:47], off
	s_branch .LBB128_81
.LBB128_84:                             ;   in Loop: Header=BB128_20 Depth=1
	s_or_b64 exec, exec, s[8:9]
.LBB128_85:                             ;   in Loop: Header=BB128_20 Depth=1
	s_or_b64 exec, exec, s[2:3]
	s_branch .LBB128_67
.LBB128_86:                             ;   in Loop: Header=BB128_20 Depth=1
	s_mul_hi_u32 s0, s24, s23
	s_mul_i32 s0, s0, s33
	s_sub_i32 s0, s24, s0
	s_sub_i32 s1, s0, s33
	s_cmp_ge_u32 s0, s33
	s_cselect_b32 s0, s1, s0
	s_sub_i32 s1, s0, s33
	s_cmp_ge_u32 s0, s33
	s_cselect_b32 s0, s1, s0
	s_sub_i32 s25, s24, s0
	v_mov_b32_e32 v12, v13
	v_cmp_gt_u32_e32 vcc, s25, v17
	v_mov_b64_e32 v[4:5], v[12:13]
	v_mov_b64_e32 v[2:3], v[12:13]
	s_and_saveexec_b64 s[14:15], vcc
	s_cbranch_execz .LBB128_90
; %bb.87:                               ;   in Loop: Header=BB128_20 Depth=1
	s_mov_b32 s8, 0
	s_mov_b64 s[72:73], 0
	v_mov_b32_e32 v6, v35
	v_mov_b32_e32 v7, v17
	s_mov_b32 s9, s8
	s_mov_b32 s74, s8
	s_mov_b32 s75, s8
.LBB128_88:                             ;   Parent Loop BB128_20 Depth=1
                                        ; =>  This Inner Loop Header: Depth=2
	ds_read_b64 v[2:3], v6
	v_add_u32_e32 v7, s33, v7
	v_cmp_le_u32_e32 vcc, s25, v7
	v_add_u32_e32 v6, s85, v6
	s_waitcnt lgkmcnt(0)
	v_cmp_lt_i16_e64 s[0:1], -1, v2
	v_cmp_o_f16_e64 s[2:3], v3, v3
	s_nop 0
	v_cndmask_b32_e64 v4, v38, v39, s[0:1]
	v_cmp_gt_i16_sdwa s[0:1], v2, v40 src0_sel:WORD_1 src1_sel:DWORD
	v_cmp_o_f16_sdwa s[26:27], v3, v3 src0_sel:WORD_1 src1_sel:WORD_1
	v_cmp_o_f16_e64 s[28:29], v2, v2
	v_cndmask_b32_e64 v5, v38, v39, s[0:1]
	v_cmp_lt_i16_e64 s[0:1], -1, v3
	v_xor_b32_sdwa v5, v5, v2 dst_sel:DWORD dst_unused:UNUSED_PAD src0_sel:DWORD src1_sel:WORD_1
	s_nop 0
	v_cndmask_b32_e64 v8, v38, v39, s[0:1]
	v_cmp_gt_i16_sdwa s[0:1], v3, v40 src0_sel:WORD_1 src1_sel:DWORD
	v_bitop3_b32 v8, v8, v3, s65 bitop3:0x78
	s_nop 0
	v_cndmask_b32_e64 v9, v38, v39, s[0:1]
	v_xor_b32_sdwa v9, v9, v3 dst_sel:DWORD dst_unused:UNUSED_PAD src0_sel:DWORD src1_sel:WORD_1
	v_bitop3_b32 v3, v4, v2, s65 bitop3:0x78
	v_cmp_o_f16_sdwa s[0:1], v2, v2 src0_sel:WORD_1 src1_sel:WORD_1
	v_cndmask_b32_e64 v2, v38, v3, s[28:29]
	v_cndmask_b32_e64 v4, v38, v8, s[2:3]
	;; [unrolled: 1-line block ×3, first 2 shown]
	v_and_b32_e32 v8, v2, v43
	v_bfe_u32 v2, v2, v37, 2
	v_cndmask_b32_e64 v5, v38, v9, s[26:27]
	v_and_b32_e32 v9, v3, v43
	v_bfe_u32 v3, v3, v37, 2
	v_cmp_eq_u32_e64 s[0:1], v8, v33
	v_cmp_eq_u32_e64 s[30:31], 0, v2
	v_and_b32_e32 v12, v4, v43
	v_bfe_u32 v4, v4, v37, 2
	v_cmp_eq_u32_e64 s[2:3], v9, v33
	v_cmp_eq_u32_e64 s[34:35], 0, v3
	s_and_b64 s[30:31], s[0:1], s[30:31]
	v_and_b32_e32 v46, v5, v43
	v_bfe_u32 v5, v5, v37, 2
	v_cmp_eq_u32_e64 s[26:27], v12, v33
	v_cmp_eq_u32_e64 s[36:37], 0, v4
	;; [unrolled: 1-line block ×5, first 2 shown]
	v_cndmask_b32_e64 v2, 0, 1, s[30:31]
	s_and_b64 s[30:31], s[2:3], s[34:35]
	v_cmp_eq_u32_e64 s[28:29], v46, v33
	v_cmp_eq_u32_e64 s[38:39], 0, v5
	;; [unrolled: 1-line block ×5, first 2 shown]
	v_cndmask_b32_e64 v3, 0, 1, s[30:31]
	s_and_b64 s[30:31], s[26:27], s[36:37]
	v_cmp_eq_u32_e64 s[44:45], 1, v4
	v_cmp_eq_u32_e64 s[52:53], 2, v4
	;; [unrolled: 1-line block ×3, first 2 shown]
	v_cndmask_b32_e64 v4, 0, 1, s[30:31]
	s_and_b64 s[30:31], s[28:29], s[38:39]
	v_cmp_eq_u32_e64 s[46:47], 1, v5
	v_cmp_eq_u32_e64 s[54:55], 2, v5
	;; [unrolled: 1-line block ×3, first 2 shown]
	v_cndmask_b32_e64 v5, 0, 1, s[30:31]
	s_and_b64 s[30:31], s[0:1], s[40:41]
	v_cndmask_b32_e64 v8, 0, 1, s[30:31]
	s_and_b64 s[30:31], s[2:3], s[42:43]
	;; [unrolled: 2-line block ×5, first 2 shown]
	s_and_b64 s[0:1], s[0:1], s[56:57]
	v_cndmask_b32_e64 v47, 0, 1, s[30:31]
	s_and_b64 s[30:31], s[2:3], s[50:51]
	v_cndmask_b32_e64 v52, 0, 1, s[0:1]
	;; [unrolled: 2-line block ×7, first 2 shown]
	v_cndmask_b32_e64 v55, 0, 1, s[0:1]
	v_cmp_ne_u32_e64 s[0:1], 0, v2
	v_cmp_ne_u32_e64 s[2:3], 0, v3
	;; [unrolled: 1-line block ×11, first 2 shown]
	s_bcnt1_i32_b64 s0, s[0:1]
	s_bcnt1_i32_b64 s1, s[2:3]
	;; [unrolled: 1-line block ×8, first 2 shown]
	v_cmp_ne_u32_e64 s[38:39], 0, v46
	v_cmp_ne_u32_e64 s[44:45], 0, v49
	;; [unrolled: 1-line block ×3, first 2 shown]
	s_bcnt1_i32_b64 s27, s[34:35]
	s_bcnt1_i32_b64 s31, s[42:43]
	;; [unrolled: 1-line block ×3, first 2 shown]
	s_add_i32 s0, s8, s0
	s_add_i32 s8, s9, s26
	;; [unrolled: 1-line block ×4, first 2 shown]
	v_cmp_ne_u32_e64 s[46:47], 0, v51
	v_cmp_ne_u32_e64 s[54:55], 0, v55
	s_bcnt1_i32_b64 s29, s[38:39]
	s_bcnt1_i32_b64 s34, s[44:45]
	;; [unrolled: 1-line block ×3, first 2 shown]
	s_add_i32 s8, s8, s27
	s_add_i32 s0, s0, s1
	;; [unrolled: 1-line block ×4, first 2 shown]
	s_bcnt1_i32_b64 s35, s[46:47]
	s_bcnt1_i32_b64 s39, s[54:55]
	s_add_i32 s0, s0, s2
	s_add_i32 s2, s8, s28
	;; [unrolled: 1-line block ×8, first 2 shown]
	s_or_b64 s[72:73], vcc, s[72:73]
	v_mov_b64_e32 v[2:3], s[8:9]
	v_mov_b64_e32 v[4:5], s[74:75]
	s_andn2_b64 exec, exec, s[72:73]
	s_cbranch_execnz .LBB128_88
; %bb.89:                               ;   in Loop: Header=BB128_20 Depth=1
	s_or_b64 exec, exec, s[72:73]
.LBB128_90:                             ;   in Loop: Header=BB128_20 Depth=1
	s_or_b64 exec, exec, s[14:15]
	v_add_u32_e32 v6, s25, v0
	v_cmp_gt_u32_e32 vcc, s24, v6
	s_and_saveexec_b64 s[8:9], vcc
	s_cbranch_execz .LBB128_94
; %bb.91:                               ;   in Loop: Header=BB128_20 Depth=1
	v_lshlrev_b32_e32 v7, 1, v6
	s_mov_b64 s[14:15], 0
.LBB128_92:                             ;   Parent Loop BB128_20 Depth=1
                                        ; =>  This Inner Loop Header: Depth=2
	ds_read_u16 v8, v7
	v_add_u32_e32 v6, s67, v6
	v_cmp_le_u32_e32 vcc, s24, v6
	v_add_u32_e32 v7, s20, v7
	s_waitcnt lgkmcnt(0)
	v_cmp_lt_i16_e64 s[0:1], -1, v8
	s_nop 1
	v_cndmask_b32_e64 v9, v38, v39, s[0:1]
	v_xor_b32_sdwa v9, v9, v8 dst_sel:DWORD dst_unused:UNUSED_PAD src0_sel:DWORD src1_sel:WORD_0
	v_cmp_o_f16_e64 s[0:1], v8, v8
	s_nop 1
	v_cndmask_b32_e64 v8, v38, v9, s[0:1]
	v_and_b32_e32 v9, v8, v43
	v_bfe_u32 v8, v8, v37, 2
	v_cmp_eq_u32_e64 s[0:1], v9, v33
	v_cmp_eq_u32_e64 s[2:3], 0, v8
	;; [unrolled: 1-line block ×3, first 2 shown]
	s_and_b64 s[2:3], s[0:1], s[2:3]
	v_cmp_eq_u32_e64 s[28:29], 2, v8
	v_cmp_eq_u32_e64 s[30:31], 3, v8
	v_cndmask_b32_e64 v8, 0, 1, s[2:3]
	s_and_b64 s[2:3], s[0:1], s[26:27]
	v_cndmask_b32_e64 v9, 0, 1, s[2:3]
	s_and_b64 s[2:3], s[0:1], s[28:29]
	s_and_b64 s[0:1], s[0:1], s[30:31]
	v_cndmask_b32_e64 v12, 0, 1, s[2:3]
	v_cndmask_b32_e64 v46, 0, 1, s[0:1]
	v_cmp_ne_u32_e64 s[0:1], 0, v8
	v_cmp_ne_u32_e64 s[2:3], 0, v9
	v_cmp_ne_u32_e64 s[26:27], 0, v12
	v_cmp_ne_u32_e64 s[28:29], 0, v46
	s_bcnt1_i32_b64 s0, s[0:1]
	s_bcnt1_i32_b64 s1, s[2:3]
	;; [unrolled: 1-line block ×4, first 2 shown]
	v_add_u32_e32 v3, s1, v3
	v_add_u32_e32 v2, s0, v2
	;; [unrolled: 1-line block ×3, first 2 shown]
	s_or_b64 s[14:15], vcc, s[14:15]
	v_add_u32_e32 v4, s2, v4
	s_andn2_b64 exec, exec, s[14:15]
	s_cbranch_execnz .LBB128_92
; %bb.93:                               ;   in Loop: Header=BB128_20 Depth=1
	s_or_b64 exec, exec, s[14:15]
.LBB128_94:                             ;   in Loop: Header=BB128_20 Depth=1
	s_or_b64 exec, exec, s[8:9]
	s_lshl_b32 s8, s79, 6
	s_and_saveexec_b64 s[0:1], s[4:5]
	s_cbranch_execnz .LBB128_68
	s_branch .LBB128_69
.LBB128_95:                             ;   in Loop: Header=BB128_20 Depth=1
	v_mov_b32_e32 v2, 0
	s_mov_b32 s9, 0
	s_cbranch_execnz .LBB128_100
	s_branch .LBB128_102
.LBB128_96:                             ;   in Loop: Header=BB128_20 Depth=1
	v_mov_b32_e32 v12, v13
	s_mov_b32 s2, 0
	v_mov_b64_e32 v[2:3], v[12:13]
	s_mov_b32 s3, 1
.LBB128_97:                             ;   in Loop: Header=BB128_20 Depth=1
	v_readlane_b32 s14, v80, 29
	v_readlane_b32 s15, v80, 30
	s_andn2_b64 vcc, exec, s[14:15]
	v_readlane_b32 s9, v80, 28
	s_cbranch_vccnz .LBB128_99
.LBB128_98:                             ;   Parent Loop BB128_20 Depth=1
                                        ; =>  This Inner Loop Header: Depth=2
	v_lshl_add_u32 v6, s2, 4, v5
	v_lshl_add_u32 v7, s3, 4, v5
	ds_read_b32 v7, v7
	ds_read_b32 v6, v6
	s_add_i32 s3, s3, 2
	s_add_i32 s2, s2, 2
	s_add_i32 s9, s9, -1
	s_cmp_lg_u32 s9, 0
	s_waitcnt lgkmcnt(1)
	v_add_u32_e32 v3, v7, v3
	s_waitcnt lgkmcnt(0)
	v_add_u32_e32 v2, v6, v2
	s_cbranch_scc1 .LBB128_98
.LBB128_99:                             ;   in Loop: Header=BB128_20 Depth=1
	v_readlane_b32 s2, v80, 33
	v_add_u32_e32 v2, v2, v3
	v_readlane_b32 s9, v80, 32
	v_readlane_b32 s3, v80, 34
	s_and_b64 vcc, exec, s[2:3]
	s_cbranch_vccz .LBB128_102
.LBB128_100:                            ;   in Loop: Header=BB128_20 Depth=1
	s_lshl_b32 s2, s79, 8
	s_lshl_b32 s3, s9, 4
	s_add_i32 s2, s2, s3
	v_add_u32_e32 v3, s2, v36
	v_readlane_b32 s2, v80, 31
	s_sub_i32 s2, s2, s9
.LBB128_101:                            ;   Parent Loop BB128_20 Depth=1
                                        ; =>  This Inner Loop Header: Depth=2
	ds_read_b32 v5, v3
	s_add_i32 s2, s2, -1
	v_add_u32_e32 v3, 16, v3
	s_cmp_eq_u32 s2, 0
	s_waitcnt lgkmcnt(0)
	v_add_u32_e32 v2, v5, v2
	s_cbranch_scc0 .LBB128_101
.LBB128_102:                            ;   in Loop: Header=BB128_20 Depth=1
	v_lshlrev_b32_e32 v3, 2, v4
	ds_write_b32 v3, v2 offset:3072
.LBB128_103:                            ;   in Loop: Header=BB128_20 Depth=1
	s_or_b64 exec, exec, s[0:1]
	s_lshl_b32 s0, s8, 2
	v_mov_b32_e32 v2, s0
	s_waitcnt lgkmcnt(0)
	s_barrier
	ds_read_b128 v[2:5], v2 offset:3072
	v_cmp_eq_u32_e32 vcc, 1, v45
	s_mov_b64 s[2:3], -1
	s_mov_b64 s[28:29], -1
                                        ; implicit-def: $sgpr26_sgpr27
                                        ; implicit-def: $sgpr8_sgpr9
	s_waitcnt lgkmcnt(0)
	v_readfirstlane_b32 s25, v2
	s_cmp_eq_u32 s25, 1
	v_lshlrev_b32_e64 v2, v37, 3
	s_cselect_b64 s[0:1], -1, 0
	v_readfirstlane_b32 s24, v3
	v_readfirstlane_b32 s54, v4
	v_readfirstlane_b32 s62, v5
	v_not_b32_e32 v4, v2
	s_and_b64 s[14:15], s[0:1], vcc
	s_and_saveexec_b64 s[0:1], s[14:15]
	s_cbranch_execz .LBB128_131
; %bb.104:                              ;   in Loop: Header=BB128_20 Depth=1
	ds_read_b32 v3, v13 offset:4104
	s_waitcnt lgkmcnt(0)
	s_barrier
	v_readfirstlane_b32 s42, v3
	s_and_saveexec_b64 s[8:9], s[6:7]
; %bb.105:                              ;   in Loop: Header=BB128_20 Depth=1
	ds_write_b16 v22, v13
; %bb.106:                              ;   in Loop: Header=BB128_20 Depth=1
	s_or_b64 exec, exec, s[8:9]
	v_and_b32_e32 v33, v33, v4
	v_or_b32_e32 v43, v43, v2
	s_mov_b64 s[8:9], -1
	s_mov_b64 s[26:27], 0
	s_cmp_eq_u32 s42, 0
	s_mov_b64 s[28:29], 0
	s_mov_b64 s[30:31], -1
	s_waitcnt lgkmcnt(0)
	s_barrier
                                        ; implicit-def: $vgpr44
	s_cbranch_scc1 .LBB128_118
; %bb.107:                              ;   in Loop: Header=BB128_20 Depth=1
	s_add_i32 s28, s42, s87
	s_mul_hi_u32 s29, s28, s82
	s_mul_i32 s29, s29, s67
	s_sub_i32 s29, s28, s29
	s_sub_i32 s30, s29, s67
	s_cmp_ge_u32 s29, s67
	s_cselect_b32 s29, s30, s29
	s_sub_i32 s30, s29, s67
	s_cmp_ge_u32 s29, s67
	s_cselect_b32 s29, s30, s29
	s_sub_i32 s43, s28, s29
	v_cmp_gt_u32_e32 vcc, s43, v0
	s_mov_b64 s[30:31], 0
	s_mov_b64 s[28:29], 0
                                        ; implicit-def: $vgpr44
	s_and_saveexec_b64 s[34:35], vcc
	s_cbranch_execz .LBB128_117
; %bb.108:                              ;   in Loop: Header=BB128_20 Depth=1
	v_mov_b32_e32 v3, v21
	v_mov_b32_e32 v5, v0
                                        ; implicit-def: $sgpr36_sgpr37
	s_branch .LBB128_112
.LBB128_109:                            ;   in Loop: Header=BB128_112 Depth=2
	s_or_b64 exec, exec, s[38:39]
	s_waitcnt lgkmcnt(0)
	s_barrier
	ds_read_b32 v6, v13 offset:3072
	s_waitcnt lgkmcnt(0)
	s_barrier
	v_cmp_neq_f16_e32 vcc, 0, v6
	s_cbranch_vccnz .LBB128_115
; %bb.110:                              ;   in Loop: Header=BB128_112 Depth=2
	v_add_u32_e32 v5, s67, v5
	v_cmp_le_u32_e32 vcc, s43, v5
	v_add_u32_e32 v3, s20, v3
	s_mov_b64 s[38:39], 0
	s_orn2_b64 s[40:41], vcc, exec
.LBB128_111:                            ;   in Loop: Header=BB128_112 Depth=2
	s_and_b64 s[40:41], exec, s[40:41]
	s_or_b64 s[28:29], s[40:41], s[28:29]
	s_andn2_b64 s[36:37], s[36:37], exec
	s_and_b64 s[38:39], s[38:39], exec
	s_or_b64 s[36:37], s[36:37], s[38:39]
	s_andn2_b64 exec, exec, s[28:29]
	s_cbranch_execz .LBB128_116
.LBB128_112:                            ;   Parent Loop BB128_20 Depth=1
                                        ; =>  This Inner Loop Header: Depth=2
	v_cmp_gt_u32_e32 vcc, s42, v5
	s_and_saveexec_b64 s[38:39], vcc
	s_cbranch_execz .LBB128_109
; %bb.113:                              ;   in Loop: Header=BB128_112 Depth=2
	ds_read_u16 v6, v3
	s_waitcnt lgkmcnt(0)
	v_cmp_lt_i16_e32 vcc, -1, v6
	s_nop 1
	v_cndmask_b32_e32 v7, v38, v39, vcc
	v_xor_b32_sdwa v7, v7, v6 dst_sel:DWORD dst_unused:UNUSED_PAD src0_sel:DWORD src1_sel:WORD_0
	v_cmp_o_f16_e32 vcc, v6, v6
	s_nop 1
	v_cndmask_b32_e32 v7, v38, v7, vcc
	v_and_b32_e32 v7, v7, v43
	v_cmp_eq_u32_e32 vcc, v7, v33
	s_and_b64 exec, exec, vcc
	s_cbranch_execz .LBB128_109
; %bb.114:                              ;   in Loop: Header=BB128_112 Depth=2
	v_perm_b32 v6, v6, s78, v42
	ds_write_b32 v13, v6 offset:3072
	s_branch .LBB128_109
.LBB128_115:                            ;   in Loop: Header=BB128_112 Depth=2
	s_mov_b64 s[40:41], -1
                                        ; implicit-def: $vgpr5
                                        ; implicit-def: $vgpr3
	s_mov_b64 s[38:39], -1
	s_branch .LBB128_111
.LBB128_116:                            ;   in Loop: Header=BB128_20 Depth=1
	s_or_b64 exec, exec, s[28:29]
	v_lshrrev_b32_e32 v44, 16, v6
	s_and_b64 s[28:29], s[36:37], exec
.LBB128_117:                            ;   in Loop: Header=BB128_20 Depth=1
	s_or_b64 exec, exec, s[34:35]
.LBB128_118:                            ;   in Loop: Header=BB128_20 Depth=1
	s_and_b64 vcc, exec, s[30:31]
	s_cbranch_vccz .LBB128_130
; %bb.119:                              ;   in Loop: Header=BB128_20 Depth=1
                                        ; implicit-def: $vgpr44
	s_mov_b64 s[8:9], exec
	v_readlane_b32 s26, v80, 35
	v_readlane_b32 s27, v80, 36
	s_and_b64 s[26:27], s[8:9], s[26:27]
	s_mov_b64 exec, s[26:27]
	s_cbranch_execz .LBB128_129
; %bb.120:                              ;   in Loop: Header=BB128_20 Depth=1
	s_mov_b64 s[26:27], 0
	v_mov_b32_e32 v12, v10
	v_mov_b32_e32 v3, v0
                                        ; implicit-def: $sgpr30_sgpr31
	s_branch .LBB128_124
.LBB128_121:                            ;   in Loop: Header=BB128_124 Depth=2
	s_or_b64 exec, exec, s[34:35]
	s_waitcnt lgkmcnt(0)
	s_barrier
	ds_read_b32 v5, v13 offset:3072
	s_waitcnt lgkmcnt(0)
	s_barrier
	v_cmp_neq_f16_e32 vcc, 0, v5
	s_cbranch_vccnz .LBB128_127
; %bb.122:                              ;   in Loop: Header=BB128_124 Depth=2
	v_add_u32_e32 v3, s67, v3
	v_cmp_le_u32_e32 vcc, s83, v3
	v_add_u32_e32 v12, s86, v12
	s_mov_b64 s[34:35], 0
	s_orn2_b64 s[36:37], vcc, exec
.LBB128_123:                            ;   in Loop: Header=BB128_124 Depth=2
	s_and_b64 s[36:37], exec, s[36:37]
	s_or_b64 s[26:27], s[36:37], s[26:27]
	s_andn2_b64 s[30:31], s[30:31], exec
	s_and_b64 s[34:35], s[34:35], exec
	s_or_b64 s[30:31], s[30:31], s[34:35]
	s_andn2_b64 exec, exec, s[26:27]
	s_cbranch_execz .LBB128_128
.LBB128_124:                            ;   Parent Loop BB128_20 Depth=1
                                        ; =>  This Inner Loop Header: Depth=2
	v_cmp_gt_u32_e32 vcc, s64, v3
	s_and_saveexec_b64 s[34:35], vcc
	s_cbranch_execz .LBB128_121
; %bb.125:                              ;   in Loop: Header=BB128_124 Depth=2
	v_lshl_add_u64 v[6:7], v[12:13], 1, s[70:71]
	global_load_ushort v5, v[6:7], off
	s_waitcnt vmcnt(0)
	v_cmp_lt_i16_e32 vcc, -1, v5
	s_nop 1
	v_cndmask_b32_e32 v6, v38, v39, vcc
	v_xor_b32_sdwa v6, v6, v5 dst_sel:DWORD dst_unused:UNUSED_PAD src0_sel:DWORD src1_sel:WORD_0
	v_cmp_o_f16_e32 vcc, v5, v5
	s_nop 1
	v_cndmask_b32_e32 v6, v38, v6, vcc
	v_and_b32_e32 v6, v6, v43
	v_cmp_eq_u32_e32 vcc, v6, v33
	s_and_b64 exec, exec, vcc
	s_cbranch_execz .LBB128_121
; %bb.126:                              ;   in Loop: Header=BB128_124 Depth=2
	v_perm_b32 v5, v5, s78, v42
	ds_write_b32 v13, v5 offset:3072
	s_branch .LBB128_121
.LBB128_127:                            ;   in Loop: Header=BB128_124 Depth=2
	s_mov_b64 s[36:37], -1
                                        ; implicit-def: $vgpr3
	s_mov_b64 s[34:35], -1
	s_branch .LBB128_123
.LBB128_128:                            ;   in Loop: Header=BB128_20 Depth=1
	s_or_b64 exec, exec, s[26:27]
	s_andn2_b64 s[26:27], s[28:29], exec
	s_and_b64 s[28:29], s[30:31], exec
	v_lshrrev_b32_e32 v44, 16, v5
	s_or_b64 s[28:29], s[26:27], s[28:29]
.LBB128_129:                            ;   in Loop: Header=BB128_20 Depth=1
	s_or_b64 exec, exec, s[8:9]
	s_mov_b64 s[8:9], 0
	s_mov_b64 s[26:27], -1
.LBB128_130:                            ;   in Loop: Header=BB128_20 Depth=1
	s_orn2_b64 s[28:29], s[28:29], exec
.LBB128_131:                            ;   in Loop: Header=BB128_20 Depth=1
	s_or_b64 exec, exec, s[0:1]
	s_andn2_b64 s[0:1], s[12:13], exec
	s_and_b64 s[12:13], s[26:27], exec
	s_or_b64 s[12:13], s[0:1], s[12:13]
	s_andn2_b64 s[0:1], s[68:69], exec
	s_and_b64 s[8:9], s[8:9], exec
	v_readfirstlane_b32 s34, v0
	s_andn2_b64 s[10:11], s[10:11], exec
	s_or_b64 s[68:69], s[0:1], s[8:9]
                                        ; implicit-def: $vgpr5
	s_and_saveexec_b64 s[0:1], s[28:29]
	s_cbranch_execz .LBB128_19
; %bb.132:                              ;   in Loop: Header=BB128_20 Depth=1
	s_xor_b64 s[8:9], s[14:15], -1
	s_mov_b64 s[14:15], 0
	v_mov_b32_e32 v5, 1
	v_mov_b32_e32 v3, 1
	s_and_saveexec_b64 s[2:3], s[8:9]
	s_cbranch_execz .LBB128_141
; %bb.133:                              ;   in Loop: Header=BB128_20 Depth=1
	v_cmp_ge_u32_e32 vcc, s25, v45
	s_and_saveexec_b64 s[8:9], vcc
	s_xor_b64 s[8:9], exec, s[8:9]
	s_cbranch_execz .LBB128_138
; %bb.134:                              ;   in Loop: Header=BB128_20 Depth=1
	ds_read_b32 v3, v13 offset:4104
	v_and_b32_e32 v33, v33, v4
	v_or_b32_e32 v43, v43, v2
	s_waitcnt lgkmcnt(0)
	v_cmp_ne_u32_e32 vcc, 0, v3
	s_cbranch_vccnz .LBB128_138
; %bb.135:                              ;   in Loop: Header=BB128_20 Depth=1
	s_mov_b64 s[14:15], exec
	v_readlane_b32 s26, v80, 7
	v_readlane_b32 s27, v80, 8
	s_and_b64 s[26:27], s[14:15], s[26:27]
	s_mov_b64 exec, s[26:27]
; %bb.136:                              ;   in Loop: Header=BB128_20 Depth=1
	v_mov_b32_e32 v3, s25
	ds_write_b32 v13, v3 offset:4108
; %bb.137:                              ;   in Loop: Header=BB128_20 Depth=1
	s_or_b64 exec, exec, s[14:15]
	s_waitcnt lgkmcnt(0)
	s_barrier
.LBB128_138:                            ;   in Loop: Header=BB128_20 Depth=1
	s_or_saveexec_b64 s[8:9], s[8:9]
	s_mov_b64 s[14:15], 0
	v_mov_b32_e32 v3, 8
	s_xor_b64 exec, exec, s[8:9]
; %bb.139:                              ;   in Loop: Header=BB128_20 Depth=1
	s_mov_b64 s[14:15], exec
	v_subrev_u32_e32 v45, s25, v45
	v_mov_b32_e32 v3, 0
; %bb.140:                              ;   in Loop: Header=BB128_20 Depth=1
	s_or_b64 exec, exec, s[8:9]
	s_and_b64 s[14:15], s[14:15], exec
	v_mov_b32_e32 v5, v45
.LBB128_141:                            ;   in Loop: Header=BB128_20 Depth=1
	s_or_b64 exec, exec, s[2:3]
	s_mov_b64 s[2:3], -1
	s_mov_b64 s[8:9], -1
                                        ; implicit-def: $sgpr28_sgpr29
                                        ; implicit-def: $sgpr30_sgpr31
	s_and_saveexec_b64 s[26:27], s[14:15]
	s_xor_b64 s[26:27], exec, s[26:27]
	s_cbranch_execz .LBB128_264
; %bb.142:                              ;   in Loop: Header=BB128_20 Depth=1
	s_cmp_eq_u32 s24, 1
	s_cselect_b64 s[8:9], -1, 0
	v_cmp_eq_u32_e32 vcc, 1, v5
	s_and_b64 s[14:15], s[8:9], vcc
	s_mov_b64 s[36:37], -1
                                        ; implicit-def: $sgpr30_sgpr31
                                        ; implicit-def: $sgpr28_sgpr29
	s_and_saveexec_b64 s[8:9], s[14:15]
	s_cbranch_execz .LBB128_170
; %bb.143:                              ;   in Loop: Header=BB128_20 Depth=1
	ds_read_b32 v6, v13 offset:4104
	s_waitcnt lgkmcnt(0)
	s_barrier
	v_readfirstlane_b32 s25, v6
	s_and_saveexec_b64 s[28:29], s[6:7]
; %bb.144:                              ;   in Loop: Header=BB128_20 Depth=1
	ds_write_b16 v22, v13
; %bb.145:                              ;   in Loop: Header=BB128_20 Depth=1
	s_or_b64 exec, exec, s[28:29]
	v_and_b32_e32 v6, v33, v4
	v_lshl_or_b32 v33, 1, v37, v6
	v_or_b32_e32 v43, v43, v2
	s_mov_b64 s[28:29], -1
	s_mov_b64 s[30:31], 0
	s_cmp_eq_u32 s25, 0
	s_mov_b64 s[34:35], 0
	s_waitcnt lgkmcnt(0)
	s_barrier
                                        ; implicit-def: $vgpr44
	s_cbranch_scc1 .LBB128_157
; %bb.146:                              ;   in Loop: Header=BB128_20 Depth=1
	s_add_i32 s34, s25, s87
	s_mul_hi_u32 s35, s34, s82
	s_mul_i32 s35, s35, s67
	s_sub_i32 s35, s34, s35
	s_sub_i32 s36, s35, s67
	s_cmp_ge_u32 s35, s67
	s_cselect_b32 s35, s36, s35
	s_sub_i32 s36, s35, s67
	s_cmp_ge_u32 s35, s67
	s_cselect_b32 s35, s36, s35
	s_sub_i32 s46, s34, s35
	v_cmp_gt_u32_e32 vcc, s46, v0
	s_mov_b64 s[36:37], 0
	s_mov_b64 s[34:35], 0
                                        ; implicit-def: $vgpr44
	s_and_saveexec_b64 s[38:39], vcc
	s_cbranch_execz .LBB128_156
; %bb.147:                              ;   in Loop: Header=BB128_20 Depth=1
	v_mov_b32_e32 v6, v21
	v_mov_b32_e32 v7, v0
                                        ; implicit-def: $sgpr40_sgpr41
	s_branch .LBB128_151
.LBB128_148:                            ;   in Loop: Header=BB128_151 Depth=2
	s_or_b64 exec, exec, s[42:43]
	s_waitcnt lgkmcnt(0)
	s_barrier
	ds_read_b32 v8, v13 offset:3072
	s_waitcnt lgkmcnt(0)
	s_barrier
	v_cmp_neq_f16_e32 vcc, 0, v8
	s_cbranch_vccnz .LBB128_154
; %bb.149:                              ;   in Loop: Header=BB128_151 Depth=2
	v_add_u32_e32 v7, s67, v7
	v_cmp_le_u32_e32 vcc, s46, v7
	v_add_u32_e32 v6, s20, v6
	s_mov_b64 s[42:43], 0
	s_orn2_b64 s[44:45], vcc, exec
.LBB128_150:                            ;   in Loop: Header=BB128_151 Depth=2
	s_and_b64 s[44:45], exec, s[44:45]
	s_or_b64 s[34:35], s[44:45], s[34:35]
	s_andn2_b64 s[40:41], s[40:41], exec
	s_and_b64 s[42:43], s[42:43], exec
	s_or_b64 s[40:41], s[40:41], s[42:43]
	s_andn2_b64 exec, exec, s[34:35]
	s_cbranch_execz .LBB128_155
.LBB128_151:                            ;   Parent Loop BB128_20 Depth=1
                                        ; =>  This Inner Loop Header: Depth=2
	v_cmp_gt_u32_e32 vcc, s25, v7
	s_and_saveexec_b64 s[42:43], vcc
	s_cbranch_execz .LBB128_148
; %bb.152:                              ;   in Loop: Header=BB128_151 Depth=2
	ds_read_u16 v8, v6
	s_waitcnt lgkmcnt(0)
	v_cmp_lt_i16_e32 vcc, -1, v8
	s_nop 1
	v_cndmask_b32_e32 v9, v38, v39, vcc
	v_xor_b32_sdwa v9, v9, v8 dst_sel:DWORD dst_unused:UNUSED_PAD src0_sel:DWORD src1_sel:WORD_0
	v_cmp_o_f16_e32 vcc, v8, v8
	s_nop 1
	v_cndmask_b32_e32 v9, v38, v9, vcc
	v_and_b32_e32 v9, v9, v43
	v_cmp_eq_u32_e32 vcc, v9, v33
	s_and_b64 exec, exec, vcc
	s_cbranch_execz .LBB128_148
; %bb.153:                              ;   in Loop: Header=BB128_151 Depth=2
	v_perm_b32 v8, v8, s78, v42
	ds_write_b32 v13, v8 offset:3072
	s_branch .LBB128_148
.LBB128_154:                            ;   in Loop: Header=BB128_151 Depth=2
	s_mov_b64 s[44:45], -1
                                        ; implicit-def: $vgpr7
                                        ; implicit-def: $vgpr6
	s_mov_b64 s[42:43], -1
	s_branch .LBB128_150
.LBB128_155:                            ;   in Loop: Header=BB128_20 Depth=1
	s_or_b64 exec, exec, s[34:35]
	v_lshrrev_b32_e32 v44, 16, v8
	s_and_b64 s[34:35], s[40:41], exec
.LBB128_156:                            ;   in Loop: Header=BB128_20 Depth=1
	s_or_b64 exec, exec, s[38:39]
.LBB128_157:                            ;   in Loop: Header=BB128_20 Depth=1
	s_and_b64 vcc, exec, s[36:37]
	s_cbranch_vccz .LBB128_169
; %bb.158:                              ;   in Loop: Header=BB128_20 Depth=1
                                        ; implicit-def: $vgpr44
	s_mov_b64 s[28:29], exec
	v_readlane_b32 s30, v80, 35
	v_readlane_b32 s31, v80, 36
	s_and_b64 s[30:31], s[28:29], s[30:31]
	s_mov_b64 exec, s[30:31]
	s_cbranch_execz .LBB128_168
; %bb.159:                              ;   in Loop: Header=BB128_20 Depth=1
	s_mov_b64 s[30:31], 0
	v_mov_b32_e32 v12, v10
	v_mov_b32_e32 v6, v0
                                        ; implicit-def: $sgpr36_sgpr37
	s_branch .LBB128_163
.LBB128_160:                            ;   in Loop: Header=BB128_163 Depth=2
	s_or_b64 exec, exec, s[38:39]
	s_waitcnt lgkmcnt(0)
	s_barrier
	ds_read_b32 v7, v13 offset:3072
	s_waitcnt lgkmcnt(0)
	s_barrier
	v_cmp_eq_f16_e32 vcc, 0, v7
	s_cbranch_vccz .LBB128_166
; %bb.161:                              ;   in Loop: Header=BB128_163 Depth=2
	v_add_u32_e32 v6, s67, v6
	v_cmp_le_u32_e32 vcc, s83, v6
	v_add_u32_e32 v12, s86, v12
	s_mov_b64 s[38:39], 0
	s_orn2_b64 s[40:41], vcc, exec
.LBB128_162:                            ;   in Loop: Header=BB128_163 Depth=2
	s_and_b64 s[40:41], exec, s[40:41]
	s_or_b64 s[30:31], s[40:41], s[30:31]
	s_andn2_b64 s[36:37], s[36:37], exec
	s_and_b64 s[38:39], s[38:39], exec
	s_or_b64 s[36:37], s[36:37], s[38:39]
	s_andn2_b64 exec, exec, s[30:31]
	s_cbranch_execz .LBB128_167
.LBB128_163:                            ;   Parent Loop BB128_20 Depth=1
                                        ; =>  This Inner Loop Header: Depth=2
	v_cmp_gt_u32_e32 vcc, s64, v6
	s_and_saveexec_b64 s[38:39], vcc
	s_cbranch_execz .LBB128_160
; %bb.164:                              ;   in Loop: Header=BB128_163 Depth=2
	v_lshl_add_u64 v[8:9], v[12:13], 1, s[70:71]
	global_load_ushort v7, v[8:9], off
	s_waitcnt vmcnt(0)
	v_cmp_lt_i16_e32 vcc, -1, v7
	s_nop 1
	v_cndmask_b32_e32 v8, v38, v39, vcc
	v_xor_b32_sdwa v8, v8, v7 dst_sel:DWORD dst_unused:UNUSED_PAD src0_sel:DWORD src1_sel:WORD_0
	v_cmp_o_f16_e32 vcc, v7, v7
	s_nop 1
	v_cndmask_b32_e32 v8, v38, v8, vcc
	v_and_b32_e32 v8, v8, v43
	v_cmp_eq_u32_e32 vcc, v8, v33
	s_and_b64 exec, exec, vcc
	s_cbranch_execz .LBB128_160
; %bb.165:                              ;   in Loop: Header=BB128_163 Depth=2
	v_perm_b32 v7, v7, s78, v42
	ds_write_b32 v13, v7 offset:3072
	s_branch .LBB128_160
.LBB128_166:                            ;   in Loop: Header=BB128_163 Depth=2
	s_mov_b64 s[40:41], -1
                                        ; implicit-def: $vgpr6
	s_mov_b64 s[38:39], -1
	s_branch .LBB128_162
.LBB128_167:                            ;   in Loop: Header=BB128_20 Depth=1
	s_or_b64 exec, exec, s[30:31]
	s_andn2_b64 s[30:31], s[34:35], exec
	s_and_b64 s[34:35], s[36:37], exec
	v_lshrrev_b32_e32 v44, 16, v7
	s_or_b64 s[34:35], s[30:31], s[34:35]
.LBB128_168:                            ;   in Loop: Header=BB128_20 Depth=1
	s_or_b64 exec, exec, s[28:29]
	s_mov_b64 s[28:29], 0
	s_mov_b64 s[30:31], -1
.LBB128_169:                            ;   in Loop: Header=BB128_20 Depth=1
	s_orn2_b64 s[36:37], s[34:35], exec
.LBB128_170:                            ;   in Loop: Header=BB128_20 Depth=1
	s_or_b64 exec, exec, s[8:9]
	s_mov_b64 s[8:9], 0
	s_and_saveexec_b64 s[34:35], s[36:37]
	s_cbranch_execz .LBB128_263
; %bb.171:                              ;   in Loop: Header=BB128_20 Depth=1
	s_xor_b64 s[36:37], s[14:15], -1
	s_mov_b64 s[14:15], 0
	v_mov_b32_e32 v6, 1
	v_mov_b32_e32 v3, 1
	s_and_saveexec_b64 s[8:9], s[36:37]
	s_cbranch_execz .LBB128_180
; %bb.172:                              ;   in Loop: Header=BB128_20 Depth=1
	v_cmp_ge_u32_e32 vcc, s24, v5
	s_and_saveexec_b64 s[14:15], vcc
	s_xor_b64 s[14:15], exec, s[14:15]
	s_cbranch_execz .LBB128_177
; %bb.173:                              ;   in Loop: Header=BB128_20 Depth=1
	ds_read_b32 v3, v13 offset:4104
	v_and_b32_e32 v6, v33, v4
	v_lshl_or_b32 v33, 1, v37, v6
	v_or_b32_e32 v43, v43, v2
	s_waitcnt lgkmcnt(0)
	v_cmp_ne_u32_e32 vcc, 0, v3
	s_cbranch_vccnz .LBB128_177
; %bb.174:                              ;   in Loop: Header=BB128_20 Depth=1
	s_mov_b64 s[36:37], exec
	v_readlane_b32 s38, v80, 7
	v_readlane_b32 s39, v80, 8
	s_and_b64 s[38:39], s[36:37], s[38:39]
	s_mov_b64 exec, s[38:39]
; %bb.175:                              ;   in Loop: Header=BB128_20 Depth=1
	v_mov_b32_e32 v3, s24
	ds_write_b32 v13, v3 offset:4108
; %bb.176:                              ;   in Loop: Header=BB128_20 Depth=1
	s_or_b64 exec, exec, s[36:37]
	s_waitcnt lgkmcnt(0)
	s_barrier
.LBB128_177:                            ;   in Loop: Header=BB128_20 Depth=1
	s_or_saveexec_b64 s[14:15], s[14:15]
	s_mov_b64 s[36:37], 0
	v_mov_b32_e32 v3, 8
	s_xor_b64 exec, exec, s[14:15]
; %bb.178:                              ;   in Loop: Header=BB128_20 Depth=1
	s_mov_b64 s[36:37], exec
	v_subrev_u32_e32 v5, s24, v5
	v_mov_b32_e32 v3, 0
; %bb.179:                              ;   in Loop: Header=BB128_20 Depth=1
	s_or_b64 exec, exec, s[14:15]
	s_and_b64 s[14:15], s[36:37], exec
	v_mov_b32_e32 v6, v5
.LBB128_180:                            ;   in Loop: Header=BB128_20 Depth=1
	s_or_b64 exec, exec, s[8:9]
	s_mov_b64 s[8:9], -1
                                        ; implicit-def: $sgpr38_sgpr39
                                        ; implicit-def: $sgpr40_sgpr41
	s_and_saveexec_b64 s[36:37], s[14:15]
	s_cbranch_execz .LBB128_262
; %bb.181:                              ;   in Loop: Header=BB128_20 Depth=1
	s_cmp_eq_u32 s54, 1
	s_cselect_b64 s[8:9], -1, 0
	v_cmp_eq_u32_e32 vcc, 1, v6
	s_and_b64 s[14:15], s[8:9], vcc
	s_mov_b64 s[44:45], -1
                                        ; implicit-def: $sgpr40_sgpr41
                                        ; implicit-def: $sgpr38_sgpr39
	s_and_saveexec_b64 s[8:9], s[14:15]
	s_cbranch_execz .LBB128_209
; %bb.182:                              ;   in Loop: Header=BB128_20 Depth=1
	ds_read_b32 v5, v13 offset:4104
	s_waitcnt lgkmcnt(0)
	s_barrier
	v_readfirstlane_b32 s24, v5
	s_and_saveexec_b64 s[38:39], s[6:7]
; %bb.183:                              ;   in Loop: Header=BB128_20 Depth=1
	ds_write_b16 v22, v13
; %bb.184:                              ;   in Loop: Header=BB128_20 Depth=1
	s_or_b64 exec, exec, s[38:39]
	v_and_b32_e32 v5, v33, v4
	v_lshl_or_b32 v33, 2, v37, v5
	v_or_b32_e32 v43, v43, v2
	s_mov_b64 s[38:39], -1
	s_mov_b64 s[40:41], 0
	s_cmp_eq_u32 s24, 0
	s_mov_b64 s[42:43], 0
	s_waitcnt lgkmcnt(0)
	s_barrier
                                        ; implicit-def: $vgpr44
	s_cbranch_scc1 .LBB128_196
; %bb.185:                              ;   in Loop: Header=BB128_20 Depth=1
	s_add_i32 s25, s24, s87
	s_mul_hi_u32 s42, s25, s82
	s_mul_i32 s42, s42, s67
	s_sub_i32 s42, s25, s42
	s_sub_i32 s43, s42, s67
	s_cmp_ge_u32 s42, s67
	s_cselect_b32 s42, s43, s42
	s_sub_i32 s43, s42, s67
	s_cmp_ge_u32 s42, s67
	s_cselect_b32 s42, s43, s42
	s_sub_i32 s25, s25, s42
	v_cmp_gt_u32_e32 vcc, s25, v0
	s_mov_b64 s[44:45], 0
	s_mov_b64 s[42:43], 0
                                        ; implicit-def: $vgpr44
	s_and_saveexec_b64 s[46:47], vcc
	s_cbranch_execz .LBB128_195
; %bb.186:                              ;   in Loop: Header=BB128_20 Depth=1
	v_mov_b32_e32 v5, v21
	v_mov_b32_e32 v7, v0
                                        ; implicit-def: $sgpr48_sgpr49
	s_branch .LBB128_190
.LBB128_187:                            ;   in Loop: Header=BB128_190 Depth=2
	s_or_b64 exec, exec, s[50:51]
	s_waitcnt lgkmcnt(0)
	s_barrier
	ds_read_b32 v8, v13 offset:3072
	s_waitcnt lgkmcnt(0)
	s_barrier
	v_cmp_neq_f16_e32 vcc, 0, v8
	s_cbranch_vccnz .LBB128_193
; %bb.188:                              ;   in Loop: Header=BB128_190 Depth=2
	v_add_u32_e32 v7, s67, v7
	v_cmp_le_u32_e32 vcc, s25, v7
	v_add_u32_e32 v5, s20, v5
	s_mov_b64 s[50:51], 0
	s_orn2_b64 s[52:53], vcc, exec
.LBB128_189:                            ;   in Loop: Header=BB128_190 Depth=2
	s_and_b64 s[52:53], exec, s[52:53]
	s_or_b64 s[42:43], s[52:53], s[42:43]
	s_andn2_b64 s[48:49], s[48:49], exec
	s_and_b64 s[50:51], s[50:51], exec
	s_or_b64 s[48:49], s[48:49], s[50:51]
	s_andn2_b64 exec, exec, s[42:43]
	s_cbranch_execz .LBB128_194
.LBB128_190:                            ;   Parent Loop BB128_20 Depth=1
                                        ; =>  This Inner Loop Header: Depth=2
	v_cmp_gt_u32_e32 vcc, s24, v7
	s_and_saveexec_b64 s[50:51], vcc
	s_cbranch_execz .LBB128_187
; %bb.191:                              ;   in Loop: Header=BB128_190 Depth=2
	ds_read_u16 v8, v5
	s_waitcnt lgkmcnt(0)
	v_cmp_lt_i16_e32 vcc, -1, v8
	s_nop 1
	v_cndmask_b32_e32 v9, v38, v39, vcc
	v_xor_b32_sdwa v9, v9, v8 dst_sel:DWORD dst_unused:UNUSED_PAD src0_sel:DWORD src1_sel:WORD_0
	v_cmp_o_f16_e32 vcc, v8, v8
	s_nop 1
	v_cndmask_b32_e32 v9, v38, v9, vcc
	v_and_b32_e32 v9, v9, v43
	v_cmp_eq_u32_e32 vcc, v9, v33
	s_and_b64 exec, exec, vcc
	s_cbranch_execz .LBB128_187
; %bb.192:                              ;   in Loop: Header=BB128_190 Depth=2
	v_perm_b32 v8, v8, s78, v42
	ds_write_b32 v13, v8 offset:3072
	s_branch .LBB128_187
.LBB128_193:                            ;   in Loop: Header=BB128_190 Depth=2
	s_mov_b64 s[52:53], -1
                                        ; implicit-def: $vgpr7
                                        ; implicit-def: $vgpr5
	s_mov_b64 s[50:51], -1
	s_branch .LBB128_189
.LBB128_194:                            ;   in Loop: Header=BB128_20 Depth=1
	s_or_b64 exec, exec, s[42:43]
	v_lshrrev_b32_e32 v44, 16, v8
	s_and_b64 s[42:43], s[48:49], exec
.LBB128_195:                            ;   in Loop: Header=BB128_20 Depth=1
	s_or_b64 exec, exec, s[46:47]
.LBB128_196:                            ;   in Loop: Header=BB128_20 Depth=1
	s_and_b64 vcc, exec, s[44:45]
	s_cbranch_vccz .LBB128_208
; %bb.197:                              ;   in Loop: Header=BB128_20 Depth=1
                                        ; implicit-def: $vgpr44
	s_mov_b64 s[38:39], exec
	v_readlane_b32 s24, v80, 35
	v_readlane_b32 s25, v80, 36
	s_and_b64 s[24:25], s[38:39], s[24:25]
	s_mov_b64 exec, s[24:25]
	s_cbranch_execz .LBB128_207
; %bb.198:                              ;   in Loop: Header=BB128_20 Depth=1
	s_mov_b64 s[40:41], 0
	v_mov_b32_e32 v12, v10
	v_mov_b32_e32 v5, v0
                                        ; implicit-def: $sgpr44_sgpr45
	s_branch .LBB128_202
.LBB128_199:                            ;   in Loop: Header=BB128_202 Depth=2
	s_or_b64 exec, exec, s[46:47]
	s_waitcnt lgkmcnt(0)
	s_barrier
	ds_read_b32 v7, v13 offset:3072
	s_waitcnt lgkmcnt(0)
	s_barrier
	v_cmp_eq_f16_e32 vcc, 0, v7
	s_cbranch_vccz .LBB128_205
; %bb.200:                              ;   in Loop: Header=BB128_202 Depth=2
	v_add_u32_e32 v5, s67, v5
	v_cmp_le_u32_e32 vcc, s83, v5
	v_add_u32_e32 v12, s86, v12
	s_mov_b64 s[46:47], 0
	s_orn2_b64 s[48:49], vcc, exec
.LBB128_201:                            ;   in Loop: Header=BB128_202 Depth=2
	s_and_b64 s[24:25], exec, s[48:49]
	s_or_b64 s[40:41], s[24:25], s[40:41]
	s_andn2_b64 s[24:25], s[44:45], exec
	s_and_b64 s[44:45], s[46:47], exec
	s_or_b64 s[44:45], s[24:25], s[44:45]
	s_andn2_b64 exec, exec, s[40:41]
	s_cbranch_execz .LBB128_206
.LBB128_202:                            ;   Parent Loop BB128_20 Depth=1
                                        ; =>  This Inner Loop Header: Depth=2
	v_cmp_gt_u32_e32 vcc, s64, v5
	s_and_saveexec_b64 s[46:47], vcc
	s_cbranch_execz .LBB128_199
; %bb.203:                              ;   in Loop: Header=BB128_202 Depth=2
	v_lshl_add_u64 v[8:9], v[12:13], 1, s[70:71]
	global_load_ushort v7, v[8:9], off
	s_waitcnt vmcnt(0)
	v_cmp_lt_i16_e32 vcc, -1, v7
	s_nop 1
	v_cndmask_b32_e32 v8, v38, v39, vcc
	v_xor_b32_sdwa v8, v8, v7 dst_sel:DWORD dst_unused:UNUSED_PAD src0_sel:DWORD src1_sel:WORD_0
	v_cmp_o_f16_e32 vcc, v7, v7
	s_nop 1
	v_cndmask_b32_e32 v8, v38, v8, vcc
	v_and_b32_e32 v8, v8, v43
	v_cmp_eq_u32_e32 vcc, v8, v33
	s_and_b64 exec, exec, vcc
	s_cbranch_execz .LBB128_199
; %bb.204:                              ;   in Loop: Header=BB128_202 Depth=2
	v_perm_b32 v7, v7, s78, v42
	ds_write_b32 v13, v7 offset:3072
	s_branch .LBB128_199
.LBB128_205:                            ;   in Loop: Header=BB128_202 Depth=2
	s_mov_b64 s[48:49], -1
                                        ; implicit-def: $vgpr5
	s_mov_b64 s[46:47], -1
	s_branch .LBB128_201
.LBB128_206:                            ;   in Loop: Header=BB128_20 Depth=1
	s_or_b64 exec, exec, s[40:41]
	s_andn2_b64 s[24:25], s[42:43], exec
	s_and_b64 s[40:41], s[44:45], exec
	v_lshrrev_b32_e32 v44, 16, v7
	s_or_b64 s[42:43], s[24:25], s[40:41]
.LBB128_207:                            ;   in Loop: Header=BB128_20 Depth=1
	s_or_b64 exec, exec, s[38:39]
	s_mov_b64 s[38:39], 0
	s_mov_b64 s[40:41], -1
.LBB128_208:                            ;   in Loop: Header=BB128_20 Depth=1
	s_orn2_b64 s[44:45], s[42:43], exec
.LBB128_209:                            ;   in Loop: Header=BB128_20 Depth=1
	s_or_b64 exec, exec, s[8:9]
	s_mov_b64 s[8:9], 0
	s_and_saveexec_b64 s[42:43], s[44:45]
	s_cbranch_execz .LBB128_261
; %bb.210:                              ;   in Loop: Header=BB128_20 Depth=1
	s_xor_b64 s[14:15], s[14:15], -1
	s_mov_b64 s[48:49], 0
	v_mov_b32_e32 v5, 1
	v_mov_b32_e32 v3, 1
	s_and_saveexec_b64 s[8:9], s[14:15]
	s_cbranch_execz .LBB128_219
; %bb.211:                              ;   in Loop: Header=BB128_20 Depth=1
	v_cmp_ge_u32_e32 vcc, s54, v6
	s_and_saveexec_b64 s[14:15], vcc
	s_xor_b64 s[14:15], exec, s[14:15]
	s_cbranch_execz .LBB128_216
; %bb.212:                              ;   in Loop: Header=BB128_20 Depth=1
	ds_read_b32 v3, v13 offset:4104
	v_and_b32_e32 v4, v33, v4
	v_lshl_or_b32 v33, 2, v37, v4
	v_or_b32_e32 v43, v43, v2
	s_waitcnt lgkmcnt(0)
	v_cmp_ne_u32_e32 vcc, 0, v3
	s_cbranch_vccnz .LBB128_216
; %bb.213:                              ;   in Loop: Header=BB128_20 Depth=1
	s_mov_b64 s[44:45], exec
	v_readlane_b32 s24, v80, 7
	v_readlane_b32 s25, v80, 8
	s_and_b64 s[24:25], s[44:45], s[24:25]
	s_mov_b64 exec, s[24:25]
; %bb.214:                              ;   in Loop: Header=BB128_20 Depth=1
	v_mov_b32_e32 v3, s54
	ds_write_b32 v13, v3 offset:4108
; %bb.215:                              ;   in Loop: Header=BB128_20 Depth=1
	s_or_b64 exec, exec, s[44:45]
	s_waitcnt lgkmcnt(0)
	s_barrier
.LBB128_216:                            ;   in Loop: Header=BB128_20 Depth=1
	s_or_saveexec_b64 s[14:15], s[14:15]
	s_mov_b64 s[44:45], 0
	v_mov_b32_e32 v3, 8
	s_xor_b64 exec, exec, s[14:15]
; %bb.217:                              ;   in Loop: Header=BB128_20 Depth=1
	s_mov_b64 s[44:45], exec
	v_subrev_u32_e32 v6, s54, v6
	v_mov_b32_e32 v3, 0
; %bb.218:                              ;   in Loop: Header=BB128_20 Depth=1
	s_or_b64 exec, exec, s[14:15]
	s_and_b64 s[48:49], s[44:45], exec
	v_mov_b32_e32 v5, v6
.LBB128_219:                            ;   in Loop: Header=BB128_20 Depth=1
	s_or_b64 exec, exec, s[8:9]
	s_mov_b64 s[8:9], -1
                                        ; implicit-def: $sgpr46_sgpr47
                                        ; implicit-def: $sgpr14_sgpr15
	s_and_saveexec_b64 s[44:45], s[48:49]
	s_cbranch_execz .LBB128_260
; %bb.220:                              ;   in Loop: Header=BB128_20 Depth=1
	s_cmp_eq_u32 s62, 1
	s_cselect_b64 s[8:9], -1, 0
	v_cmp_eq_u32_e32 vcc, 1, v5
	s_and_b64 s[48:49], s[8:9], vcc
	s_mov_b64 s[50:51], -1
                                        ; implicit-def: $sgpr46_sgpr47
                                        ; implicit-def: $sgpr14_sgpr15
	s_and_saveexec_b64 s[8:9], s[48:49]
	s_cbranch_execz .LBB128_248
; %bb.221:                              ;   in Loop: Header=BB128_20 Depth=1
	ds_read_b32 v4, v13 offset:4104
	s_waitcnt lgkmcnt(0)
	s_barrier
	v_readfirstlane_b32 s24, v4
	s_and_saveexec_b64 s[14:15], s[6:7]
; %bb.222:                              ;   in Loop: Header=BB128_20 Depth=1
	ds_write_b16 v22, v13
; %bb.223:                              ;   in Loop: Header=BB128_20 Depth=1
	s_or_b64 exec, exec, s[14:15]
	v_or_b32_e32 v33, v33, v2
	v_or_b32_e32 v43, v43, v2
	s_mov_b64 s[14:15], -1
	s_mov_b64 s[46:47], 0
	s_cmp_eq_u32 s24, 0
	s_mov_b64 s[50:51], 0
	s_mov_b64 s[52:53], -1
	s_waitcnt lgkmcnt(0)
	s_barrier
                                        ; implicit-def: $vgpr44
	s_cbranch_scc1 .LBB128_235
; %bb.224:                              ;   in Loop: Header=BB128_20 Depth=1
	s_add_i32 s25, s24, s87
	s_mul_hi_u32 s50, s25, s82
	s_mul_i32 s50, s50, s67
	s_sub_i32 s50, s25, s50
	s_sub_i32 s51, s50, s67
	s_cmp_ge_u32 s50, s67
	s_cselect_b32 s50, s51, s50
	s_sub_i32 s51, s50, s67
	s_cmp_ge_u32 s50, s67
	s_cselect_b32 s50, s51, s50
	s_sub_i32 s25, s25, s50
	v_cmp_gt_u32_e32 vcc, s25, v0
	s_mov_b64 s[52:53], 0
	s_mov_b64 s[50:51], 0
                                        ; implicit-def: $vgpr44
	s_and_saveexec_b64 s[54:55], vcc
	s_cbranch_execz .LBB128_234
; %bb.225:                              ;   in Loop: Header=BB128_20 Depth=1
	v_mov_b32_e32 v4, v21
	v_mov_b32_e32 v6, v0
                                        ; implicit-def: $sgpr56_sgpr57
	s_branch .LBB128_229
.LBB128_226:                            ;   in Loop: Header=BB128_229 Depth=2
	s_or_b64 exec, exec, s[58:59]
	s_waitcnt lgkmcnt(0)
	s_barrier
	ds_read_b32 v7, v13 offset:3072
	s_waitcnt lgkmcnt(0)
	s_barrier
	v_cmp_neq_f16_e32 vcc, 0, v7
	s_cbranch_vccnz .LBB128_232
; %bb.227:                              ;   in Loop: Header=BB128_229 Depth=2
	v_add_u32_e32 v6, s67, v6
	v_cmp_le_u32_e32 vcc, s25, v6
	v_add_u32_e32 v4, s20, v4
	s_mov_b64 s[58:59], 0
	s_orn2_b64 s[60:61], vcc, exec
.LBB128_228:                            ;   in Loop: Header=BB128_229 Depth=2
	s_and_b64 s[60:61], exec, s[60:61]
	s_or_b64 s[50:51], s[60:61], s[50:51]
	s_andn2_b64 s[56:57], s[56:57], exec
	s_and_b64 s[58:59], s[58:59], exec
	s_or_b64 s[56:57], s[56:57], s[58:59]
	s_andn2_b64 exec, exec, s[50:51]
	s_cbranch_execz .LBB128_233
.LBB128_229:                            ;   Parent Loop BB128_20 Depth=1
                                        ; =>  This Inner Loop Header: Depth=2
	v_cmp_gt_u32_e32 vcc, s24, v6
	s_and_saveexec_b64 s[58:59], vcc
	s_cbranch_execz .LBB128_226
; %bb.230:                              ;   in Loop: Header=BB128_229 Depth=2
	ds_read_u16 v7, v4
	s_waitcnt lgkmcnt(0)
	v_cmp_lt_i16_e32 vcc, -1, v7
	s_nop 1
	v_cndmask_b32_e32 v8, v38, v39, vcc
	v_xor_b32_sdwa v8, v8, v7 dst_sel:DWORD dst_unused:UNUSED_PAD src0_sel:DWORD src1_sel:WORD_0
	v_cmp_o_f16_e32 vcc, v7, v7
	s_nop 1
	v_cndmask_b32_e32 v8, v38, v8, vcc
	v_and_b32_e32 v8, v8, v43
	v_cmp_eq_u32_e32 vcc, v8, v33
	s_and_b64 exec, exec, vcc
	s_cbranch_execz .LBB128_226
; %bb.231:                              ;   in Loop: Header=BB128_229 Depth=2
	v_perm_b32 v7, v7, s78, v42
	ds_write_b32 v13, v7 offset:3072
	s_branch .LBB128_226
.LBB128_232:                            ;   in Loop: Header=BB128_229 Depth=2
	s_mov_b64 s[60:61], -1
                                        ; implicit-def: $vgpr6
                                        ; implicit-def: $vgpr4
	s_mov_b64 s[58:59], -1
	s_branch .LBB128_228
.LBB128_233:                            ;   in Loop: Header=BB128_20 Depth=1
	s_or_b64 exec, exec, s[50:51]
	v_lshrrev_b32_e32 v44, 16, v7
	s_and_b64 s[50:51], s[56:57], exec
.LBB128_234:                            ;   in Loop: Header=BB128_20 Depth=1
	s_or_b64 exec, exec, s[54:55]
.LBB128_235:                            ;   in Loop: Header=BB128_20 Depth=1
	s_and_b64 vcc, exec, s[52:53]
	s_cbranch_vccz .LBB128_247
; %bb.236:                              ;   in Loop: Header=BB128_20 Depth=1
                                        ; implicit-def: $vgpr44
	s_mov_b64 s[14:15], exec
	v_readlane_b32 s24, v80, 35
	v_readlane_b32 s25, v80, 36
	s_and_b64 s[24:25], s[14:15], s[24:25]
	s_mov_b64 exec, s[24:25]
	s_cbranch_execz .LBB128_246
; %bb.237:                              ;   in Loop: Header=BB128_20 Depth=1
	s_mov_b64 s[46:47], 0
	v_mov_b32_e32 v12, v10
	v_mov_b32_e32 v4, v0
                                        ; implicit-def: $sgpr52_sgpr53
	s_branch .LBB128_241
.LBB128_238:                            ;   in Loop: Header=BB128_241 Depth=2
	s_or_b64 exec, exec, s[54:55]
	s_waitcnt lgkmcnt(0)
	s_barrier
	ds_read_b32 v6, v13 offset:3072
	s_waitcnt lgkmcnt(0)
	s_barrier
	v_cmp_eq_f16_e32 vcc, 0, v6
	s_cbranch_vccz .LBB128_244
; %bb.239:                              ;   in Loop: Header=BB128_241 Depth=2
	v_add_u32_e32 v4, s67, v4
	v_cmp_le_u32_e32 vcc, s83, v4
	v_add_u32_e32 v12, s86, v12
	s_mov_b64 s[54:55], 0
	s_orn2_b64 s[56:57], vcc, exec
.LBB128_240:                            ;   in Loop: Header=BB128_241 Depth=2
	s_and_b64 s[24:25], exec, s[56:57]
	s_or_b64 s[46:47], s[24:25], s[46:47]
	s_andn2_b64 s[24:25], s[52:53], exec
	s_and_b64 s[52:53], s[54:55], exec
	s_or_b64 s[52:53], s[24:25], s[52:53]
	s_andn2_b64 exec, exec, s[46:47]
	s_cbranch_execz .LBB128_245
.LBB128_241:                            ;   Parent Loop BB128_20 Depth=1
                                        ; =>  This Inner Loop Header: Depth=2
	v_cmp_gt_u32_e32 vcc, s64, v4
	s_and_saveexec_b64 s[54:55], vcc
	s_cbranch_execz .LBB128_238
; %bb.242:                              ;   in Loop: Header=BB128_241 Depth=2
	v_lshl_add_u64 v[6:7], v[12:13], 1, s[70:71]
	global_load_ushort v6, v[6:7], off
	s_waitcnt vmcnt(0)
	v_cmp_lt_i16_e32 vcc, -1, v6
	s_nop 1
	v_cndmask_b32_e32 v7, v38, v39, vcc
	v_xor_b32_sdwa v7, v7, v6 dst_sel:DWORD dst_unused:UNUSED_PAD src0_sel:DWORD src1_sel:WORD_0
	v_cmp_o_f16_e32 vcc, v6, v6
	s_nop 1
	v_cndmask_b32_e32 v7, v38, v7, vcc
	v_and_b32_e32 v7, v7, v43
	v_cmp_eq_u32_e32 vcc, v7, v33
	s_and_b64 exec, exec, vcc
	s_cbranch_execz .LBB128_238
; %bb.243:                              ;   in Loop: Header=BB128_241 Depth=2
	v_perm_b32 v6, v6, s78, v42
	ds_write_b32 v13, v6 offset:3072
	s_branch .LBB128_238
.LBB128_244:                            ;   in Loop: Header=BB128_241 Depth=2
	s_mov_b64 s[56:57], -1
                                        ; implicit-def: $vgpr4
	s_mov_b64 s[54:55], -1
	s_branch .LBB128_240
.LBB128_245:                            ;   in Loop: Header=BB128_20 Depth=1
	s_or_b64 exec, exec, s[46:47]
	s_andn2_b64 s[24:25], s[50:51], exec
	s_and_b64 s[46:47], s[52:53], exec
	v_lshrrev_b32_e32 v44, 16, v6
	s_or_b64 s[50:51], s[24:25], s[46:47]
.LBB128_246:                            ;   in Loop: Header=BB128_20 Depth=1
	s_or_b64 exec, exec, s[14:15]
	s_mov_b64 s[14:15], 0
	s_mov_b64 s[46:47], -1
.LBB128_247:                            ;   in Loop: Header=BB128_20 Depth=1
	s_orn2_b64 s[50:51], s[50:51], exec
.LBB128_248:                            ;   in Loop: Header=BB128_20 Depth=1
	s_or_b64 exec, exec, s[8:9]
	s_mov_b64 s[52:53], 0
	s_and_saveexec_b64 s[8:9], s[50:51]
	s_cbranch_execz .LBB128_259
; %bb.249:                              ;   in Loop: Header=BB128_20 Depth=1
	s_xor_b64 s[24:25], s[48:49], -1
	v_mov_b32_e32 v3, 1
	v_mov_b32_e32 v4, 1
	s_and_saveexec_b64 s[48:49], s[24:25]
	s_cbranch_execz .LBB128_258
; %bb.250:                              ;   in Loop: Header=BB128_20 Depth=1
	v_cmp_ge_u32_e32 vcc, s62, v5
	s_and_saveexec_b64 s[24:25], vcc
	s_xor_b64 s[50:51], exec, s[24:25]
	s_cbranch_execz .LBB128_255
; %bb.251:                              ;   in Loop: Header=BB128_20 Depth=1
	ds_read_b32 v3, v13 offset:4104
	v_or_b32_e32 v33, v33, v2
	v_or_b32_e32 v43, v43, v2
	s_waitcnt lgkmcnt(0)
	v_cmp_ne_u32_e32 vcc, 0, v3
	s_cbranch_vccnz .LBB128_255
; %bb.252:                              ;   in Loop: Header=BB128_20 Depth=1
	s_mov_b64 s[52:53], exec
	v_readlane_b32 s24, v80, 7
	v_readlane_b32 s25, v80, 8
	s_and_b64 s[24:25], s[52:53], s[24:25]
	s_mov_b64 exec, s[24:25]
; %bb.253:                              ;   in Loop: Header=BB128_20 Depth=1
	v_mov_b32_e32 v2, s62
	ds_write_b32 v13, v2 offset:4108
; %bb.254:                              ;   in Loop: Header=BB128_20 Depth=1
	s_or_b64 exec, exec, s[52:53]
	s_waitcnt lgkmcnt(0)
	s_barrier
.LBB128_255:                            ;   in Loop: Header=BB128_20 Depth=1
	s_andn2_saveexec_b64 s[50:51], s[50:51]
; %bb.256:                              ;   in Loop: Header=BB128_20 Depth=1
	v_subrev_u32_e32 v5, s62, v5
; %bb.257:                              ;   in Loop: Header=BB128_20 Depth=1
	s_or_b64 exec, exec, s[50:51]
	v_mov_b32_e32 v3, 8
	v_mov_b32_e32 v4, v5
.LBB128_258:                            ;   in Loop: Header=BB128_20 Depth=1
	s_or_b64 exec, exec, s[48:49]
	s_mov_b64 s[52:53], exec
	v_mov_b32_e32 v5, v4
.LBB128_259:                            ;   in Loop: Header=BB128_20 Depth=1
	s_or_b64 exec, exec, s[8:9]
	s_orn2_b64 s[8:9], s[52:53], exec
.LBB128_260:                            ;   in Loop: Header=BB128_20 Depth=1
	s_or_b64 exec, exec, s[44:45]
	s_andn2_b64 s[24:25], s[40:41], exec
	s_and_b64 s[40:41], s[46:47], exec
	s_or_b64 s[40:41], s[24:25], s[40:41]
	s_andn2_b64 s[24:25], s[38:39], exec
	s_and_b64 s[14:15], s[14:15], exec
	s_or_b64 s[38:39], s[24:25], s[14:15]
	s_and_b64 s[8:9], s[8:9], exec
	v_mov_b32_e32 v6, v5
.LBB128_261:                            ;   in Loop: Header=BB128_20 Depth=1
	s_or_b64 exec, exec, s[42:43]
	s_orn2_b64 s[8:9], s[8:9], exec
.LBB128_262:                            ;   in Loop: Header=BB128_20 Depth=1
	s_or_b64 exec, exec, s[36:37]
	s_andn2_b64 s[14:15], s[30:31], exec
	s_and_b64 s[24:25], s[40:41], exec
	s_or_b64 s[30:31], s[14:15], s[24:25]
	s_andn2_b64 s[14:15], s[28:29], exec
	s_and_b64 s[24:25], s[38:39], exec
	s_or_b64 s[28:29], s[14:15], s[24:25]
	s_and_b64 s[8:9], s[8:9], exec
	v_mov_b32_e32 v5, v6
.LBB128_263:                            ;   in Loop: Header=BB128_20 Depth=1
	s_or_b64 exec, exec, s[34:35]
	s_orn2_b64 s[8:9], s[8:9], exec
.LBB128_264:                            ;   in Loop: Header=BB128_20 Depth=1
	s_or_b64 exec, exec, s[26:27]
	s_mov_b64 s[14:15], 0
                                        ; implicit-def: $sgpr34
	s_and_saveexec_b64 s[24:25], s[8:9]
	s_xor_b64 s[8:9], exec, s[24:25]
	s_cbranch_execz .LBB128_18
; %bb.265:                              ;   in Loop: Header=BB128_20 Depth=1
	v_and_b32_e32 v2, 7, v3
	v_cmp_eq_u32_e32 vcc, 0, v2
	s_mov_b64 s[2:3], -1
	s_mov_b64 s[14:15], -1
                                        ; implicit-def: $sgpr34
	s_and_saveexec_b64 s[26:27], vcc
	s_cbranch_execz .LBB128_17
; %bb.266:                              ;   in Loop: Header=BB128_20 Depth=1
	v_add_u32_e32 v2, -2, v37
	v_cmp_eq_u32_e32 vcc, 0, v37
	s_xor_b32 s34, s79, 1
	s_xor_b64 s[14:15], exec, -1
	s_orn2_b64 s[2:3], vcc, exec
	v_mov_b32_e32 v37, v2
	s_branch .LBB128_17
.LBB128_267:
	s_or_b64 exec, exec, s[92:93]
	s_xor_b64 s[4:5], s[98:99], -1
	s_xor_b64 s[2:3], s[94:95], -1
	;; [unrolled: 1-line block ×3, first 2 shown]
	s_mov_b64 s[0:1], 0
	s_and_saveexec_b64 s[8:9], s[2:3]
	s_xor_b64 s[2:3], exec, s[8:9]
	s_cbranch_execnz .LBB128_272
; %bb.268:
	s_andn2_saveexec_b64 s[2:3], s[2:3]
	s_cbranch_execnz .LBB128_285
.LBB128_269:
	s_or_b64 exec, exec, s[2:3]
	s_and_saveexec_b64 s[2:3], s[0:1]
.LBB128_270:
	; divergent unreachable
.LBB128_271:
	s_endpgm
.LBB128_272:
	s_and_saveexec_b64 s[0:1], s[4:5]
	s_xor_b64 s[4:5], exec, s[0:1]
	s_cbranch_execz .LBB128_283
; %bb.273:
	s_and_saveexec_b64 s[0:1], s[6:7]
	s_xor_b64 s[0:1], exec, s[0:1]
; %bb.274:
	v_and_b32_e32 v1, 0x8000, v33
	v_mov_b32_e32 v2, 0x8000
	v_mov_b32_e32 v3, 0xffff
	v_cmp_eq_u32_e32 vcc, 0, v1
	s_nop 1
	v_cndmask_b32_e32 v1, v2, v3, vcc
	v_xor_b32_e32 v44, v1, v33
; %bb.275:
	s_or_b64 exec, exec, s[0:1]
	v_readlane_b32 s0, v80, 4
	v_readlane_b32 s1, v80, 10
	s_mul_i32 s0, s1, s0
	s_mov_b32 s1, 0
	s_lshl_b64 s[0:1], s[0:1], 1
	v_readlane_b32 s6, v80, 2
	v_readlane_b32 s7, v80, 3
	s_add_u32 s0, s6, s0
	s_addc_u32 s1, s7, s1
	v_mov_b32_e32 v11, 0
	global_store_short v11, v44, s[0:1]
	s_mov_b64 s[6:7], exec
	v_readlane_b32 s0, v80, 5
	v_readlane_b32 s1, v80, 6
	s_and_b64 s[0:1], s[6:7], s[0:1]
	s_mov_b64 exec, s[0:1]
	s_cbranch_execz .LBB128_282
; %bb.276:
	v_cmp_u_f16_e32 vcc, v44, v44
	s_mov_b64 s[8:9], 0
	s_xor_b64 s[12:13], vcc, -1
                                        ; implicit-def: $sgpr10_sgpr11
                                        ; implicit-def: $sgpr16_sgpr17
                                        ; implicit-def: $sgpr14_sgpr15
	s_branch .LBB128_278
.LBB128_277:                            ;   in Loop: Header=BB128_278 Depth=1
	s_or_b64 exec, exec, s[0:1]
	s_and_b64 s[0:1], exec, s[16:17]
	s_or_b64 s[8:9], s[0:1], s[8:9]
	s_andn2_b64 s[0:1], s[10:11], exec
	s_and_b64 s[10:11], s[14:15], exec
	s_or_b64 s[10:11], s[0:1], s[10:11]
	s_andn2_b64 exec, exec, s[8:9]
	s_cbranch_execz .LBB128_280
.LBB128_278:                            ; =>This Inner Loop Header: Depth=1
	v_lshl_add_u64 v[2:3], v[10:11], 1, s[70:71]
	global_load_ushort v1, v[2:3], off
	v_mov_b32_e32 v2, v0
	s_or_b64 s[14:15], s[14:15], exec
	s_or_b64 s[16:17], s[16:17], exec
                                        ; implicit-def: $vgpr0
	s_waitcnt vmcnt(0)
	v_cmp_o_f16_e64 s[0:1], v1, v1
	v_cmp_neq_f16_e32 vcc, v1, v44
	s_or_b64 s[0:1], s[12:13], s[0:1]
	s_and_b64 s[18:19], vcc, s[0:1]
	s_and_saveexec_b64 s[0:1], s[18:19]
	s_cbranch_execz .LBB128_277
; %bb.279:                              ;   in Loop: Header=BB128_278 Depth=1
	v_add_u32_e32 v0, s67, v2
	v_cmp_le_u32_e32 vcc, s64, v0
	s_andn2_b64 s[16:17], s[16:17], exec
	s_and_b64 s[18:19], vcc, exec
	v_add_u32_e32 v10, s86, v10
	s_andn2_b64 s[14:15], s[14:15], exec
	s_or_b64 s[16:17], s[16:17], s[18:19]
	s_branch .LBB128_277
.LBB128_280:
	s_or_b64 exec, exec, s[8:9]
	s_and_saveexec_b64 s[0:1], s[10:11]
	s_xor_b64 s[0:1], exec, s[0:1]
	s_cbranch_execz .LBB128_282
; %bb.281:
	v_readlane_b32 s0, v80, 4
	v_readlane_b32 s1, v80, 9
	s_mul_i32 s0, s1, s0
	s_mov_b32 s1, 0
	s_lshl_b64 s[0:1], s[0:1], 3
	v_readlane_b32 s8, v80, 0
	v_readlane_b32 s9, v80, 1
	s_add_u32 s0, s8, s0
	s_addc_u32 s1, s9, s1
	v_mov_b32_e32 v3, 0
	global_store_dwordx2 v3, v[2:3], s[0:1]
.LBB128_282:
	s_or_b64 exec, exec, s[6:7]
.LBB128_283:
	s_or_saveexec_b64 s[0:1], s[4:5]
	s_mov_b64 s[4:5], 0
	s_xor_b64 exec, exec, s[0:1]
	s_cbranch_execnz .LBB128_286
.LBB128_284:
	s_or_b64 exec, exec, s[0:1]
	s_and_b64 s[0:1], s[4:5], exec
	s_andn2_saveexec_b64 s[2:3], s[2:3]
	s_cbranch_execz .LBB128_269
.LBB128_285:
	s_or_b64 s[0:1], s[0:1], exec
	s_trap 2
	s_or_b64 exec, exec, s[2:3]
	s_and_saveexec_b64 s[2:3], s[0:1]
	s_cbranch_execnz .LBB128_270
	s_branch .LBB128_271
.LBB128_286:
	s_mov_b64 s[4:5], exec
	s_trap 2
	s_branch .LBB128_284
	.section	.rodata,"a",@progbits
	.p2align	6, 0x0
	.amdhsa_kernel _ZN2at6native12_GLOBAL__N_112gatherMedianIN3c104HalfEjLi1EEEvNS_4cuda6detail10TensorInfoIT_T0_EENS7_IlS9_EENS7_IKS8_S9_EES9_S9_S9_b
		.amdhsa_group_segment_fixed_size 4120
		.amdhsa_private_segment_fixed_size 0
		.amdhsa_kernarg_size 920
		.amdhsa_user_sgpr_count 2
		.amdhsa_user_sgpr_dispatch_ptr 0
		.amdhsa_user_sgpr_queue_ptr 0
		.amdhsa_user_sgpr_kernarg_segment_ptr 1
		.amdhsa_user_sgpr_dispatch_id 0
		.amdhsa_user_sgpr_kernarg_preload_length 0
		.amdhsa_user_sgpr_kernarg_preload_offset 0
		.amdhsa_user_sgpr_private_segment_size 0
		.amdhsa_uses_dynamic_stack 0
		.amdhsa_enable_private_segment 0
		.amdhsa_system_sgpr_workgroup_id_x 1
		.amdhsa_system_sgpr_workgroup_id_y 1
		.amdhsa_system_sgpr_workgroup_id_z 1
		.amdhsa_system_sgpr_workgroup_info 0
		.amdhsa_system_vgpr_workitem_id 0
		.amdhsa_next_free_vgpr 81
		.amdhsa_next_free_sgpr 100
		.amdhsa_accum_offset 84
		.amdhsa_reserve_vcc 1
		.amdhsa_float_round_mode_32 0
		.amdhsa_float_round_mode_16_64 0
		.amdhsa_float_denorm_mode_32 3
		.amdhsa_float_denorm_mode_16_64 3
		.amdhsa_dx10_clamp 1
		.amdhsa_ieee_mode 1
		.amdhsa_fp16_overflow 0
		.amdhsa_tg_split 0
		.amdhsa_exception_fp_ieee_invalid_op 0
		.amdhsa_exception_fp_denorm_src 0
		.amdhsa_exception_fp_ieee_div_zero 0
		.amdhsa_exception_fp_ieee_overflow 0
		.amdhsa_exception_fp_ieee_underflow 0
		.amdhsa_exception_fp_ieee_inexact 0
		.amdhsa_exception_int_div_zero 0
	.end_amdhsa_kernel
	.section	.text._ZN2at6native12_GLOBAL__N_112gatherMedianIN3c104HalfEjLi1EEEvNS_4cuda6detail10TensorInfoIT_T0_EENS7_IlS9_EENS7_IKS8_S9_EES9_S9_S9_b,"axG",@progbits,_ZN2at6native12_GLOBAL__N_112gatherMedianIN3c104HalfEjLi1EEEvNS_4cuda6detail10TensorInfoIT_T0_EENS7_IlS9_EENS7_IKS8_S9_EES9_S9_S9_b,comdat
.Lfunc_end128:
	.size	_ZN2at6native12_GLOBAL__N_112gatherMedianIN3c104HalfEjLi1EEEvNS_4cuda6detail10TensorInfoIT_T0_EENS7_IlS9_EENS7_IKS8_S9_EES9_S9_S9_b, .Lfunc_end128-_ZN2at6native12_GLOBAL__N_112gatherMedianIN3c104HalfEjLi1EEEvNS_4cuda6detail10TensorInfoIT_T0_EENS7_IlS9_EENS7_IKS8_S9_EES9_S9_S9_b
                                        ; -- End function
	.set _ZN2at6native12_GLOBAL__N_112gatherMedianIN3c104HalfEjLi1EEEvNS_4cuda6detail10TensorInfoIT_T0_EENS7_IlS9_EENS7_IKS8_S9_EES9_S9_S9_b.num_vgpr, 81
	.set _ZN2at6native12_GLOBAL__N_112gatherMedianIN3c104HalfEjLi1EEEvNS_4cuda6detail10TensorInfoIT_T0_EENS7_IlS9_EENS7_IKS8_S9_EES9_S9_S9_b.num_agpr, 0
	.set _ZN2at6native12_GLOBAL__N_112gatherMedianIN3c104HalfEjLi1EEEvNS_4cuda6detail10TensorInfoIT_T0_EENS7_IlS9_EENS7_IKS8_S9_EES9_S9_S9_b.numbered_sgpr, 100
	.set _ZN2at6native12_GLOBAL__N_112gatherMedianIN3c104HalfEjLi1EEEvNS_4cuda6detail10TensorInfoIT_T0_EENS7_IlS9_EENS7_IKS8_S9_EES9_S9_S9_b.num_named_barrier, 0
	.set _ZN2at6native12_GLOBAL__N_112gatherMedianIN3c104HalfEjLi1EEEvNS_4cuda6detail10TensorInfoIT_T0_EENS7_IlS9_EENS7_IKS8_S9_EES9_S9_S9_b.private_seg_size, 0
	.set _ZN2at6native12_GLOBAL__N_112gatherMedianIN3c104HalfEjLi1EEEvNS_4cuda6detail10TensorInfoIT_T0_EENS7_IlS9_EENS7_IKS8_S9_EES9_S9_S9_b.uses_vcc, 1
	.set _ZN2at6native12_GLOBAL__N_112gatherMedianIN3c104HalfEjLi1EEEvNS_4cuda6detail10TensorInfoIT_T0_EENS7_IlS9_EENS7_IKS8_S9_EES9_S9_S9_b.uses_flat_scratch, 0
	.set _ZN2at6native12_GLOBAL__N_112gatherMedianIN3c104HalfEjLi1EEEvNS_4cuda6detail10TensorInfoIT_T0_EENS7_IlS9_EENS7_IKS8_S9_EES9_S9_S9_b.has_dyn_sized_stack, 0
	.set _ZN2at6native12_GLOBAL__N_112gatherMedianIN3c104HalfEjLi1EEEvNS_4cuda6detail10TensorInfoIT_T0_EENS7_IlS9_EENS7_IKS8_S9_EES9_S9_S9_b.has_recursion, 0
	.set _ZN2at6native12_GLOBAL__N_112gatherMedianIN3c104HalfEjLi1EEEvNS_4cuda6detail10TensorInfoIT_T0_EENS7_IlS9_EENS7_IKS8_S9_EES9_S9_S9_b.has_indirect_call, 0
	.section	.AMDGPU.csdata,"",@progbits
; Kernel info:
; codeLenInByte = 11512
; TotalNumSgprs: 106
; NumVgprs: 81
; NumAgprs: 0
; TotalNumVgprs: 81
; ScratchSize: 0
; MemoryBound: 0
; FloatMode: 240
; IeeeMode: 1
; LDSByteSize: 4120 bytes/workgroup (compile time only)
; SGPRBlocks: 13
; VGPRBlocks: 10
; NumSGPRsForWavesPerEU: 106
; NumVGPRsForWavesPerEU: 81
; AccumOffset: 84
; Occupancy: 5
; WaveLimiterHint : 1
; COMPUTE_PGM_RSRC2:SCRATCH_EN: 0
; COMPUTE_PGM_RSRC2:USER_SGPR: 2
; COMPUTE_PGM_RSRC2:TRAP_HANDLER: 0
; COMPUTE_PGM_RSRC2:TGID_X_EN: 1
; COMPUTE_PGM_RSRC2:TGID_Y_EN: 1
; COMPUTE_PGM_RSRC2:TGID_Z_EN: 1
; COMPUTE_PGM_RSRC2:TIDIG_COMP_CNT: 0
; COMPUTE_PGM_RSRC3_GFX90A:ACCUM_OFFSET: 20
; COMPUTE_PGM_RSRC3_GFX90A:TG_SPLIT: 0
	.section	.text._ZN2at6native12_GLOBAL__N_112gatherMedianIN3c104HalfEjLi2EEEvNS_4cuda6detail10TensorInfoIT_T0_EENS7_IlS9_EENS7_IKS8_S9_EES9_S9_S9_b,"axG",@progbits,_ZN2at6native12_GLOBAL__N_112gatherMedianIN3c104HalfEjLi2EEEvNS_4cuda6detail10TensorInfoIT_T0_EENS7_IlS9_EENS7_IKS8_S9_EES9_S9_S9_b,comdat
	.globl	_ZN2at6native12_GLOBAL__N_112gatherMedianIN3c104HalfEjLi2EEEvNS_4cuda6detail10TensorInfoIT_T0_EENS7_IlS9_EENS7_IKS8_S9_EES9_S9_S9_b ; -- Begin function _ZN2at6native12_GLOBAL__N_112gatherMedianIN3c104HalfEjLi2EEEvNS_4cuda6detail10TensorInfoIT_T0_EENS7_IlS9_EENS7_IKS8_S9_EES9_S9_S9_b
	.p2align	8
	.type	_ZN2at6native12_GLOBAL__N_112gatherMedianIN3c104HalfEjLi2EEEvNS_4cuda6detail10TensorInfoIT_T0_EENS7_IlS9_EENS7_IKS8_S9_EES9_S9_S9_b,@function
_ZN2at6native12_GLOBAL__N_112gatherMedianIN3c104HalfEjLi2EEEvNS_4cuda6detail10TensorInfoIT_T0_EENS7_IlS9_EENS7_IKS8_S9_EES9_S9_S9_b: ; @_ZN2at6native12_GLOBAL__N_112gatherMedianIN3c104HalfEjLi2EEEvNS_4cuda6detail10TensorInfoIT_T0_EENS7_IlS9_EENS7_IKS8_S9_EES9_S9_S9_b
; %bb.0:
	s_load_dwordx2 s[10:11], s[0:1], 0x298
	s_load_dwordx4 s[64:67], s[0:1], 0x288
	s_add_u32 s8, s0, 0x298
	s_addc_u32 s9, s1, 0
	s_waitcnt lgkmcnt(0)
	s_mul_i32 s4, s11, s4
	s_add_i32 s3, s4, s3
	s_mul_i32 s3, s3, s10
	s_add_i32 s4, s3, s2
	s_cmp_ge_u32 s4, s65
	s_cbranch_scc1 .LBB129_271
; %bb.1:
	s_load_dword s13, s[0:1], 0xc
	s_load_dword s12, s[0:1], 0xe4
	s_mov_b32 s11, s4
	s_load_dwordx2 s[4:5], s[0:1], 0x1b0
	s_load_dwordx2 s[6:7], s[0:1], 0x144
                                        ; implicit-def: $vgpr82 : SGPR spill to VGPR lane
	s_load_dword s3, s[0:1], 0x1bc
	s_waitcnt lgkmcnt(0)
	v_cvt_f32_u32_e32 v1, s13
	v_cvt_f32_u32_e32 v2, s12
                                        ; kill: killed $sgpr0 killed $sgpr1
	v_writelane_b32 v82, s6, 0
	v_rcp_iflag_f32_e32 v1, v1
	s_nop 0
	v_writelane_b32 v82, s7, 1
	s_load_dwordx2 s[6:7], s[0:1], 0xd8
	v_rcp_iflag_f32_e32 v2, v2
	v_mul_f32_e32 v1, 0x4f7ffffe, v1
	v_cvt_u32_f32_e32 v1, v1
	s_waitcnt lgkmcnt(0)
	v_writelane_b32 v82, s6, 2
	v_mul_f32_e32 v2, 0x4f7ffffe, v2
	s_nop 0
	v_writelane_b32 v82, s7, 3
	s_load_dwordx2 s[6:7], s[0:1], 0x6c
	s_waitcnt lgkmcnt(0)
	v_writelane_b32 v82, s6, 4
	s_nop 1
	v_writelane_b32 v82, s7, 5
	s_load_dwordx2 s[6:7], s[0:1], 0x0
	v_cvt_f32_u32_e32 v3, s3
	s_waitcnt lgkmcnt(0)
	v_writelane_b32 v82, s6, 6
	s_nop 1
	v_writelane_b32 v82, s7, 7
	s_load_dwordx2 s[6:7], s[0:1], 0x21c
	s_sub_i32 s0, 0, s13
	v_readfirstlane_b32 s1, v1
	s_mul_i32 s0, s0, s1
	v_cvt_u32_f32_e32 v1, v2
	s_mul_hi_u32 s0, s1, s0
	v_rcp_iflag_f32_e32 v2, v3
	s_add_i32 s1, s1, s0
	v_writelane_b32 v82, s13, 8
	s_mul_hi_u32 s0, s11, s1
	v_writelane_b32 v82, s0, 9
	s_sub_i32 s0, 0, s12
	v_readfirstlane_b32 s1, v1
	s_mul_i32 s0, s0, s1
	v_mul_f32_e32 v1, 0x4f7ffffe, v2
	s_mul_hi_u32 s0, s1, s0
	v_cvt_u32_f32_e32 v1, v1
	s_add_i32 s1, s1, s0
	v_writelane_b32 v82, s12, 10
	s_mul_hi_u32 s0, s11, s1
	v_writelane_b32 v82, s0, 11
	s_sub_i32 s0, 0, s3
	v_mul_lo_u32 v2, s0, v1
	v_mul_hi_u32 v2, v1, v2
	v_add_u32_e32 v1, v1, v2
	v_mul_hi_u32 v1, s11, v1
	v_mul_lo_u32 v2, v1, s3
	v_sub_u32_e32 v2, s11, v2
	v_add_u32_e32 v3, 1, v1
	v_subrev_u32_e32 v4, s3, v2
	v_cmp_le_u32_e32 vcc, s3, v2
	v_writelane_b32 v82, s11, 12
	v_cmp_gt_u32_e64 s[0:1], s64, v0
	v_cndmask_b32_e32 v1, v1, v3, vcc
	v_cndmask_b32_e32 v2, v2, v4, vcc
	v_add_u32_e32 v3, 1, v1
	v_cmp_le_u32_e32 vcc, s3, v2
	s_nop 1
	v_cndmask_b32_e32 v1, v1, v3, vcc
	v_mul_lo_u32 v2, v1, s3
	v_sub_u32_e32 v2, s11, v2
	s_waitcnt lgkmcnt(0)
	v_mul_lo_u32 v2, v2, s7
	v_mul_lo_u32 v1, v1, s6
	v_add_u32_e32 v2, v1, v2
	v_mov_b32_e32 v3, 0
	v_lshlrev_b64 v[4:5], 1, v[2:3]
	v_lshl_add_u64 v[10:11], s[4:5], 0, v[4:5]
	s_mov_b64 s[4:5], exec
	v_writelane_b32 v82, s0, 13
	s_nop 1
	v_writelane_b32 v82, s1, 14
	s_and_b64 s[0:1], s[4:5], s[0:1]
	s_mov_b64 exec, s[0:1]
	s_cbranch_execz .LBB129_5
; %bb.2:
	s_load_dword s0, s[8:9], 0xc
	v_mul_lo_u32 v2, v0, s66
	s_mov_b64 s[6:7], 0
	v_mov_b32_e32 v1, v3
	v_mov_b32_e32 v4, v0
	s_waitcnt lgkmcnt(0)
	s_and_b32 s0, s0, 0xffff
	s_mul_i32 s1, s66, s0
.LBB129_3:                              ; =>This Inner Loop Header: Depth=1
	v_lshl_add_u64 v[6:7], v[2:3], 1, v[10:11]
	global_load_ushort v5, v[6:7], off
	v_add_u32_e32 v4, s0, v4
	v_cmp_le_u32_e32 vcc, s64, v4
	s_or_b64 s[6:7], vcc, s[6:7]
	v_add_u32_e32 v2, s1, v2
	s_waitcnt vmcnt(0)
	v_cmp_u_f16_e32 vcc, v5, v5
	s_nop 1
	v_addc_co_u32_e32 v1, vcc, 0, v1, vcc
	s_andn2_b64 exec, exec, s[6:7]
	s_cbranch_execnz .LBB129_3
; %bb.4:
	s_or_b64 exec, exec, s[6:7]
	v_mov_b32_e32 v3, v1
.LBB129_5:
	s_or_b64 exec, exec, s[4:5]
	v_cmp_eq_u32_e64 s[24:25], 0, v0
	s_and_saveexec_b64 s[4:5], s[24:25]
; %bb.6:
	v_mov_b32_e32 v4, 0
	v_mov_b32_e32 v5, v4
	ds_write_b64 v4, v[4:5] offset:4096
; %bb.7:
	s_or_b64 exec, exec, s[4:5]
	v_cmp_ne_u32_e32 vcc, 0, v3
	s_waitcnt lgkmcnt(0)
	s_barrier
	s_and_saveexec_b64 s[4:5], vcc
	s_cbranch_execz .LBB129_12
; %bb.8:
	s_mov_b64 s[12:13], exec
	v_mov_b32_e32 v1, 0
	v_mov_b32_e32 v2, v3
	s_mov_b64 s[6:7], 0
.LBB129_9:                              ; =>This Inner Loop Header: Depth=1
	s_ff1_i32_b64 s0, s[12:13]
	v_readlane_b32 s3, v2, s0
	v_readlane_b32 s1, v1, s0
	s_add_u32 s6, s6, s3
	s_addc_u32 s7, s7, s1
	s_lshl_b64 s[0:1], 1, s0
	s_andn2_b64 s[12:13], s[12:13], s[0:1]
	s_cmp_lg_u64 s[12:13], 0
	s_cbranch_scc1 .LBB129_9
; %bb.10:
	v_mbcnt_lo_u32_b32 v1, exec_lo, 0
	v_mbcnt_hi_u32_b32 v1, exec_hi, v1
	v_cmp_eq_u32_e32 vcc, 0, v1
	s_and_saveexec_b64 s[0:1], vcc
	s_xor_b64 s[0:1], exec, s[0:1]
; %bb.11:
	v_mov_b32_e32 v1, 0
	v_mov_b64_e32 v[2:3], s[6:7]
	ds_add_u64 v1, v[2:3] offset:4096
.LBB129_12:
	s_or_b64 exec, exec, s[4:5]
	v_mov_b32_e32 v1, 0
	s_waitcnt lgkmcnt(0)
	s_barrier
	ds_read_b64 v[2:3], v1 offset:4096
	s_bitcmp1_b32 s67, 0
	s_cselect_b64 s[0:1], -1, 0
	s_mov_b32 s3, s64
	s_waitcnt lgkmcnt(0)
	v_readfirstlane_b32 s4, v2
	v_readfirstlane_b32 s5, v3
	s_nop 1
	v_cmp_lt_i64_e64 s[6:7], s[4:5], 1
	s_or_b64 s[0:1], s[0:1], s[6:7]
	s_andn2_b64 vcc, exec, s[0:1]
	s_cbranch_vccnz .LBB129_14
; %bb.13:
	s_not_b64 s[0:1], s[4:5]
	s_add_u32 s0, s0, s64
	s_addc_u32 s1, s1, 0
	s_lshr_b32 s3, s1, 31
	s_add_u32 s0, s0, s3
	s_addc_u32 s1, s1, 0
	s_lshr_b64 s[0:1], s[0:1], 1
	s_add_i32 s3, s0, 1
.LBB129_14:
	s_and_saveexec_b64 s[4:5], s[24:25]
	s_cbranch_execz .LBB129_16
; %bb.15:
	v_mov_b32_e32 v2, 0
	v_mov_b32_e32 v3, s64
	ds_write_b32 v2, v2 offset:4112
	ds_write_b64 v2, v[2:3] offset:4104
.LBB129_16:
	s_or_b64 exec, exec, s[4:5]
	s_waitcnt lgkmcnt(0)
	s_barrier
	s_load_dword s0, s[8:9], 0xc
	v_mbcnt_lo_u32_b32 v1, -1, 0
	v_mbcnt_hi_u32_b32 v22, -1, v1
	v_cmp_gt_u32_e32 vcc, 64, v0
	v_cmp_gt_i32_e64 s[6:7], 4, v22
	s_waitcnt lgkmcnt(0)
	s_and_b32 s67, s0, 0xffff
	s_add_i32 s90, s67, -1
	s_lshl_b32 s89, s67, 2
	s_and_b64 s[78:79], vcc, s[6:7]
	s_add_i32 s11, s90, s64
	s_cmpk_gt_u32 s64, 0x600
	s_cselect_b64 s[12:13], -1, 0
	s_cmp_gt_u32 s67, 63
	v_lshlrev_b64 v[2:3], v22, -1
	s_cselect_b64 s[82:83], -1, 0
	v_not_b32_e32 v18, v2
	v_lshrrev_b32_e32 v2, 2, v0
	s_cmp_lt_u32 s2, s10
	v_and_b32_e32 v2, 0xf0, v2
	s_cselect_b32 s1, 12, 18
	v_writelane_b32 v82, s12, 15
	v_or_b32_e32 v25, 0xc00, v2
	s_add_u32 s8, s8, s1
	v_add_u32_e32 v2, 2, v0
	v_writelane_b32 v82, s13, 16
	s_addc_u32 s9, s9, 0
	v_max_u32_e32 v2, s64, v2
	v_writelane_b32 v82, s8, 17
	v_xad_u32 v2, v0, -1, v2
	v_not_b32_e32 v1, v3
	v_writelane_b32 v82, s9, 18
	v_add_u32_e32 v3, -4, v2
	v_cmp_lt_u32_e64 s[8:9], 31, v2
	v_lshrrev_b32_e32 v5, 2, v3
	v_add_u32_e32 v5, 1, v5
	v_writelane_b32 v82, s8, 19
	v_cmp_lt_u32_e64 s[12:13], 11, v3
	s_bfe_u32 s2, s0, 0xa0006
	v_writelane_b32 v82, s9, 20
	v_and_b32_e32 v6, 3, v5
	v_writelane_b32 v82, s12, 21
	s_add_i32 s0, s2, -2
	s_lshr_b32 s1, s0, 1
	v_writelane_b32 v82, s13, 22
	v_cmp_ne_u32_e64 s[12:13], 0, v6
	v_and_b32_e32 v26, -4, v2
	s_add_i32 s1, s1, 1
	v_writelane_b32 v82, s12, 23
	s_cmpk_gt_u32 s67, 0x7f
	v_lshlrev_b32_e32 v19, 2, v0
	v_writelane_b32 v82, s13, 24
	v_cmp_ne_u32_e64 s[12:13], v2, v26
	v_cvt_f32_u32_e32 v2, s89
	v_mov_b32_e32 v15, 0
	v_writelane_b32 v82, s12, 25
	s_mov_b32 s14, 0
	v_rcp_iflag_f32_e32 v2, v2
	v_writelane_b32 v82, s13, 26
	s_cselect_b64 s[12:13], -1, 0
	v_writelane_b32 v82, s12, 27
	s_and_b32 s10, s2, 0x3fe
	v_mul_f32_e32 v2, 0x4f7ffffe, v2
	v_writelane_b32 v82, s13, 28
	s_and_b32 s12, s1, 7
	s_cmp_gt_u32 s0, 13
	s_cselect_b64 s[16:17], -1, 0
	v_writelane_b32 v82, s16, 29
	s_and_b32 s0, s1, -8
	s_cmp_lg_u32 s12, 0
	v_writelane_b32 v82, s17, 30
	v_writelane_b32 v82, s0, 31
	;; [unrolled: 1-line block ×3, first 2 shown]
	s_cselect_b64 s[0:1], -1, 0
	v_writelane_b32 v82, s0, 33
	v_cvt_u32_f32_e32 v2, v2
	s_cmp_lg_u32 s10, s2
	v_writelane_b32 v82, s1, 34
	v_writelane_b32 v82, s2, 35
	;; [unrolled: 1-line block ×3, first 2 shown]
	s_cselect_b64 s[0:1], -1, 0
	v_writelane_b32 v82, s0, 37
	v_lshlrev_b32_e32 v23, 1, v0
	v_mul_lo_u32 v12, s66, v0
	v_writelane_b32 v82, s1, 38
	v_readfirstlane_b32 s1, v2
	v_cvt_f32_u32_e32 v2, s67
	s_sub_i32 s0, 0, s89
	s_mul_i32 s0, s0, s1
	s_mul_hi_u32 s0, s1, s0
	s_add_i32 s0, s1, s0
	v_rcp_iflag_f32_e32 v2, v2
	s_mul_hi_u32 s1, s64, s0
	s_mul_i32 s1, s1, s89
	s_sub_i32 s1, s64, s1
	s_sub_i32 s2, s1, s89
	v_mul_f32_e32 v2, 0x4f7ffffe, v2
	s_cmp_ge_u32 s1, s89
	v_cvt_u32_f32_e32 v2, v2
	s_cselect_b32 s1, s2, s1
	s_sub_i32 s2, s1, s89
	s_cmp_ge_u32 s1, s89
	s_cselect_b32 s2, s2, s1
	s_sub_i32 s10, 0, s67
	v_readfirstlane_b32 s12, v2
	s_mul_i32 s10, s10, s12
	s_mul_hi_u32 s10, s12, s10
	s_add_i32 s91, s12, s10
	s_mul_hi_u32 s10, s11, s91
	s_mul_i32 s10, s10, s67
	s_sub_i32 s10, s11, s10
	s_sub_i32 s1, s64, s2
	;; [unrolled: 1-line block ×3, first 2 shown]
	s_cmp_ge_u32 s10, s67
	s_cselect_b32 s10, s12, s10
	s_sub_i32 s12, s10, s67
	s_cmp_ge_u32 s10, s67
	s_cselect_b32 s10, s12, s10
	s_sub_i32 s33, s11, s10
	v_cmp_gt_u32_e64 s[10:11], s33, v0
	v_mul_lo_u32 v2, s66, v19
	v_add_u32_e32 v31, s66, v2
	v_writelane_b32 v82, s10, 39
	v_or_b32_e32 v2, 2, v19
	v_mul_lo_u32 v32, s66, v2
	v_writelane_b32 v82, s11, 40
	v_or_b32_e32 v2, 3, v19
	s_add_i32 s10, s67, s64
	v_add_u32_e32 v29, s1, v0
	v_mul_lo_u32 v33, s66, v2
	v_add_u32_e32 v2, s10, v0
	v_mov_b32_e32 v13, v15
	v_lshlrev_b32_e32 v4, 2, v22
	v_mul_lo_u32 v14, v29, s66
	s_mul_i32 s65, s66, s67
	v_subrev_u32_e32 v2, s2, v2
	s_mov_b32 s88, 0xffff
	s_mov_b32 s15, 1
	v_cmp_eq_u32_e64 s[4:5], 0, v22
	v_cmp_gt_u32_e64 s[6:7], 2, v0
	v_add_u32_e32 v24, 0xc00, v23
	v_lshl_add_u64 v[16:17], v[12:13], 1, v[10:11]
	v_and_b32_e32 v13, 0x100, v4
	v_add_u32_e32 v27, v0, v26
	s_mov_b32 s8, s66
	s_mov_b32 s9, s66
	;; [unrolled: 1-line block ×4, first 2 shown]
	v_and_b32_e32 v28, 0x7ffffffc, v5
	v_cmp_gt_u32_e64 s[16:17], s1, v19
	v_cmp_gt_u32_e64 s[18:19], s64, v29
	v_lshl_add_u64 v[20:21], v[14:15], 1, v[10:11]
	v_lshlrev_b32_e32 v30, 3, v6
	s_lshl_b32 s84, s65, 2
	v_lshlrev_b32_e32 v34, 2, v12
	v_mul_lo_u32 v36, s66, v2
	v_lshlrev_b32_e32 v37, 3, v0
	s_lshl_b32 s85, s67, 3
	s_lshl_b32 s86, s67, 1
	v_or_b32_e32 v38, 0xc00, v4
	s_mov_b64 s[94:95], 0
	v_mov_b32_e32 v39, 14
	v_mov_b32_e32 v47, s3
	s_mov_b32 s87, 0x5040100
	v_mov_b32_e32 v52, s64
	s_movk_i32 s20, 0x3c00
	v_mov_b32_e32 v40, 0xffff
	v_mov_b32_e32 v41, 0x8000
	v_mov_b32_e32 v42, -1
	v_mov_b32_e32 v43, 0xc00
	v_mov_b32_e32 v44, 0x5040100
	;; [unrolled: 1-line block ×3, first 2 shown]
	s_mov_b32 s21, s14
	v_mov_b32_e32 v35, 0
	v_mov_b32_e32 v45, 0
                                        ; implicit-def: $sgpr96_sgpr97
                                        ; implicit-def: $sgpr68_sgpr69
                                        ; implicit-def: $sgpr98_sgpr99
                                        ; implicit-def: $sgpr70_sgpr71
                                        ; implicit-def: $sgpr10_sgpr11
                                        ; implicit-def: $sgpr12_sgpr13
	s_branch .LBB129_20
.LBB129_17:                             ;   in Loop: Header=BB129_20 Depth=1
	s_or_b64 exec, exec, s[34:35]
	s_and_b64 s[26:27], s[26:27], exec
	s_andn2_b64 s[30:31], s[30:31], exec
	s_andn2_b64 s[28:29], s[28:29], exec
	s_orn2_b64 s[22:23], s[22:23], exec
.LBB129_18:                             ;   in Loop: Header=BB129_20 Depth=1
	s_or_b64 exec, exec, s[14:15]
	s_andn2_b64 s[12:13], s[12:13], exec
	s_and_b64 s[14:15], s[26:27], exec
	s_or_b64 s[12:13], s[12:13], s[14:15]
	s_andn2_b64 s[10:11], s[10:11], exec
	s_and_b64 s[14:15], s[30:31], exec
	s_or_b64 s[10:11], s[10:11], s[14:15]
	;; [unrolled: 3-line block ×3, first 2 shown]
	s_orn2_b64 s[22:23], s[22:23], exec
.LBB129_19:                             ;   in Loop: Header=BB129_20 Depth=1
	s_or_b64 exec, exec, s[2:3]
	s_and_b64 s[2:3], exec, s[22:23]
	s_or_b64 s[94:95], s[2:3], s[94:95]
	s_andn2_b64 s[2:3], s[98:99], exec
	s_and_b64 s[14:15], s[12:13], exec
	s_or_b64 s[98:99], s[2:3], s[14:15]
	s_andn2_b64 s[2:3], s[68:69], exec
	s_and_b64 s[14:15], s[10:11], exec
	s_or_b64 s[68:69], s[2:3], s[14:15]
	s_andn2_b64 s[2:3], s[96:97], exec
	s_and_b64 s[14:15], s[70:71], exec
	s_or_b64 s[96:97], s[2:3], s[14:15]
	s_mov_b32 s21, s36
	v_mov_b32_e32 v47, v5
	s_andn2_b64 exec, exec, s[94:95]
	s_cbranch_execz .LBB129_267
.LBB129_20:                             ; =>This Loop Header: Depth=1
                                        ;     Child Loop BB129_25 Depth 2
                                        ;     Child Loop BB129_46 Depth 2
	;; [unrolled: 1-line block ×19, first 2 shown]
	ds_read_b64 v[2:3], v15 offset:4104
	s_waitcnt lgkmcnt(0)
	v_readfirstlane_b32 s80, v2
	s_cmp_lg_u32 s80, 0
	s_cbranch_scc1 .LBB129_65
; %bb.21:                               ;   in Loop: Header=BB129_20 Depth=1
	v_readlane_b32 s2, v82, 15
	v_readlane_b32 s3, v82, 16
	s_and_b64 vcc, exec, s[2:3]
	s_cbranch_vccz .LBB129_33
; %bb.22:                               ;   in Loop: Header=BB129_20 Depth=1
	s_movk_i32 s2, 0x601
	v_cmp_gt_u32_e32 vcc, s2, v3
	s_mov_b64 s[14:15], 0
	s_mov_b64 s[2:3], 0
	s_cbranch_vccz .LBB129_34
; %bb.23:                               ;   in Loop: Header=BB129_20 Depth=1
	v_readlane_b32 s2, v82, 17
	v_readlane_b32 s3, v82, 18
	s_nop 4
	global_load_ushort v2, v15, s[2:3]
	global_load_ushort v4, v[16:17], off
	s_mov_b64 s[26:27], 0
	s_waitcnt vmcnt(1)
	v_add_u32_e32 v5, v0, v2
	v_mul_lo_u32 v3, s66, v2
	v_mul_lo_u32 v14, s66, v5
	v_mov_b32_e32 v5, v0
	s_branch .LBB129_25
.LBB129_24:                             ;   in Loop: Header=BB129_25 Depth=2
	s_or_b64 exec, exec, s[2:3]
	v_add_u32_e32 v14, v14, v3
	v_mov_b32_e32 v4, v6
	s_andn2_b64 exec, exec, s[26:27]
	s_cbranch_execz .LBB129_40
.LBB129_25:                             ;   Parent Loop BB129_20 Depth=1
                                        ; =>  This Inner Loop Header: Depth=2
	v_add_u32_e32 v5, v5, v2
	v_cmp_gt_u32_e64 s[2:3], s64, v5
	v_cmp_le_u32_e32 vcc, s64, v5
	s_waitcnt lgkmcnt(0)
	v_mov_b32_e32 v7, 0
	v_mov_b32_e32 v6, 0
	s_and_saveexec_b64 s[22:23], s[2:3]
	s_cbranch_execz .LBB129_27
; %bb.26:                               ;   in Loop: Header=BB129_25 Depth=2
	v_lshl_add_u64 v[8:9], v[14:15], 1, v[10:11]
	global_load_ushort v6, v[8:9], off
.LBB129_27:                             ;   in Loop: Header=BB129_25 Depth=2
	s_or_b64 exec, exec, s[22:23]
	s_waitcnt vmcnt(0)
	v_cmp_lt_i16_e64 s[2:3], -1, v4
	s_nop 1
	v_cndmask_b32_e64 v8, v40, v41, s[2:3]
	v_xor_b32_sdwa v8, v8, v4 dst_sel:DWORD dst_unused:UNUSED_PAD src0_sel:DWORD src1_sel:WORD_0
	v_cmp_o_f16_e64 s[2:3], v4, v4
	s_nop 1
	v_cndmask_b32_e64 v8, v40, v8, s[2:3]
	v_and_b32_e32 v8, v8, v45
	v_cmp_eq_u32_e64 s[22:23], v8, v35
	s_cmp_lg_u64 s[22:23], 0
	s_cselect_b64 s[2:3], -1, 0
	s_and_b64 s[2:3], s[4:5], s[2:3]
	s_and_saveexec_b64 s[28:29], s[2:3]
	s_cbranch_execz .LBB129_31
; %bb.28:                               ;   in Loop: Header=BB129_25 Depth=2
	s_mov_b64 s[34:35], exec
	v_mbcnt_lo_u32_b32 v7, s34, 0
	v_mbcnt_hi_u32_b32 v7, s35, v7
	s_bcnt1_i32_b64 s36, s[22:23]
	v_cmp_eq_u32_e64 s[2:3], 0, v7
                                        ; implicit-def: $vgpr8
	s_and_saveexec_b64 s[30:31], s[2:3]
; %bb.29:                               ;   in Loop: Header=BB129_25 Depth=2
	s_bcnt1_i32_b64 s2, s[34:35]
	s_mul_i32 s2, s36, s2
	v_mov_b32_e32 v8, s2
	ds_add_rtn_u32 v8, v15, v8 offset:4112
; %bb.30:                               ;   in Loop: Header=BB129_25 Depth=2
	s_or_b64 exec, exec, s[30:31]
	s_waitcnt lgkmcnt(0)
	v_readfirstlane_b32 s2, v8
	s_nop 1
	v_mov_b32_e32 v8, s2
	v_mad_u32_u24 v7, s36, v7, v8
.LBB129_31:                             ;   in Loop: Header=BB129_25 Depth=2
	s_or_b64 exec, exec, s[28:29]
	ds_bpermute_b32 v7, v13, v7
	s_and_b64 s[2:3], exec, vcc
	s_or_b64 s[26:27], s[2:3], s[26:27]
	s_and_saveexec_b64 s[2:3], s[22:23]
	s_cbranch_execz .LBB129_24
; %bb.32:                               ;   in Loop: Header=BB129_25 Depth=2
	v_and_b32_e32 v9, s22, v18
	v_and_b32_e32 v8, s23, v1
	v_bcnt_u32_b32 v9, v9, 0
	v_bcnt_u32_b32 v8, v8, v9
	v_lshlrev_b32_e32 v8, 1, v8
	s_waitcnt lgkmcnt(0)
	v_lshl_add_u32 v7, v7, 1, v8
	ds_write_b16 v7, v4
	s_branch .LBB129_24
.LBB129_33:                             ;   in Loop: Header=BB129_20 Depth=1
	s_mov_b64 s[14:15], -1
	s_mov_b64 s[2:3], 0
.LBB129_34:                             ;   in Loop: Header=BB129_20 Depth=1
	s_and_b64 vcc, exec, s[14:15]
	s_cbranch_vccz .LBB129_63
.LBB129_35:                             ;   in Loop: Header=BB129_20 Depth=1
	s_mov_b64 s[22:23], exec
	v_readlane_b32 s2, v82, 13
	v_readlane_b32 s3, v82, 14
	s_and_b64 s[2:3], s[22:23], s[2:3]
	s_mov_b64 exec, s[2:3]
	s_cbranch_execz .LBB129_60
; %bb.36:                               ;   in Loop: Header=BB129_20 Depth=1
	v_readlane_b32 s2, v82, 17
	v_readlane_b32 s3, v82, 18
	s_nop 4
	global_load_ushort v2, v15, s[2:3]
	global_load_ushort v48, v[16:17], off
	v_mov_b32_e32 v3, v0
	s_waitcnt vmcnt(1)
	v_readfirstlane_b32 s34, v2
	v_add_u32_e32 v2, v0, v2
	v_cmp_gt_u32_e32 vcc, s64, v2
	s_and_saveexec_b64 s[26:27], vcc
	s_cbranch_execz .LBB129_59
; %bb.37:                               ;   in Loop: Header=BB129_20 Depth=1
	v_readlane_b32 s28, v82, 19
	s_mov_b64 s[2:3], 0
	s_mul_i32 s35, s66, s34
	v_readlane_b32 s29, v82, 20
                                        ; implicit-def: $vgpr3
                                        ; implicit-def: $vgpr4
                                        ; implicit-def: $vgpr5
	s_and_saveexec_b64 s[14:15], s[28:29]
	s_xor_b64 s[28:29], exec, s[14:15]
	s_cbranch_execnz .LBB129_43
; %bb.38:                               ;   in Loop: Header=BB129_20 Depth=1
	s_andn2_saveexec_b64 s[14:15], s[28:29]
	s_cbranch_execnz .LBB129_54
.LBB129_39:                             ;   in Loop: Header=BB129_20 Depth=1
	s_or_b64 exec, exec, s[14:15]
	s_and_saveexec_b64 s[14:15], s[2:3]
	s_cbranch_execnz .LBB129_55
	s_branch .LBB129_58
.LBB129_40:                             ;   in Loop: Header=BB129_20 Depth=1
	s_or_b64 exec, exec, s[26:27]
	s_waitcnt lgkmcnt(0)
	s_barrier
	s_and_saveexec_b64 s[2:3], s[24:25]
	s_cbranch_execz .LBB129_42
; %bb.41:                               ;   in Loop: Header=BB129_20 Depth=1
	ds_read_b32 v2, v15 offset:4112
	s_waitcnt lgkmcnt(0)
	ds_write_b32 v15, v2 offset:4104
.LBB129_42:                             ;   in Loop: Header=BB129_20 Depth=1
	s_or_b64 exec, exec, s[2:3]
	s_waitcnt lgkmcnt(0)
	s_barrier
	s_mov_b64 s[2:3], -1
	s_and_b64 vcc, exec, s[14:15]
	s_cbranch_vccnz .LBB129_35
	s_branch .LBB129_63
.LBB129_43:                             ;   in Loop: Header=BB129_20 Depth=1
	v_cvt_f32_u32_e32 v3, s34
	v_add_u32_e32 v4, s34, v2
	v_max_u32_e32 v4, s64, v4
	s_lshl_b32 s2, s34, 1
	v_rcp_iflag_f32_e32 v3, v3
	v_sub_u32_e32 v4, v4, v0
	v_cmp_ne_u32_e32 vcc, s2, v4
	s_sub_i32 s3, 0, s34
	v_mul_f32_e32 v3, 0x4f7ffffe, v3
	v_cvt_u32_f32_e32 v3, v3
	v_cndmask_b32_e64 v5, 0, 1, vcc
	v_or_b32_e32 v5, s2, v5
	v_sub_u32_e32 v4, v4, v5
	v_mul_lo_u32 v5, s3, v3
	v_mul_hi_u32 v5, v3, v5
	v_add_u32_e32 v3, v3, v5
	v_mul_hi_u32 v3, v4, v3
	v_mul_lo_u32 v5, v3, s34
	v_sub_u32_e32 v4, v4, v5
	v_add_u32_e32 v5, 1, v3
	v_cmp_le_u32_e64 s[2:3], s34, v4
	s_nop 1
	v_cndmask_b32_e64 v3, v3, v5, s[2:3]
	v_subrev_u32_e32 v5, s34, v4
	v_cndmask_b32_e64 v4, v4, v5, s[2:3]
	v_add_u32_e32 v5, 1, v3
	v_cmp_le_u32_e64 s[2:3], s34, v4
	v_mul_lo_u32 v4, s66, v2
	s_nop 0
	v_cndmask_b32_e64 v3, v3, v5, s[2:3]
	v_addc_co_u32_e32 v3, vcc, 0, v3, vcc
	s_abs_i32 s2, s35
	v_mul_hi_u32 v5, s2, v3
	v_mul_lo_u32 v3, s2, v3
	s_not_b32 s2, s35
	s_ashr_i32 s2, s2, 31
	s_cmp_eq_u32 s34, 1
	v_cmp_eq_u32_e32 vcc, 0, v5
	v_xor_b32_e32 v4, s2, v4
	s_cselect_b64 s[14:15], -1, 0
	v_cmp_le_u32_e64 s[2:3], v3, v4
	s_and_b64 s[14:15], vcc, s[14:15]
	s_and_b64 s[30:31], s[14:15], s[2:3]
	s_mov_b64 s[14:15], -1
	v_mov_b32_e32 v4, v0
                                        ; implicit-def: $vgpr3
	s_and_saveexec_b64 s[2:3], s[30:31]
	s_cbranch_execz .LBB129_53
; %bb.44:                               ;   in Loop: Header=BB129_20 Depth=1
	v_add_u32_e32 v5, 3, v2
	v_add_u32_e32 v4, 2, v2
	;; [unrolled: 1-line block ×3, first 2 shown]
	v_mov_b64_e32 v[8:9], v[4:5]
	s_waitcnt vmcnt(0)
	v_lshlrev_b32_e32 v49, 16, v48
	v_mov_b32_e32 v14, 0
	v_mov_b64_e32 v[6:7], v[2:3]
                                        ; implicit-def: $vgpr48
	s_mov_b64 s[14:15], exec
	v_readlane_b32 s30, v82, 21
	v_readlane_b32 s31, v82, 22
	s_and_b64 s[30:31], s[14:15], s[30:31]
	s_mov_b64 exec, s[30:31]
	s_cbranch_execz .LBB129_48
; %bb.45:                               ;   in Loop: Header=BB129_20 Depth=1
	v_mov_b64_e32 v[8:9], v[4:5]
	s_mov_b32 s36, 0
	s_mov_b64 s[30:31], 0
	v_mov_b32_e32 v50, v28
	v_mov_b32_e32 v51, v23
	v_mov_b64_e32 v[6:7], v[2:3]
.LBB129_46:                             ;   Parent Loop BB129_20 Depth=1
                                        ; =>  This Inner Loop Header: Depth=2
	v_mul_lo_u32 v14, v6, s8
	v_add_u32_e32 v3, 4, v6
	v_add_u32_e32 v48, 4, v7
	;; [unrolled: 1-line block ×4, first 2 shown]
	v_mul_lo_u32 v4, v9, s93
	v_mul_lo_u32 v56, v7, s9
	v_mov_b32_e32 v57, v15
	v_mov_b32_e32 v5, v15
	;; [unrolled: 1-line block ×4, first 2 shown]
	v_add_u32_e32 v80, 8, v6
	v_lshl_add_u64 v[76:77], v[14:15], 1, v[10:11]
	v_mul_lo_u32 v62, v58, s93
	v_mul_lo_u32 v60, v53, s92
	;; [unrolled: 1-line block ×5, first 2 shown]
	v_mov_b32_e32 v55, v15
	v_mov_b32_e32 v63, v15
	v_add_u32_e32 v64, 8, v7
	v_add_u32_e32 v81, 12, v6
	v_lshl_add_u64 v[56:57], v[56:57], 1, v[10:11]
	v_lshl_add_u64 v[4:5], v[4:5], 1, v[10:11]
	;; [unrolled: 1-line block ×5, first 2 shown]
	v_mul_lo_u32 v14, v80, s8
	v_add_u32_e32 v66, 8, v8
	v_add_u32_e32 v68, 8, v9
	v_mov_b32_e32 v65, v15
	v_add_u32_e32 v70, 12, v7
	v_add_u32_e32 v72, 12, v8
	v_add_u32_e32 v74, 12, v9
	v_lshl_add_u64 v[54:55], v[54:55], 1, v[10:11]
	v_mul_lo_u32 v64, v64, s9
	v_lshl_add_u64 v[62:63], v[62:63], 1, v[10:11]
	global_load_ushort v3, v[76:77], off
	global_load_ushort v53, v[56:57], off
	s_nop 0
	global_load_ushort v56, v[54:55], off
	global_load_ushort v76, v[4:5], off
	;; [unrolled: 1-line block ×4, first 2 shown]
	s_nop 0
	global_load_ushort v58, v[60:61], off
	s_nop 0
	global_load_ushort v60, v[62:63], off
	v_lshl_add_u64 v[4:5], v[14:15], 1, v[10:11]
	v_mul_lo_u32 v14, v81, s8
	v_mov_b32_e32 v67, v15
	v_mov_b32_e32 v69, v15
	;; [unrolled: 1-line block ×5, first 2 shown]
	v_mul_lo_u32 v68, v68, s93
	v_mul_lo_u32 v66, v66, s92
	;; [unrolled: 1-line block ×5, first 2 shown]
	v_lshl_add_u64 v[64:65], v[64:65], 1, v[10:11]
	v_lshl_add_u64 v[54:55], v[14:15], 1, v[10:11]
	;; [unrolled: 1-line block ×7, first 2 shown]
	global_load_ushort v59, v[64:65], off
	global_load_ushort v61, v[66:67], off
	;; [unrolled: 1-line block ×4, first 2 shown]
	s_nop 0
	global_load_ushort v64, v[72:73], off
	global_load_ushort v48, v[74:75], off
	;; [unrolled: 1-line block ×3, first 2 shown]
	s_nop 0
	global_load_ushort v4, v[4:5], off
	v_add_u32_e32 v50, -4, v50
	s_add_i32 s36, s36, 16
	v_cmp_eq_u32_e32 vcc, 0, v50
	v_add_u32_e32 v9, 16, v9
	v_add_u32_e32 v8, 16, v8
	;; [unrolled: 1-line block ×4, first 2 shown]
	v_mov_b32_e32 v14, s36
	s_or_b64 s[30:31], vcc, s[30:31]
	s_waitcnt vmcnt(15)
	v_alignbit_b32 v54, v3, v49, 16
	s_waitcnt vmcnt(13)
	v_perm_b32 v55, v56, v53, s87
	s_waitcnt vmcnt(11)
	v_perm_b32 v56, v77, v76, s87
	;; [unrolled: 2-line block ×3, first 2 shown]
	ds_write_b128 v51, v[54:57]
	s_waitcnt vmcnt(6)
	v_perm_b32 v59, v61, v59, s87
	s_waitcnt vmcnt(3)
	v_perm_b32 v61, v64, v63, s87
	;; [unrolled: 2-line block ×4, first 2 shown]
	v_perm_b32 v60, v65, v62, s87
	ds_write_b128 v51, v[58:61] offset:16
	v_add_u32_e32 v51, 32, v51
	s_andn2_b64 exec, exec, s[30:31]
	s_cbranch_execnz .LBB129_46
; %bb.47:                               ;   in Loop: Header=BB129_20 Depth=1
	s_or_b64 exec, exec, s[30:31]
.LBB129_48:                             ;   in Loop: Header=BB129_20 Depth=1
	s_or_b64 exec, exec, s[14:15]
	s_mov_b64 s[14:15], exec
	v_readlane_b32 s30, v82, 23
	v_readlane_b32 s31, v82, 24
	s_and_b64 s[30:31], s[14:15], s[30:31]
	s_mov_b64 exec, s[30:31]
	s_cbranch_execz .LBB129_52
; %bb.49:                               ;   in Loop: Header=BB129_20 Depth=1
	v_lshl_add_u32 v3, v14, 1, v23
	s_mov_b64 s[30:31], 0
	v_mov_b32_e32 v4, v30
.LBB129_50:                             ;   Parent Loop BB129_20 Depth=1
                                        ; =>  This Inner Loop Header: Depth=2
	v_mul_lo_u32 v50, v9, s93
	v_mul_lo_u32 v54, v8, s92
	v_mov_b32_e32 v55, v15
	v_mov_b32_e32 v51, v15
	v_mul_lo_u32 v56, v7, s9
	v_mul_lo_u32 v14, v6, s8
	v_mov_b32_e32 v57, v15
	v_lshl_add_u64 v[54:55], v[54:55], 1, v[10:11]
	v_lshl_add_u64 v[50:51], v[50:51], 1, v[10:11]
	;; [unrolled: 1-line block ×4, first 2 shown]
	global_load_ushort v5, v[54:55], off
	global_load_ushort v48, v[50:51], off
	;; [unrolled: 1-line block ×3, first 2 shown]
	s_nop 0
	global_load_ushort v50, v[58:59], off
	v_add_u32_e32 v4, -8, v4
	v_cmp_eq_u32_e32 vcc, 0, v4
	v_add_u32_e32 v9, 4, v9
	v_add_u32_e32 v8, 4, v8
	v_add_u32_e32 v7, 4, v7
	v_add_u32_e32 v6, 4, v6
	s_or_b64 s[30:31], vcc, s[30:31]
	s_waitcnt vmcnt(2)
	v_perm_b32 v53, v48, v5, s87
	s_waitcnt vmcnt(1)
	v_perm_b32 v51, v5, v14, s87
	s_waitcnt vmcnt(0)
	v_alignbit_b32 v50, v50, v49, 16
	ds_write_b64 v3, v[50:51]
	v_add_u32_e32 v3, 8, v3
	v_mov_b32_e32 v49, v53
	s_andn2_b64 exec, exec, s[30:31]
	s_cbranch_execnz .LBB129_50
; %bb.51:                               ;   in Loop: Header=BB129_20 Depth=1
	s_or_b64 exec, exec, s[30:31]
.LBB129_52:                             ;   in Loop: Header=BB129_20 Depth=1
	s_or_b64 exec, exec, s[14:15]
	v_readlane_b32 s14, v82, 25
	v_add_u32_e32 v2, v2, v26
	v_readlane_b32 s15, v82, 26
	v_add_u32_e32 v3, -1, v2
	s_orn2_b64 s[14:15], s[14:15], exec
	v_mov_b32_e32 v4, v27
.LBB129_53:                             ;   in Loop: Header=BB129_20 Depth=1
	s_or_b64 exec, exec, s[2:3]
	v_mov_b32_e32 v5, s35
	s_and_b64 s[2:3], s[14:15], exec
	s_andn2_saveexec_b64 s[14:15], s[28:29]
	s_cbranch_execz .LBB129_39
.LBB129_54:                             ;   in Loop: Header=BB129_20 Depth=1
	v_mov_b32_e32 v5, s35
	s_or_b64 s[2:3], s[2:3], exec
	v_mov_b32_e32 v4, v0
	s_or_b64 exec, exec, s[14:15]
	s_and_saveexec_b64 s[14:15], s[2:3]
	s_cbranch_execz .LBB129_58
.LBB129_55:                             ;   in Loop: Header=BB129_20 Depth=1
	s_sub_i32 s28, 0, s34
	v_mul_lo_u32 v14, s66, v2
	s_mov_b64 s[2:3], 0
.LBB129_56:                             ;   Parent Loop BB129_20 Depth=1
                                        ; =>  This Inner Loop Header: Depth=2
	v_lshl_add_u64 v[6:7], v[14:15], 1, v[10:11]
	s_waitcnt vmcnt(0)
	v_mov_b32_e32 v3, v48
	global_load_ushort v48, v[6:7], off
	v_mov_b32_e32 v6, v2
	v_lshlrev_b32_e32 v2, 1, v4
	ds_write_b16 v2, v3
	v_add_u32_e32 v2, s34, v6
	v_cmp_le_u32_e32 vcc, s64, v2
	v_add_u32_e32 v14, v14, v5
	s_or_b64 s[2:3], vcc, s[2:3]
	v_mov_b32_e32 v4, v6
	s_andn2_b64 exec, exec, s[2:3]
	s_cbranch_execnz .LBB129_56
; %bb.57:                               ;   in Loop: Header=BB129_20 Depth=1
	s_or_b64 exec, exec, s[2:3]
	v_add_u32_e32 v3, s28, v2
.LBB129_58:                             ;   in Loop: Header=BB129_20 Depth=1
	s_or_b64 exec, exec, s[14:15]
.LBB129_59:                             ;   in Loop: Header=BB129_20 Depth=1
	s_or_b64 exec, exec, s[26:27]
	v_lshlrev_b32_e32 v2, 1, v3
	s_waitcnt vmcnt(0)
	ds_write_b16 v2, v48
.LBB129_60:                             ;   in Loop: Header=BB129_20 Depth=1
	s_or_b64 exec, exec, s[22:23]
	s_waitcnt lgkmcnt(0)
	s_barrier
	s_and_saveexec_b64 s[2:3], s[24:25]
; %bb.61:                               ;   in Loop: Header=BB129_20 Depth=1
	ds_write_b32 v15, v52 offset:4104
; %bb.62:                               ;   in Loop: Header=BB129_20 Depth=1
	s_or_b64 exec, exec, s[2:3]
	s_mov_b64 s[2:3], -1
	s_waitcnt lgkmcnt(0)
	s_barrier
.LBB129_63:                             ;   in Loop: Header=BB129_20 Depth=1
	s_mov_b32 s80, 0
	s_and_b64 vcc, exec, s[2:3]
	s_cbranch_vccz .LBB129_65
; %bb.64:                               ;   in Loop: Header=BB129_20 Depth=1
	ds_read_b32 v2, v15 offset:4104
	s_waitcnt lgkmcnt(0)
	v_readfirstlane_b32 s80, v2
.LBB129_65:                             ;   in Loop: Header=BB129_20 Depth=1
	s_cmp_lt_i32 s80, 1
	s_mov_b64 s[2:3], -1
                                        ; implicit-def: $vgpr4_vgpr5
	s_cbranch_scc1 .LBB129_75
; %bb.66:                               ;   in Loop: Header=BB129_20 Depth=1
	s_and_b64 vcc, exec, s[2:3]
	s_cbranch_vccnz .LBB129_86
.LBB129_67:                             ;   in Loop: Header=BB129_20 Depth=1
	s_lshl_b32 s22, s21, 6
	s_and_saveexec_b64 s[2:3], s[4:5]
.LBB129_68:                             ;   in Loop: Header=BB129_20 Depth=1
	v_lshl_add_u32 v6, s22, 2, v25
	ds_write_b128 v6, v[2:5]
.LBB129_69:                             ;   in Loop: Header=BB129_20 Depth=1
	s_or_b64 exec, exec, s[2:3]
	s_waitcnt lgkmcnt(0)
	s_barrier
	s_and_saveexec_b64 s[2:3], s[78:79]
	s_cbranch_execz .LBB129_103
; %bb.70:                               ;   in Loop: Header=BB129_20 Depth=1
	v_add_u32_e32 v4, s22, v22
	s_andn2_b64 vcc, exec, s[82:83]
	v_mov_b32_e32 v2, 0
	s_cbranch_vccnz .LBB129_102
; %bb.71:                               ;   in Loop: Header=BB129_20 Depth=1
	v_readlane_b32 s14, v82, 27
	v_readlane_b32 s15, v82, 28
	s_andn2_b64 vcc, exec, s[14:15]
	s_cbranch_vccnz .LBB129_95
; %bb.72:                               ;   in Loop: Header=BB129_20 Depth=1
	v_readlane_b32 s14, v82, 29
	v_readlane_b32 s15, v82, 30
	s_andn2_b64 vcc, exec, s[14:15]
	v_lshl_add_u32 v5, v4, 2, v43
	s_cbranch_vccnz .LBB129_96
; %bb.73:                               ;   in Loop: Header=BB129_20 Depth=1
	s_mov_b32 s15, 1
	s_mov_b32 s14, 0
	v_mov_b32_e32 v2, 0
	v_mov_b32_e32 v3, 0
	v_readlane_b32 s23, v82, 31
.LBB129_74:                             ;   Parent Loop BB129_20 Depth=1
                                        ; =>  This Inner Loop Header: Depth=2
	v_lshl_add_u32 v14, s14, 4, v5
	v_lshl_add_u32 v53, s15, 4, v5
	ds_read2_b32 v[6:7], v14 offset1:8
	ds_read2_b32 v[8:9], v53 offset1:8
	ds_read2_b32 v[48:49], v14 offset0:16 offset1:24
	ds_read2_b32 v[50:51], v53 offset0:16 offset1:24
	;; [unrolled: 1-line block ×6, first 2 shown]
	s_waitcnt lgkmcnt(7)
	v_add3_u32 v2, v6, v2, v7
	s_waitcnt lgkmcnt(6)
	v_add3_u32 v3, v8, v3, v9
	;; [unrolled: 2-line block ×3, first 2 shown]
	v_add3_u32 v2, v48, v2, v49
	s_add_i32 s15, s15, 16
	s_add_i32 s14, s14, 16
	s_add_i32 s23, s23, -8
	s_waitcnt lgkmcnt(3)
	v_add3_u32 v2, v54, v2, v55
	s_waitcnt lgkmcnt(2)
	v_add3_u32 v3, v56, v3, v57
	s_cmp_lg_u32 s23, 0
	s_waitcnt lgkmcnt(0)
	v_add3_u32 v3, v60, v3, v61
	v_add3_u32 v2, v58, v2, v59
	s_cbranch_scc1 .LBB129_74
	s_branch .LBB129_97
.LBB129_75:                             ;   in Loop: Header=BB129_20 Depth=1
	v_mov_b32_e32 v14, v15
	v_mov_b64_e32 v[4:5], v[14:15]
	v_mov_b64_e32 v[2:3], v[14:15]
	s_and_saveexec_b64 s[52:53], s[16:17]
	s_cbranch_execz .LBB129_79
; %bb.76:                               ;   in Loop: Header=BB129_20 Depth=1
	s_mov_b32 s14, 0
	s_mov_b64 s[54:55], 0
	v_mov_b32_e32 v6, v19
	s_mov_b32 s58, 0
	s_mov_b32 s59, s14
	;; [unrolled: 1-line block ×4, first 2 shown]
.LBB129_77:                             ;   Parent Loop BB129_20 Depth=1
                                        ; =>  This Inner Loop Header: Depth=2
	v_add_u32_e32 v14, s14, v34
	v_lshl_add_u64 v[2:3], v[14:15], 1, v[10:11]
	v_add_u32_e32 v14, s14, v31
	global_load_ushort v4, v[2:3], off
	v_lshl_add_u64 v[2:3], v[14:15], 1, v[10:11]
	v_add_u32_e32 v14, s14, v32
	global_load_ushort v5, v[2:3], off
	;; [unrolled: 3-line block ×3, first 2 shown]
	v_lshl_add_u64 v[2:3], v[14:15], 1, v[10:11]
	global_load_ushort v2, v[2:3], off
	v_add_u32_e32 v6, s89, v6
	v_cmp_le_u32_e32 vcc, s1, v6
	s_add_i32 s14, s14, s84
	s_waitcnt vmcnt(3)
	v_cmp_lt_i16_e64 s[2:3], -1, v4
	s_nop 1
	v_cndmask_b32_e64 v3, v40, v41, s[2:3]
	v_xor_b32_sdwa v3, v3, v4 dst_sel:DWORD dst_unused:UNUSED_PAD src0_sel:DWORD src1_sel:WORD_0
	s_waitcnt vmcnt(2)
	v_cmp_lt_i16_e64 s[2:3], -1, v5
	s_waitcnt vmcnt(0)
	v_cmp_o_f16_e64 s[34:35], v2, v2
	v_cndmask_b32_e64 v8, v40, v41, s[2:3]
	v_cmp_o_f16_e64 s[2:3], v4, v4
	v_xor_b32_sdwa v4, v8, v5 dst_sel:DWORD dst_unused:UNUSED_PAD src0_sel:DWORD src1_sel:WORD_0
	s_nop 0
	v_cndmask_b32_e64 v3, v40, v3, s[2:3]
	v_cmp_lt_i16_e64 s[2:3], -1, v7
	v_and_b32_e32 v9, v3, v45
	v_bfe_u32 v3, v3, v39, 2
	v_cndmask_b32_e64 v8, v40, v41, s[2:3]
	v_cmp_o_f16_e64 s[2:3], v5, v5
	v_xor_b32_sdwa v5, v8, v7 dst_sel:DWORD dst_unused:UNUSED_PAD src0_sel:DWORD src1_sel:WORD_0
	v_cmp_eq_u32_e64 s[22:23], 0, v3
	v_cndmask_b32_e64 v4, v40, v4, s[2:3]
	v_cmp_lt_i16_e64 s[2:3], -1, v2
	v_cmp_eq_u32_e64 s[26:27], 1, v3
	v_cmp_eq_u32_e64 s[28:29], 2, v3
	v_cndmask_b32_e64 v8, v40, v41, s[2:3]
	v_cmp_o_f16_e64 s[2:3], v7, v7
	v_xor_b32_sdwa v7, v8, v2 dst_sel:DWORD dst_unused:UNUSED_PAD src0_sel:DWORD src1_sel:WORD_0
	v_and_b32_e32 v8, v4, v45
	v_cndmask_b32_e64 v5, v40, v5, s[2:3]
	v_cmp_eq_u32_e64 s[2:3], v9, v35
	v_bfe_u32 v4, v4, v39, 2
	s_and_b64 s[22:23], s[2:3], s[22:23]
	v_cmp_eq_u32_e64 s[30:31], 3, v3
	v_cmp_eq_u32_e64 s[36:37], 0, v4
	;; [unrolled: 1-line block ×5, first 2 shown]
	v_cndmask_b32_e64 v4, 0, 1, s[22:23]
	s_and_b64 s[22:23], s[2:3], s[26:27]
	v_cndmask_b32_e64 v2, v40, v7, s[34:35]
	v_cmp_eq_u32_e64 s[34:35], v8, v35
	v_and_b32_e32 v3, v5, v45
	v_bfe_u32 v5, v5, v39, 2
	v_cndmask_b32_e64 v7, 0, 1, s[22:23]
	s_and_b64 s[22:23], s[2:3], s[28:29]
	s_and_b64 s[2:3], s[2:3], s[30:31]
	v_cndmask_b32_e64 v8, 0, 1, s[22:23]
	v_cndmask_b32_e64 v9, 0, 1, s[2:3]
	v_cmp_eq_u32_e64 s[2:3], v3, v35
	v_and_b32_e32 v3, v2, v45
	v_bfe_u32 v2, v2, v39, 2
	v_cmp_eq_u32_e64 s[22:23], 0, v5
	s_and_b64 s[36:37], s[34:35], s[36:37]
	s_and_b64 s[38:39], s[34:35], s[38:39]
	;; [unrolled: 1-line block ×4, first 2 shown]
	v_cmp_eq_u32_e64 s[26:27], 1, v5
	v_cmp_eq_u32_e64 s[28:29], 2, v5
	;; [unrolled: 1-line block ×3, first 2 shown]
	v_cndmask_b32_e64 v5, 0, 1, s[38:39]
	v_cmp_ne_u32_e64 s[38:39], 0, v8
	v_cndmask_b32_e64 v8, 0, 1, s[34:35]
	v_cmp_eq_u32_e64 s[34:35], v3, v35
	v_cmp_eq_u32_e64 s[42:43], 0, v2
	s_and_b64 s[22:23], s[2:3], s[22:23]
	v_cmp_eq_u32_e64 s[46:47], 1, v2
	v_cmp_eq_u32_e64 s[48:49], 2, v2
	;; [unrolled: 1-line block ×3, first 2 shown]
	v_cndmask_b32_e64 v2, 0, 1, s[22:23]
	s_and_b64 s[26:27], s[2:3], s[26:27]
	s_and_b64 s[28:29], s[2:3], s[28:29]
	;; [unrolled: 1-line block ×4, first 2 shown]
	v_cmp_ne_u32_e64 s[44:45], 0, v4
	v_cndmask_b32_e64 v4, 0, 1, s[36:37]
	v_cmp_ne_u32_e64 s[36:37], 0, v7
	v_cndmask_b32_e64 v7, 0, 1, s[40:41]
	v_cmp_ne_u32_e64 s[40:41], 0, v9
	v_cmp_ne_u32_e64 s[22:23], 0, v5
	v_cndmask_b32_e64 v3, 0, 1, s[26:27]
	v_cndmask_b32_e64 v5, 0, 1, s[2:3]
	v_cmp_ne_u32_e64 s[2:3], 0, v2
	v_cndmask_b32_e64 v2, 0, 1, s[30:31]
	s_and_b64 s[30:31], s[34:35], s[46:47]
	s_bcnt1_i32_b64 s15, s[44:45]
	v_cmp_ne_u32_e64 s[44:45], 0, v4
	s_bcnt1_i32_b64 s36, s[36:37]
	s_bcnt1_i32_b64 s37, s[38:39]
	v_cmp_ne_u32_e64 s[26:27], 0, v7
	v_cndmask_b32_e64 v4, 0, 1, s[28:29]
	s_bcnt1_i32_b64 s38, s[40:41]
	s_bcnt1_i32_b64 s40, s[22:23]
	v_cmp_ne_u32_e64 s[22:23], 0, v3
	v_cndmask_b32_e64 v3, 0, 1, s[30:31]
	s_and_b64 s[30:31], s[34:35], s[48:49]
	v_cmp_ne_u32_e64 s[28:29], 0, v8
	s_bcnt1_i32_b64 s41, s[26:27]
	v_cmp_ne_u32_e64 s[26:27], 0, v4
	v_cndmask_b32_e64 v4, 0, 1, s[30:31]
	s_and_b64 s[30:31], s[34:35], s[50:51]
	s_bcnt1_i32_b64 s39, s[44:45]
	s_add_i32 s15, s58, s15
	s_add_i32 s36, s59, s36
	s_bcnt1_i32_b64 s42, s[28:29]
	v_cmp_ne_u32_e64 s[28:29], 0, v5
	v_cndmask_b32_e64 v5, 0, 1, s[30:31]
	s_add_i32 s30, s56, s37
	s_add_i32 s31, s57, s38
	s_bcnt1_i32_b64 s34, s[2:3]
	v_cmp_ne_u32_e64 s[2:3], 0, v2
	s_bcnt1_i32_b64 s35, s[22:23]
	v_cmp_ne_u32_e64 s[22:23], 0, v3
	s_add_i32 s36, s36, s40
	s_add_i32 s15, s15, s39
	s_bcnt1_i32_b64 s37, s[26:27]
	v_cmp_ne_u32_e64 s[26:27], 0, v4
	s_bcnt1_i32_b64 s38, s[28:29]
	v_cmp_ne_u32_e64 s[28:29], 0, v5
	s_add_i32 s31, s31, s42
	s_add_i32 s30, s30, s41
	s_bcnt1_i32_b64 s2, s[2:3]
	s_bcnt1_i32_b64 s3, s[22:23]
	s_add_i32 s15, s15, s34
	s_add_i32 s22, s36, s35
	s_bcnt1_i32_b64 s23, s[26:27]
	s_bcnt1_i32_b64 s26, s[28:29]
	s_add_i32 s27, s30, s37
	s_add_i32 s28, s31, s38
	s_add_i32 s59, s22, s3
	s_add_i32 s58, s15, s2
	s_add_i32 s57, s28, s26
	s_add_i32 s56, s27, s23
	s_or_b64 s[54:55], vcc, s[54:55]
	v_mov_b64_e32 v[2:3], s[58:59]
	v_mov_b64_e32 v[4:5], s[56:57]
	s_andn2_b64 exec, exec, s[54:55]
	s_cbranch_execnz .LBB129_77
; %bb.78:                               ;   in Loop: Header=BB129_20 Depth=1
	s_or_b64 exec, exec, s[54:55]
.LBB129_79:                             ;   in Loop: Header=BB129_20 Depth=1
	s_or_b64 exec, exec, s[52:53]
	s_and_saveexec_b64 s[14:15], s[18:19]
	s_cbranch_execz .LBB129_85
; %bb.80:                               ;   in Loop: Header=BB129_20 Depth=1
	global_load_ushort v8, v[20:21], off
	s_mov_b64 s[22:23], 0
	v_mov_b32_e32 v14, v36
	v_mov_b32_e32 v6, v29
	s_branch .LBB129_82
.LBB129_81:                             ;   in Loop: Header=BB129_82 Depth=2
	s_or_b64 exec, exec, s[26:27]
	s_and_b64 s[2:3], exec, vcc
	s_waitcnt vmcnt(0)
	v_cmp_lt_i16_e32 vcc, -1, v8
	s_or_b64 s[22:23], s[2:3], s[22:23]
	v_add_u32_e32 v14, s65, v14
	v_cndmask_b32_e32 v9, v40, v41, vcc
	v_xor_b32_sdwa v9, v9, v8 dst_sel:DWORD dst_unused:UNUSED_PAD src0_sel:DWORD src1_sel:WORD_0
	v_cmp_o_f16_e32 vcc, v8, v8
	s_nop 1
	v_cndmask_b32_e32 v8, v40, v9, vcc
	v_and_b32_e32 v9, v8, v45
	v_bfe_u32 v8, v8, v39, 2
	v_cmp_eq_u32_e32 vcc, v9, v35
	v_cmp_eq_u32_e64 s[2:3], 0, v8
	s_and_b64 s[2:3], vcc, s[2:3]
	s_nop 0
	v_cndmask_b32_e64 v9, 0, 1, s[2:3]
	v_cmp_ne_u32_e64 s[2:3], 0, v9
	s_bcnt1_i32_b64 s26, s[2:3]
	v_cmp_eq_u32_e64 s[2:3], 1, v8
	s_and_b64 s[2:3], vcc, s[2:3]
	v_add_u32_e32 v2, s26, v2
	v_cndmask_b32_e64 v9, 0, 1, s[2:3]
	v_cmp_ne_u32_e64 s[2:3], 0, v9
	s_bcnt1_i32_b64 s2, s[2:3]
	s_nop 0
	v_add_u32_e32 v3, s2, v3
	v_cmp_eq_u32_e64 s[2:3], 2, v8
	s_and_b64 s[2:3], vcc, s[2:3]
	s_nop 0
	v_cndmask_b32_e64 v9, 0, 1, s[2:3]
	v_cmp_ne_u32_e64 s[2:3], 0, v9
	s_bcnt1_i32_b64 s26, s[2:3]
	v_cmp_eq_u32_e64 s[2:3], 3, v8
	s_and_b64 s[2:3], vcc, s[2:3]
	v_add_u32_e32 v4, s26, v4
	v_cndmask_b32_e64 v8, 0, 1, s[2:3]
	v_cmp_ne_u32_e32 vcc, 0, v8
	s_bcnt1_i32_b64 s2, vcc
	v_add_u32_e32 v5, s2, v5
	v_mov_b32_e32 v8, v7
	s_andn2_b64 exec, exec, s[22:23]
	s_cbranch_execz .LBB129_84
.LBB129_82:                             ;   Parent Loop BB129_20 Depth=1
                                        ; =>  This Inner Loop Header: Depth=2
	v_add_u32_e32 v6, s67, v6
	v_cmp_gt_u32_e64 s[2:3], s64, v6
	v_cmp_le_u32_e32 vcc, s64, v6
	v_mov_b32_e32 v7, 0
	s_and_saveexec_b64 s[26:27], s[2:3]
	s_cbranch_execz .LBB129_81
; %bb.83:                               ;   in Loop: Header=BB129_82 Depth=2
	v_lshl_add_u64 v[48:49], v[14:15], 1, v[10:11]
	global_load_ushort v7, v[48:49], off
	s_branch .LBB129_81
.LBB129_84:                             ;   in Loop: Header=BB129_20 Depth=1
	s_or_b64 exec, exec, s[22:23]
.LBB129_85:                             ;   in Loop: Header=BB129_20 Depth=1
	s_or_b64 exec, exec, s[14:15]
	s_branch .LBB129_67
.LBB129_86:                             ;   in Loop: Header=BB129_20 Depth=1
	s_mul_hi_u32 s2, s80, s0
	s_mul_i32 s2, s2, s89
	s_sub_i32 s2, s80, s2
	s_sub_i32 s3, s2, s89
	s_cmp_ge_u32 s2, s89
	s_cselect_b32 s2, s3, s2
	s_sub_i32 s3, s2, s89
	s_cmp_ge_u32 s2, s89
	s_cselect_b32 s2, s3, s2
	s_sub_i32 s81, s80, s2
	v_mov_b32_e32 v14, v15
	v_cmp_gt_u32_e32 vcc, s81, v19
	v_mov_b64_e32 v[4:5], v[14:15]
	v_mov_b64_e32 v[2:3], v[14:15]
	s_and_saveexec_b64 s[14:15], vcc
	s_cbranch_execz .LBB129_90
; %bb.87:                               ;   in Loop: Header=BB129_20 Depth=1
	s_mov_b32 s76, 0
	s_mov_b64 s[72:73], 0
	v_mov_b32_e32 v6, v37
	v_mov_b32_e32 v7, v19
	s_mov_b32 s77, s76
	s_mov_b32 s74, s76
	;; [unrolled: 1-line block ×3, first 2 shown]
.LBB129_88:                             ;   Parent Loop BB129_20 Depth=1
                                        ; =>  This Inner Loop Header: Depth=2
	ds_read_b64 v[2:3], v6
	v_add_u32_e32 v7, s89, v7
	v_cmp_le_u32_e32 vcc, s81, v7
	v_add_u32_e32 v6, s85, v6
	s_waitcnt lgkmcnt(0)
	v_cmp_lt_i16_e64 s[2:3], -1, v2
	v_cmp_o_f16_e64 s[22:23], v3, v3
	s_nop 0
	v_cndmask_b32_e64 v4, v40, v41, s[2:3]
	v_cmp_gt_i16_sdwa s[2:3], v2, v42 src0_sel:WORD_1 src1_sel:DWORD
	v_cmp_o_f16_sdwa s[26:27], v3, v3 src0_sel:WORD_1 src1_sel:WORD_1
	v_cmp_o_f16_e64 s[28:29], v2, v2
	v_cndmask_b32_e64 v5, v40, v41, s[2:3]
	v_cmp_lt_i16_e64 s[2:3], -1, v3
	v_xor_b32_sdwa v5, v5, v2 dst_sel:DWORD dst_unused:UNUSED_PAD src0_sel:DWORD src1_sel:WORD_1
	s_nop 0
	v_cndmask_b32_e64 v8, v40, v41, s[2:3]
	v_cmp_gt_i16_sdwa s[2:3], v3, v42 src0_sel:WORD_1 src1_sel:DWORD
	v_bitop3_b32 v8, v8, v3, s88 bitop3:0x78
	s_nop 0
	v_cndmask_b32_e64 v9, v40, v41, s[2:3]
	v_xor_b32_sdwa v9, v9, v3 dst_sel:DWORD dst_unused:UNUSED_PAD src0_sel:DWORD src1_sel:WORD_1
	v_bitop3_b32 v3, v4, v2, s88 bitop3:0x78
	v_cmp_o_f16_sdwa s[2:3], v2, v2 src0_sel:WORD_1 src1_sel:WORD_1
	v_cndmask_b32_e64 v2, v40, v3, s[28:29]
	v_cndmask_b32_e64 v4, v40, v8, s[22:23]
	;; [unrolled: 1-line block ×3, first 2 shown]
	v_and_b32_e32 v8, v2, v45
	v_bfe_u32 v2, v2, v39, 2
	v_cndmask_b32_e64 v5, v40, v9, s[26:27]
	v_and_b32_e32 v9, v3, v45
	v_bfe_u32 v3, v3, v39, 2
	v_cmp_eq_u32_e64 s[2:3], v8, v35
	v_cmp_eq_u32_e64 s[30:31], 0, v2
	v_and_b32_e32 v14, v4, v45
	v_bfe_u32 v4, v4, v39, 2
	v_cmp_eq_u32_e64 s[22:23], v9, v35
	v_cmp_eq_u32_e64 s[34:35], 0, v3
	s_and_b64 s[30:31], s[2:3], s[30:31]
	v_and_b32_e32 v48, v5, v45
	v_bfe_u32 v5, v5, v39, 2
	v_cmp_eq_u32_e64 s[26:27], v14, v35
	v_cmp_eq_u32_e64 s[36:37], 0, v4
	;; [unrolled: 1-line block ×5, first 2 shown]
	v_cndmask_b32_e64 v2, 0, 1, s[30:31]
	s_and_b64 s[30:31], s[22:23], s[34:35]
	v_cmp_eq_u32_e64 s[28:29], v48, v35
	v_cmp_eq_u32_e64 s[38:39], 0, v5
	;; [unrolled: 1-line block ×5, first 2 shown]
	v_cndmask_b32_e64 v3, 0, 1, s[30:31]
	s_and_b64 s[30:31], s[26:27], s[36:37]
	v_cmp_eq_u32_e64 s[44:45], 1, v4
	v_cmp_eq_u32_e64 s[52:53], 2, v4
	;; [unrolled: 1-line block ×3, first 2 shown]
	v_cndmask_b32_e64 v4, 0, 1, s[30:31]
	s_and_b64 s[30:31], s[28:29], s[38:39]
	v_cmp_eq_u32_e64 s[46:47], 1, v5
	v_cmp_eq_u32_e64 s[54:55], 2, v5
	;; [unrolled: 1-line block ×3, first 2 shown]
	v_cndmask_b32_e64 v5, 0, 1, s[30:31]
	s_and_b64 s[30:31], s[2:3], s[40:41]
	v_cndmask_b32_e64 v8, 0, 1, s[30:31]
	s_and_b64 s[30:31], s[22:23], s[42:43]
	;; [unrolled: 2-line block ×5, first 2 shown]
	s_and_b64 s[2:3], s[2:3], s[56:57]
	v_cndmask_b32_e64 v49, 0, 1, s[30:31]
	s_and_b64 s[30:31], s[22:23], s[50:51]
	v_cndmask_b32_e64 v54, 0, 1, s[2:3]
	;; [unrolled: 2-line block ×7, first 2 shown]
	v_cndmask_b32_e64 v57, 0, 1, s[2:3]
	v_cmp_ne_u32_e64 s[2:3], 0, v2
	v_cmp_ne_u32_e64 s[22:23], 0, v3
	;; [unrolled: 1-line block ×11, first 2 shown]
	s_bcnt1_i32_b64 s2, s[2:3]
	s_bcnt1_i32_b64 s3, s[22:23]
	;; [unrolled: 1-line block ×8, first 2 shown]
	v_cmp_ne_u32_e64 s[38:39], 0, v48
	v_cmp_ne_u32_e64 s[44:45], 0, v51
	;; [unrolled: 1-line block ×3, first 2 shown]
	s_bcnt1_i32_b64 s27, s[34:35]
	s_bcnt1_i32_b64 s31, s[42:43]
	;; [unrolled: 1-line block ×3, first 2 shown]
	s_add_i32 s2, s76, s2
	s_add_i32 s26, s77, s26
	;; [unrolled: 1-line block ×4, first 2 shown]
	v_cmp_ne_u32_e64 s[46:47], 0, v53
	v_cmp_ne_u32_e64 s[54:55], 0, v57
	s_bcnt1_i32_b64 s29, s[38:39]
	s_bcnt1_i32_b64 s34, s[44:45]
	;; [unrolled: 1-line block ×3, first 2 shown]
	s_add_i32 s26, s26, s27
	s_add_i32 s2, s2, s3
	;; [unrolled: 1-line block ×4, first 2 shown]
	s_bcnt1_i32_b64 s35, s[46:47]
	s_bcnt1_i32_b64 s39, s[54:55]
	s_add_i32 s2, s2, s22
	s_add_i32 s22, s26, s28
	;; [unrolled: 1-line block ×8, first 2 shown]
	s_or_b64 s[72:73], vcc, s[72:73]
	v_mov_b64_e32 v[2:3], s[76:77]
	v_mov_b64_e32 v[4:5], s[74:75]
	s_andn2_b64 exec, exec, s[72:73]
	s_cbranch_execnz .LBB129_88
; %bb.89:                               ;   in Loop: Header=BB129_20 Depth=1
	s_or_b64 exec, exec, s[72:73]
.LBB129_90:                             ;   in Loop: Header=BB129_20 Depth=1
	s_or_b64 exec, exec, s[14:15]
	v_add_u32_e32 v6, s81, v0
	v_cmp_gt_u32_e32 vcc, s80, v6
	s_and_saveexec_b64 s[14:15], vcc
	s_cbranch_execz .LBB129_94
; %bb.91:                               ;   in Loop: Header=BB129_20 Depth=1
	v_lshlrev_b32_e32 v7, 1, v6
	s_mov_b64 s[34:35], 0
.LBB129_92:                             ;   Parent Loop BB129_20 Depth=1
                                        ; =>  This Inner Loop Header: Depth=2
	ds_read_u16 v8, v7
	v_add_u32_e32 v6, s67, v6
	v_cmp_le_u32_e32 vcc, s80, v6
	v_add_u32_e32 v7, s86, v7
	s_waitcnt lgkmcnt(0)
	v_cmp_lt_i16_e64 s[2:3], -1, v8
	s_nop 1
	v_cndmask_b32_e64 v9, v40, v41, s[2:3]
	v_xor_b32_sdwa v9, v9, v8 dst_sel:DWORD dst_unused:UNUSED_PAD src0_sel:DWORD src1_sel:WORD_0
	v_cmp_o_f16_e64 s[2:3], v8, v8
	s_nop 1
	v_cndmask_b32_e64 v8, v40, v9, s[2:3]
	v_and_b32_e32 v9, v8, v45
	v_bfe_u32 v8, v8, v39, 2
	v_cmp_eq_u32_e64 s[2:3], v9, v35
	v_cmp_eq_u32_e64 s[22:23], 0, v8
	;; [unrolled: 1-line block ×3, first 2 shown]
	s_and_b64 s[22:23], s[2:3], s[22:23]
	v_cmp_eq_u32_e64 s[28:29], 2, v8
	v_cmp_eq_u32_e64 s[30:31], 3, v8
	v_cndmask_b32_e64 v8, 0, 1, s[22:23]
	s_and_b64 s[22:23], s[2:3], s[26:27]
	v_cndmask_b32_e64 v9, 0, 1, s[22:23]
	s_and_b64 s[22:23], s[2:3], s[28:29]
	s_and_b64 s[2:3], s[2:3], s[30:31]
	v_cndmask_b32_e64 v14, 0, 1, s[22:23]
	v_cndmask_b32_e64 v48, 0, 1, s[2:3]
	v_cmp_ne_u32_e64 s[2:3], 0, v8
	v_cmp_ne_u32_e64 s[22:23], 0, v9
	;; [unrolled: 1-line block ×4, first 2 shown]
	s_bcnt1_i32_b64 s2, s[2:3]
	s_bcnt1_i32_b64 s3, s[22:23]
	;; [unrolled: 1-line block ×4, first 2 shown]
	v_add_u32_e32 v3, s3, v3
	v_add_u32_e32 v2, s2, v2
	v_add_u32_e32 v5, s23, v5
	s_or_b64 s[34:35], vcc, s[34:35]
	v_add_u32_e32 v4, s22, v4
	s_andn2_b64 exec, exec, s[34:35]
	s_cbranch_execnz .LBB129_92
; %bb.93:                               ;   in Loop: Header=BB129_20 Depth=1
	s_or_b64 exec, exec, s[34:35]
.LBB129_94:                             ;   in Loop: Header=BB129_20 Depth=1
	s_or_b64 exec, exec, s[14:15]
	s_lshl_b32 s22, s21, 6
	s_and_saveexec_b64 s[2:3], s[4:5]
	s_cbranch_execnz .LBB129_68
	s_branch .LBB129_69
.LBB129_95:                             ;   in Loop: Header=BB129_20 Depth=1
	v_mov_b32_e32 v2, 0
	s_mov_b32 s23, 0
	s_cbranch_execnz .LBB129_100
	s_branch .LBB129_102
.LBB129_96:                             ;   in Loop: Header=BB129_20 Depth=1
	v_mov_b32_e32 v14, v15
	s_mov_b32 s14, 0
	v_mov_b64_e32 v[2:3], v[14:15]
	s_mov_b32 s15, 1
.LBB129_97:                             ;   in Loop: Header=BB129_20 Depth=1
	v_readlane_b32 s26, v82, 33
	v_readlane_b32 s27, v82, 34
	s_andn2_b64 vcc, exec, s[26:27]
	v_readlane_b32 s23, v82, 32
	s_cbranch_vccnz .LBB129_99
.LBB129_98:                             ;   Parent Loop BB129_20 Depth=1
                                        ; =>  This Inner Loop Header: Depth=2
	v_lshl_add_u32 v6, s14, 4, v5
	v_lshl_add_u32 v7, s15, 4, v5
	ds_read_b32 v7, v7
	ds_read_b32 v6, v6
	s_add_i32 s15, s15, 2
	s_add_i32 s14, s14, 2
	s_add_i32 s23, s23, -1
	s_cmp_lg_u32 s23, 0
	s_waitcnt lgkmcnt(1)
	v_add_u32_e32 v3, v7, v3
	s_waitcnt lgkmcnt(0)
	v_add_u32_e32 v2, v6, v2
	s_cbranch_scc1 .LBB129_98
.LBB129_99:                             ;   in Loop: Header=BB129_20 Depth=1
	v_readlane_b32 s14, v82, 37
	v_add_u32_e32 v2, v2, v3
	v_readlane_b32 s23, v82, 36
	v_readlane_b32 s15, v82, 38
	s_and_b64 vcc, exec, s[14:15]
	s_cbranch_vccz .LBB129_102
.LBB129_100:                            ;   in Loop: Header=BB129_20 Depth=1
	s_lshl_b32 s14, s21, 8
	s_lshl_b32 s15, s23, 4
	s_add_i32 s14, s14, s15
	v_add_u32_e32 v3, s14, v38
	v_readlane_b32 s14, v82, 35
	s_sub_i32 s14, s14, s23
.LBB129_101:                            ;   Parent Loop BB129_20 Depth=1
                                        ; =>  This Inner Loop Header: Depth=2
	ds_read_b32 v5, v3
	s_add_i32 s14, s14, -1
	v_add_u32_e32 v3, 16, v3
	s_cmp_eq_u32 s14, 0
	s_waitcnt lgkmcnt(0)
	v_add_u32_e32 v2, v5, v2
	s_cbranch_scc0 .LBB129_101
.LBB129_102:                            ;   in Loop: Header=BB129_20 Depth=1
	v_lshlrev_b32_e32 v3, 2, v4
	ds_write_b32 v3, v2 offset:3072
.LBB129_103:                            ;   in Loop: Header=BB129_20 Depth=1
	s_or_b64 exec, exec, s[2:3]
	s_lshl_b32 s2, s22, 2
	v_mov_b32_e32 v2, s2
	s_waitcnt lgkmcnt(0)
	s_barrier
	ds_read_b128 v[2:5], v2 offset:3072
	v_cmp_eq_u32_e32 vcc, 1, v47
	s_mov_b64 s[22:23], -1
	s_mov_b64 s[30:31], -1
                                        ; implicit-def: $sgpr28_sgpr29
                                        ; implicit-def: $sgpr26_sgpr27
	s_waitcnt lgkmcnt(0)
	v_readfirstlane_b32 s44, v2
	s_cmp_eq_u32 s44, 1
	v_lshlrev_b32_e64 v2, v39, 3
	s_cselect_b64 s[2:3], -1, 0
	v_readfirstlane_b32 s48, v3
	v_readfirstlane_b32 s56, v4
	;; [unrolled: 1-line block ×3, first 2 shown]
	v_not_b32_e32 v4, v2
	s_and_b64 s[14:15], s[2:3], vcc
	s_and_saveexec_b64 s[2:3], s[14:15]
	s_cbranch_execz .LBB129_131
; %bb.104:                              ;   in Loop: Header=BB129_20 Depth=1
	ds_read_b32 v3, v15 offset:4104
	s_waitcnt lgkmcnt(0)
	s_barrier
	v_readfirstlane_b32 s45, v3
	s_and_saveexec_b64 s[26:27], s[6:7]
; %bb.105:                              ;   in Loop: Header=BB129_20 Depth=1
	ds_write_b16 v24, v15
; %bb.106:                              ;   in Loop: Header=BB129_20 Depth=1
	s_or_b64 exec, exec, s[26:27]
	v_and_b32_e32 v35, v35, v4
	v_or_b32_e32 v45, v45, v2
	s_mov_b64 s[26:27], -1
	s_mov_b64 s[28:29], 0
	s_cmp_eq_u32 s45, 0
	s_mov_b64 s[30:31], 0
	s_mov_b64 s[34:35], -1
	s_waitcnt lgkmcnt(0)
	s_barrier
                                        ; implicit-def: $vgpr46
	s_cbranch_scc1 .LBB129_118
; %bb.107:                              ;   in Loop: Header=BB129_20 Depth=1
	s_add_i32 s30, s45, s90
	s_mul_hi_u32 s31, s30, s91
	s_mul_i32 s31, s31, s67
	s_sub_i32 s31, s30, s31
	s_sub_i32 s34, s31, s67
	s_cmp_ge_u32 s31, s67
	s_cselect_b32 s31, s34, s31
	s_sub_i32 s34, s31, s67
	s_cmp_ge_u32 s31, s67
	s_cselect_b32 s31, s34, s31
	s_sub_i32 s46, s30, s31
	v_cmp_gt_u32_e32 vcc, s46, v0
	s_mov_b64 s[34:35], 0
	s_mov_b64 s[30:31], 0
                                        ; implicit-def: $vgpr46
	s_and_saveexec_b64 s[36:37], vcc
	s_cbranch_execz .LBB129_117
; %bb.108:                              ;   in Loop: Header=BB129_20 Depth=1
	v_mov_b32_e32 v3, v23
	v_mov_b32_e32 v5, v0
                                        ; implicit-def: $sgpr38_sgpr39
	s_branch .LBB129_112
.LBB129_109:                            ;   in Loop: Header=BB129_112 Depth=2
	s_or_b64 exec, exec, s[40:41]
	s_waitcnt lgkmcnt(0)
	s_barrier
	ds_read_b32 v6, v15 offset:3072
	s_waitcnt lgkmcnt(0)
	s_barrier
	v_cmp_neq_f16_e32 vcc, 0, v6
	s_cbranch_vccnz .LBB129_115
; %bb.110:                              ;   in Loop: Header=BB129_112 Depth=2
	v_add_u32_e32 v5, s67, v5
	v_cmp_le_u32_e32 vcc, s46, v5
	v_add_u32_e32 v3, s86, v3
	s_mov_b64 s[40:41], 0
	s_orn2_b64 s[42:43], vcc, exec
.LBB129_111:                            ;   in Loop: Header=BB129_112 Depth=2
	s_and_b64 s[42:43], exec, s[42:43]
	s_or_b64 s[30:31], s[42:43], s[30:31]
	s_andn2_b64 s[38:39], s[38:39], exec
	s_and_b64 s[40:41], s[40:41], exec
	s_or_b64 s[38:39], s[38:39], s[40:41]
	s_andn2_b64 exec, exec, s[30:31]
	s_cbranch_execz .LBB129_116
.LBB129_112:                            ;   Parent Loop BB129_20 Depth=1
                                        ; =>  This Inner Loop Header: Depth=2
	v_cmp_gt_u32_e32 vcc, s45, v5
	s_and_saveexec_b64 s[40:41], vcc
	s_cbranch_execz .LBB129_109
; %bb.113:                              ;   in Loop: Header=BB129_112 Depth=2
	ds_read_u16 v6, v3
	s_waitcnt lgkmcnt(0)
	v_cmp_lt_i16_e32 vcc, -1, v6
	s_nop 1
	v_cndmask_b32_e32 v7, v40, v41, vcc
	v_xor_b32_sdwa v7, v7, v6 dst_sel:DWORD dst_unused:UNUSED_PAD src0_sel:DWORD src1_sel:WORD_0
	v_cmp_o_f16_e32 vcc, v6, v6
	s_nop 1
	v_cndmask_b32_e32 v7, v40, v7, vcc
	v_and_b32_e32 v7, v7, v45
	v_cmp_eq_u32_e32 vcc, v7, v35
	s_and_b64 exec, exec, vcc
	s_cbranch_execz .LBB129_109
; %bb.114:                              ;   in Loop: Header=BB129_112 Depth=2
	v_perm_b32 v6, v6, s20, v44
	ds_write_b32 v15, v6 offset:3072
	s_branch .LBB129_109
.LBB129_115:                            ;   in Loop: Header=BB129_112 Depth=2
	s_mov_b64 s[42:43], -1
                                        ; implicit-def: $vgpr5
                                        ; implicit-def: $vgpr3
	s_mov_b64 s[40:41], -1
	s_branch .LBB129_111
.LBB129_116:                            ;   in Loop: Header=BB129_20 Depth=1
	s_or_b64 exec, exec, s[30:31]
	v_lshrrev_b32_e32 v46, 16, v6
	s_and_b64 s[30:31], s[38:39], exec
.LBB129_117:                            ;   in Loop: Header=BB129_20 Depth=1
	s_or_b64 exec, exec, s[36:37]
.LBB129_118:                            ;   in Loop: Header=BB129_20 Depth=1
	s_and_b64 vcc, exec, s[34:35]
	s_cbranch_vccz .LBB129_130
; %bb.119:                              ;   in Loop: Header=BB129_20 Depth=1
                                        ; implicit-def: $vgpr46
	s_mov_b64 s[26:27], exec
	v_readlane_b32 s28, v82, 39
	v_readlane_b32 s29, v82, 40
	s_and_b64 s[28:29], s[26:27], s[28:29]
	s_mov_b64 exec, s[28:29]
	s_cbranch_execz .LBB129_129
; %bb.120:                              ;   in Loop: Header=BB129_20 Depth=1
	s_mov_b64 s[28:29], 0
	v_mov_b32_e32 v14, v12
	v_mov_b32_e32 v3, v0
                                        ; implicit-def: $sgpr34_sgpr35
	s_branch .LBB129_124
.LBB129_121:                            ;   in Loop: Header=BB129_124 Depth=2
	s_or_b64 exec, exec, s[36:37]
	s_waitcnt lgkmcnt(0)
	s_barrier
	ds_read_b32 v5, v15 offset:3072
	s_waitcnt lgkmcnt(0)
	s_barrier
	v_cmp_neq_f16_e32 vcc, 0, v5
	s_cbranch_vccnz .LBB129_127
; %bb.122:                              ;   in Loop: Header=BB129_124 Depth=2
	v_add_u32_e32 v3, s67, v3
	v_cmp_le_u32_e32 vcc, s33, v3
	v_add_u32_e32 v14, s65, v14
	s_mov_b64 s[36:37], 0
	s_orn2_b64 s[38:39], vcc, exec
.LBB129_123:                            ;   in Loop: Header=BB129_124 Depth=2
	s_and_b64 s[38:39], exec, s[38:39]
	s_or_b64 s[28:29], s[38:39], s[28:29]
	s_andn2_b64 s[34:35], s[34:35], exec
	s_and_b64 s[36:37], s[36:37], exec
	s_or_b64 s[34:35], s[34:35], s[36:37]
	s_andn2_b64 exec, exec, s[28:29]
	s_cbranch_execz .LBB129_128
.LBB129_124:                            ;   Parent Loop BB129_20 Depth=1
                                        ; =>  This Inner Loop Header: Depth=2
	v_cmp_gt_u32_e32 vcc, s64, v3
	s_and_saveexec_b64 s[36:37], vcc
	s_cbranch_execz .LBB129_121
; %bb.125:                              ;   in Loop: Header=BB129_124 Depth=2
	v_lshl_add_u64 v[6:7], v[14:15], 1, v[10:11]
	global_load_ushort v5, v[6:7], off
	s_waitcnt vmcnt(0)
	v_cmp_lt_i16_e32 vcc, -1, v5
	s_nop 1
	v_cndmask_b32_e32 v6, v40, v41, vcc
	v_xor_b32_sdwa v6, v6, v5 dst_sel:DWORD dst_unused:UNUSED_PAD src0_sel:DWORD src1_sel:WORD_0
	v_cmp_o_f16_e32 vcc, v5, v5
	s_nop 1
	v_cndmask_b32_e32 v6, v40, v6, vcc
	v_and_b32_e32 v6, v6, v45
	v_cmp_eq_u32_e32 vcc, v6, v35
	s_and_b64 exec, exec, vcc
	s_cbranch_execz .LBB129_121
; %bb.126:                              ;   in Loop: Header=BB129_124 Depth=2
	v_perm_b32 v5, v5, s20, v44
	ds_write_b32 v15, v5 offset:3072
	s_branch .LBB129_121
.LBB129_127:                            ;   in Loop: Header=BB129_124 Depth=2
	s_mov_b64 s[38:39], -1
                                        ; implicit-def: $vgpr3
	s_mov_b64 s[36:37], -1
	s_branch .LBB129_123
.LBB129_128:                            ;   in Loop: Header=BB129_20 Depth=1
	s_or_b64 exec, exec, s[28:29]
	s_andn2_b64 s[28:29], s[30:31], exec
	s_and_b64 s[30:31], s[34:35], exec
	v_lshrrev_b32_e32 v46, 16, v5
	s_or_b64 s[30:31], s[28:29], s[30:31]
.LBB129_129:                            ;   in Loop: Header=BB129_20 Depth=1
	s_or_b64 exec, exec, s[26:27]
	s_mov_b64 s[26:27], 0
	s_mov_b64 s[28:29], -1
.LBB129_130:                            ;   in Loop: Header=BB129_20 Depth=1
	s_orn2_b64 s[30:31], s[30:31], exec
.LBB129_131:                            ;   in Loop: Header=BB129_20 Depth=1
	s_or_b64 exec, exec, s[2:3]
	s_andn2_b64 s[2:3], s[10:11], exec
	s_and_b64 s[10:11], s[28:29], exec
	s_or_b64 s[10:11], s[2:3], s[10:11]
	s_andn2_b64 s[2:3], s[70:71], exec
	s_and_b64 s[26:27], s[26:27], exec
	v_readfirstlane_b32 s36, v0
	s_andn2_b64 s[12:13], s[12:13], exec
	s_or_b64 s[70:71], s[2:3], s[26:27]
                                        ; implicit-def: $vgpr5
	s_and_saveexec_b64 s[2:3], s[30:31]
	s_cbranch_execz .LBB129_19
; %bb.132:                              ;   in Loop: Header=BB129_20 Depth=1
	s_xor_b64 s[22:23], s[14:15], -1
	s_mov_b64 s[26:27], 0
	v_mov_b32_e32 v5, 1
	v_mov_b32_e32 v3, 1
	s_and_saveexec_b64 s[14:15], s[22:23]
	s_cbranch_execz .LBB129_141
; %bb.133:                              ;   in Loop: Header=BB129_20 Depth=1
	v_cmp_ge_u32_e32 vcc, s44, v47
	s_and_saveexec_b64 s[22:23], vcc
	s_xor_b64 s[22:23], exec, s[22:23]
	s_cbranch_execz .LBB129_138
; %bb.134:                              ;   in Loop: Header=BB129_20 Depth=1
	ds_read_b32 v3, v15 offset:4104
	v_and_b32_e32 v35, v35, v4
	v_or_b32_e32 v45, v45, v2
	s_waitcnt lgkmcnt(0)
	v_cmp_ne_u32_e32 vcc, 0, v3
	s_cbranch_vccnz .LBB129_138
; %bb.135:                              ;   in Loop: Header=BB129_20 Depth=1
	s_and_saveexec_b64 s[26:27], s[24:25]
; %bb.136:                              ;   in Loop: Header=BB129_20 Depth=1
	v_mov_b32_e32 v3, s44
	ds_write_b32 v15, v3 offset:4108
; %bb.137:                              ;   in Loop: Header=BB129_20 Depth=1
	s_or_b64 exec, exec, s[26:27]
	s_waitcnt lgkmcnt(0)
	s_barrier
.LBB129_138:                            ;   in Loop: Header=BB129_20 Depth=1
	s_or_saveexec_b64 s[22:23], s[22:23]
	s_mov_b64 s[26:27], 0
	v_mov_b32_e32 v3, 8
	s_xor_b64 exec, exec, s[22:23]
; %bb.139:                              ;   in Loop: Header=BB129_20 Depth=1
	s_mov_b64 s[26:27], exec
	v_subrev_u32_e32 v47, s44, v47
	v_mov_b32_e32 v3, 0
; %bb.140:                              ;   in Loop: Header=BB129_20 Depth=1
	s_or_b64 exec, exec, s[22:23]
	s_and_b64 s[26:27], s[26:27], exec
	v_mov_b32_e32 v5, v47
.LBB129_141:                            ;   in Loop: Header=BB129_20 Depth=1
	s_or_b64 exec, exec, s[14:15]
	s_mov_b64 s[22:23], -1
	s_mov_b64 s[14:15], -1
                                        ; implicit-def: $sgpr28_sgpr29
                                        ; implicit-def: $sgpr30_sgpr31
	s_and_saveexec_b64 s[34:35], s[26:27]
	s_xor_b64 s[26:27], exec, s[34:35]
	s_cbranch_execz .LBB129_264
; %bb.142:                              ;   in Loop: Header=BB129_20 Depth=1
	s_cmp_eq_u32 s48, 1
	s_cselect_b64 s[14:15], -1, 0
	v_cmp_eq_u32_e32 vcc, 1, v5
	s_and_b64 s[14:15], s[14:15], vcc
	s_mov_b64 s[36:37], -1
                                        ; implicit-def: $sgpr30_sgpr31
                                        ; implicit-def: $sgpr28_sgpr29
	s_and_saveexec_b64 s[34:35], s[14:15]
	s_cbranch_execz .LBB129_170
; %bb.143:                              ;   in Loop: Header=BB129_20 Depth=1
	ds_read_b32 v6, v15 offset:4104
	s_waitcnt lgkmcnt(0)
	s_barrier
	v_readfirstlane_b32 s49, v6
	s_and_saveexec_b64 s[28:29], s[6:7]
; %bb.144:                              ;   in Loop: Header=BB129_20 Depth=1
	ds_write_b16 v24, v15
; %bb.145:                              ;   in Loop: Header=BB129_20 Depth=1
	s_or_b64 exec, exec, s[28:29]
	v_and_b32_e32 v6, v35, v4
	v_lshl_or_b32 v35, 1, v39, v6
	v_or_b32_e32 v45, v45, v2
	s_mov_b64 s[28:29], -1
	s_mov_b64 s[30:31], 0
	s_cmp_eq_u32 s49, 0
	s_mov_b64 s[36:37], 0
	s_mov_b64 s[38:39], -1
	s_waitcnt lgkmcnt(0)
	s_barrier
                                        ; implicit-def: $vgpr46
	s_cbranch_scc1 .LBB129_157
; %bb.146:                              ;   in Loop: Header=BB129_20 Depth=1
	s_add_i32 s36, s49, s90
	s_mul_hi_u32 s37, s36, s91
	s_mul_i32 s37, s37, s67
	s_sub_i32 s37, s36, s37
	s_sub_i32 s38, s37, s67
	s_cmp_ge_u32 s37, s67
	s_cselect_b32 s37, s38, s37
	s_sub_i32 s38, s37, s67
	s_cmp_ge_u32 s37, s67
	s_cselect_b32 s37, s38, s37
	s_sub_i32 s50, s36, s37
	v_cmp_gt_u32_e32 vcc, s50, v0
	s_mov_b64 s[38:39], 0
	s_mov_b64 s[36:37], 0
                                        ; implicit-def: $vgpr46
	s_and_saveexec_b64 s[40:41], vcc
	s_cbranch_execz .LBB129_156
; %bb.147:                              ;   in Loop: Header=BB129_20 Depth=1
	v_mov_b32_e32 v6, v23
	v_mov_b32_e32 v7, v0
                                        ; implicit-def: $sgpr42_sgpr43
	s_branch .LBB129_151
.LBB129_148:                            ;   in Loop: Header=BB129_151 Depth=2
	s_or_b64 exec, exec, s[44:45]
	s_waitcnt lgkmcnt(0)
	s_barrier
	ds_read_b32 v8, v15 offset:3072
	s_waitcnt lgkmcnt(0)
	s_barrier
	v_cmp_neq_f16_e32 vcc, 0, v8
	s_cbranch_vccnz .LBB129_154
; %bb.149:                              ;   in Loop: Header=BB129_151 Depth=2
	v_add_u32_e32 v7, s67, v7
	v_cmp_le_u32_e32 vcc, s50, v7
	v_add_u32_e32 v6, s86, v6
	s_mov_b64 s[44:45], 0
	s_orn2_b64 s[46:47], vcc, exec
.LBB129_150:                            ;   in Loop: Header=BB129_151 Depth=2
	s_and_b64 s[46:47], exec, s[46:47]
	s_or_b64 s[36:37], s[46:47], s[36:37]
	s_andn2_b64 s[42:43], s[42:43], exec
	s_and_b64 s[44:45], s[44:45], exec
	s_or_b64 s[42:43], s[42:43], s[44:45]
	s_andn2_b64 exec, exec, s[36:37]
	s_cbranch_execz .LBB129_155
.LBB129_151:                            ;   Parent Loop BB129_20 Depth=1
                                        ; =>  This Inner Loop Header: Depth=2
	v_cmp_gt_u32_e32 vcc, s49, v7
	s_and_saveexec_b64 s[44:45], vcc
	s_cbranch_execz .LBB129_148
; %bb.152:                              ;   in Loop: Header=BB129_151 Depth=2
	ds_read_u16 v8, v6
	s_waitcnt lgkmcnt(0)
	v_cmp_lt_i16_e32 vcc, -1, v8
	s_nop 1
	v_cndmask_b32_e32 v9, v40, v41, vcc
	v_xor_b32_sdwa v9, v9, v8 dst_sel:DWORD dst_unused:UNUSED_PAD src0_sel:DWORD src1_sel:WORD_0
	v_cmp_o_f16_e32 vcc, v8, v8
	s_nop 1
	v_cndmask_b32_e32 v9, v40, v9, vcc
	v_and_b32_e32 v9, v9, v45
	v_cmp_eq_u32_e32 vcc, v9, v35
	s_and_b64 exec, exec, vcc
	s_cbranch_execz .LBB129_148
; %bb.153:                              ;   in Loop: Header=BB129_151 Depth=2
	v_perm_b32 v8, v8, s20, v44
	ds_write_b32 v15, v8 offset:3072
	s_branch .LBB129_148
.LBB129_154:                            ;   in Loop: Header=BB129_151 Depth=2
	s_mov_b64 s[46:47], -1
                                        ; implicit-def: $vgpr7
                                        ; implicit-def: $vgpr6
	s_mov_b64 s[44:45], -1
	s_branch .LBB129_150
.LBB129_155:                            ;   in Loop: Header=BB129_20 Depth=1
	s_or_b64 exec, exec, s[36:37]
	v_lshrrev_b32_e32 v46, 16, v8
	s_and_b64 s[36:37], s[42:43], exec
.LBB129_156:                            ;   in Loop: Header=BB129_20 Depth=1
	s_or_b64 exec, exec, s[40:41]
.LBB129_157:                            ;   in Loop: Header=BB129_20 Depth=1
	s_and_b64 vcc, exec, s[38:39]
	s_cbranch_vccz .LBB129_169
; %bb.158:                              ;   in Loop: Header=BB129_20 Depth=1
                                        ; implicit-def: $vgpr46
	s_mov_b64 s[28:29], exec
	v_readlane_b32 s30, v82, 39
	v_readlane_b32 s31, v82, 40
	s_and_b64 s[30:31], s[28:29], s[30:31]
	s_mov_b64 exec, s[30:31]
	s_cbranch_execz .LBB129_168
; %bb.159:                              ;   in Loop: Header=BB129_20 Depth=1
	s_mov_b64 s[30:31], 0
	v_mov_b32_e32 v14, v12
	v_mov_b32_e32 v6, v0
                                        ; implicit-def: $sgpr38_sgpr39
	s_branch .LBB129_163
.LBB129_160:                            ;   in Loop: Header=BB129_163 Depth=2
	s_or_b64 exec, exec, s[40:41]
	s_waitcnt lgkmcnt(0)
	s_barrier
	ds_read_b32 v7, v15 offset:3072
	s_waitcnt lgkmcnt(0)
	s_barrier
	v_cmp_eq_f16_e32 vcc, 0, v7
	s_cbranch_vccz .LBB129_166
; %bb.161:                              ;   in Loop: Header=BB129_163 Depth=2
	v_add_u32_e32 v6, s67, v6
	v_cmp_le_u32_e32 vcc, s33, v6
	v_add_u32_e32 v14, s65, v14
	s_mov_b64 s[40:41], 0
	s_orn2_b64 s[42:43], vcc, exec
.LBB129_162:                            ;   in Loop: Header=BB129_163 Depth=2
	s_and_b64 s[42:43], exec, s[42:43]
	s_or_b64 s[30:31], s[42:43], s[30:31]
	s_andn2_b64 s[38:39], s[38:39], exec
	s_and_b64 s[40:41], s[40:41], exec
	s_or_b64 s[38:39], s[38:39], s[40:41]
	s_andn2_b64 exec, exec, s[30:31]
	s_cbranch_execz .LBB129_167
.LBB129_163:                            ;   Parent Loop BB129_20 Depth=1
                                        ; =>  This Inner Loop Header: Depth=2
	v_cmp_gt_u32_e32 vcc, s64, v6
	s_and_saveexec_b64 s[40:41], vcc
	s_cbranch_execz .LBB129_160
; %bb.164:                              ;   in Loop: Header=BB129_163 Depth=2
	v_lshl_add_u64 v[8:9], v[14:15], 1, v[10:11]
	global_load_ushort v7, v[8:9], off
	s_waitcnt vmcnt(0)
	v_cmp_lt_i16_e32 vcc, -1, v7
	s_nop 1
	v_cndmask_b32_e32 v8, v40, v41, vcc
	v_xor_b32_sdwa v8, v8, v7 dst_sel:DWORD dst_unused:UNUSED_PAD src0_sel:DWORD src1_sel:WORD_0
	v_cmp_o_f16_e32 vcc, v7, v7
	s_nop 1
	v_cndmask_b32_e32 v8, v40, v8, vcc
	v_and_b32_e32 v8, v8, v45
	v_cmp_eq_u32_e32 vcc, v8, v35
	s_and_b64 exec, exec, vcc
	s_cbranch_execz .LBB129_160
; %bb.165:                              ;   in Loop: Header=BB129_163 Depth=2
	v_perm_b32 v7, v7, s20, v44
	ds_write_b32 v15, v7 offset:3072
	s_branch .LBB129_160
.LBB129_166:                            ;   in Loop: Header=BB129_163 Depth=2
	s_mov_b64 s[42:43], -1
                                        ; implicit-def: $vgpr6
	s_mov_b64 s[40:41], -1
	s_branch .LBB129_162
.LBB129_167:                            ;   in Loop: Header=BB129_20 Depth=1
	s_or_b64 exec, exec, s[30:31]
	s_andn2_b64 s[30:31], s[36:37], exec
	s_and_b64 s[36:37], s[38:39], exec
	v_lshrrev_b32_e32 v46, 16, v7
	s_or_b64 s[36:37], s[30:31], s[36:37]
.LBB129_168:                            ;   in Loop: Header=BB129_20 Depth=1
	s_or_b64 exec, exec, s[28:29]
	s_mov_b64 s[28:29], 0
	s_mov_b64 s[30:31], -1
.LBB129_169:                            ;   in Loop: Header=BB129_20 Depth=1
	s_orn2_b64 s[36:37], s[36:37], exec
.LBB129_170:                            ;   in Loop: Header=BB129_20 Depth=1
	s_or_b64 exec, exec, s[34:35]
	s_mov_b64 s[38:39], 0
	s_and_saveexec_b64 s[34:35], s[36:37]
	s_cbranch_execz .LBB129_263
; %bb.171:                              ;   in Loop: Header=BB129_20 Depth=1
	s_xor_b64 s[36:37], s[14:15], -1
	s_mov_b64 s[42:43], 0
	v_mov_b32_e32 v6, 1
	v_mov_b32_e32 v3, 1
	s_and_saveexec_b64 s[14:15], s[36:37]
	s_cbranch_execz .LBB129_180
; %bb.172:                              ;   in Loop: Header=BB129_20 Depth=1
	v_cmp_ge_u32_e32 vcc, s48, v5
	s_and_saveexec_b64 s[36:37], vcc
	s_xor_b64 s[36:37], exec, s[36:37]
	s_cbranch_execz .LBB129_177
; %bb.173:                              ;   in Loop: Header=BB129_20 Depth=1
	ds_read_b32 v3, v15 offset:4104
	v_and_b32_e32 v6, v35, v4
	v_lshl_or_b32 v35, 1, v39, v6
	v_or_b32_e32 v45, v45, v2
	s_waitcnt lgkmcnt(0)
	v_cmp_ne_u32_e32 vcc, 0, v3
	s_cbranch_vccnz .LBB129_177
; %bb.174:                              ;   in Loop: Header=BB129_20 Depth=1
	s_and_saveexec_b64 s[38:39], s[24:25]
; %bb.175:                              ;   in Loop: Header=BB129_20 Depth=1
	v_mov_b32_e32 v3, s48
	ds_write_b32 v15, v3 offset:4108
; %bb.176:                              ;   in Loop: Header=BB129_20 Depth=1
	s_or_b64 exec, exec, s[38:39]
	s_waitcnt lgkmcnt(0)
	s_barrier
.LBB129_177:                            ;   in Loop: Header=BB129_20 Depth=1
	s_or_saveexec_b64 s[36:37], s[36:37]
	s_mov_b64 s[38:39], 0
	v_mov_b32_e32 v3, 8
	s_xor_b64 exec, exec, s[36:37]
; %bb.178:                              ;   in Loop: Header=BB129_20 Depth=1
	s_mov_b64 s[38:39], exec
	v_subrev_u32_e32 v5, s48, v5
	v_mov_b32_e32 v3, 0
; %bb.179:                              ;   in Loop: Header=BB129_20 Depth=1
	s_or_b64 exec, exec, s[36:37]
	s_and_b64 s[42:43], s[38:39], exec
	v_mov_b32_e32 v6, v5
.LBB129_180:                            ;   in Loop: Header=BB129_20 Depth=1
	s_or_b64 exec, exec, s[14:15]
	s_mov_b64 s[14:15], -1
                                        ; implicit-def: $sgpr38_sgpr39
                                        ; implicit-def: $sgpr40_sgpr41
	s_and_saveexec_b64 s[36:37], s[42:43]
	s_cbranch_execz .LBB129_262
; %bb.181:                              ;   in Loop: Header=BB129_20 Depth=1
	s_cmp_eq_u32 s56, 1
	s_cselect_b64 s[14:15], -1, 0
	v_cmp_eq_u32_e32 vcc, 1, v6
	s_and_b64 s[14:15], s[14:15], vcc
	s_mov_b64 s[44:45], -1
                                        ; implicit-def: $sgpr40_sgpr41
                                        ; implicit-def: $sgpr38_sgpr39
	s_and_saveexec_b64 s[42:43], s[14:15]
	s_cbranch_execz .LBB129_209
; %bb.182:                              ;   in Loop: Header=BB129_20 Depth=1
	ds_read_b32 v5, v15 offset:4104
	s_waitcnt lgkmcnt(0)
	s_barrier
	v_readfirstlane_b32 s57, v5
	s_and_saveexec_b64 s[38:39], s[6:7]
; %bb.183:                              ;   in Loop: Header=BB129_20 Depth=1
	ds_write_b16 v24, v15
; %bb.184:                              ;   in Loop: Header=BB129_20 Depth=1
	s_or_b64 exec, exec, s[38:39]
	v_and_b32_e32 v5, v35, v4
	v_lshl_or_b32 v35, 2, v39, v5
	v_or_b32_e32 v45, v45, v2
	s_mov_b64 s[38:39], -1
	s_mov_b64 s[40:41], 0
	s_cmp_eq_u32 s57, 0
	s_mov_b64 s[44:45], 0
	s_mov_b64 s[46:47], -1
	s_waitcnt lgkmcnt(0)
	s_barrier
                                        ; implicit-def: $vgpr46
	s_cbranch_scc1 .LBB129_196
; %bb.185:                              ;   in Loop: Header=BB129_20 Depth=1
	s_add_i32 s44, s57, s90
	s_mul_hi_u32 s45, s44, s91
	s_mul_i32 s45, s45, s67
	s_sub_i32 s45, s44, s45
	s_sub_i32 s46, s45, s67
	s_cmp_ge_u32 s45, s67
	s_cselect_b32 s45, s46, s45
	s_sub_i32 s46, s45, s67
	s_cmp_ge_u32 s45, s67
	s_cselect_b32 s45, s46, s45
	s_sub_i32 s58, s44, s45
	v_cmp_gt_u32_e32 vcc, s58, v0
	s_mov_b64 s[46:47], 0
	s_mov_b64 s[44:45], 0
                                        ; implicit-def: $vgpr46
	s_and_saveexec_b64 s[48:49], vcc
	s_cbranch_execz .LBB129_195
; %bb.186:                              ;   in Loop: Header=BB129_20 Depth=1
	v_mov_b32_e32 v5, v23
	v_mov_b32_e32 v7, v0
                                        ; implicit-def: $sgpr50_sgpr51
	s_branch .LBB129_190
.LBB129_187:                            ;   in Loop: Header=BB129_190 Depth=2
	s_or_b64 exec, exec, s[52:53]
	s_waitcnt lgkmcnt(0)
	s_barrier
	ds_read_b32 v8, v15 offset:3072
	s_waitcnt lgkmcnt(0)
	s_barrier
	v_cmp_neq_f16_e32 vcc, 0, v8
	s_cbranch_vccnz .LBB129_193
; %bb.188:                              ;   in Loop: Header=BB129_190 Depth=2
	v_add_u32_e32 v7, s67, v7
	v_cmp_le_u32_e32 vcc, s58, v7
	v_add_u32_e32 v5, s86, v5
	s_mov_b64 s[52:53], 0
	s_orn2_b64 s[54:55], vcc, exec
.LBB129_189:                            ;   in Loop: Header=BB129_190 Depth=2
	s_and_b64 s[54:55], exec, s[54:55]
	s_or_b64 s[44:45], s[54:55], s[44:45]
	s_andn2_b64 s[50:51], s[50:51], exec
	s_and_b64 s[52:53], s[52:53], exec
	s_or_b64 s[50:51], s[50:51], s[52:53]
	s_andn2_b64 exec, exec, s[44:45]
	s_cbranch_execz .LBB129_194
.LBB129_190:                            ;   Parent Loop BB129_20 Depth=1
                                        ; =>  This Inner Loop Header: Depth=2
	v_cmp_gt_u32_e32 vcc, s57, v7
	s_and_saveexec_b64 s[52:53], vcc
	s_cbranch_execz .LBB129_187
; %bb.191:                              ;   in Loop: Header=BB129_190 Depth=2
	ds_read_u16 v8, v5
	s_waitcnt lgkmcnt(0)
	v_cmp_lt_i16_e32 vcc, -1, v8
	s_nop 1
	v_cndmask_b32_e32 v9, v40, v41, vcc
	v_xor_b32_sdwa v9, v9, v8 dst_sel:DWORD dst_unused:UNUSED_PAD src0_sel:DWORD src1_sel:WORD_0
	v_cmp_o_f16_e32 vcc, v8, v8
	s_nop 1
	v_cndmask_b32_e32 v9, v40, v9, vcc
	v_and_b32_e32 v9, v9, v45
	v_cmp_eq_u32_e32 vcc, v9, v35
	s_and_b64 exec, exec, vcc
	s_cbranch_execz .LBB129_187
; %bb.192:                              ;   in Loop: Header=BB129_190 Depth=2
	v_perm_b32 v8, v8, s20, v44
	ds_write_b32 v15, v8 offset:3072
	s_branch .LBB129_187
.LBB129_193:                            ;   in Loop: Header=BB129_190 Depth=2
	s_mov_b64 s[54:55], -1
                                        ; implicit-def: $vgpr7
                                        ; implicit-def: $vgpr5
	s_mov_b64 s[52:53], -1
	s_branch .LBB129_189
.LBB129_194:                            ;   in Loop: Header=BB129_20 Depth=1
	s_or_b64 exec, exec, s[44:45]
	v_lshrrev_b32_e32 v46, 16, v8
	s_and_b64 s[44:45], s[50:51], exec
.LBB129_195:                            ;   in Loop: Header=BB129_20 Depth=1
	s_or_b64 exec, exec, s[48:49]
.LBB129_196:                            ;   in Loop: Header=BB129_20 Depth=1
	s_and_b64 vcc, exec, s[46:47]
	s_cbranch_vccz .LBB129_208
; %bb.197:                              ;   in Loop: Header=BB129_20 Depth=1
                                        ; implicit-def: $vgpr46
	s_mov_b64 s[38:39], exec
	v_readlane_b32 s40, v82, 39
	v_readlane_b32 s41, v82, 40
	s_and_b64 s[40:41], s[38:39], s[40:41]
	s_mov_b64 exec, s[40:41]
	s_cbranch_execz .LBB129_207
; %bb.198:                              ;   in Loop: Header=BB129_20 Depth=1
	s_mov_b64 s[40:41], 0
	v_mov_b32_e32 v14, v12
	v_mov_b32_e32 v5, v0
                                        ; implicit-def: $sgpr46_sgpr47
	s_branch .LBB129_202
.LBB129_199:                            ;   in Loop: Header=BB129_202 Depth=2
	s_or_b64 exec, exec, s[48:49]
	s_waitcnt lgkmcnt(0)
	s_barrier
	ds_read_b32 v7, v15 offset:3072
	s_waitcnt lgkmcnt(0)
	s_barrier
	v_cmp_eq_f16_e32 vcc, 0, v7
	s_cbranch_vccz .LBB129_205
; %bb.200:                              ;   in Loop: Header=BB129_202 Depth=2
	v_add_u32_e32 v5, s67, v5
	v_cmp_le_u32_e32 vcc, s33, v5
	v_add_u32_e32 v14, s65, v14
	s_mov_b64 s[48:49], 0
	s_orn2_b64 s[50:51], vcc, exec
.LBB129_201:                            ;   in Loop: Header=BB129_202 Depth=2
	s_and_b64 s[50:51], exec, s[50:51]
	s_or_b64 s[40:41], s[50:51], s[40:41]
	s_andn2_b64 s[46:47], s[46:47], exec
	s_and_b64 s[48:49], s[48:49], exec
	s_or_b64 s[46:47], s[46:47], s[48:49]
	s_andn2_b64 exec, exec, s[40:41]
	s_cbranch_execz .LBB129_206
.LBB129_202:                            ;   Parent Loop BB129_20 Depth=1
                                        ; =>  This Inner Loop Header: Depth=2
	v_cmp_gt_u32_e32 vcc, s64, v5
	s_and_saveexec_b64 s[48:49], vcc
	s_cbranch_execz .LBB129_199
; %bb.203:                              ;   in Loop: Header=BB129_202 Depth=2
	v_lshl_add_u64 v[8:9], v[14:15], 1, v[10:11]
	global_load_ushort v7, v[8:9], off
	s_waitcnt vmcnt(0)
	v_cmp_lt_i16_e32 vcc, -1, v7
	s_nop 1
	v_cndmask_b32_e32 v8, v40, v41, vcc
	v_xor_b32_sdwa v8, v8, v7 dst_sel:DWORD dst_unused:UNUSED_PAD src0_sel:DWORD src1_sel:WORD_0
	v_cmp_o_f16_e32 vcc, v7, v7
	s_nop 1
	v_cndmask_b32_e32 v8, v40, v8, vcc
	v_and_b32_e32 v8, v8, v45
	v_cmp_eq_u32_e32 vcc, v8, v35
	s_and_b64 exec, exec, vcc
	s_cbranch_execz .LBB129_199
; %bb.204:                              ;   in Loop: Header=BB129_202 Depth=2
	v_perm_b32 v7, v7, s20, v44
	ds_write_b32 v15, v7 offset:3072
	s_branch .LBB129_199
.LBB129_205:                            ;   in Loop: Header=BB129_202 Depth=2
	s_mov_b64 s[50:51], -1
                                        ; implicit-def: $vgpr5
	s_mov_b64 s[48:49], -1
	s_branch .LBB129_201
.LBB129_206:                            ;   in Loop: Header=BB129_20 Depth=1
	s_or_b64 exec, exec, s[40:41]
	s_andn2_b64 s[40:41], s[44:45], exec
	s_and_b64 s[44:45], s[46:47], exec
	v_lshrrev_b32_e32 v46, 16, v7
	s_or_b64 s[44:45], s[40:41], s[44:45]
.LBB129_207:                            ;   in Loop: Header=BB129_20 Depth=1
	s_or_b64 exec, exec, s[38:39]
	s_mov_b64 s[38:39], 0
	s_mov_b64 s[40:41], -1
.LBB129_208:                            ;   in Loop: Header=BB129_20 Depth=1
	s_orn2_b64 s[44:45], s[44:45], exec
.LBB129_209:                            ;   in Loop: Header=BB129_20 Depth=1
	s_or_b64 exec, exec, s[42:43]
	s_mov_b64 s[46:47], 0
	s_and_saveexec_b64 s[42:43], s[44:45]
	s_cbranch_execz .LBB129_261
; %bb.210:                              ;   in Loop: Header=BB129_20 Depth=1
	s_xor_b64 s[44:45], s[14:15], -1
	s_mov_b64 s[50:51], 0
	v_mov_b32_e32 v5, 1
	v_mov_b32_e32 v3, 1
	s_and_saveexec_b64 s[14:15], s[44:45]
	s_cbranch_execz .LBB129_219
; %bb.211:                              ;   in Loop: Header=BB129_20 Depth=1
	v_cmp_ge_u32_e32 vcc, s56, v6
	s_and_saveexec_b64 s[44:45], vcc
	s_xor_b64 s[44:45], exec, s[44:45]
	s_cbranch_execz .LBB129_216
; %bb.212:                              ;   in Loop: Header=BB129_20 Depth=1
	ds_read_b32 v3, v15 offset:4104
	v_and_b32_e32 v4, v35, v4
	v_lshl_or_b32 v35, 2, v39, v4
	v_or_b32_e32 v45, v45, v2
	s_waitcnt lgkmcnt(0)
	v_cmp_ne_u32_e32 vcc, 0, v3
	s_cbranch_vccnz .LBB129_216
; %bb.213:                              ;   in Loop: Header=BB129_20 Depth=1
	s_and_saveexec_b64 s[46:47], s[24:25]
; %bb.214:                              ;   in Loop: Header=BB129_20 Depth=1
	v_mov_b32_e32 v3, s56
	ds_write_b32 v15, v3 offset:4108
; %bb.215:                              ;   in Loop: Header=BB129_20 Depth=1
	s_or_b64 exec, exec, s[46:47]
	s_waitcnt lgkmcnt(0)
	s_barrier
.LBB129_216:                            ;   in Loop: Header=BB129_20 Depth=1
	s_or_saveexec_b64 s[44:45], s[44:45]
	s_mov_b64 s[46:47], 0
	v_mov_b32_e32 v3, 8
	s_xor_b64 exec, exec, s[44:45]
; %bb.217:                              ;   in Loop: Header=BB129_20 Depth=1
	s_mov_b64 s[46:47], exec
	v_subrev_u32_e32 v6, s56, v6
	v_mov_b32_e32 v3, 0
; %bb.218:                              ;   in Loop: Header=BB129_20 Depth=1
	s_or_b64 exec, exec, s[44:45]
	s_and_b64 s[50:51], s[46:47], exec
	v_mov_b32_e32 v5, v6
.LBB129_219:                            ;   in Loop: Header=BB129_20 Depth=1
	s_or_b64 exec, exec, s[14:15]
	s_mov_b64 s[48:49], -1
                                        ; implicit-def: $sgpr46_sgpr47
                                        ; implicit-def: $sgpr14_sgpr15
	s_and_saveexec_b64 s[44:45], s[50:51]
	s_cbranch_execz .LBB129_260
; %bb.220:                              ;   in Loop: Header=BB129_20 Depth=1
	s_cmp_eq_u32 s72, 1
	s_cselect_b64 s[14:15], -1, 0
	v_cmp_eq_u32_e32 vcc, 1, v5
	s_and_b64 s[48:49], s[14:15], vcc
	s_mov_b64 s[52:53], -1
                                        ; implicit-def: $sgpr46_sgpr47
                                        ; implicit-def: $sgpr14_sgpr15
	s_and_saveexec_b64 s[50:51], s[48:49]
	s_cbranch_execz .LBB129_248
; %bb.221:                              ;   in Loop: Header=BB129_20 Depth=1
	ds_read_b32 v4, v15 offset:4104
	s_waitcnt lgkmcnt(0)
	s_barrier
	v_readfirstlane_b32 s73, v4
	s_and_saveexec_b64 s[14:15], s[6:7]
; %bb.222:                              ;   in Loop: Header=BB129_20 Depth=1
	ds_write_b16 v24, v15
; %bb.223:                              ;   in Loop: Header=BB129_20 Depth=1
	s_or_b64 exec, exec, s[14:15]
	v_or_b32_e32 v35, v35, v2
	v_or_b32_e32 v45, v45, v2
	s_mov_b64 s[14:15], -1
	s_mov_b64 s[46:47], 0
	s_cmp_eq_u32 s73, 0
	s_mov_b64 s[52:53], 0
	s_mov_b64 s[54:55], -1
	s_waitcnt lgkmcnt(0)
	s_barrier
                                        ; implicit-def: $vgpr46
	s_cbranch_scc1 .LBB129_235
; %bb.224:                              ;   in Loop: Header=BB129_20 Depth=1
	s_add_i32 s52, s73, s90
	s_mul_hi_u32 s53, s52, s91
	s_mul_i32 s53, s53, s67
	s_sub_i32 s53, s52, s53
	s_sub_i32 s54, s53, s67
	s_cmp_ge_u32 s53, s67
	s_cselect_b32 s53, s54, s53
	s_sub_i32 s54, s53, s67
	s_cmp_ge_u32 s53, s67
	s_cselect_b32 s53, s54, s53
	s_sub_i32 s74, s52, s53
	v_cmp_gt_u32_e32 vcc, s74, v0
	s_mov_b64 s[54:55], 0
	s_mov_b64 s[52:53], 0
                                        ; implicit-def: $vgpr46
	s_and_saveexec_b64 s[56:57], vcc
	s_cbranch_execz .LBB129_234
; %bb.225:                              ;   in Loop: Header=BB129_20 Depth=1
	v_mov_b32_e32 v4, v23
	v_mov_b32_e32 v6, v0
                                        ; implicit-def: $sgpr58_sgpr59
	s_branch .LBB129_229
.LBB129_226:                            ;   in Loop: Header=BB129_229 Depth=2
	s_or_b64 exec, exec, s[60:61]
	s_waitcnt lgkmcnt(0)
	s_barrier
	ds_read_b32 v7, v15 offset:3072
	s_waitcnt lgkmcnt(0)
	s_barrier
	v_cmp_neq_f16_e32 vcc, 0, v7
	s_cbranch_vccnz .LBB129_232
; %bb.227:                              ;   in Loop: Header=BB129_229 Depth=2
	v_add_u32_e32 v6, s67, v6
	v_cmp_le_u32_e32 vcc, s74, v6
	v_add_u32_e32 v4, s86, v4
	s_mov_b64 s[60:61], 0
	s_orn2_b64 s[62:63], vcc, exec
.LBB129_228:                            ;   in Loop: Header=BB129_229 Depth=2
	s_and_b64 s[62:63], exec, s[62:63]
	s_or_b64 s[52:53], s[62:63], s[52:53]
	s_andn2_b64 s[58:59], s[58:59], exec
	s_and_b64 s[60:61], s[60:61], exec
	s_or_b64 s[58:59], s[58:59], s[60:61]
	s_andn2_b64 exec, exec, s[52:53]
	s_cbranch_execz .LBB129_233
.LBB129_229:                            ;   Parent Loop BB129_20 Depth=1
                                        ; =>  This Inner Loop Header: Depth=2
	v_cmp_gt_u32_e32 vcc, s73, v6
	s_and_saveexec_b64 s[60:61], vcc
	s_cbranch_execz .LBB129_226
; %bb.230:                              ;   in Loop: Header=BB129_229 Depth=2
	ds_read_u16 v7, v4
	s_waitcnt lgkmcnt(0)
	v_cmp_lt_i16_e32 vcc, -1, v7
	s_nop 1
	v_cndmask_b32_e32 v8, v40, v41, vcc
	v_xor_b32_sdwa v8, v8, v7 dst_sel:DWORD dst_unused:UNUSED_PAD src0_sel:DWORD src1_sel:WORD_0
	v_cmp_o_f16_e32 vcc, v7, v7
	s_nop 1
	v_cndmask_b32_e32 v8, v40, v8, vcc
	v_and_b32_e32 v8, v8, v45
	v_cmp_eq_u32_e32 vcc, v8, v35
	s_and_b64 exec, exec, vcc
	s_cbranch_execz .LBB129_226
; %bb.231:                              ;   in Loop: Header=BB129_229 Depth=2
	v_perm_b32 v7, v7, s20, v44
	ds_write_b32 v15, v7 offset:3072
	s_branch .LBB129_226
.LBB129_232:                            ;   in Loop: Header=BB129_229 Depth=2
	s_mov_b64 s[62:63], -1
                                        ; implicit-def: $vgpr6
                                        ; implicit-def: $vgpr4
	s_mov_b64 s[60:61], -1
	s_branch .LBB129_228
.LBB129_233:                            ;   in Loop: Header=BB129_20 Depth=1
	s_or_b64 exec, exec, s[52:53]
	v_lshrrev_b32_e32 v46, 16, v7
	s_and_b64 s[52:53], s[58:59], exec
.LBB129_234:                            ;   in Loop: Header=BB129_20 Depth=1
	s_or_b64 exec, exec, s[56:57]
.LBB129_235:                            ;   in Loop: Header=BB129_20 Depth=1
	s_and_b64 vcc, exec, s[54:55]
	s_cbranch_vccz .LBB129_247
; %bb.236:                              ;   in Loop: Header=BB129_20 Depth=1
                                        ; implicit-def: $vgpr46
	s_mov_b64 s[14:15], exec
	v_readlane_b32 s46, v82, 39
	v_readlane_b32 s47, v82, 40
	s_and_b64 s[46:47], s[14:15], s[46:47]
	s_mov_b64 exec, s[46:47]
	s_cbranch_execz .LBB129_246
; %bb.237:                              ;   in Loop: Header=BB129_20 Depth=1
	s_mov_b64 s[46:47], 0
	v_mov_b32_e32 v14, v12
	v_mov_b32_e32 v4, v0
                                        ; implicit-def: $sgpr54_sgpr55
	s_branch .LBB129_241
.LBB129_238:                            ;   in Loop: Header=BB129_241 Depth=2
	s_or_b64 exec, exec, s[56:57]
	s_waitcnt lgkmcnt(0)
	s_barrier
	ds_read_b32 v6, v15 offset:3072
	s_waitcnt lgkmcnt(0)
	s_barrier
	v_cmp_eq_f16_e32 vcc, 0, v6
	s_cbranch_vccz .LBB129_244
; %bb.239:                              ;   in Loop: Header=BB129_241 Depth=2
	v_add_u32_e32 v4, s67, v4
	v_cmp_le_u32_e32 vcc, s33, v4
	v_add_u32_e32 v14, s65, v14
	s_mov_b64 s[56:57], 0
	s_orn2_b64 s[58:59], vcc, exec
.LBB129_240:                            ;   in Loop: Header=BB129_241 Depth=2
	s_and_b64 s[58:59], exec, s[58:59]
	s_or_b64 s[46:47], s[58:59], s[46:47]
	s_andn2_b64 s[54:55], s[54:55], exec
	s_and_b64 s[56:57], s[56:57], exec
	s_or_b64 s[54:55], s[54:55], s[56:57]
	s_andn2_b64 exec, exec, s[46:47]
	s_cbranch_execz .LBB129_245
.LBB129_241:                            ;   Parent Loop BB129_20 Depth=1
                                        ; =>  This Inner Loop Header: Depth=2
	v_cmp_gt_u32_e32 vcc, s64, v4
	s_and_saveexec_b64 s[56:57], vcc
	s_cbranch_execz .LBB129_238
; %bb.242:                              ;   in Loop: Header=BB129_241 Depth=2
	v_lshl_add_u64 v[6:7], v[14:15], 1, v[10:11]
	global_load_ushort v6, v[6:7], off
	s_waitcnt vmcnt(0)
	v_cmp_lt_i16_e32 vcc, -1, v6
	s_nop 1
	v_cndmask_b32_e32 v7, v40, v41, vcc
	v_xor_b32_sdwa v7, v7, v6 dst_sel:DWORD dst_unused:UNUSED_PAD src0_sel:DWORD src1_sel:WORD_0
	v_cmp_o_f16_e32 vcc, v6, v6
	s_nop 1
	v_cndmask_b32_e32 v7, v40, v7, vcc
	v_and_b32_e32 v7, v7, v45
	v_cmp_eq_u32_e32 vcc, v7, v35
	s_and_b64 exec, exec, vcc
	s_cbranch_execz .LBB129_238
; %bb.243:                              ;   in Loop: Header=BB129_241 Depth=2
	v_perm_b32 v6, v6, s20, v44
	ds_write_b32 v15, v6 offset:3072
	s_branch .LBB129_238
.LBB129_244:                            ;   in Loop: Header=BB129_241 Depth=2
	s_mov_b64 s[58:59], -1
                                        ; implicit-def: $vgpr4
	s_mov_b64 s[56:57], -1
	s_branch .LBB129_240
.LBB129_245:                            ;   in Loop: Header=BB129_20 Depth=1
	s_or_b64 exec, exec, s[46:47]
	s_andn2_b64 s[46:47], s[52:53], exec
	s_and_b64 s[52:53], s[54:55], exec
	v_lshrrev_b32_e32 v46, 16, v6
	s_or_b64 s[52:53], s[46:47], s[52:53]
.LBB129_246:                            ;   in Loop: Header=BB129_20 Depth=1
	s_or_b64 exec, exec, s[14:15]
	s_mov_b64 s[14:15], 0
	s_mov_b64 s[46:47], -1
.LBB129_247:                            ;   in Loop: Header=BB129_20 Depth=1
	s_orn2_b64 s[52:53], s[52:53], exec
.LBB129_248:                            ;   in Loop: Header=BB129_20 Depth=1
	s_or_b64 exec, exec, s[50:51]
	s_mov_b64 s[54:55], 0
	s_and_saveexec_b64 s[50:51], s[52:53]
	s_cbranch_execz .LBB129_259
; %bb.249:                              ;   in Loop: Header=BB129_20 Depth=1
	s_xor_b64 s[52:53], s[48:49], -1
	v_mov_b32_e32 v3, 1
	v_mov_b32_e32 v4, 1
	s_and_saveexec_b64 s[48:49], s[52:53]
	s_cbranch_execz .LBB129_258
; %bb.250:                              ;   in Loop: Header=BB129_20 Depth=1
	v_cmp_ge_u32_e32 vcc, s72, v5
	s_and_saveexec_b64 s[52:53], vcc
	s_xor_b64 s[52:53], exec, s[52:53]
	s_cbranch_execz .LBB129_255
; %bb.251:                              ;   in Loop: Header=BB129_20 Depth=1
	ds_read_b32 v3, v15 offset:4104
	v_or_b32_e32 v35, v35, v2
	v_or_b32_e32 v45, v45, v2
	s_waitcnt lgkmcnt(0)
	v_cmp_ne_u32_e32 vcc, 0, v3
	s_cbranch_vccnz .LBB129_255
; %bb.252:                              ;   in Loop: Header=BB129_20 Depth=1
	s_and_saveexec_b64 s[54:55], s[24:25]
; %bb.253:                              ;   in Loop: Header=BB129_20 Depth=1
	v_mov_b32_e32 v2, s72
	ds_write_b32 v15, v2 offset:4108
; %bb.254:                              ;   in Loop: Header=BB129_20 Depth=1
	s_or_b64 exec, exec, s[54:55]
	s_waitcnt lgkmcnt(0)
	s_barrier
.LBB129_255:                            ;   in Loop: Header=BB129_20 Depth=1
	s_andn2_saveexec_b64 s[52:53], s[52:53]
; %bb.256:                              ;   in Loop: Header=BB129_20 Depth=1
	v_subrev_u32_e32 v5, s72, v5
; %bb.257:                              ;   in Loop: Header=BB129_20 Depth=1
	s_or_b64 exec, exec, s[52:53]
	v_mov_b32_e32 v3, 8
	v_mov_b32_e32 v4, v5
.LBB129_258:                            ;   in Loop: Header=BB129_20 Depth=1
	s_or_b64 exec, exec, s[48:49]
	s_mov_b64 s[54:55], exec
	v_mov_b32_e32 v5, v4
.LBB129_259:                            ;   in Loop: Header=BB129_20 Depth=1
	s_or_b64 exec, exec, s[50:51]
	s_orn2_b64 s[48:49], s[54:55], exec
.LBB129_260:                            ;   in Loop: Header=BB129_20 Depth=1
	s_or_b64 exec, exec, s[44:45]
	s_andn2_b64 s[40:41], s[40:41], exec
	s_and_b64 s[44:45], s[46:47], exec
	s_andn2_b64 s[38:39], s[38:39], exec
	s_and_b64 s[14:15], s[14:15], exec
	s_or_b64 s[40:41], s[40:41], s[44:45]
	s_or_b64 s[38:39], s[38:39], s[14:15]
	s_and_b64 s[46:47], s[48:49], exec
	v_mov_b32_e32 v6, v5
.LBB129_261:                            ;   in Loop: Header=BB129_20 Depth=1
	s_or_b64 exec, exec, s[42:43]
	s_orn2_b64 s[14:15], s[46:47], exec
.LBB129_262:                            ;   in Loop: Header=BB129_20 Depth=1
	s_or_b64 exec, exec, s[36:37]
	s_andn2_b64 s[30:31], s[30:31], exec
	s_and_b64 s[36:37], s[40:41], exec
	s_or_b64 s[30:31], s[30:31], s[36:37]
	s_andn2_b64 s[28:29], s[28:29], exec
	s_and_b64 s[36:37], s[38:39], exec
	s_or_b64 s[28:29], s[28:29], s[36:37]
	s_and_b64 s[38:39], s[14:15], exec
	v_mov_b32_e32 v5, v6
.LBB129_263:                            ;   in Loop: Header=BB129_20 Depth=1
	s_or_b64 exec, exec, s[34:35]
	s_orn2_b64 s[14:15], s[38:39], exec
.LBB129_264:                            ;   in Loop: Header=BB129_20 Depth=1
	s_or_b64 exec, exec, s[26:27]
	s_mov_b64 s[26:27], 0
                                        ; implicit-def: $sgpr36
	s_and_saveexec_b64 s[34:35], s[14:15]
	s_xor_b64 s[14:15], exec, s[34:35]
	s_cbranch_execz .LBB129_18
; %bb.265:                              ;   in Loop: Header=BB129_20 Depth=1
	v_and_b32_e32 v2, 7, v3
	v_cmp_eq_u32_e32 vcc, 0, v2
	s_mov_b64 s[22:23], -1
	s_mov_b64 s[26:27], -1
                                        ; implicit-def: $sgpr36
	s_and_saveexec_b64 s[34:35], vcc
	s_cbranch_execz .LBB129_17
; %bb.266:                              ;   in Loop: Header=BB129_20 Depth=1
	v_add_u32_e32 v2, -2, v39
	v_cmp_eq_u32_e32 vcc, 0, v39
	s_xor_b32 s36, s21, 1
	s_xor_b64 s[26:27], exec, -1
	s_orn2_b64 s[22:23], vcc, exec
	v_mov_b32_e32 v39, v2
	s_branch .LBB129_17
.LBB129_267:
	s_or_b64 exec, exec, s[94:95]
	s_xor_b64 s[8:9], s[68:69], -1
	s_xor_b64 s[0:1], s[96:97], -1
	;; [unrolled: 1-line block ×3, first 2 shown]
	s_mov_b64 s[4:5], 0
	s_and_saveexec_b64 s[2:3], s[0:1]
	s_xor_b64 s[2:3], exec, s[2:3]
	s_cbranch_execnz .LBB129_272
; %bb.268:
	s_andn2_saveexec_b64 s[0:1], s[2:3]
	s_cbranch_execnz .LBB129_285
.LBB129_269:
	s_or_b64 exec, exec, s[0:1]
	s_and_saveexec_b64 s[0:1], s[4:5]
.LBB129_270:
	; divergent unreachable
.LBB129_271:
	s_endpgm
.LBB129_272:
	s_and_saveexec_b64 s[0:1], s[8:9]
	s_xor_b64 s[4:5], exec, s[0:1]
	s_cbranch_execz .LBB129_283
; %bb.273:
	s_and_saveexec_b64 s[0:1], s[6:7]
	s_xor_b64 s[6:7], exec, s[0:1]
; %bb.274:
	v_and_b32_e32 v1, 0x8000, v35
	v_mov_b32_e32 v2, 0x8000
	v_mov_b32_e32 v3, 0xffff
	v_cmp_eq_u32_e32 vcc, 0, v1
	s_nop 1
	v_cndmask_b32_e32 v1, v2, v3, vcc
	v_xor_b32_e32 v46, v1, v35
; %bb.275:
	s_or_b64 exec, exec, s[6:7]
	v_readlane_b32 s8, v82, 8
	v_readlane_b32 s9, v82, 9
	s_mul_i32 s0, s9, s8
	v_readlane_b32 s7, v82, 12
	s_sub_i32 s0, s7, s0
	s_add_i32 s1, s9, 1
	s_sub_i32 s6, s0, s8
	s_cmp_ge_u32 s0, s8
	s_cselect_b32 s1, s1, s9
	s_cselect_b32 s0, s6, s0
	s_add_i32 s6, s1, 1
	s_cmp_ge_u32 s0, s8
	s_cselect_b32 s0, s6, s1
	s_mul_i32 s1, s0, s8
	s_sub_i32 s1, s7, s1
	v_readlane_b32 s6, v82, 4
	v_readlane_b32 s7, v82, 5
	s_mul_i32 s1, s1, s7
	s_mul_i32 s0, s0, s6
	s_add_i32 s0, s0, s1
	s_mov_b32 s1, 0
	s_lshl_b64 s[0:1], s[0:1], 1
	v_readlane_b32 s6, v82, 6
	v_readlane_b32 s7, v82, 7
	s_add_u32 s0, s6, s0
	s_addc_u32 s1, s7, s1
	v_mov_b32_e32 v13, 0
	global_store_short v13, v46, s[0:1]
	s_mov_b64 s[6:7], exec
	v_readlane_b32 s0, v82, 13
	v_readlane_b32 s1, v82, 14
	s_and_b64 s[0:1], s[6:7], s[0:1]
	s_mov_b64 exec, s[0:1]
	s_cbranch_execz .LBB129_282
; %bb.276:
	v_cmp_u_f16_e32 vcc, v46, v46
	s_mov_b64 s[8:9], 0
	s_xor_b64 s[12:13], vcc, -1
                                        ; implicit-def: $sgpr10_sgpr11
                                        ; implicit-def: $sgpr16_sgpr17
                                        ; implicit-def: $sgpr14_sgpr15
	s_branch .LBB129_278
.LBB129_277:                            ;   in Loop: Header=BB129_278 Depth=1
	s_or_b64 exec, exec, s[0:1]
	s_and_b64 s[0:1], exec, s[16:17]
	s_or_b64 s[8:9], s[0:1], s[8:9]
	s_andn2_b64 s[0:1], s[10:11], exec
	s_and_b64 s[10:11], s[14:15], exec
	s_or_b64 s[10:11], s[0:1], s[10:11]
	s_andn2_b64 exec, exec, s[8:9]
	s_cbranch_execz .LBB129_280
.LBB129_278:                            ; =>This Inner Loop Header: Depth=1
	v_lshl_add_u64 v[2:3], v[12:13], 1, v[10:11]
	global_load_ushort v1, v[2:3], off
	v_mov_b32_e32 v2, v0
	s_or_b64 s[14:15], s[14:15], exec
	s_or_b64 s[16:17], s[16:17], exec
                                        ; implicit-def: $vgpr0
	s_waitcnt vmcnt(0)
	v_cmp_o_f16_e64 s[0:1], v1, v1
	v_cmp_neq_f16_e32 vcc, v1, v46
	s_or_b64 s[0:1], s[12:13], s[0:1]
	s_and_b64 s[18:19], vcc, s[0:1]
	s_and_saveexec_b64 s[0:1], s[18:19]
	s_cbranch_execz .LBB129_277
; %bb.279:                              ;   in Loop: Header=BB129_278 Depth=1
	v_add_u32_e32 v0, s67, v2
	v_cmp_le_u32_e32 vcc, s64, v0
	s_andn2_b64 s[16:17], s[16:17], exec
	s_and_b64 s[18:19], vcc, exec
	v_add_u32_e32 v12, s65, v12
	s_andn2_b64 s[14:15], s[14:15], exec
	s_or_b64 s[16:17], s[16:17], s[18:19]
	s_branch .LBB129_277
.LBB129_280:
	s_or_b64 exec, exec, s[8:9]
	s_and_saveexec_b64 s[0:1], s[10:11]
	s_xor_b64 s[0:1], exec, s[0:1]
	s_cbranch_execz .LBB129_282
; %bb.281:
	v_readlane_b32 s10, v82, 10
	v_readlane_b32 s11, v82, 11
	s_mul_i32 s0, s11, s10
	v_readlane_b32 s9, v82, 12
	s_sub_i32 s0, s9, s0
	s_add_i32 s1, s11, 1
	s_sub_i32 s8, s0, s10
	s_cmp_ge_u32 s0, s10
	s_cselect_b32 s1, s1, s11
	s_cselect_b32 s0, s8, s0
	s_add_i32 s8, s1, 1
	s_cmp_ge_u32 s0, s10
	s_cselect_b32 s0, s8, s1
	s_mul_i32 s1, s0, s10
	s_sub_i32 s1, s9, s1
	v_readlane_b32 s8, v82, 0
	v_readlane_b32 s9, v82, 1
	s_mul_i32 s1, s1, s9
	s_mul_i32 s0, s0, s8
	s_add_i32 s0, s0, s1
	s_mov_b32 s1, 0
	s_lshl_b64 s[0:1], s[0:1], 3
	v_readlane_b32 s8, v82, 2
	v_readlane_b32 s9, v82, 3
	s_add_u32 s0, s8, s0
	s_addc_u32 s1, s9, s1
	v_mov_b32_e32 v3, 0
	global_store_dwordx2 v3, v[2:3], s[0:1]
.LBB129_282:
	s_or_b64 exec, exec, s[6:7]
.LBB129_283:
	s_or_saveexec_b64 s[0:1], s[4:5]
	s_mov_b64 s[4:5], 0
	s_xor_b64 exec, exec, s[0:1]
	s_cbranch_execnz .LBB129_286
.LBB129_284:
	s_or_b64 exec, exec, s[0:1]
	s_and_b64 s[4:5], s[4:5], exec
	s_andn2_saveexec_b64 s[0:1], s[2:3]
	s_cbranch_execz .LBB129_269
.LBB129_285:
	s_or_b64 s[4:5], s[4:5], exec
	s_trap 2
	s_or_b64 exec, exec, s[0:1]
	s_and_saveexec_b64 s[0:1], s[4:5]
	s_cbranch_execnz .LBB129_270
	s_branch .LBB129_271
.LBB129_286:
	s_mov_b64 s[4:5], exec
	s_trap 2
	s_branch .LBB129_284
	.section	.rodata,"a",@progbits
	.p2align	6, 0x0
	.amdhsa_kernel _ZN2at6native12_GLOBAL__N_112gatherMedianIN3c104HalfEjLi2EEEvNS_4cuda6detail10TensorInfoIT_T0_EENS7_IlS9_EENS7_IKS8_S9_EES9_S9_S9_b
		.amdhsa_group_segment_fixed_size 4120
		.amdhsa_private_segment_fixed_size 0
		.amdhsa_kernarg_size 920
		.amdhsa_user_sgpr_count 2
		.amdhsa_user_sgpr_dispatch_ptr 0
		.amdhsa_user_sgpr_queue_ptr 0
		.amdhsa_user_sgpr_kernarg_segment_ptr 1
		.amdhsa_user_sgpr_dispatch_id 0
		.amdhsa_user_sgpr_kernarg_preload_length 0
		.amdhsa_user_sgpr_kernarg_preload_offset 0
		.amdhsa_user_sgpr_private_segment_size 0
		.amdhsa_uses_dynamic_stack 0
		.amdhsa_enable_private_segment 0
		.amdhsa_system_sgpr_workgroup_id_x 1
		.amdhsa_system_sgpr_workgroup_id_y 1
		.amdhsa_system_sgpr_workgroup_id_z 1
		.amdhsa_system_sgpr_workgroup_info 0
		.amdhsa_system_vgpr_workitem_id 0
		.amdhsa_next_free_vgpr 83
		.amdhsa_next_free_sgpr 100
		.amdhsa_accum_offset 84
		.amdhsa_reserve_vcc 1
		.amdhsa_float_round_mode_32 0
		.amdhsa_float_round_mode_16_64 0
		.amdhsa_float_denorm_mode_32 3
		.amdhsa_float_denorm_mode_16_64 3
		.amdhsa_dx10_clamp 1
		.amdhsa_ieee_mode 1
		.amdhsa_fp16_overflow 0
		.amdhsa_tg_split 0
		.amdhsa_exception_fp_ieee_invalid_op 0
		.amdhsa_exception_fp_denorm_src 0
		.amdhsa_exception_fp_ieee_div_zero 0
		.amdhsa_exception_fp_ieee_overflow 0
		.amdhsa_exception_fp_ieee_underflow 0
		.amdhsa_exception_fp_ieee_inexact 0
		.amdhsa_exception_int_div_zero 0
	.end_amdhsa_kernel
	.section	.text._ZN2at6native12_GLOBAL__N_112gatherMedianIN3c104HalfEjLi2EEEvNS_4cuda6detail10TensorInfoIT_T0_EENS7_IlS9_EENS7_IKS8_S9_EES9_S9_S9_b,"axG",@progbits,_ZN2at6native12_GLOBAL__N_112gatherMedianIN3c104HalfEjLi2EEEvNS_4cuda6detail10TensorInfoIT_T0_EENS7_IlS9_EENS7_IKS8_S9_EES9_S9_S9_b,comdat
.Lfunc_end129:
	.size	_ZN2at6native12_GLOBAL__N_112gatherMedianIN3c104HalfEjLi2EEEvNS_4cuda6detail10TensorInfoIT_T0_EENS7_IlS9_EENS7_IKS8_S9_EES9_S9_S9_b, .Lfunc_end129-_ZN2at6native12_GLOBAL__N_112gatherMedianIN3c104HalfEjLi2EEEvNS_4cuda6detail10TensorInfoIT_T0_EENS7_IlS9_EENS7_IKS8_S9_EES9_S9_S9_b
                                        ; -- End function
	.set _ZN2at6native12_GLOBAL__N_112gatherMedianIN3c104HalfEjLi2EEEvNS_4cuda6detail10TensorInfoIT_T0_EENS7_IlS9_EENS7_IKS8_S9_EES9_S9_S9_b.num_vgpr, 83
	.set _ZN2at6native12_GLOBAL__N_112gatherMedianIN3c104HalfEjLi2EEEvNS_4cuda6detail10TensorInfoIT_T0_EENS7_IlS9_EENS7_IKS8_S9_EES9_S9_S9_b.num_agpr, 0
	.set _ZN2at6native12_GLOBAL__N_112gatherMedianIN3c104HalfEjLi2EEEvNS_4cuda6detail10TensorInfoIT_T0_EENS7_IlS9_EENS7_IKS8_S9_EES9_S9_S9_b.numbered_sgpr, 100
	.set _ZN2at6native12_GLOBAL__N_112gatherMedianIN3c104HalfEjLi2EEEvNS_4cuda6detail10TensorInfoIT_T0_EENS7_IlS9_EENS7_IKS8_S9_EES9_S9_S9_b.num_named_barrier, 0
	.set _ZN2at6native12_GLOBAL__N_112gatherMedianIN3c104HalfEjLi2EEEvNS_4cuda6detail10TensorInfoIT_T0_EENS7_IlS9_EENS7_IKS8_S9_EES9_S9_S9_b.private_seg_size, 0
	.set _ZN2at6native12_GLOBAL__N_112gatherMedianIN3c104HalfEjLi2EEEvNS_4cuda6detail10TensorInfoIT_T0_EENS7_IlS9_EENS7_IKS8_S9_EES9_S9_S9_b.uses_vcc, 1
	.set _ZN2at6native12_GLOBAL__N_112gatherMedianIN3c104HalfEjLi2EEEvNS_4cuda6detail10TensorInfoIT_T0_EENS7_IlS9_EENS7_IKS8_S9_EES9_S9_S9_b.uses_flat_scratch, 0
	.set _ZN2at6native12_GLOBAL__N_112gatherMedianIN3c104HalfEjLi2EEEvNS_4cuda6detail10TensorInfoIT_T0_EENS7_IlS9_EENS7_IKS8_S9_EES9_S9_S9_b.has_dyn_sized_stack, 0
	.set _ZN2at6native12_GLOBAL__N_112gatherMedianIN3c104HalfEjLi2EEEvNS_4cuda6detail10TensorInfoIT_T0_EENS7_IlS9_EENS7_IKS8_S9_EES9_S9_S9_b.has_recursion, 0
	.set _ZN2at6native12_GLOBAL__N_112gatherMedianIN3c104HalfEjLi2EEEvNS_4cuda6detail10TensorInfoIT_T0_EENS7_IlS9_EENS7_IKS8_S9_EES9_S9_S9_b.has_indirect_call, 0
	.section	.AMDGPU.csdata,"",@progbits
; Kernel info:
; codeLenInByte = 11780
; TotalNumSgprs: 106
; NumVgprs: 83
; NumAgprs: 0
; TotalNumVgprs: 83
; ScratchSize: 0
; MemoryBound: 0
; FloatMode: 240
; IeeeMode: 1
; LDSByteSize: 4120 bytes/workgroup (compile time only)
; SGPRBlocks: 13
; VGPRBlocks: 10
; NumSGPRsForWavesPerEU: 106
; NumVGPRsForWavesPerEU: 83
; AccumOffset: 84
; Occupancy: 5
; WaveLimiterHint : 1
; COMPUTE_PGM_RSRC2:SCRATCH_EN: 0
; COMPUTE_PGM_RSRC2:USER_SGPR: 2
; COMPUTE_PGM_RSRC2:TRAP_HANDLER: 0
; COMPUTE_PGM_RSRC2:TGID_X_EN: 1
; COMPUTE_PGM_RSRC2:TGID_Y_EN: 1
; COMPUTE_PGM_RSRC2:TGID_Z_EN: 1
; COMPUTE_PGM_RSRC2:TIDIG_COMP_CNT: 0
; COMPUTE_PGM_RSRC3_GFX90A:ACCUM_OFFSET: 20
; COMPUTE_PGM_RSRC3_GFX90A:TG_SPLIT: 0
	.section	.text._ZN2at6native12_GLOBAL__N_112gatherMedianIN3c104HalfEjLi3EEEvNS_4cuda6detail10TensorInfoIT_T0_EENS7_IlS9_EENS7_IKS8_S9_EES9_S9_S9_b,"axG",@progbits,_ZN2at6native12_GLOBAL__N_112gatherMedianIN3c104HalfEjLi3EEEvNS_4cuda6detail10TensorInfoIT_T0_EENS7_IlS9_EENS7_IKS8_S9_EES9_S9_S9_b,comdat
	.globl	_ZN2at6native12_GLOBAL__N_112gatherMedianIN3c104HalfEjLi3EEEvNS_4cuda6detail10TensorInfoIT_T0_EENS7_IlS9_EENS7_IKS8_S9_EES9_S9_S9_b ; -- Begin function _ZN2at6native12_GLOBAL__N_112gatherMedianIN3c104HalfEjLi3EEEvNS_4cuda6detail10TensorInfoIT_T0_EENS7_IlS9_EENS7_IKS8_S9_EES9_S9_S9_b
	.p2align	8
	.type	_ZN2at6native12_GLOBAL__N_112gatherMedianIN3c104HalfEjLi3EEEvNS_4cuda6detail10TensorInfoIT_T0_EENS7_IlS9_EENS7_IKS8_S9_EES9_S9_S9_b,@function
_ZN2at6native12_GLOBAL__N_112gatherMedianIN3c104HalfEjLi3EEEvNS_4cuda6detail10TensorInfoIT_T0_EENS7_IlS9_EENS7_IKS8_S9_EES9_S9_S9_b: ; @_ZN2at6native12_GLOBAL__N_112gatherMedianIN3c104HalfEjLi3EEEvNS_4cuda6detail10TensorInfoIT_T0_EENS7_IlS9_EENS7_IKS8_S9_EES9_S9_S9_b
; %bb.0:
	s_load_dwordx2 s[10:11], s[0:1], 0x298
	s_load_dwordx4 s[64:67], s[0:1], 0x288
	s_add_u32 s8, s0, 0x298
	s_addc_u32 s9, s1, 0
	s_waitcnt lgkmcnt(0)
	s_mul_i32 s4, s11, s4
	s_add_i32 s3, s4, s3
	s_mul_i32 s3, s3, s10
	s_add_i32 s3, s3, s2
	s_cmp_ge_u32 s3, s65
	s_cbranch_scc1 .LBB130_271
; %bb.1:
	s_load_dwordx2 s[20:21], s[0:1], 0xc
	s_load_dwordx2 s[4:5], s[0:1], 0x0
	s_load_dwordx4 s[16:19], s[0:1], 0x144
                                        ; implicit-def: $vgpr82 : SGPR spill to VGPR lane
                                        ; kill: killed $sgpr0 killed $sgpr1
	s_load_dwordx4 s[24:27], s[0:1], 0x6c
	s_waitcnt lgkmcnt(0)
	v_cvt_f32_u32_e32 v1, s21
	v_writelane_b32 v82, s4, 0
	v_cvt_f32_u32_e32 v2, s20
	v_rcp_iflag_f32_e32 v1, v1
	v_writelane_b32 v82, s5, 1
	v_writelane_b32 v82, s16, 2
	v_rcp_iflag_f32_e32 v2, v2
	v_mul_f32_e32 v1, 0x4f7ffffe, v1
	v_writelane_b32 v82, s17, 3
	v_writelane_b32 v82, s18, 4
	;; [unrolled: 1-line block ×3, first 2 shown]
	s_load_dwordx2 s[18:19], s[0:1], 0xd8
	v_cvt_u32_f32_e32 v1, v1
	s_load_dwordx2 s[16:17], s[0:1], 0xe4
	s_load_dwordx4 s[4:7], s[0:1], 0x21c
	s_load_dwordx2 s[14:15], s[0:1], 0x1bc
	s_load_dwordx2 s[12:13], s[0:1], 0x1b0
	s_sub_i32 s0, 0, s21
	s_waitcnt lgkmcnt(0)
	v_writelane_b32 v82, s18, 6
	v_readfirstlane_b32 s1, v1
	s_mul_i32 s0, s0, s1
	v_writelane_b32 v82, s19, 7
	v_writelane_b32 v82, s24, 8
	s_mul_hi_u32 s0, s1, s0
	s_add_i32 s1, s1, s0
	v_writelane_b32 v82, s25, 9
	v_writelane_b32 v82, s26, 10
	;; [unrolled: 1-line block ×3, first 2 shown]
	v_mul_f32_e32 v1, 0x4f7ffffe, v2
	v_cvt_f32_u32_e32 v2, s17
	s_mul_hi_u32 s0, s3, s1
	v_writelane_b32 v82, s3, 12
	s_mul_i32 s1, s0, s21
	v_readlane_b32 s7, v82, 12
	s_sub_i32 s1, s7, s1
	s_add_i32 s3, s0, 1
	s_sub_i32 s7, s1, s21
	v_cvt_u32_f32_e32 v1, v1
	v_rcp_iflag_f32_e32 v2, v2
	s_cmp_ge_u32 s1, s21
	s_cselect_b32 s0, s3, s0
	s_cselect_b32 s1, s7, s1
	s_add_i32 s3, s0, 1
	s_cmp_ge_u32 s1, s21
	v_readfirstlane_b32 s1, v1
	v_mul_f32_e32 v1, 0x4f7ffffe, v2
	s_cselect_b32 s3, s3, s0
	v_writelane_b32 v82, s20, 13
	s_sub_i32 s0, 0, s20
	v_cvt_u32_f32_e32 v1, v1
	s_mul_i32 s0, s0, s1
	s_mul_hi_u32 s0, s1, s0
	v_writelane_b32 v82, s21, 14
	s_add_i32 s1, s1, s0
	v_writelane_b32 v82, s3, 15
	s_mul_hi_u32 s0, s3, s1
	v_readfirstlane_b32 s1, v1
	v_cvt_f32_u32_e32 v1, s16
	v_writelane_b32 v82, s0, 16
	s_sub_i32 s0, 0, s17
	s_mul_i32 s0, s0, s1
	s_mul_hi_u32 s0, s1, s0
	s_add_i32 s1, s1, s0
	v_readlane_b32 s0, v82, 12
	v_rcp_iflag_f32_e32 v1, v1
	s_mul_hi_u32 s0, s0, s1
	s_mul_i32 s1, s0, s17
	v_readlane_b32 s3, v82, 12
	v_cvt_f32_u32_e32 v2, s15
	s_sub_i32 s1, s3, s1
	s_add_i32 s3, s0, 1
	s_sub_i32 s7, s1, s17
	v_mul_f32_e32 v1, 0x4f7ffffe, v1
	s_cmp_ge_u32 s1, s17
	v_cvt_u32_f32_e32 v1, v1
	s_cselect_b32 s0, s3, s0
	v_rcp_iflag_f32_e32 v2, v2
	s_cselect_b32 s1, s7, s1
	s_add_i32 s3, s0, 1
	s_cmp_ge_u32 s1, s17
	s_cselect_b32 s7, s3, s0
	v_readlane_b32 s3, v82, 12
	v_writelane_b32 v82, s16, 17
	s_sub_i32 s0, 0, s16
	v_readfirstlane_b32 s1, v1
	s_mul_i32 s0, s0, s1
	v_mul_f32_e32 v1, 0x4f7ffffe, v2
	s_mul_hi_u32 s0, s1, s0
	v_cvt_u32_f32_e32 v1, v1
	v_writelane_b32 v82, s17, 18
	s_add_i32 s1, s1, s0
	v_writelane_b32 v82, s7, 19
	s_mul_hi_u32 s0, s7, s1
	v_writelane_b32 v82, s0, 20
	s_sub_i32 s0, 0, s15
	v_mul_lo_u32 v2, s0, v1
	v_mul_hi_u32 v2, v1, v2
	v_add_u32_e32 v1, v1, v2
	v_mul_hi_u32 v1, s3, v1
	v_cvt_f32_u32_e32 v5, s14
	v_mul_lo_u32 v2, v1, s15
	v_sub_u32_e32 v2, s3, v2
	v_subrev_u32_e32 v4, s15, v2
	v_cmp_le_u32_e32 vcc, s15, v2
	v_add_u32_e32 v3, 1, v1
	s_sub_i32 s0, 0, s14
	v_cndmask_b32_e32 v2, v2, v4, vcc
	v_rcp_iflag_f32_e32 v4, v5
	v_cndmask_b32_e32 v1, v1, v3, vcc
	v_add_u32_e32 v3, 1, v1
	v_cmp_le_u32_e32 vcc, s15, v2
	s_nop 1
	v_cndmask_b32_e32 v1, v1, v3, vcc
	v_mul_f32_e32 v3, 0x4f7ffffe, v4
	v_cvt_u32_f32_e32 v3, v3
	v_mul_lo_u32 v2, v1, s15
	v_sub_u32_e32 v2, s3, v2
	v_mul_lo_u32 v2, v2, s6
	v_mul_lo_u32 v4, s0, v3
	v_mul_hi_u32 v4, v3, v4
	v_add_u32_e32 v3, v3, v4
	v_mul_hi_u32 v3, v1, v3
	v_mul_lo_u32 v4, v3, s14
	v_sub_u32_e32 v4, v1, v4
	v_add_u32_e32 v5, 1, v3
	v_subrev_u32_e32 v6, s14, v4
	v_cmp_le_u32_e32 vcc, s14, v4
	v_cmp_gt_u32_e64 s[0:1], s64, v0
	s_nop 0
	v_cndmask_b32_e32 v3, v3, v5, vcc
	v_cndmask_b32_e32 v4, v4, v6, vcc
	v_add_u32_e32 v5, 1, v3
	v_cmp_le_u32_e32 vcc, s14, v4
	s_nop 1
	v_cndmask_b32_e32 v3, v3, v5, vcc
	v_mul_lo_u32 v4, v3, s14
	v_sub_u32_e32 v1, v1, v4
	v_mul_lo_u32 v1, v1, s5
	v_add_u32_e32 v1, v1, v2
	v_mul_lo_u32 v2, v3, s4
	v_add_u32_e32 v2, v1, v2
	v_mov_b32_e32 v3, 0
	v_lshlrev_b64 v[4:5], 1, v[2:3]
	v_lshl_add_u64 v[10:11], s[12:13], 0, v[4:5]
	s_mov_b64 s[4:5], exec
	v_writelane_b32 v82, s0, 21
	s_nop 1
	v_writelane_b32 v82, s1, 22
	s_and_b64 s[0:1], s[4:5], s[0:1]
	s_mov_b64 exec, s[0:1]
	s_cbranch_execz .LBB130_5
; %bb.2:
	s_load_dword s0, s[8:9], 0xc
	v_mul_lo_u32 v2, v0, s66
	s_mov_b64 s[6:7], 0
	v_mov_b32_e32 v1, v3
	v_mov_b32_e32 v4, v0
	s_waitcnt lgkmcnt(0)
	s_and_b32 s0, s0, 0xffff
	s_mul_i32 s1, s66, s0
.LBB130_3:                              ; =>This Inner Loop Header: Depth=1
	v_lshl_add_u64 v[6:7], v[2:3], 1, v[10:11]
	global_load_ushort v5, v[6:7], off
	v_add_u32_e32 v4, s0, v4
	v_cmp_le_u32_e32 vcc, s64, v4
	s_or_b64 s[6:7], vcc, s[6:7]
	v_add_u32_e32 v2, s1, v2
	s_waitcnt vmcnt(0)
	v_cmp_u_f16_e32 vcc, v5, v5
	s_nop 1
	v_addc_co_u32_e32 v1, vcc, 0, v1, vcc
	s_andn2_b64 exec, exec, s[6:7]
	s_cbranch_execnz .LBB130_3
; %bb.4:
	s_or_b64 exec, exec, s[6:7]
	v_mov_b32_e32 v3, v1
.LBB130_5:
	s_or_b64 exec, exec, s[4:5]
	v_cmp_eq_u32_e64 s[24:25], 0, v0
	s_and_saveexec_b64 s[4:5], s[24:25]
; %bb.6:
	v_mov_b32_e32 v4, 0
	v_mov_b32_e32 v5, v4
	ds_write_b64 v4, v[4:5] offset:4096
; %bb.7:
	s_or_b64 exec, exec, s[4:5]
	v_cmp_ne_u32_e32 vcc, 0, v3
	s_waitcnt lgkmcnt(0)
	s_barrier
	s_and_saveexec_b64 s[4:5], vcc
	s_cbranch_execz .LBB130_12
; %bb.8:
	s_mov_b64 s[12:13], exec
	v_mov_b32_e32 v1, 0
	v_mov_b32_e32 v2, v3
	s_mov_b64 s[6:7], 0
.LBB130_9:                              ; =>This Inner Loop Header: Depth=1
	s_ff1_i32_b64 s0, s[12:13]
	v_readlane_b32 s3, v2, s0
	v_readlane_b32 s1, v1, s0
	s_add_u32 s6, s6, s3
	s_addc_u32 s7, s7, s1
	s_lshl_b64 s[0:1], 1, s0
	s_andn2_b64 s[12:13], s[12:13], s[0:1]
	s_cmp_lg_u64 s[12:13], 0
	s_cbranch_scc1 .LBB130_9
; %bb.10:
	v_mbcnt_lo_u32_b32 v1, exec_lo, 0
	v_mbcnt_hi_u32_b32 v1, exec_hi, v1
	v_cmp_eq_u32_e32 vcc, 0, v1
	s_and_saveexec_b64 s[0:1], vcc
	s_xor_b64 s[0:1], exec, s[0:1]
; %bb.11:
	v_mov_b32_e32 v1, 0
	v_mov_b64_e32 v[2:3], s[6:7]
	ds_add_u64 v1, v[2:3] offset:4096
.LBB130_12:
	s_or_b64 exec, exec, s[4:5]
	v_mov_b32_e32 v1, 0
	s_waitcnt lgkmcnt(0)
	s_barrier
	ds_read_b64 v[2:3], v1 offset:4096
	s_bitcmp1_b32 s67, 0
	s_cselect_b64 s[0:1], -1, 0
	s_mov_b32 s3, s64
	s_waitcnt lgkmcnt(0)
	v_readfirstlane_b32 s4, v2
	v_readfirstlane_b32 s5, v3
	s_nop 1
	v_cmp_lt_i64_e64 s[6:7], s[4:5], 1
	s_or_b64 s[0:1], s[0:1], s[6:7]
	s_andn2_b64 vcc, exec, s[0:1]
	s_cbranch_vccnz .LBB130_14
; %bb.13:
	s_not_b64 s[0:1], s[4:5]
	s_add_u32 s0, s0, s64
	s_addc_u32 s1, s1, 0
	s_lshr_b32 s3, s1, 31
	s_add_u32 s0, s0, s3
	s_addc_u32 s1, s1, 0
	s_lshr_b64 s[0:1], s[0:1], 1
	s_add_i32 s3, s0, 1
.LBB130_14:
	s_and_saveexec_b64 s[4:5], s[24:25]
	s_cbranch_execz .LBB130_16
; %bb.15:
	v_mov_b32_e32 v2, 0
	v_mov_b32_e32 v3, s64
	ds_write_b32 v2, v2 offset:4112
	ds_write_b64 v2, v[2:3] offset:4104
.LBB130_16:
	s_or_b64 exec, exec, s[4:5]
	s_waitcnt lgkmcnt(0)
	s_barrier
	s_load_dword s0, s[8:9], 0xc
	v_mbcnt_lo_u32_b32 v1, -1, 0
	v_mbcnt_hi_u32_b32 v22, -1, v1
	v_cmp_gt_u32_e32 vcc, 64, v0
	v_cmp_gt_i32_e64 s[6:7], 4, v22
	s_waitcnt lgkmcnt(0)
	s_and_b32 s67, s0, 0xffff
	s_add_i32 s78, s67, -1
	s_lshl_b32 s99, s67, 2
	s_and_b64 s[86:87], vcc, s[6:7]
	s_add_i32 s11, s78, s64
	s_cmpk_gt_u32 s64, 0x600
	s_cselect_b64 s[12:13], -1, 0
	s_cmp_gt_u32 s67, 63
	s_cselect_b64 s[90:91], -1, 0
	s_cmp_lt_u32 s2, s10
	s_cselect_b32 s1, 12, 18
	v_writelane_b32 v82, s12, 23
	v_lshlrev_b64 v[2:3], v22, -1
	s_add_u32 s8, s8, s1
	v_writelane_b32 v82, s13, 24
	v_not_b32_e32 v18, v2
	v_lshrrev_b32_e32 v2, 2, v0
	s_addc_u32 s9, s9, 0
	v_and_b32_e32 v2, 0xf0, v2
	v_writelane_b32 v82, s8, 25
	v_or_b32_e32 v25, 0xc00, v2
	v_add_u32_e32 v2, 2, v0
	v_writelane_b32 v82, s9, 26
	s_bfe_u32 s9, s0, 0xa0006
	v_max_u32_e32 v2, s64, v2
	s_add_i32 s2, s9, -2
	v_xad_u32 v2, v0, -1, v2
	s_lshr_b32 s0, s2, 1
	v_not_b32_e32 v1, v3
	v_add_u32_e32 v3, -4, v2
	s_add_i32 s8, s0, 1
	v_cmp_lt_u32_e64 s[0:1], 31, v2
	v_lshrrev_b32_e32 v5, 2, v3
	v_add_u32_e32 v5, 1, v5
	v_writelane_b32 v82, s0, 27
	v_cmp_lt_u32_e64 s[12:13], 11, v3
	v_and_b32_e32 v6, 3, v5
	v_writelane_b32 v82, s1, 28
	v_writelane_b32 v82, s12, 29
	v_and_b32_e32 v26, -4, v2
	s_cmpk_gt_u32 s67, 0x7f
	v_writelane_b32 v82, s13, 30
	v_cmp_ne_u32_e64 s[12:13], 0, v6
	v_lshlrev_b32_e32 v19, 2, v0
	v_mov_b32_e32 v15, 0
	v_writelane_b32 v82, s12, 31
	s_mov_b32 s22, 0
	v_lshlrev_b32_e32 v23, 1, v0
	v_writelane_b32 v82, s13, 32
	v_cmp_ne_u32_e64 s[12:13], v2, v26
	v_cvt_f32_u32_e32 v2, s99
	v_mul_lo_u32 v12, s66, v0
	v_writelane_b32 v82, s12, 33
	v_mov_b32_e32 v13, v15
	v_rcp_iflag_f32_e32 v2, v2
	v_writelane_b32 v82, s13, 34
	s_cselect_b64 s[12:13], -1, 0
	v_writelane_b32 v82, s12, 35
	s_and_b32 s10, s9, 0x3fe
	v_mul_f32_e32 v2, 0x4f7ffffe, v2
	v_writelane_b32 v82, s13, 36
	s_and_b32 s12, s8, 7
	s_cmp_gt_u32 s2, 13
	s_cselect_b64 s[14:15], -1, 0
	v_writelane_b32 v82, s14, 37
	s_and_b32 s2, s8, -8
	s_cmp_lg_u32 s12, 0
	v_writelane_b32 v82, s15, 38
	v_writelane_b32 v82, s2, 39
	;; [unrolled: 1-line block ×3, first 2 shown]
	s_cselect_b64 s[12:13], -1, 0
	v_writelane_b32 v82, s12, 41
	v_cvt_u32_f32_e32 v2, v2
	s_cmp_lg_u32 s10, s9
	v_writelane_b32 v82, s13, 42
	v_writelane_b32 v82, s9, 43
	;; [unrolled: 1-line block ×3, first 2 shown]
	s_cselect_b64 s[8:9], -1, 0
	v_writelane_b32 v82, s8, 45
	s_sub_i32 s2, 0, s99
	v_lshlrev_b32_e32 v4, 2, v22
	v_writelane_b32 v82, s9, 46
	v_readfirstlane_b32 s8, v2
	v_cvt_f32_u32_e32 v2, s67
	s_mul_i32 s2, s2, s8
	s_mul_hi_u32 s2, s8, s2
	s_add_i32 s77, s8, s2
	v_rcp_iflag_f32_e32 v2, v2
	s_mul_hi_u32 s2, s64, s77
	s_mul_i32 s2, s2, s99
	s_sub_i32 s2, s64, s2
	s_sub_i32 s8, s2, s99
	v_mul_f32_e32 v2, 0x4f7ffffe, v2
	s_cmp_ge_u32 s2, s99
	v_cvt_u32_f32_e32 v2, v2
	s_cselect_b32 s2, s8, s2
	s_sub_i32 s8, s2, s99
	s_cmp_ge_u32 s2, s99
	s_cselect_b32 s2, s8, s2
	s_sub_i32 s8, 0, s67
	v_readfirstlane_b32 s9, v2
	s_mul_i32 s8, s8, s9
	s_mul_hi_u32 s8, s9, s8
	s_add_i32 s93, s9, s8
	s_mul_hi_u32 s8, s11, s93
	s_mul_i32 s8, s8, s67
	s_sub_i32 s8, s11, s8
	s_sub_i32 s92, s64, s2
	;; [unrolled: 1-line block ×3, first 2 shown]
	s_cmp_ge_u32 s8, s67
	s_cselect_b32 s8, s9, s8
	s_sub_i32 s9, s8, s67
	s_cmp_ge_u32 s8, s67
	s_cselect_b32 s8, s9, s8
	s_sub_i32 s94, s11, s8
	v_cmp_gt_u32_e64 s[8:9], s94, v0
	v_mul_lo_u32 v2, s66, v19
	v_add_u32_e32 v31, s66, v2
	v_writelane_b32 v82, s8, 47
	v_or_b32_e32 v2, 2, v19
	v_mul_lo_u32 v32, s66, v2
	v_writelane_b32 v82, s9, 48
	v_or_b32_e32 v2, 3, v19
	s_add_i32 s8, s67, s64
	v_add_u32_e32 v29, s92, v0
	v_mul_lo_u32 v33, s66, v2
	v_add_u32_e32 v2, s8, v0
	v_mul_lo_u32 v14, v29, s66
	s_mul_i32 s65, s66, s67
	v_subrev_u32_e32 v2, s2, v2
	s_mov_b32 s98, 0xffff
	s_mov_b32 s23, 1
	v_cmp_eq_u32_e64 s[4:5], 0, v22
	v_cmp_gt_u32_e64 s[6:7], 2, v0
	v_add_u32_e32 v24, 0xc00, v23
	v_lshl_add_u64 v[16:17], v[12:13], 1, v[10:11]
	v_and_b32_e32 v13, 0x100, v4
	v_add_u32_e32 v27, v0, v26
	s_mov_b32 s0, s66
	s_mov_b32 s1, s66
	;; [unrolled: 1-line block ×4, first 2 shown]
	v_and_b32_e32 v28, 0x7ffffffc, v5
	v_cmp_gt_u32_e64 s[16:17], s92, v19
	v_cmp_gt_u32_e64 s[18:19], s64, v29
	v_lshl_add_u64 v[20:21], v[14:15], 1, v[10:11]
	v_lshlrev_b32_e32 v30, 3, v6
	s_lshl_b32 s95, s65, 2
	v_lshlrev_b32_e32 v34, 2, v12
	v_mul_lo_u32 v36, s66, v2
	v_lshlrev_b32_e32 v37, 3, v0
	s_lshl_b32 s82, s67, 3
	s_lshl_b32 s83, s67, 1
	v_or_b32_e32 v38, 0xc00, v4
	s_mov_b64 s[68:69], 0
	v_mov_b32_e32 v39, 14
	v_mov_b32_e32 v47, s3
	s_mov_b32 s33, 0x5040100
	v_mov_b32_e32 v52, s64
	s_movk_i32 s20, 0x3c00
	v_mov_b32_e32 v40, 0xffff
	v_mov_b32_e32 v41, 0x8000
	v_mov_b32_e32 v42, -1
	v_mov_b32_e32 v43, 0xc00
	v_mov_b32_e32 v44, 0x5040100
	;; [unrolled: 1-line block ×3, first 2 shown]
	s_mov_b32 s21, s22
	v_mov_b32_e32 v35, 0
	v_mov_b32_e32 v45, 0
                                        ; implicit-def: $sgpr70_sgpr71
                                        ; implicit-def: $sgpr10_sgpr11
                                        ; implicit-def: $sgpr80_sgpr81
                                        ; implicit-def: $sgpr12_sgpr13
                                        ; implicit-def: $sgpr14_sgpr15
                                        ; implicit-def: $sgpr72_sgpr73
	s_branch .LBB130_20
.LBB130_17:                             ;   in Loop: Header=BB130_20 Depth=1
	s_or_b64 exec, exec, s[34:35]
	s_and_b64 s[26:27], s[26:27], exec
	s_andn2_b64 s[30:31], s[30:31], exec
	s_andn2_b64 s[28:29], s[28:29], exec
	s_orn2_b64 s[22:23], s[22:23], exec
.LBB130_18:                             ;   in Loop: Header=BB130_20 Depth=1
	s_or_b64 exec, exec, s[8:9]
	s_andn2_b64 s[8:9], s[72:73], exec
	s_and_b64 s[26:27], s[26:27], exec
	s_or_b64 s[72:73], s[8:9], s[26:27]
	s_andn2_b64 s[8:9], s[14:15], exec
	s_and_b64 s[14:15], s[30:31], exec
	s_or_b64 s[14:15], s[8:9], s[14:15]
	;; [unrolled: 3-line block ×3, first 2 shown]
	s_orn2_b64 s[22:23], s[22:23], exec
.LBB130_19:                             ;   in Loop: Header=BB130_20 Depth=1
	s_or_b64 exec, exec, s[2:3]
	s_and_b64 s[2:3], exec, s[22:23]
	s_or_b64 s[68:69], s[2:3], s[68:69]
	s_andn2_b64 s[2:3], s[80:81], exec
	s_and_b64 s[8:9], s[72:73], exec
	s_or_b64 s[80:81], s[2:3], s[8:9]
	s_andn2_b64 s[2:3], s[10:11], exec
	s_and_b64 s[8:9], s[14:15], exec
	s_or_b64 s[10:11], s[2:3], s[8:9]
	s_andn2_b64 s[2:3], s[70:71], exec
	s_and_b64 s[8:9], s[12:13], exec
	s_or_b64 s[70:71], s[2:3], s[8:9]
	s_mov_b32 s21, s36
	v_mov_b32_e32 v47, v5
	s_andn2_b64 exec, exec, s[68:69]
	s_cbranch_execz .LBB130_267
.LBB130_20:                             ; =>This Loop Header: Depth=1
                                        ;     Child Loop BB130_25 Depth 2
                                        ;     Child Loop BB130_46 Depth 2
	;; [unrolled: 1-line block ×19, first 2 shown]
	ds_read_b64 v[2:3], v15 offset:4104
	s_waitcnt lgkmcnt(0)
	v_readfirstlane_b32 s88, v2
	s_cmp_lg_u32 s88, 0
	s_cbranch_scc1 .LBB130_65
; %bb.21:                               ;   in Loop: Header=BB130_20 Depth=1
	v_readlane_b32 s2, v82, 23
	v_readlane_b32 s3, v82, 24
	s_and_b64 vcc, exec, s[2:3]
	s_cbranch_vccz .LBB130_33
; %bb.22:                               ;   in Loop: Header=BB130_20 Depth=1
	s_movk_i32 s2, 0x601
	v_cmp_gt_u32_e32 vcc, s2, v3
	s_mov_b64 s[8:9], 0
	s_mov_b64 s[2:3], 0
	s_cbranch_vccz .LBB130_34
; %bb.23:                               ;   in Loop: Header=BB130_20 Depth=1
	v_readlane_b32 s2, v82, 25
	v_readlane_b32 s3, v82, 26
	s_nop 4
	global_load_ushort v2, v15, s[2:3]
	global_load_ushort v4, v[16:17], off
	s_mov_b64 s[26:27], 0
	s_waitcnt vmcnt(1)
	v_add_u32_e32 v5, v0, v2
	v_mul_lo_u32 v3, s66, v2
	v_mul_lo_u32 v14, s66, v5
	v_mov_b32_e32 v5, v0
	s_branch .LBB130_25
.LBB130_24:                             ;   in Loop: Header=BB130_25 Depth=2
	s_or_b64 exec, exec, s[2:3]
	v_add_u32_e32 v14, v14, v3
	v_mov_b32_e32 v4, v6
	s_andn2_b64 exec, exec, s[26:27]
	s_cbranch_execz .LBB130_40
.LBB130_25:                             ;   Parent Loop BB130_20 Depth=1
                                        ; =>  This Inner Loop Header: Depth=2
	v_add_u32_e32 v5, v5, v2
	v_cmp_gt_u32_e64 s[2:3], s64, v5
	v_cmp_le_u32_e32 vcc, s64, v5
	s_waitcnt lgkmcnt(0)
	v_mov_b32_e32 v7, 0
	v_mov_b32_e32 v6, 0
	s_and_saveexec_b64 s[22:23], s[2:3]
	s_cbranch_execz .LBB130_27
; %bb.26:                               ;   in Loop: Header=BB130_25 Depth=2
	v_lshl_add_u64 v[8:9], v[14:15], 1, v[10:11]
	global_load_ushort v6, v[8:9], off
.LBB130_27:                             ;   in Loop: Header=BB130_25 Depth=2
	s_or_b64 exec, exec, s[22:23]
	s_waitcnt vmcnt(0)
	v_cmp_lt_i16_e64 s[2:3], -1, v4
	s_nop 1
	v_cndmask_b32_e64 v8, v40, v41, s[2:3]
	v_xor_b32_sdwa v8, v8, v4 dst_sel:DWORD dst_unused:UNUSED_PAD src0_sel:DWORD src1_sel:WORD_0
	v_cmp_o_f16_e64 s[2:3], v4, v4
	s_nop 1
	v_cndmask_b32_e64 v8, v40, v8, s[2:3]
	v_and_b32_e32 v8, v8, v45
	v_cmp_eq_u32_e64 s[22:23], v8, v35
	s_cmp_lg_u64 s[22:23], 0
	s_cselect_b64 s[2:3], -1, 0
	s_and_b64 s[2:3], s[4:5], s[2:3]
	s_and_saveexec_b64 s[28:29], s[2:3]
	s_cbranch_execz .LBB130_31
; %bb.28:                               ;   in Loop: Header=BB130_25 Depth=2
	s_mov_b64 s[34:35], exec
	v_mbcnt_lo_u32_b32 v7, s34, 0
	v_mbcnt_hi_u32_b32 v7, s35, v7
	s_bcnt1_i32_b64 s36, s[22:23]
	v_cmp_eq_u32_e64 s[2:3], 0, v7
                                        ; implicit-def: $vgpr8
	s_and_saveexec_b64 s[30:31], s[2:3]
; %bb.29:                               ;   in Loop: Header=BB130_25 Depth=2
	s_bcnt1_i32_b64 s2, s[34:35]
	s_mul_i32 s2, s36, s2
	v_mov_b32_e32 v8, s2
	ds_add_rtn_u32 v8, v15, v8 offset:4112
; %bb.30:                               ;   in Loop: Header=BB130_25 Depth=2
	s_or_b64 exec, exec, s[30:31]
	s_waitcnt lgkmcnt(0)
	v_readfirstlane_b32 s2, v8
	s_nop 1
	v_mov_b32_e32 v8, s2
	v_mad_u32_u24 v7, s36, v7, v8
.LBB130_31:                             ;   in Loop: Header=BB130_25 Depth=2
	s_or_b64 exec, exec, s[28:29]
	ds_bpermute_b32 v7, v13, v7
	s_and_b64 s[2:3], exec, vcc
	s_or_b64 s[26:27], s[2:3], s[26:27]
	s_and_saveexec_b64 s[2:3], s[22:23]
	s_cbranch_execz .LBB130_24
; %bb.32:                               ;   in Loop: Header=BB130_25 Depth=2
	v_and_b32_e32 v9, s22, v18
	v_and_b32_e32 v8, s23, v1
	v_bcnt_u32_b32 v9, v9, 0
	v_bcnt_u32_b32 v8, v8, v9
	v_lshlrev_b32_e32 v8, 1, v8
	s_waitcnt lgkmcnt(0)
	v_lshl_add_u32 v7, v7, 1, v8
	ds_write_b16 v7, v4
	s_branch .LBB130_24
.LBB130_33:                             ;   in Loop: Header=BB130_20 Depth=1
	s_mov_b64 s[8:9], -1
	s_mov_b64 s[2:3], 0
.LBB130_34:                             ;   in Loop: Header=BB130_20 Depth=1
	s_and_b64 vcc, exec, s[8:9]
	s_cbranch_vccz .LBB130_63
.LBB130_35:                             ;   in Loop: Header=BB130_20 Depth=1
	s_mov_b64 s[22:23], exec
	v_readlane_b32 s2, v82, 21
	v_readlane_b32 s3, v82, 22
	s_and_b64 s[2:3], s[22:23], s[2:3]
	s_mov_b64 exec, s[2:3]
	s_cbranch_execz .LBB130_60
; %bb.36:                               ;   in Loop: Header=BB130_20 Depth=1
	v_readlane_b32 s2, v82, 25
	v_readlane_b32 s3, v82, 26
	s_nop 4
	global_load_ushort v2, v15, s[2:3]
	global_load_ushort v48, v[16:17], off
	v_mov_b32_e32 v3, v0
	s_waitcnt vmcnt(1)
	v_readfirstlane_b32 s34, v2
	v_add_u32_e32 v2, v0, v2
	v_cmp_gt_u32_e32 vcc, s64, v2
	s_and_saveexec_b64 s[26:27], vcc
	s_cbranch_execz .LBB130_59
; %bb.37:                               ;   in Loop: Header=BB130_20 Depth=1
	v_readlane_b32 s28, v82, 27
	s_mov_b64 s[2:3], 0
	s_mul_i32 s35, s66, s34
	v_readlane_b32 s29, v82, 28
                                        ; implicit-def: $vgpr3
                                        ; implicit-def: $vgpr4
                                        ; implicit-def: $vgpr5
	s_and_saveexec_b64 s[8:9], s[28:29]
	s_xor_b64 s[28:29], exec, s[8:9]
	s_cbranch_execnz .LBB130_43
; %bb.38:                               ;   in Loop: Header=BB130_20 Depth=1
	s_andn2_saveexec_b64 s[8:9], s[28:29]
	s_cbranch_execnz .LBB130_54
.LBB130_39:                             ;   in Loop: Header=BB130_20 Depth=1
	s_or_b64 exec, exec, s[8:9]
	s_and_saveexec_b64 s[8:9], s[2:3]
	s_cbranch_execnz .LBB130_55
	s_branch .LBB130_58
.LBB130_40:                             ;   in Loop: Header=BB130_20 Depth=1
	s_or_b64 exec, exec, s[26:27]
	s_waitcnt lgkmcnt(0)
	s_barrier
	s_and_saveexec_b64 s[2:3], s[24:25]
	s_cbranch_execz .LBB130_42
; %bb.41:                               ;   in Loop: Header=BB130_20 Depth=1
	ds_read_b32 v2, v15 offset:4112
	s_waitcnt lgkmcnt(0)
	ds_write_b32 v15, v2 offset:4104
.LBB130_42:                             ;   in Loop: Header=BB130_20 Depth=1
	s_or_b64 exec, exec, s[2:3]
	s_waitcnt lgkmcnt(0)
	s_barrier
	s_mov_b64 s[2:3], -1
	s_and_b64 vcc, exec, s[8:9]
	s_cbranch_vccnz .LBB130_35
	s_branch .LBB130_63
.LBB130_43:                             ;   in Loop: Header=BB130_20 Depth=1
	v_cvt_f32_u32_e32 v3, s34
	v_add_u32_e32 v4, s34, v2
	v_max_u32_e32 v4, s64, v4
	s_lshl_b32 s2, s34, 1
	v_rcp_iflag_f32_e32 v3, v3
	v_sub_u32_e32 v4, v4, v0
	v_cmp_ne_u32_e32 vcc, s2, v4
	s_sub_i32 s3, 0, s34
	v_mul_f32_e32 v3, 0x4f7ffffe, v3
	v_cvt_u32_f32_e32 v3, v3
	v_cndmask_b32_e64 v5, 0, 1, vcc
	v_or_b32_e32 v5, s2, v5
	v_sub_u32_e32 v4, v4, v5
	v_mul_lo_u32 v5, s3, v3
	v_mul_hi_u32 v5, v3, v5
	v_add_u32_e32 v3, v3, v5
	v_mul_hi_u32 v3, v4, v3
	v_mul_lo_u32 v5, v3, s34
	v_sub_u32_e32 v4, v4, v5
	v_add_u32_e32 v5, 1, v3
	v_cmp_le_u32_e64 s[2:3], s34, v4
	s_nop 1
	v_cndmask_b32_e64 v3, v3, v5, s[2:3]
	v_subrev_u32_e32 v5, s34, v4
	v_cndmask_b32_e64 v4, v4, v5, s[2:3]
	v_add_u32_e32 v5, 1, v3
	v_cmp_le_u32_e64 s[2:3], s34, v4
	v_mul_lo_u32 v4, s66, v2
	s_nop 0
	v_cndmask_b32_e64 v3, v3, v5, s[2:3]
	v_addc_co_u32_e32 v3, vcc, 0, v3, vcc
	s_abs_i32 s2, s35
	v_mul_hi_u32 v5, s2, v3
	v_mul_lo_u32 v3, s2, v3
	s_not_b32 s2, s35
	s_ashr_i32 s2, s2, 31
	s_cmp_eq_u32 s34, 1
	v_cmp_eq_u32_e32 vcc, 0, v5
	v_xor_b32_e32 v4, s2, v4
	s_cselect_b64 s[8:9], -1, 0
	v_cmp_le_u32_e64 s[2:3], v3, v4
	s_and_b64 s[8:9], vcc, s[8:9]
	s_and_b64 s[30:31], s[8:9], s[2:3]
	s_mov_b64 s[8:9], -1
	v_mov_b32_e32 v4, v0
                                        ; implicit-def: $vgpr3
	s_and_saveexec_b64 s[2:3], s[30:31]
	s_cbranch_execz .LBB130_53
; %bb.44:                               ;   in Loop: Header=BB130_20 Depth=1
	v_add_u32_e32 v5, 3, v2
	v_add_u32_e32 v4, 2, v2
	;; [unrolled: 1-line block ×3, first 2 shown]
	v_mov_b64_e32 v[8:9], v[4:5]
	s_waitcnt vmcnt(0)
	v_lshlrev_b32_e32 v49, 16, v48
	v_mov_b32_e32 v14, 0
	v_mov_b64_e32 v[6:7], v[2:3]
                                        ; implicit-def: $vgpr48
	s_mov_b64 s[8:9], exec
	v_readlane_b32 s30, v82, 29
	v_readlane_b32 s31, v82, 30
	s_and_b64 s[30:31], s[8:9], s[30:31]
	s_mov_b64 exec, s[30:31]
	s_cbranch_execz .LBB130_48
; %bb.45:                               ;   in Loop: Header=BB130_20 Depth=1
	v_mov_b64_e32 v[8:9], v[4:5]
	s_mov_b32 s36, 0
	s_mov_b64 s[30:31], 0
	v_mov_b32_e32 v50, v28
	v_mov_b32_e32 v51, v23
	v_mov_b64_e32 v[6:7], v[2:3]
.LBB130_46:                             ;   Parent Loop BB130_20 Depth=1
                                        ; =>  This Inner Loop Header: Depth=2
	v_mul_lo_u32 v14, v6, s0
	v_add_u32_e32 v3, 4, v6
	v_add_u32_e32 v48, 4, v7
	;; [unrolled: 1-line block ×4, first 2 shown]
	v_mul_lo_u32 v4, v9, s76
	v_mul_lo_u32 v56, v7, s1
	v_mov_b32_e32 v57, v15
	v_mov_b32_e32 v5, v15
	;; [unrolled: 1-line block ×4, first 2 shown]
	v_add_u32_e32 v80, 8, v6
	v_lshl_add_u64 v[76:77], v[14:15], 1, v[10:11]
	v_mul_lo_u32 v62, v58, s76
	v_mul_lo_u32 v60, v53, s79
	;; [unrolled: 1-line block ×5, first 2 shown]
	v_mov_b32_e32 v55, v15
	v_mov_b32_e32 v63, v15
	v_add_u32_e32 v64, 8, v7
	v_add_u32_e32 v81, 12, v6
	v_lshl_add_u64 v[56:57], v[56:57], 1, v[10:11]
	v_lshl_add_u64 v[4:5], v[4:5], 1, v[10:11]
	;; [unrolled: 1-line block ×5, first 2 shown]
	v_mul_lo_u32 v14, v80, s0
	v_add_u32_e32 v66, 8, v8
	v_add_u32_e32 v68, 8, v9
	v_mov_b32_e32 v65, v15
	v_add_u32_e32 v70, 12, v7
	v_add_u32_e32 v72, 12, v8
	;; [unrolled: 1-line block ×3, first 2 shown]
	v_lshl_add_u64 v[54:55], v[54:55], 1, v[10:11]
	v_mul_lo_u32 v64, v64, s1
	v_lshl_add_u64 v[62:63], v[62:63], 1, v[10:11]
	global_load_ushort v3, v[76:77], off
	global_load_ushort v53, v[56:57], off
	s_nop 0
	global_load_ushort v56, v[54:55], off
	global_load_ushort v76, v[4:5], off
	;; [unrolled: 1-line block ×4, first 2 shown]
	s_nop 0
	global_load_ushort v58, v[60:61], off
	s_nop 0
	global_load_ushort v60, v[62:63], off
	v_lshl_add_u64 v[4:5], v[14:15], 1, v[10:11]
	v_mul_lo_u32 v14, v81, s0
	v_mov_b32_e32 v67, v15
	v_mov_b32_e32 v69, v15
	;; [unrolled: 1-line block ×5, first 2 shown]
	v_mul_lo_u32 v68, v68, s76
	v_mul_lo_u32 v66, v66, s79
	;; [unrolled: 1-line block ×5, first 2 shown]
	v_lshl_add_u64 v[64:65], v[64:65], 1, v[10:11]
	v_lshl_add_u64 v[54:55], v[14:15], 1, v[10:11]
	;; [unrolled: 1-line block ×7, first 2 shown]
	global_load_ushort v59, v[64:65], off
	global_load_ushort v61, v[66:67], off
	;; [unrolled: 1-line block ×4, first 2 shown]
	s_nop 0
	global_load_ushort v64, v[72:73], off
	global_load_ushort v48, v[74:75], off
	global_load_ushort v65, v[54:55], off
	s_nop 0
	global_load_ushort v4, v[4:5], off
	v_add_u32_e32 v50, -4, v50
	s_add_i32 s36, s36, 16
	v_cmp_eq_u32_e32 vcc, 0, v50
	v_add_u32_e32 v9, 16, v9
	v_add_u32_e32 v8, 16, v8
	;; [unrolled: 1-line block ×4, first 2 shown]
	v_mov_b32_e32 v14, s36
	s_or_b64 s[30:31], vcc, s[30:31]
	s_waitcnt vmcnt(15)
	v_alignbit_b32 v54, v3, v49, 16
	s_waitcnt vmcnt(13)
	v_perm_b32 v55, v56, v53, s33
	s_waitcnt vmcnt(11)
	v_perm_b32 v56, v77, v76, s33
	;; [unrolled: 2-line block ×3, first 2 shown]
	ds_write_b128 v51, v[54:57]
	s_waitcnt vmcnt(6)
	v_perm_b32 v59, v61, v59, s33
	s_waitcnt vmcnt(3)
	v_perm_b32 v61, v64, v63, s33
	;; [unrolled: 2-line block ×4, first 2 shown]
	v_perm_b32 v60, v65, v62, s33
	ds_write_b128 v51, v[58:61] offset:16
	v_add_u32_e32 v51, 32, v51
	s_andn2_b64 exec, exec, s[30:31]
	s_cbranch_execnz .LBB130_46
; %bb.47:                               ;   in Loop: Header=BB130_20 Depth=1
	s_or_b64 exec, exec, s[30:31]
.LBB130_48:                             ;   in Loop: Header=BB130_20 Depth=1
	s_or_b64 exec, exec, s[8:9]
	s_mov_b64 s[8:9], exec
	v_readlane_b32 s30, v82, 31
	v_readlane_b32 s31, v82, 32
	s_and_b64 s[30:31], s[8:9], s[30:31]
	s_mov_b64 exec, s[30:31]
	s_cbranch_execz .LBB130_52
; %bb.49:                               ;   in Loop: Header=BB130_20 Depth=1
	v_lshl_add_u32 v3, v14, 1, v23
	s_mov_b64 s[30:31], 0
	v_mov_b32_e32 v4, v30
.LBB130_50:                             ;   Parent Loop BB130_20 Depth=1
                                        ; =>  This Inner Loop Header: Depth=2
	v_mul_lo_u32 v50, v9, s76
	v_mul_lo_u32 v54, v8, s79
	v_mov_b32_e32 v55, v15
	v_mov_b32_e32 v51, v15
	v_mul_lo_u32 v56, v7, s1
	v_mul_lo_u32 v14, v6, s0
	v_mov_b32_e32 v57, v15
	v_lshl_add_u64 v[54:55], v[54:55], 1, v[10:11]
	v_lshl_add_u64 v[50:51], v[50:51], 1, v[10:11]
	;; [unrolled: 1-line block ×4, first 2 shown]
	global_load_ushort v5, v[54:55], off
	global_load_ushort v48, v[50:51], off
	;; [unrolled: 1-line block ×3, first 2 shown]
	s_nop 0
	global_load_ushort v50, v[58:59], off
	v_add_u32_e32 v4, -8, v4
	v_cmp_eq_u32_e32 vcc, 0, v4
	v_add_u32_e32 v9, 4, v9
	v_add_u32_e32 v8, 4, v8
	;; [unrolled: 1-line block ×4, first 2 shown]
	s_or_b64 s[30:31], vcc, s[30:31]
	s_waitcnt vmcnt(2)
	v_perm_b32 v53, v48, v5, s33
	s_waitcnt vmcnt(1)
	v_perm_b32 v51, v5, v14, s33
	s_waitcnt vmcnt(0)
	v_alignbit_b32 v50, v50, v49, 16
	ds_write_b64 v3, v[50:51]
	v_add_u32_e32 v3, 8, v3
	v_mov_b32_e32 v49, v53
	s_andn2_b64 exec, exec, s[30:31]
	s_cbranch_execnz .LBB130_50
; %bb.51:                               ;   in Loop: Header=BB130_20 Depth=1
	s_or_b64 exec, exec, s[30:31]
.LBB130_52:                             ;   in Loop: Header=BB130_20 Depth=1
	s_or_b64 exec, exec, s[8:9]
	v_readlane_b32 s8, v82, 33
	v_add_u32_e32 v2, v2, v26
	v_readlane_b32 s9, v82, 34
	v_add_u32_e32 v3, -1, v2
	s_orn2_b64 s[8:9], s[8:9], exec
	v_mov_b32_e32 v4, v27
.LBB130_53:                             ;   in Loop: Header=BB130_20 Depth=1
	s_or_b64 exec, exec, s[2:3]
	v_mov_b32_e32 v5, s35
	s_and_b64 s[2:3], s[8:9], exec
	s_andn2_saveexec_b64 s[8:9], s[28:29]
	s_cbranch_execz .LBB130_39
.LBB130_54:                             ;   in Loop: Header=BB130_20 Depth=1
	v_mov_b32_e32 v5, s35
	s_or_b64 s[2:3], s[2:3], exec
	v_mov_b32_e32 v4, v0
	s_or_b64 exec, exec, s[8:9]
	s_and_saveexec_b64 s[8:9], s[2:3]
	s_cbranch_execz .LBB130_58
.LBB130_55:                             ;   in Loop: Header=BB130_20 Depth=1
	s_sub_i32 s28, 0, s34
	v_mul_lo_u32 v14, s66, v2
	s_mov_b64 s[2:3], 0
.LBB130_56:                             ;   Parent Loop BB130_20 Depth=1
                                        ; =>  This Inner Loop Header: Depth=2
	v_lshl_add_u64 v[6:7], v[14:15], 1, v[10:11]
	s_waitcnt vmcnt(0)
	v_mov_b32_e32 v3, v48
	global_load_ushort v48, v[6:7], off
	v_mov_b32_e32 v6, v2
	v_lshlrev_b32_e32 v2, 1, v4
	ds_write_b16 v2, v3
	v_add_u32_e32 v2, s34, v6
	v_cmp_le_u32_e32 vcc, s64, v2
	v_add_u32_e32 v14, v14, v5
	s_or_b64 s[2:3], vcc, s[2:3]
	v_mov_b32_e32 v4, v6
	s_andn2_b64 exec, exec, s[2:3]
	s_cbranch_execnz .LBB130_56
; %bb.57:                               ;   in Loop: Header=BB130_20 Depth=1
	s_or_b64 exec, exec, s[2:3]
	v_add_u32_e32 v3, s28, v2
.LBB130_58:                             ;   in Loop: Header=BB130_20 Depth=1
	s_or_b64 exec, exec, s[8:9]
.LBB130_59:                             ;   in Loop: Header=BB130_20 Depth=1
	s_or_b64 exec, exec, s[26:27]
	v_lshlrev_b32_e32 v2, 1, v3
	s_waitcnt vmcnt(0)
	ds_write_b16 v2, v48
.LBB130_60:                             ;   in Loop: Header=BB130_20 Depth=1
	s_or_b64 exec, exec, s[22:23]
	s_waitcnt lgkmcnt(0)
	s_barrier
	s_and_saveexec_b64 s[2:3], s[24:25]
; %bb.61:                               ;   in Loop: Header=BB130_20 Depth=1
	ds_write_b32 v15, v52 offset:4104
; %bb.62:                               ;   in Loop: Header=BB130_20 Depth=1
	s_or_b64 exec, exec, s[2:3]
	s_mov_b64 s[2:3], -1
	s_waitcnt lgkmcnt(0)
	s_barrier
.LBB130_63:                             ;   in Loop: Header=BB130_20 Depth=1
	s_mov_b32 s88, 0
	s_and_b64 vcc, exec, s[2:3]
	s_cbranch_vccz .LBB130_65
; %bb.64:                               ;   in Loop: Header=BB130_20 Depth=1
	ds_read_b32 v2, v15 offset:4104
	s_waitcnt lgkmcnt(0)
	v_readfirstlane_b32 s88, v2
.LBB130_65:                             ;   in Loop: Header=BB130_20 Depth=1
	s_cmp_lt_i32 s88, 1
	s_mov_b64 s[2:3], -1
                                        ; implicit-def: $vgpr4_vgpr5
	s_cbranch_scc1 .LBB130_75
; %bb.66:                               ;   in Loop: Header=BB130_20 Depth=1
	s_and_b64 vcc, exec, s[2:3]
	s_cbranch_vccnz .LBB130_86
.LBB130_67:                             ;   in Loop: Header=BB130_20 Depth=1
	s_lshl_b32 s22, s21, 6
	s_and_saveexec_b64 s[2:3], s[4:5]
.LBB130_68:                             ;   in Loop: Header=BB130_20 Depth=1
	v_lshl_add_u32 v6, s22, 2, v25
	ds_write_b128 v6, v[2:5]
.LBB130_69:                             ;   in Loop: Header=BB130_20 Depth=1
	s_or_b64 exec, exec, s[2:3]
	s_waitcnt lgkmcnt(0)
	s_barrier
	s_and_saveexec_b64 s[2:3], s[86:87]
	s_cbranch_execz .LBB130_103
; %bb.70:                               ;   in Loop: Header=BB130_20 Depth=1
	v_add_u32_e32 v4, s22, v22
	s_andn2_b64 vcc, exec, s[90:91]
	v_mov_b32_e32 v2, 0
	s_cbranch_vccnz .LBB130_102
; %bb.71:                               ;   in Loop: Header=BB130_20 Depth=1
	v_readlane_b32 s8, v82, 35
	v_readlane_b32 s9, v82, 36
	s_andn2_b64 vcc, exec, s[8:9]
	s_cbranch_vccnz .LBB130_95
; %bb.72:                               ;   in Loop: Header=BB130_20 Depth=1
	v_readlane_b32 s8, v82, 37
	v_readlane_b32 s9, v82, 38
	s_andn2_b64 vcc, exec, s[8:9]
	v_lshl_add_u32 v5, v4, 2, v43
	s_cbranch_vccnz .LBB130_96
; %bb.73:                               ;   in Loop: Header=BB130_20 Depth=1
	s_mov_b32 s9, 1
	s_mov_b32 s8, 0
	v_mov_b32_e32 v2, 0
	v_mov_b32_e32 v3, 0
	v_readlane_b32 s23, v82, 39
.LBB130_74:                             ;   Parent Loop BB130_20 Depth=1
                                        ; =>  This Inner Loop Header: Depth=2
	v_lshl_add_u32 v14, s8, 4, v5
	v_lshl_add_u32 v53, s9, 4, v5
	ds_read2_b32 v[6:7], v14 offset1:8
	ds_read2_b32 v[8:9], v53 offset1:8
	ds_read2_b32 v[48:49], v14 offset0:16 offset1:24
	ds_read2_b32 v[50:51], v53 offset0:16 offset1:24
	ds_read2_b32 v[54:55], v14 offset0:32 offset1:40
	ds_read2_b32 v[56:57], v53 offset0:32 offset1:40
	ds_read2_b32 v[58:59], v14 offset0:48 offset1:56
	ds_read2_b32 v[60:61], v53 offset0:48 offset1:56
	s_waitcnt lgkmcnt(7)
	v_add3_u32 v2, v6, v2, v7
	s_waitcnt lgkmcnt(6)
	v_add3_u32 v3, v8, v3, v9
	;; [unrolled: 2-line block ×3, first 2 shown]
	v_add3_u32 v2, v48, v2, v49
	s_add_i32 s9, s9, 16
	s_add_i32 s8, s8, 16
	s_add_i32 s23, s23, -8
	s_waitcnt lgkmcnt(3)
	v_add3_u32 v2, v54, v2, v55
	s_waitcnt lgkmcnt(2)
	v_add3_u32 v3, v56, v3, v57
	s_cmp_lg_u32 s23, 0
	s_waitcnt lgkmcnt(0)
	v_add3_u32 v3, v60, v3, v61
	v_add3_u32 v2, v58, v2, v59
	s_cbranch_scc1 .LBB130_74
	s_branch .LBB130_97
.LBB130_75:                             ;   in Loop: Header=BB130_20 Depth=1
	v_mov_b32_e32 v14, v15
	v_mov_b64_e32 v[4:5], v[14:15]
	v_mov_b64_e32 v[2:3], v[14:15]
	s_and_saveexec_b64 s[52:53], s[16:17]
	s_cbranch_execz .LBB130_79
; %bb.76:                               ;   in Loop: Header=BB130_20 Depth=1
	s_mov_b32 s8, 0
	s_mov_b64 s[54:55], 0
	v_mov_b32_e32 v6, v19
	s_mov_b32 s58, 0
	s_mov_b32 s59, s8
	;; [unrolled: 1-line block ×4, first 2 shown]
.LBB130_77:                             ;   Parent Loop BB130_20 Depth=1
                                        ; =>  This Inner Loop Header: Depth=2
	v_add_u32_e32 v14, s8, v34
	v_lshl_add_u64 v[2:3], v[14:15], 1, v[10:11]
	v_add_u32_e32 v14, s8, v31
	global_load_ushort v4, v[2:3], off
	v_lshl_add_u64 v[2:3], v[14:15], 1, v[10:11]
	v_add_u32_e32 v14, s8, v32
	global_load_ushort v5, v[2:3], off
	;; [unrolled: 3-line block ×3, first 2 shown]
	v_lshl_add_u64 v[2:3], v[14:15], 1, v[10:11]
	global_load_ushort v2, v[2:3], off
	v_add_u32_e32 v6, s99, v6
	v_cmp_le_u32_e32 vcc, s92, v6
	s_add_i32 s8, s8, s95
	s_waitcnt vmcnt(3)
	v_cmp_lt_i16_e64 s[2:3], -1, v4
	s_nop 1
	v_cndmask_b32_e64 v3, v40, v41, s[2:3]
	v_xor_b32_sdwa v3, v3, v4 dst_sel:DWORD dst_unused:UNUSED_PAD src0_sel:DWORD src1_sel:WORD_0
	s_waitcnt vmcnt(2)
	v_cmp_lt_i16_e64 s[2:3], -1, v5
	s_waitcnt vmcnt(0)
	v_cmp_o_f16_e64 s[34:35], v2, v2
	v_cndmask_b32_e64 v8, v40, v41, s[2:3]
	v_cmp_o_f16_e64 s[2:3], v4, v4
	v_xor_b32_sdwa v4, v8, v5 dst_sel:DWORD dst_unused:UNUSED_PAD src0_sel:DWORD src1_sel:WORD_0
	s_nop 0
	v_cndmask_b32_e64 v3, v40, v3, s[2:3]
	v_cmp_lt_i16_e64 s[2:3], -1, v7
	v_and_b32_e32 v9, v3, v45
	v_bfe_u32 v3, v3, v39, 2
	v_cndmask_b32_e64 v8, v40, v41, s[2:3]
	v_cmp_o_f16_e64 s[2:3], v5, v5
	v_xor_b32_sdwa v5, v8, v7 dst_sel:DWORD dst_unused:UNUSED_PAD src0_sel:DWORD src1_sel:WORD_0
	v_cmp_eq_u32_e64 s[22:23], 0, v3
	v_cndmask_b32_e64 v4, v40, v4, s[2:3]
	v_cmp_lt_i16_e64 s[2:3], -1, v2
	v_cmp_eq_u32_e64 s[26:27], 1, v3
	v_cmp_eq_u32_e64 s[28:29], 2, v3
	v_cndmask_b32_e64 v8, v40, v41, s[2:3]
	v_cmp_o_f16_e64 s[2:3], v7, v7
	v_xor_b32_sdwa v7, v8, v2 dst_sel:DWORD dst_unused:UNUSED_PAD src0_sel:DWORD src1_sel:WORD_0
	v_and_b32_e32 v8, v4, v45
	v_cndmask_b32_e64 v5, v40, v5, s[2:3]
	v_cmp_eq_u32_e64 s[2:3], v9, v35
	v_bfe_u32 v4, v4, v39, 2
	s_and_b64 s[22:23], s[2:3], s[22:23]
	v_cmp_eq_u32_e64 s[30:31], 3, v3
	v_cmp_eq_u32_e64 s[36:37], 0, v4
	;; [unrolled: 1-line block ×5, first 2 shown]
	v_cndmask_b32_e64 v4, 0, 1, s[22:23]
	s_and_b64 s[22:23], s[2:3], s[26:27]
	v_cndmask_b32_e64 v2, v40, v7, s[34:35]
	v_cmp_eq_u32_e64 s[34:35], v8, v35
	v_and_b32_e32 v3, v5, v45
	v_bfe_u32 v5, v5, v39, 2
	v_cndmask_b32_e64 v7, 0, 1, s[22:23]
	s_and_b64 s[22:23], s[2:3], s[28:29]
	s_and_b64 s[2:3], s[2:3], s[30:31]
	v_cndmask_b32_e64 v8, 0, 1, s[22:23]
	v_cndmask_b32_e64 v9, 0, 1, s[2:3]
	v_cmp_eq_u32_e64 s[2:3], v3, v35
	v_and_b32_e32 v3, v2, v45
	v_bfe_u32 v2, v2, v39, 2
	v_cmp_eq_u32_e64 s[22:23], 0, v5
	s_and_b64 s[36:37], s[34:35], s[36:37]
	s_and_b64 s[38:39], s[34:35], s[38:39]
	;; [unrolled: 1-line block ×4, first 2 shown]
	v_cmp_eq_u32_e64 s[26:27], 1, v5
	v_cmp_eq_u32_e64 s[28:29], 2, v5
	;; [unrolled: 1-line block ×3, first 2 shown]
	v_cndmask_b32_e64 v5, 0, 1, s[38:39]
	v_cmp_ne_u32_e64 s[38:39], 0, v8
	v_cndmask_b32_e64 v8, 0, 1, s[34:35]
	v_cmp_eq_u32_e64 s[34:35], v3, v35
	v_cmp_eq_u32_e64 s[42:43], 0, v2
	s_and_b64 s[22:23], s[2:3], s[22:23]
	v_cmp_eq_u32_e64 s[46:47], 1, v2
	v_cmp_eq_u32_e64 s[48:49], 2, v2
	;; [unrolled: 1-line block ×3, first 2 shown]
	v_cndmask_b32_e64 v2, 0, 1, s[22:23]
	s_and_b64 s[26:27], s[2:3], s[26:27]
	s_and_b64 s[28:29], s[2:3], s[28:29]
	;; [unrolled: 1-line block ×4, first 2 shown]
	v_cmp_ne_u32_e64 s[44:45], 0, v4
	v_cndmask_b32_e64 v4, 0, 1, s[36:37]
	v_cmp_ne_u32_e64 s[36:37], 0, v7
	v_cndmask_b32_e64 v7, 0, 1, s[40:41]
	v_cmp_ne_u32_e64 s[40:41], 0, v9
	v_cmp_ne_u32_e64 s[22:23], 0, v5
	v_cndmask_b32_e64 v3, 0, 1, s[26:27]
	v_cndmask_b32_e64 v5, 0, 1, s[2:3]
	v_cmp_ne_u32_e64 s[2:3], 0, v2
	v_cndmask_b32_e64 v2, 0, 1, s[30:31]
	s_and_b64 s[30:31], s[34:35], s[46:47]
	s_bcnt1_i32_b64 s9, s[44:45]
	v_cmp_ne_u32_e64 s[44:45], 0, v4
	s_bcnt1_i32_b64 s36, s[36:37]
	s_bcnt1_i32_b64 s37, s[38:39]
	v_cmp_ne_u32_e64 s[26:27], 0, v7
	v_cndmask_b32_e64 v4, 0, 1, s[28:29]
	s_bcnt1_i32_b64 s38, s[40:41]
	s_bcnt1_i32_b64 s40, s[22:23]
	v_cmp_ne_u32_e64 s[22:23], 0, v3
	v_cndmask_b32_e64 v3, 0, 1, s[30:31]
	s_and_b64 s[30:31], s[34:35], s[48:49]
	v_cmp_ne_u32_e64 s[28:29], 0, v8
	s_bcnt1_i32_b64 s41, s[26:27]
	v_cmp_ne_u32_e64 s[26:27], 0, v4
	v_cndmask_b32_e64 v4, 0, 1, s[30:31]
	s_and_b64 s[30:31], s[34:35], s[50:51]
	s_bcnt1_i32_b64 s39, s[44:45]
	s_add_i32 s9, s58, s9
	s_add_i32 s36, s59, s36
	s_bcnt1_i32_b64 s42, s[28:29]
	v_cmp_ne_u32_e64 s[28:29], 0, v5
	v_cndmask_b32_e64 v5, 0, 1, s[30:31]
	s_add_i32 s30, s56, s37
	s_add_i32 s31, s57, s38
	s_bcnt1_i32_b64 s34, s[2:3]
	v_cmp_ne_u32_e64 s[2:3], 0, v2
	s_bcnt1_i32_b64 s35, s[22:23]
	v_cmp_ne_u32_e64 s[22:23], 0, v3
	s_add_i32 s36, s36, s40
	s_add_i32 s9, s9, s39
	s_bcnt1_i32_b64 s37, s[26:27]
	v_cmp_ne_u32_e64 s[26:27], 0, v4
	s_bcnt1_i32_b64 s38, s[28:29]
	v_cmp_ne_u32_e64 s[28:29], 0, v5
	s_add_i32 s31, s31, s42
	s_add_i32 s30, s30, s41
	s_bcnt1_i32_b64 s2, s[2:3]
	s_bcnt1_i32_b64 s3, s[22:23]
	s_add_i32 s9, s9, s34
	s_add_i32 s22, s36, s35
	s_bcnt1_i32_b64 s23, s[26:27]
	s_bcnt1_i32_b64 s26, s[28:29]
	s_add_i32 s27, s30, s37
	s_add_i32 s28, s31, s38
	;; [unrolled: 1-line block ×6, first 2 shown]
	s_or_b64 s[54:55], vcc, s[54:55]
	v_mov_b64_e32 v[2:3], s[58:59]
	v_mov_b64_e32 v[4:5], s[56:57]
	s_andn2_b64 exec, exec, s[54:55]
	s_cbranch_execnz .LBB130_77
; %bb.78:                               ;   in Loop: Header=BB130_20 Depth=1
	s_or_b64 exec, exec, s[54:55]
.LBB130_79:                             ;   in Loop: Header=BB130_20 Depth=1
	s_or_b64 exec, exec, s[52:53]
	s_and_saveexec_b64 s[8:9], s[18:19]
	s_cbranch_execz .LBB130_85
; %bb.80:                               ;   in Loop: Header=BB130_20 Depth=1
	global_load_ushort v8, v[20:21], off
	s_mov_b64 s[22:23], 0
	v_mov_b32_e32 v14, v36
	v_mov_b32_e32 v6, v29
	s_branch .LBB130_82
.LBB130_81:                             ;   in Loop: Header=BB130_82 Depth=2
	s_or_b64 exec, exec, s[26:27]
	s_and_b64 s[2:3], exec, vcc
	s_waitcnt vmcnt(0)
	v_cmp_lt_i16_e32 vcc, -1, v8
	s_or_b64 s[22:23], s[2:3], s[22:23]
	v_add_u32_e32 v14, s65, v14
	v_cndmask_b32_e32 v9, v40, v41, vcc
	v_xor_b32_sdwa v9, v9, v8 dst_sel:DWORD dst_unused:UNUSED_PAD src0_sel:DWORD src1_sel:WORD_0
	v_cmp_o_f16_e32 vcc, v8, v8
	s_nop 1
	v_cndmask_b32_e32 v8, v40, v9, vcc
	v_and_b32_e32 v9, v8, v45
	v_bfe_u32 v8, v8, v39, 2
	v_cmp_eq_u32_e32 vcc, v9, v35
	v_cmp_eq_u32_e64 s[2:3], 0, v8
	s_and_b64 s[2:3], vcc, s[2:3]
	s_nop 0
	v_cndmask_b32_e64 v9, 0, 1, s[2:3]
	v_cmp_ne_u32_e64 s[2:3], 0, v9
	s_bcnt1_i32_b64 s26, s[2:3]
	v_cmp_eq_u32_e64 s[2:3], 1, v8
	s_and_b64 s[2:3], vcc, s[2:3]
	v_add_u32_e32 v2, s26, v2
	v_cndmask_b32_e64 v9, 0, 1, s[2:3]
	v_cmp_ne_u32_e64 s[2:3], 0, v9
	s_bcnt1_i32_b64 s2, s[2:3]
	s_nop 0
	v_add_u32_e32 v3, s2, v3
	v_cmp_eq_u32_e64 s[2:3], 2, v8
	s_and_b64 s[2:3], vcc, s[2:3]
	s_nop 0
	v_cndmask_b32_e64 v9, 0, 1, s[2:3]
	v_cmp_ne_u32_e64 s[2:3], 0, v9
	s_bcnt1_i32_b64 s26, s[2:3]
	v_cmp_eq_u32_e64 s[2:3], 3, v8
	s_and_b64 s[2:3], vcc, s[2:3]
	v_add_u32_e32 v4, s26, v4
	v_cndmask_b32_e64 v8, 0, 1, s[2:3]
	v_cmp_ne_u32_e32 vcc, 0, v8
	s_bcnt1_i32_b64 s2, vcc
	v_add_u32_e32 v5, s2, v5
	v_mov_b32_e32 v8, v7
	s_andn2_b64 exec, exec, s[22:23]
	s_cbranch_execz .LBB130_84
.LBB130_82:                             ;   Parent Loop BB130_20 Depth=1
                                        ; =>  This Inner Loop Header: Depth=2
	v_add_u32_e32 v6, s67, v6
	v_cmp_gt_u32_e64 s[2:3], s64, v6
	v_cmp_le_u32_e32 vcc, s64, v6
	v_mov_b32_e32 v7, 0
	s_and_saveexec_b64 s[26:27], s[2:3]
	s_cbranch_execz .LBB130_81
; %bb.83:                               ;   in Loop: Header=BB130_82 Depth=2
	v_lshl_add_u64 v[48:49], v[14:15], 1, v[10:11]
	global_load_ushort v7, v[48:49], off
	s_branch .LBB130_81
.LBB130_84:                             ;   in Loop: Header=BB130_20 Depth=1
	s_or_b64 exec, exec, s[22:23]
.LBB130_85:                             ;   in Loop: Header=BB130_20 Depth=1
	s_or_b64 exec, exec, s[8:9]
	s_branch .LBB130_67
.LBB130_86:                             ;   in Loop: Header=BB130_20 Depth=1
	s_mul_hi_u32 s2, s88, s77
	s_mul_i32 s2, s2, s99
	s_sub_i32 s2, s88, s2
	s_sub_i32 s3, s2, s99
	s_cmp_ge_u32 s2, s99
	s_cselect_b32 s2, s3, s2
	s_sub_i32 s3, s2, s99
	s_cmp_ge_u32 s2, s99
	s_cselect_b32 s2, s3, s2
	s_sub_i32 s89, s88, s2
	v_mov_b32_e32 v14, v15
	v_cmp_gt_u32_e32 vcc, s89, v19
	v_mov_b64_e32 v[4:5], v[14:15]
	v_mov_b64_e32 v[2:3], v[14:15]
	s_and_saveexec_b64 s[74:75], vcc
	s_cbranch_execz .LBB130_90
; %bb.87:                               ;   in Loop: Header=BB130_20 Depth=1
	s_mov_b32 s96, 0
	s_mov_b64 s[84:85], 0
	v_mov_b32_e32 v6, v37
	v_mov_b32_e32 v7, v19
	s_mov_b32 s97, s96
	s_mov_b32 s8, s96
	;; [unrolled: 1-line block ×3, first 2 shown]
.LBB130_88:                             ;   Parent Loop BB130_20 Depth=1
                                        ; =>  This Inner Loop Header: Depth=2
	ds_read_b64 v[2:3], v6
	v_add_u32_e32 v7, s99, v7
	v_cmp_le_u32_e32 vcc, s89, v7
	v_add_u32_e32 v6, s82, v6
	s_waitcnt lgkmcnt(0)
	v_cmp_lt_i16_e64 s[2:3], -1, v2
	v_cmp_o_f16_e64 s[22:23], v3, v3
	s_nop 0
	v_cndmask_b32_e64 v4, v40, v41, s[2:3]
	v_cmp_gt_i16_sdwa s[2:3], v2, v42 src0_sel:WORD_1 src1_sel:DWORD
	v_cmp_o_f16_sdwa s[26:27], v3, v3 src0_sel:WORD_1 src1_sel:WORD_1
	v_cmp_o_f16_e64 s[28:29], v2, v2
	v_cndmask_b32_e64 v5, v40, v41, s[2:3]
	v_cmp_lt_i16_e64 s[2:3], -1, v3
	v_xor_b32_sdwa v5, v5, v2 dst_sel:DWORD dst_unused:UNUSED_PAD src0_sel:DWORD src1_sel:WORD_1
	s_nop 0
	v_cndmask_b32_e64 v8, v40, v41, s[2:3]
	v_cmp_gt_i16_sdwa s[2:3], v3, v42 src0_sel:WORD_1 src1_sel:DWORD
	v_bitop3_b32 v8, v8, v3, s98 bitop3:0x78
	s_nop 0
	v_cndmask_b32_e64 v9, v40, v41, s[2:3]
	v_xor_b32_sdwa v9, v9, v3 dst_sel:DWORD dst_unused:UNUSED_PAD src0_sel:DWORD src1_sel:WORD_1
	v_bitop3_b32 v3, v4, v2, s98 bitop3:0x78
	v_cmp_o_f16_sdwa s[2:3], v2, v2 src0_sel:WORD_1 src1_sel:WORD_1
	v_cndmask_b32_e64 v2, v40, v3, s[28:29]
	v_cndmask_b32_e64 v4, v40, v8, s[22:23]
	;; [unrolled: 1-line block ×3, first 2 shown]
	v_and_b32_e32 v8, v2, v45
	v_bfe_u32 v2, v2, v39, 2
	v_cndmask_b32_e64 v5, v40, v9, s[26:27]
	v_and_b32_e32 v9, v3, v45
	v_bfe_u32 v3, v3, v39, 2
	v_cmp_eq_u32_e64 s[2:3], v8, v35
	v_cmp_eq_u32_e64 s[30:31], 0, v2
	v_and_b32_e32 v14, v4, v45
	v_bfe_u32 v4, v4, v39, 2
	v_cmp_eq_u32_e64 s[22:23], v9, v35
	v_cmp_eq_u32_e64 s[34:35], 0, v3
	s_and_b64 s[30:31], s[2:3], s[30:31]
	v_and_b32_e32 v48, v5, v45
	v_bfe_u32 v5, v5, v39, 2
	v_cmp_eq_u32_e64 s[26:27], v14, v35
	v_cmp_eq_u32_e64 s[36:37], 0, v4
	;; [unrolled: 1-line block ×5, first 2 shown]
	v_cndmask_b32_e64 v2, 0, 1, s[30:31]
	s_and_b64 s[30:31], s[22:23], s[34:35]
	v_cmp_eq_u32_e64 s[28:29], v48, v35
	v_cmp_eq_u32_e64 s[38:39], 0, v5
	;; [unrolled: 1-line block ×5, first 2 shown]
	v_cndmask_b32_e64 v3, 0, 1, s[30:31]
	s_and_b64 s[30:31], s[26:27], s[36:37]
	v_cmp_eq_u32_e64 s[44:45], 1, v4
	v_cmp_eq_u32_e64 s[52:53], 2, v4
	;; [unrolled: 1-line block ×3, first 2 shown]
	v_cndmask_b32_e64 v4, 0, 1, s[30:31]
	s_and_b64 s[30:31], s[28:29], s[38:39]
	v_cmp_eq_u32_e64 s[46:47], 1, v5
	v_cmp_eq_u32_e64 s[54:55], 2, v5
	;; [unrolled: 1-line block ×3, first 2 shown]
	v_cndmask_b32_e64 v5, 0, 1, s[30:31]
	s_and_b64 s[30:31], s[2:3], s[40:41]
	v_cndmask_b32_e64 v8, 0, 1, s[30:31]
	s_and_b64 s[30:31], s[22:23], s[42:43]
	;; [unrolled: 2-line block ×5, first 2 shown]
	s_and_b64 s[2:3], s[2:3], s[56:57]
	v_cndmask_b32_e64 v49, 0, 1, s[30:31]
	s_and_b64 s[30:31], s[22:23], s[50:51]
	v_cndmask_b32_e64 v54, 0, 1, s[2:3]
	;; [unrolled: 2-line block ×7, first 2 shown]
	v_cndmask_b32_e64 v57, 0, 1, s[2:3]
	v_cmp_ne_u32_e64 s[2:3], 0, v2
	v_cmp_ne_u32_e64 s[22:23], 0, v3
	;; [unrolled: 1-line block ×11, first 2 shown]
	s_bcnt1_i32_b64 s2, s[2:3]
	s_bcnt1_i32_b64 s3, s[22:23]
	;; [unrolled: 1-line block ×8, first 2 shown]
	v_cmp_ne_u32_e64 s[38:39], 0, v48
	v_cmp_ne_u32_e64 s[44:45], 0, v51
	v_cmp_ne_u32_e64 s[52:53], 0, v56
	s_bcnt1_i32_b64 s27, s[34:35]
	s_bcnt1_i32_b64 s31, s[42:43]
	;; [unrolled: 1-line block ×3, first 2 shown]
	s_add_i32 s2, s96, s2
	s_add_i32 s26, s97, s26
	;; [unrolled: 1-line block ×4, first 2 shown]
	v_cmp_ne_u32_e64 s[46:47], 0, v53
	v_cmp_ne_u32_e64 s[54:55], 0, v57
	s_bcnt1_i32_b64 s29, s[38:39]
	s_bcnt1_i32_b64 s34, s[44:45]
	;; [unrolled: 1-line block ×3, first 2 shown]
	s_add_i32 s26, s26, s27
	s_add_i32 s2, s2, s3
	;; [unrolled: 1-line block ×4, first 2 shown]
	s_bcnt1_i32_b64 s35, s[46:47]
	s_bcnt1_i32_b64 s39, s[54:55]
	s_add_i32 s2, s2, s22
	s_add_i32 s9, s26, s28
	;; [unrolled: 1-line block ×8, first 2 shown]
	s_or_b64 s[84:85], vcc, s[84:85]
	v_mov_b64_e32 v[2:3], s[96:97]
	v_mov_b64_e32 v[4:5], s[8:9]
	s_andn2_b64 exec, exec, s[84:85]
	s_cbranch_execnz .LBB130_88
; %bb.89:                               ;   in Loop: Header=BB130_20 Depth=1
	s_or_b64 exec, exec, s[84:85]
.LBB130_90:                             ;   in Loop: Header=BB130_20 Depth=1
	s_or_b64 exec, exec, s[74:75]
	v_add_u32_e32 v6, s89, v0
	v_cmp_gt_u32_e32 vcc, s88, v6
	s_and_saveexec_b64 s[8:9], vcc
	s_cbranch_execz .LBB130_94
; %bb.91:                               ;   in Loop: Header=BB130_20 Depth=1
	v_lshlrev_b32_e32 v7, 1, v6
	s_mov_b64 s[34:35], 0
.LBB130_92:                             ;   Parent Loop BB130_20 Depth=1
                                        ; =>  This Inner Loop Header: Depth=2
	ds_read_u16 v8, v7
	v_add_u32_e32 v6, s67, v6
	v_cmp_le_u32_e32 vcc, s88, v6
	v_add_u32_e32 v7, s83, v7
	s_waitcnt lgkmcnt(0)
	v_cmp_lt_i16_e64 s[2:3], -1, v8
	s_nop 1
	v_cndmask_b32_e64 v9, v40, v41, s[2:3]
	v_xor_b32_sdwa v9, v9, v8 dst_sel:DWORD dst_unused:UNUSED_PAD src0_sel:DWORD src1_sel:WORD_0
	v_cmp_o_f16_e64 s[2:3], v8, v8
	s_nop 1
	v_cndmask_b32_e64 v8, v40, v9, s[2:3]
	v_and_b32_e32 v9, v8, v45
	v_bfe_u32 v8, v8, v39, 2
	v_cmp_eq_u32_e64 s[2:3], v9, v35
	v_cmp_eq_u32_e64 s[22:23], 0, v8
	;; [unrolled: 1-line block ×3, first 2 shown]
	s_and_b64 s[22:23], s[2:3], s[22:23]
	v_cmp_eq_u32_e64 s[28:29], 2, v8
	v_cmp_eq_u32_e64 s[30:31], 3, v8
	v_cndmask_b32_e64 v8, 0, 1, s[22:23]
	s_and_b64 s[22:23], s[2:3], s[26:27]
	v_cndmask_b32_e64 v9, 0, 1, s[22:23]
	s_and_b64 s[22:23], s[2:3], s[28:29]
	s_and_b64 s[2:3], s[2:3], s[30:31]
	v_cndmask_b32_e64 v14, 0, 1, s[22:23]
	v_cndmask_b32_e64 v48, 0, 1, s[2:3]
	v_cmp_ne_u32_e64 s[2:3], 0, v8
	v_cmp_ne_u32_e64 s[22:23], 0, v9
	;; [unrolled: 1-line block ×4, first 2 shown]
	s_bcnt1_i32_b64 s2, s[2:3]
	s_bcnt1_i32_b64 s3, s[22:23]
	;; [unrolled: 1-line block ×4, first 2 shown]
	v_add_u32_e32 v3, s3, v3
	v_add_u32_e32 v2, s2, v2
	;; [unrolled: 1-line block ×3, first 2 shown]
	s_or_b64 s[34:35], vcc, s[34:35]
	v_add_u32_e32 v4, s22, v4
	s_andn2_b64 exec, exec, s[34:35]
	s_cbranch_execnz .LBB130_92
; %bb.93:                               ;   in Loop: Header=BB130_20 Depth=1
	s_or_b64 exec, exec, s[34:35]
.LBB130_94:                             ;   in Loop: Header=BB130_20 Depth=1
	s_or_b64 exec, exec, s[8:9]
	s_lshl_b32 s22, s21, 6
	s_and_saveexec_b64 s[2:3], s[4:5]
	s_cbranch_execnz .LBB130_68
	s_branch .LBB130_69
.LBB130_95:                             ;   in Loop: Header=BB130_20 Depth=1
	v_mov_b32_e32 v2, 0
	s_mov_b32 s23, 0
	s_cbranch_execnz .LBB130_100
	s_branch .LBB130_102
.LBB130_96:                             ;   in Loop: Header=BB130_20 Depth=1
	v_mov_b32_e32 v14, v15
	s_mov_b32 s8, 0
	v_mov_b64_e32 v[2:3], v[14:15]
	s_mov_b32 s9, 1
.LBB130_97:                             ;   in Loop: Header=BB130_20 Depth=1
	v_readlane_b32 s26, v82, 41
	v_readlane_b32 s27, v82, 42
	s_andn2_b64 vcc, exec, s[26:27]
	v_readlane_b32 s23, v82, 40
	s_cbranch_vccnz .LBB130_99
.LBB130_98:                             ;   Parent Loop BB130_20 Depth=1
                                        ; =>  This Inner Loop Header: Depth=2
	v_lshl_add_u32 v6, s8, 4, v5
	v_lshl_add_u32 v7, s9, 4, v5
	ds_read_b32 v7, v7
	ds_read_b32 v6, v6
	s_add_i32 s9, s9, 2
	s_add_i32 s8, s8, 2
	s_add_i32 s23, s23, -1
	s_cmp_lg_u32 s23, 0
	s_waitcnt lgkmcnt(1)
	v_add_u32_e32 v3, v7, v3
	s_waitcnt lgkmcnt(0)
	v_add_u32_e32 v2, v6, v2
	s_cbranch_scc1 .LBB130_98
.LBB130_99:                             ;   in Loop: Header=BB130_20 Depth=1
	v_readlane_b32 s8, v82, 45
	v_add_u32_e32 v2, v2, v3
	v_readlane_b32 s23, v82, 44
	v_readlane_b32 s9, v82, 46
	s_and_b64 vcc, exec, s[8:9]
	s_cbranch_vccz .LBB130_102
.LBB130_100:                            ;   in Loop: Header=BB130_20 Depth=1
	s_lshl_b32 s8, s21, 8
	s_lshl_b32 s9, s23, 4
	s_add_i32 s8, s8, s9
	v_add_u32_e32 v3, s8, v38
	v_readlane_b32 s8, v82, 43
	s_sub_i32 s8, s8, s23
.LBB130_101:                            ;   Parent Loop BB130_20 Depth=1
                                        ; =>  This Inner Loop Header: Depth=2
	ds_read_b32 v5, v3
	s_add_i32 s8, s8, -1
	v_add_u32_e32 v3, 16, v3
	s_cmp_eq_u32 s8, 0
	s_waitcnt lgkmcnt(0)
	v_add_u32_e32 v2, v5, v2
	s_cbranch_scc0 .LBB130_101
.LBB130_102:                            ;   in Loop: Header=BB130_20 Depth=1
	v_lshlrev_b32_e32 v3, 2, v4
	ds_write_b32 v3, v2 offset:3072
.LBB130_103:                            ;   in Loop: Header=BB130_20 Depth=1
	s_or_b64 exec, exec, s[2:3]
	s_lshl_b32 s2, s22, 2
	v_mov_b32_e32 v2, s2
	s_waitcnt lgkmcnt(0)
	s_barrier
	ds_read_b128 v[2:5], v2 offset:3072
	v_cmp_eq_u32_e32 vcc, 1, v47
	s_mov_b64 s[22:23], -1
	s_mov_b64 s[30:31], -1
                                        ; implicit-def: $sgpr28_sgpr29
                                        ; implicit-def: $sgpr8_sgpr9
	s_waitcnt lgkmcnt(0)
	v_readfirstlane_b32 s44, v2
	s_cmp_eq_u32 s44, 1
	v_lshlrev_b32_e64 v2, v39, 3
	s_cselect_b64 s[2:3], -1, 0
	v_readfirstlane_b32 s48, v3
	v_readfirstlane_b32 s56, v4
	;; [unrolled: 1-line block ×3, first 2 shown]
	v_not_b32_e32 v4, v2
	s_and_b64 s[26:27], s[2:3], vcc
	s_and_saveexec_b64 s[2:3], s[26:27]
	s_cbranch_execz .LBB130_131
; %bb.104:                              ;   in Loop: Header=BB130_20 Depth=1
	ds_read_b32 v3, v15 offset:4104
	s_waitcnt lgkmcnt(0)
	s_barrier
	v_readfirstlane_b32 s45, v3
	s_and_saveexec_b64 s[8:9], s[6:7]
; %bb.105:                              ;   in Loop: Header=BB130_20 Depth=1
	ds_write_b16 v24, v15
; %bb.106:                              ;   in Loop: Header=BB130_20 Depth=1
	s_or_b64 exec, exec, s[8:9]
	v_and_b32_e32 v35, v35, v4
	v_or_b32_e32 v45, v45, v2
	s_mov_b64 s[8:9], -1
	s_mov_b64 s[28:29], 0
	s_cmp_eq_u32 s45, 0
	s_mov_b64 s[30:31], 0
	s_mov_b64 s[34:35], -1
	s_waitcnt lgkmcnt(0)
	s_barrier
                                        ; implicit-def: $vgpr46
	s_cbranch_scc1 .LBB130_118
; %bb.107:                              ;   in Loop: Header=BB130_20 Depth=1
	s_add_i32 s30, s45, s78
	s_mul_hi_u32 s31, s30, s93
	s_mul_i32 s31, s31, s67
	s_sub_i32 s31, s30, s31
	s_sub_i32 s34, s31, s67
	s_cmp_ge_u32 s31, s67
	s_cselect_b32 s31, s34, s31
	s_sub_i32 s34, s31, s67
	s_cmp_ge_u32 s31, s67
	s_cselect_b32 s31, s34, s31
	s_sub_i32 s46, s30, s31
	v_cmp_gt_u32_e32 vcc, s46, v0
	s_mov_b64 s[34:35], 0
	s_mov_b64 s[30:31], 0
                                        ; implicit-def: $vgpr46
	s_and_saveexec_b64 s[36:37], vcc
	s_cbranch_execz .LBB130_117
; %bb.108:                              ;   in Loop: Header=BB130_20 Depth=1
	v_mov_b32_e32 v3, v23
	v_mov_b32_e32 v5, v0
                                        ; implicit-def: $sgpr38_sgpr39
	s_branch .LBB130_112
.LBB130_109:                            ;   in Loop: Header=BB130_112 Depth=2
	s_or_b64 exec, exec, s[40:41]
	s_waitcnt lgkmcnt(0)
	s_barrier
	ds_read_b32 v6, v15 offset:3072
	s_waitcnt lgkmcnt(0)
	s_barrier
	v_cmp_neq_f16_e32 vcc, 0, v6
	s_cbranch_vccnz .LBB130_115
; %bb.110:                              ;   in Loop: Header=BB130_112 Depth=2
	v_add_u32_e32 v5, s67, v5
	v_cmp_le_u32_e32 vcc, s46, v5
	v_add_u32_e32 v3, s83, v3
	s_mov_b64 s[40:41], 0
	s_orn2_b64 s[42:43], vcc, exec
.LBB130_111:                            ;   in Loop: Header=BB130_112 Depth=2
	s_and_b64 s[42:43], exec, s[42:43]
	s_or_b64 s[30:31], s[42:43], s[30:31]
	s_andn2_b64 s[38:39], s[38:39], exec
	s_and_b64 s[40:41], s[40:41], exec
	s_or_b64 s[38:39], s[38:39], s[40:41]
	s_andn2_b64 exec, exec, s[30:31]
	s_cbranch_execz .LBB130_116
.LBB130_112:                            ;   Parent Loop BB130_20 Depth=1
                                        ; =>  This Inner Loop Header: Depth=2
	v_cmp_gt_u32_e32 vcc, s45, v5
	s_and_saveexec_b64 s[40:41], vcc
	s_cbranch_execz .LBB130_109
; %bb.113:                              ;   in Loop: Header=BB130_112 Depth=2
	ds_read_u16 v6, v3
	s_waitcnt lgkmcnt(0)
	v_cmp_lt_i16_e32 vcc, -1, v6
	s_nop 1
	v_cndmask_b32_e32 v7, v40, v41, vcc
	v_xor_b32_sdwa v7, v7, v6 dst_sel:DWORD dst_unused:UNUSED_PAD src0_sel:DWORD src1_sel:WORD_0
	v_cmp_o_f16_e32 vcc, v6, v6
	s_nop 1
	v_cndmask_b32_e32 v7, v40, v7, vcc
	v_and_b32_e32 v7, v7, v45
	v_cmp_eq_u32_e32 vcc, v7, v35
	s_and_b64 exec, exec, vcc
	s_cbranch_execz .LBB130_109
; %bb.114:                              ;   in Loop: Header=BB130_112 Depth=2
	v_perm_b32 v6, v6, s20, v44
	ds_write_b32 v15, v6 offset:3072
	s_branch .LBB130_109
.LBB130_115:                            ;   in Loop: Header=BB130_112 Depth=2
	s_mov_b64 s[42:43], -1
                                        ; implicit-def: $vgpr5
                                        ; implicit-def: $vgpr3
	s_mov_b64 s[40:41], -1
	s_branch .LBB130_111
.LBB130_116:                            ;   in Loop: Header=BB130_20 Depth=1
	s_or_b64 exec, exec, s[30:31]
	v_lshrrev_b32_e32 v46, 16, v6
	s_and_b64 s[30:31], s[38:39], exec
.LBB130_117:                            ;   in Loop: Header=BB130_20 Depth=1
	s_or_b64 exec, exec, s[36:37]
.LBB130_118:                            ;   in Loop: Header=BB130_20 Depth=1
	s_and_b64 vcc, exec, s[34:35]
	s_cbranch_vccz .LBB130_130
; %bb.119:                              ;   in Loop: Header=BB130_20 Depth=1
                                        ; implicit-def: $vgpr46
	s_mov_b64 s[8:9], exec
	v_readlane_b32 s28, v82, 47
	v_readlane_b32 s29, v82, 48
	s_and_b64 s[28:29], s[8:9], s[28:29]
	s_mov_b64 exec, s[28:29]
	s_cbranch_execz .LBB130_129
; %bb.120:                              ;   in Loop: Header=BB130_20 Depth=1
	s_mov_b64 s[28:29], 0
	v_mov_b32_e32 v14, v12
	v_mov_b32_e32 v3, v0
                                        ; implicit-def: $sgpr34_sgpr35
	s_branch .LBB130_124
.LBB130_121:                            ;   in Loop: Header=BB130_124 Depth=2
	s_or_b64 exec, exec, s[36:37]
	s_waitcnt lgkmcnt(0)
	s_barrier
	ds_read_b32 v5, v15 offset:3072
	s_waitcnt lgkmcnt(0)
	s_barrier
	v_cmp_neq_f16_e32 vcc, 0, v5
	s_cbranch_vccnz .LBB130_127
; %bb.122:                              ;   in Loop: Header=BB130_124 Depth=2
	v_add_u32_e32 v3, s67, v3
	v_cmp_le_u32_e32 vcc, s94, v3
	v_add_u32_e32 v14, s65, v14
	s_mov_b64 s[36:37], 0
	s_orn2_b64 s[38:39], vcc, exec
.LBB130_123:                            ;   in Loop: Header=BB130_124 Depth=2
	s_and_b64 s[38:39], exec, s[38:39]
	s_or_b64 s[28:29], s[38:39], s[28:29]
	s_andn2_b64 s[34:35], s[34:35], exec
	s_and_b64 s[36:37], s[36:37], exec
	s_or_b64 s[34:35], s[34:35], s[36:37]
	s_andn2_b64 exec, exec, s[28:29]
	s_cbranch_execz .LBB130_128
.LBB130_124:                            ;   Parent Loop BB130_20 Depth=1
                                        ; =>  This Inner Loop Header: Depth=2
	v_cmp_gt_u32_e32 vcc, s64, v3
	s_and_saveexec_b64 s[36:37], vcc
	s_cbranch_execz .LBB130_121
; %bb.125:                              ;   in Loop: Header=BB130_124 Depth=2
	v_lshl_add_u64 v[6:7], v[14:15], 1, v[10:11]
	global_load_ushort v5, v[6:7], off
	s_waitcnt vmcnt(0)
	v_cmp_lt_i16_e32 vcc, -1, v5
	s_nop 1
	v_cndmask_b32_e32 v6, v40, v41, vcc
	v_xor_b32_sdwa v6, v6, v5 dst_sel:DWORD dst_unused:UNUSED_PAD src0_sel:DWORD src1_sel:WORD_0
	v_cmp_o_f16_e32 vcc, v5, v5
	s_nop 1
	v_cndmask_b32_e32 v6, v40, v6, vcc
	v_and_b32_e32 v6, v6, v45
	v_cmp_eq_u32_e32 vcc, v6, v35
	s_and_b64 exec, exec, vcc
	s_cbranch_execz .LBB130_121
; %bb.126:                              ;   in Loop: Header=BB130_124 Depth=2
	v_perm_b32 v5, v5, s20, v44
	ds_write_b32 v15, v5 offset:3072
	s_branch .LBB130_121
.LBB130_127:                            ;   in Loop: Header=BB130_124 Depth=2
	s_mov_b64 s[38:39], -1
                                        ; implicit-def: $vgpr3
	s_mov_b64 s[36:37], -1
	s_branch .LBB130_123
.LBB130_128:                            ;   in Loop: Header=BB130_20 Depth=1
	s_or_b64 exec, exec, s[28:29]
	s_andn2_b64 s[28:29], s[30:31], exec
	s_and_b64 s[30:31], s[34:35], exec
	v_lshrrev_b32_e32 v46, 16, v5
	s_or_b64 s[30:31], s[28:29], s[30:31]
.LBB130_129:                            ;   in Loop: Header=BB130_20 Depth=1
	s_or_b64 exec, exec, s[8:9]
	s_mov_b64 s[8:9], 0
	s_mov_b64 s[28:29], -1
.LBB130_130:                            ;   in Loop: Header=BB130_20 Depth=1
	s_orn2_b64 s[30:31], s[30:31], exec
.LBB130_131:                            ;   in Loop: Header=BB130_20 Depth=1
	s_or_b64 exec, exec, s[2:3]
	s_andn2_b64 s[2:3], s[14:15], exec
	s_and_b64 s[14:15], s[28:29], exec
	s_or_b64 s[14:15], s[2:3], s[14:15]
	s_andn2_b64 s[2:3], s[12:13], exec
	s_and_b64 s[8:9], s[8:9], exec
	v_readfirstlane_b32 s36, v0
	s_andn2_b64 s[72:73], s[72:73], exec
	s_or_b64 s[12:13], s[2:3], s[8:9]
                                        ; implicit-def: $vgpr5
	s_and_saveexec_b64 s[2:3], s[30:31]
	s_cbranch_execz .LBB130_19
; %bb.132:                              ;   in Loop: Header=BB130_20 Depth=1
	s_xor_b64 s[22:23], s[26:27], -1
	s_mov_b64 s[26:27], 0
	v_mov_b32_e32 v5, 1
	v_mov_b32_e32 v3, 1
	s_and_saveexec_b64 s[8:9], s[22:23]
	s_cbranch_execz .LBB130_141
; %bb.133:                              ;   in Loop: Header=BB130_20 Depth=1
	v_cmp_ge_u32_e32 vcc, s44, v47
	s_and_saveexec_b64 s[22:23], vcc
	s_xor_b64 s[22:23], exec, s[22:23]
	s_cbranch_execz .LBB130_138
; %bb.134:                              ;   in Loop: Header=BB130_20 Depth=1
	ds_read_b32 v3, v15 offset:4104
	v_and_b32_e32 v35, v35, v4
	v_or_b32_e32 v45, v45, v2
	s_waitcnt lgkmcnt(0)
	v_cmp_ne_u32_e32 vcc, 0, v3
	s_cbranch_vccnz .LBB130_138
; %bb.135:                              ;   in Loop: Header=BB130_20 Depth=1
	s_and_saveexec_b64 s[26:27], s[24:25]
; %bb.136:                              ;   in Loop: Header=BB130_20 Depth=1
	v_mov_b32_e32 v3, s44
	ds_write_b32 v15, v3 offset:4108
; %bb.137:                              ;   in Loop: Header=BB130_20 Depth=1
	s_or_b64 exec, exec, s[26:27]
	s_waitcnt lgkmcnt(0)
	s_barrier
.LBB130_138:                            ;   in Loop: Header=BB130_20 Depth=1
	s_or_saveexec_b64 s[22:23], s[22:23]
	s_mov_b64 s[26:27], 0
	v_mov_b32_e32 v3, 8
	s_xor_b64 exec, exec, s[22:23]
; %bb.139:                              ;   in Loop: Header=BB130_20 Depth=1
	s_mov_b64 s[26:27], exec
	v_subrev_u32_e32 v47, s44, v47
	v_mov_b32_e32 v3, 0
; %bb.140:                              ;   in Loop: Header=BB130_20 Depth=1
	s_or_b64 exec, exec, s[22:23]
	s_and_b64 s[26:27], s[26:27], exec
	v_mov_b32_e32 v5, v47
.LBB130_141:                            ;   in Loop: Header=BB130_20 Depth=1
	s_or_b64 exec, exec, s[8:9]
	s_mov_b64 s[22:23], -1
	s_mov_b64 s[8:9], -1
                                        ; implicit-def: $sgpr28_sgpr29
                                        ; implicit-def: $sgpr30_sgpr31
	s_and_saveexec_b64 s[34:35], s[26:27]
	s_xor_b64 s[26:27], exec, s[34:35]
	s_cbranch_execz .LBB130_264
; %bb.142:                              ;   in Loop: Header=BB130_20 Depth=1
	s_cmp_eq_u32 s48, 1
	s_cselect_b64 s[8:9], -1, 0
	v_cmp_eq_u32_e32 vcc, 1, v5
	s_and_b64 s[8:9], s[8:9], vcc
	s_mov_b64 s[36:37], -1
                                        ; implicit-def: $sgpr30_sgpr31
                                        ; implicit-def: $sgpr28_sgpr29
	s_and_saveexec_b64 s[34:35], s[8:9]
	s_cbranch_execz .LBB130_170
; %bb.143:                              ;   in Loop: Header=BB130_20 Depth=1
	ds_read_b32 v6, v15 offset:4104
	s_waitcnt lgkmcnt(0)
	s_barrier
	v_readfirstlane_b32 s49, v6
	s_and_saveexec_b64 s[28:29], s[6:7]
; %bb.144:                              ;   in Loop: Header=BB130_20 Depth=1
	ds_write_b16 v24, v15
; %bb.145:                              ;   in Loop: Header=BB130_20 Depth=1
	s_or_b64 exec, exec, s[28:29]
	v_and_b32_e32 v6, v35, v4
	v_lshl_or_b32 v35, 1, v39, v6
	v_or_b32_e32 v45, v45, v2
	s_mov_b64 s[28:29], -1
	s_mov_b64 s[30:31], 0
	s_cmp_eq_u32 s49, 0
	s_mov_b64 s[36:37], 0
	s_mov_b64 s[38:39], -1
	s_waitcnt lgkmcnt(0)
	s_barrier
                                        ; implicit-def: $vgpr46
	s_cbranch_scc1 .LBB130_157
; %bb.146:                              ;   in Loop: Header=BB130_20 Depth=1
	s_add_i32 s36, s49, s78
	s_mul_hi_u32 s37, s36, s93
	s_mul_i32 s37, s37, s67
	s_sub_i32 s37, s36, s37
	s_sub_i32 s38, s37, s67
	s_cmp_ge_u32 s37, s67
	s_cselect_b32 s37, s38, s37
	s_sub_i32 s38, s37, s67
	s_cmp_ge_u32 s37, s67
	s_cselect_b32 s37, s38, s37
	s_sub_i32 s50, s36, s37
	v_cmp_gt_u32_e32 vcc, s50, v0
	s_mov_b64 s[38:39], 0
	s_mov_b64 s[36:37], 0
                                        ; implicit-def: $vgpr46
	s_and_saveexec_b64 s[40:41], vcc
	s_cbranch_execz .LBB130_156
; %bb.147:                              ;   in Loop: Header=BB130_20 Depth=1
	v_mov_b32_e32 v6, v23
	v_mov_b32_e32 v7, v0
                                        ; implicit-def: $sgpr42_sgpr43
	s_branch .LBB130_151
.LBB130_148:                            ;   in Loop: Header=BB130_151 Depth=2
	s_or_b64 exec, exec, s[44:45]
	s_waitcnt lgkmcnt(0)
	s_barrier
	ds_read_b32 v8, v15 offset:3072
	s_waitcnt lgkmcnt(0)
	s_barrier
	v_cmp_neq_f16_e32 vcc, 0, v8
	s_cbranch_vccnz .LBB130_154
; %bb.149:                              ;   in Loop: Header=BB130_151 Depth=2
	v_add_u32_e32 v7, s67, v7
	v_cmp_le_u32_e32 vcc, s50, v7
	v_add_u32_e32 v6, s83, v6
	s_mov_b64 s[44:45], 0
	s_orn2_b64 s[46:47], vcc, exec
.LBB130_150:                            ;   in Loop: Header=BB130_151 Depth=2
	s_and_b64 s[46:47], exec, s[46:47]
	s_or_b64 s[36:37], s[46:47], s[36:37]
	s_andn2_b64 s[42:43], s[42:43], exec
	s_and_b64 s[44:45], s[44:45], exec
	s_or_b64 s[42:43], s[42:43], s[44:45]
	s_andn2_b64 exec, exec, s[36:37]
	s_cbranch_execz .LBB130_155
.LBB130_151:                            ;   Parent Loop BB130_20 Depth=1
                                        ; =>  This Inner Loop Header: Depth=2
	v_cmp_gt_u32_e32 vcc, s49, v7
	s_and_saveexec_b64 s[44:45], vcc
	s_cbranch_execz .LBB130_148
; %bb.152:                              ;   in Loop: Header=BB130_151 Depth=2
	ds_read_u16 v8, v6
	s_waitcnt lgkmcnt(0)
	v_cmp_lt_i16_e32 vcc, -1, v8
	s_nop 1
	v_cndmask_b32_e32 v9, v40, v41, vcc
	v_xor_b32_sdwa v9, v9, v8 dst_sel:DWORD dst_unused:UNUSED_PAD src0_sel:DWORD src1_sel:WORD_0
	v_cmp_o_f16_e32 vcc, v8, v8
	s_nop 1
	v_cndmask_b32_e32 v9, v40, v9, vcc
	v_and_b32_e32 v9, v9, v45
	v_cmp_eq_u32_e32 vcc, v9, v35
	s_and_b64 exec, exec, vcc
	s_cbranch_execz .LBB130_148
; %bb.153:                              ;   in Loop: Header=BB130_151 Depth=2
	v_perm_b32 v8, v8, s20, v44
	ds_write_b32 v15, v8 offset:3072
	s_branch .LBB130_148
.LBB130_154:                            ;   in Loop: Header=BB130_151 Depth=2
	s_mov_b64 s[46:47], -1
                                        ; implicit-def: $vgpr7
                                        ; implicit-def: $vgpr6
	s_mov_b64 s[44:45], -1
	s_branch .LBB130_150
.LBB130_155:                            ;   in Loop: Header=BB130_20 Depth=1
	s_or_b64 exec, exec, s[36:37]
	v_lshrrev_b32_e32 v46, 16, v8
	s_and_b64 s[36:37], s[42:43], exec
.LBB130_156:                            ;   in Loop: Header=BB130_20 Depth=1
	s_or_b64 exec, exec, s[40:41]
.LBB130_157:                            ;   in Loop: Header=BB130_20 Depth=1
	s_and_b64 vcc, exec, s[38:39]
	s_cbranch_vccz .LBB130_169
; %bb.158:                              ;   in Loop: Header=BB130_20 Depth=1
                                        ; implicit-def: $vgpr46
	s_mov_b64 s[28:29], exec
	v_readlane_b32 s30, v82, 47
	v_readlane_b32 s31, v82, 48
	s_and_b64 s[30:31], s[28:29], s[30:31]
	s_mov_b64 exec, s[30:31]
	s_cbranch_execz .LBB130_168
; %bb.159:                              ;   in Loop: Header=BB130_20 Depth=1
	s_mov_b64 s[30:31], 0
	v_mov_b32_e32 v14, v12
	v_mov_b32_e32 v6, v0
                                        ; implicit-def: $sgpr38_sgpr39
	s_branch .LBB130_163
.LBB130_160:                            ;   in Loop: Header=BB130_163 Depth=2
	s_or_b64 exec, exec, s[40:41]
	s_waitcnt lgkmcnt(0)
	s_barrier
	ds_read_b32 v7, v15 offset:3072
	s_waitcnt lgkmcnt(0)
	s_barrier
	v_cmp_eq_f16_e32 vcc, 0, v7
	s_cbranch_vccz .LBB130_166
; %bb.161:                              ;   in Loop: Header=BB130_163 Depth=2
	v_add_u32_e32 v6, s67, v6
	v_cmp_le_u32_e32 vcc, s94, v6
	v_add_u32_e32 v14, s65, v14
	s_mov_b64 s[40:41], 0
	s_orn2_b64 s[42:43], vcc, exec
.LBB130_162:                            ;   in Loop: Header=BB130_163 Depth=2
	s_and_b64 s[42:43], exec, s[42:43]
	s_or_b64 s[30:31], s[42:43], s[30:31]
	s_andn2_b64 s[38:39], s[38:39], exec
	s_and_b64 s[40:41], s[40:41], exec
	s_or_b64 s[38:39], s[38:39], s[40:41]
	s_andn2_b64 exec, exec, s[30:31]
	s_cbranch_execz .LBB130_167
.LBB130_163:                            ;   Parent Loop BB130_20 Depth=1
                                        ; =>  This Inner Loop Header: Depth=2
	v_cmp_gt_u32_e32 vcc, s64, v6
	s_and_saveexec_b64 s[40:41], vcc
	s_cbranch_execz .LBB130_160
; %bb.164:                              ;   in Loop: Header=BB130_163 Depth=2
	v_lshl_add_u64 v[8:9], v[14:15], 1, v[10:11]
	global_load_ushort v7, v[8:9], off
	s_waitcnt vmcnt(0)
	v_cmp_lt_i16_e32 vcc, -1, v7
	s_nop 1
	v_cndmask_b32_e32 v8, v40, v41, vcc
	v_xor_b32_sdwa v8, v8, v7 dst_sel:DWORD dst_unused:UNUSED_PAD src0_sel:DWORD src1_sel:WORD_0
	v_cmp_o_f16_e32 vcc, v7, v7
	s_nop 1
	v_cndmask_b32_e32 v8, v40, v8, vcc
	v_and_b32_e32 v8, v8, v45
	v_cmp_eq_u32_e32 vcc, v8, v35
	s_and_b64 exec, exec, vcc
	s_cbranch_execz .LBB130_160
; %bb.165:                              ;   in Loop: Header=BB130_163 Depth=2
	v_perm_b32 v7, v7, s20, v44
	ds_write_b32 v15, v7 offset:3072
	s_branch .LBB130_160
.LBB130_166:                            ;   in Loop: Header=BB130_163 Depth=2
	s_mov_b64 s[42:43], -1
                                        ; implicit-def: $vgpr6
	s_mov_b64 s[40:41], -1
	s_branch .LBB130_162
.LBB130_167:                            ;   in Loop: Header=BB130_20 Depth=1
	s_or_b64 exec, exec, s[30:31]
	s_andn2_b64 s[30:31], s[36:37], exec
	s_and_b64 s[36:37], s[38:39], exec
	v_lshrrev_b32_e32 v46, 16, v7
	s_or_b64 s[36:37], s[30:31], s[36:37]
.LBB130_168:                            ;   in Loop: Header=BB130_20 Depth=1
	s_or_b64 exec, exec, s[28:29]
	s_mov_b64 s[28:29], 0
	s_mov_b64 s[30:31], -1
.LBB130_169:                            ;   in Loop: Header=BB130_20 Depth=1
	s_orn2_b64 s[36:37], s[36:37], exec
.LBB130_170:                            ;   in Loop: Header=BB130_20 Depth=1
	s_or_b64 exec, exec, s[34:35]
	s_mov_b64 s[38:39], 0
	s_and_saveexec_b64 s[34:35], s[36:37]
	s_cbranch_execz .LBB130_263
; %bb.171:                              ;   in Loop: Header=BB130_20 Depth=1
	s_xor_b64 s[36:37], s[8:9], -1
	s_mov_b64 s[42:43], 0
	v_mov_b32_e32 v6, 1
	v_mov_b32_e32 v3, 1
	s_and_saveexec_b64 s[8:9], s[36:37]
	s_cbranch_execz .LBB130_180
; %bb.172:                              ;   in Loop: Header=BB130_20 Depth=1
	v_cmp_ge_u32_e32 vcc, s48, v5
	s_and_saveexec_b64 s[36:37], vcc
	s_xor_b64 s[36:37], exec, s[36:37]
	s_cbranch_execz .LBB130_177
; %bb.173:                              ;   in Loop: Header=BB130_20 Depth=1
	ds_read_b32 v3, v15 offset:4104
	v_and_b32_e32 v6, v35, v4
	v_lshl_or_b32 v35, 1, v39, v6
	v_or_b32_e32 v45, v45, v2
	s_waitcnt lgkmcnt(0)
	v_cmp_ne_u32_e32 vcc, 0, v3
	s_cbranch_vccnz .LBB130_177
; %bb.174:                              ;   in Loop: Header=BB130_20 Depth=1
	s_and_saveexec_b64 s[38:39], s[24:25]
; %bb.175:                              ;   in Loop: Header=BB130_20 Depth=1
	v_mov_b32_e32 v3, s48
	ds_write_b32 v15, v3 offset:4108
; %bb.176:                              ;   in Loop: Header=BB130_20 Depth=1
	s_or_b64 exec, exec, s[38:39]
	s_waitcnt lgkmcnt(0)
	s_barrier
.LBB130_177:                            ;   in Loop: Header=BB130_20 Depth=1
	s_or_saveexec_b64 s[36:37], s[36:37]
	s_mov_b64 s[38:39], 0
	v_mov_b32_e32 v3, 8
	s_xor_b64 exec, exec, s[36:37]
; %bb.178:                              ;   in Loop: Header=BB130_20 Depth=1
	s_mov_b64 s[38:39], exec
	v_subrev_u32_e32 v5, s48, v5
	v_mov_b32_e32 v3, 0
; %bb.179:                              ;   in Loop: Header=BB130_20 Depth=1
	s_or_b64 exec, exec, s[36:37]
	s_and_b64 s[42:43], s[38:39], exec
	v_mov_b32_e32 v6, v5
.LBB130_180:                            ;   in Loop: Header=BB130_20 Depth=1
	s_or_b64 exec, exec, s[8:9]
	s_mov_b64 s[8:9], -1
                                        ; implicit-def: $sgpr38_sgpr39
                                        ; implicit-def: $sgpr40_sgpr41
	s_and_saveexec_b64 s[36:37], s[42:43]
	s_cbranch_execz .LBB130_262
; %bb.181:                              ;   in Loop: Header=BB130_20 Depth=1
	s_cmp_eq_u32 s56, 1
	s_cselect_b64 s[8:9], -1, 0
	v_cmp_eq_u32_e32 vcc, 1, v6
	s_and_b64 s[8:9], s[8:9], vcc
	s_mov_b64 s[44:45], -1
                                        ; implicit-def: $sgpr40_sgpr41
                                        ; implicit-def: $sgpr38_sgpr39
	s_and_saveexec_b64 s[42:43], s[8:9]
	s_cbranch_execz .LBB130_209
; %bb.182:                              ;   in Loop: Header=BB130_20 Depth=1
	ds_read_b32 v5, v15 offset:4104
	s_waitcnt lgkmcnt(0)
	s_barrier
	v_readfirstlane_b32 s57, v5
	s_and_saveexec_b64 s[38:39], s[6:7]
; %bb.183:                              ;   in Loop: Header=BB130_20 Depth=1
	ds_write_b16 v24, v15
; %bb.184:                              ;   in Loop: Header=BB130_20 Depth=1
	s_or_b64 exec, exec, s[38:39]
	v_and_b32_e32 v5, v35, v4
	v_lshl_or_b32 v35, 2, v39, v5
	v_or_b32_e32 v45, v45, v2
	s_mov_b64 s[38:39], -1
	s_mov_b64 s[40:41], 0
	s_cmp_eq_u32 s57, 0
	s_mov_b64 s[44:45], 0
	s_mov_b64 s[46:47], -1
	s_waitcnt lgkmcnt(0)
	s_barrier
                                        ; implicit-def: $vgpr46
	s_cbranch_scc1 .LBB130_196
; %bb.185:                              ;   in Loop: Header=BB130_20 Depth=1
	s_add_i32 s44, s57, s78
	s_mul_hi_u32 s45, s44, s93
	s_mul_i32 s45, s45, s67
	s_sub_i32 s45, s44, s45
	s_sub_i32 s46, s45, s67
	s_cmp_ge_u32 s45, s67
	s_cselect_b32 s45, s46, s45
	s_sub_i32 s46, s45, s67
	s_cmp_ge_u32 s45, s67
	s_cselect_b32 s45, s46, s45
	s_sub_i32 s58, s44, s45
	v_cmp_gt_u32_e32 vcc, s58, v0
	s_mov_b64 s[46:47], 0
	s_mov_b64 s[44:45], 0
                                        ; implicit-def: $vgpr46
	s_and_saveexec_b64 s[48:49], vcc
	s_cbranch_execz .LBB130_195
; %bb.186:                              ;   in Loop: Header=BB130_20 Depth=1
	v_mov_b32_e32 v5, v23
	v_mov_b32_e32 v7, v0
                                        ; implicit-def: $sgpr50_sgpr51
	s_branch .LBB130_190
.LBB130_187:                            ;   in Loop: Header=BB130_190 Depth=2
	s_or_b64 exec, exec, s[52:53]
	s_waitcnt lgkmcnt(0)
	s_barrier
	ds_read_b32 v8, v15 offset:3072
	s_waitcnt lgkmcnt(0)
	s_barrier
	v_cmp_neq_f16_e32 vcc, 0, v8
	s_cbranch_vccnz .LBB130_193
; %bb.188:                              ;   in Loop: Header=BB130_190 Depth=2
	v_add_u32_e32 v7, s67, v7
	v_cmp_le_u32_e32 vcc, s58, v7
	v_add_u32_e32 v5, s83, v5
	s_mov_b64 s[52:53], 0
	s_orn2_b64 s[54:55], vcc, exec
.LBB130_189:                            ;   in Loop: Header=BB130_190 Depth=2
	s_and_b64 s[54:55], exec, s[54:55]
	s_or_b64 s[44:45], s[54:55], s[44:45]
	s_andn2_b64 s[50:51], s[50:51], exec
	s_and_b64 s[52:53], s[52:53], exec
	s_or_b64 s[50:51], s[50:51], s[52:53]
	s_andn2_b64 exec, exec, s[44:45]
	s_cbranch_execz .LBB130_194
.LBB130_190:                            ;   Parent Loop BB130_20 Depth=1
                                        ; =>  This Inner Loop Header: Depth=2
	v_cmp_gt_u32_e32 vcc, s57, v7
	s_and_saveexec_b64 s[52:53], vcc
	s_cbranch_execz .LBB130_187
; %bb.191:                              ;   in Loop: Header=BB130_190 Depth=2
	ds_read_u16 v8, v5
	s_waitcnt lgkmcnt(0)
	v_cmp_lt_i16_e32 vcc, -1, v8
	s_nop 1
	v_cndmask_b32_e32 v9, v40, v41, vcc
	v_xor_b32_sdwa v9, v9, v8 dst_sel:DWORD dst_unused:UNUSED_PAD src0_sel:DWORD src1_sel:WORD_0
	v_cmp_o_f16_e32 vcc, v8, v8
	s_nop 1
	v_cndmask_b32_e32 v9, v40, v9, vcc
	v_and_b32_e32 v9, v9, v45
	v_cmp_eq_u32_e32 vcc, v9, v35
	s_and_b64 exec, exec, vcc
	s_cbranch_execz .LBB130_187
; %bb.192:                              ;   in Loop: Header=BB130_190 Depth=2
	v_perm_b32 v8, v8, s20, v44
	ds_write_b32 v15, v8 offset:3072
	s_branch .LBB130_187
.LBB130_193:                            ;   in Loop: Header=BB130_190 Depth=2
	s_mov_b64 s[54:55], -1
                                        ; implicit-def: $vgpr7
                                        ; implicit-def: $vgpr5
	s_mov_b64 s[52:53], -1
	s_branch .LBB130_189
.LBB130_194:                            ;   in Loop: Header=BB130_20 Depth=1
	s_or_b64 exec, exec, s[44:45]
	v_lshrrev_b32_e32 v46, 16, v8
	s_and_b64 s[44:45], s[50:51], exec
.LBB130_195:                            ;   in Loop: Header=BB130_20 Depth=1
	s_or_b64 exec, exec, s[48:49]
.LBB130_196:                            ;   in Loop: Header=BB130_20 Depth=1
	s_and_b64 vcc, exec, s[46:47]
	s_cbranch_vccz .LBB130_208
; %bb.197:                              ;   in Loop: Header=BB130_20 Depth=1
                                        ; implicit-def: $vgpr46
	s_mov_b64 s[38:39], exec
	v_readlane_b32 s40, v82, 47
	v_readlane_b32 s41, v82, 48
	s_and_b64 s[40:41], s[38:39], s[40:41]
	s_mov_b64 exec, s[40:41]
	s_cbranch_execz .LBB130_207
; %bb.198:                              ;   in Loop: Header=BB130_20 Depth=1
	s_mov_b64 s[40:41], 0
	v_mov_b32_e32 v14, v12
	v_mov_b32_e32 v5, v0
                                        ; implicit-def: $sgpr46_sgpr47
	s_branch .LBB130_202
.LBB130_199:                            ;   in Loop: Header=BB130_202 Depth=2
	s_or_b64 exec, exec, s[48:49]
	s_waitcnt lgkmcnt(0)
	s_barrier
	ds_read_b32 v7, v15 offset:3072
	s_waitcnt lgkmcnt(0)
	s_barrier
	v_cmp_eq_f16_e32 vcc, 0, v7
	s_cbranch_vccz .LBB130_205
; %bb.200:                              ;   in Loop: Header=BB130_202 Depth=2
	v_add_u32_e32 v5, s67, v5
	v_cmp_le_u32_e32 vcc, s94, v5
	v_add_u32_e32 v14, s65, v14
	s_mov_b64 s[48:49], 0
	s_orn2_b64 s[50:51], vcc, exec
.LBB130_201:                            ;   in Loop: Header=BB130_202 Depth=2
	s_and_b64 s[50:51], exec, s[50:51]
	s_or_b64 s[40:41], s[50:51], s[40:41]
	s_andn2_b64 s[46:47], s[46:47], exec
	s_and_b64 s[48:49], s[48:49], exec
	s_or_b64 s[46:47], s[46:47], s[48:49]
	s_andn2_b64 exec, exec, s[40:41]
	s_cbranch_execz .LBB130_206
.LBB130_202:                            ;   Parent Loop BB130_20 Depth=1
                                        ; =>  This Inner Loop Header: Depth=2
	v_cmp_gt_u32_e32 vcc, s64, v5
	s_and_saveexec_b64 s[48:49], vcc
	s_cbranch_execz .LBB130_199
; %bb.203:                              ;   in Loop: Header=BB130_202 Depth=2
	v_lshl_add_u64 v[8:9], v[14:15], 1, v[10:11]
	global_load_ushort v7, v[8:9], off
	s_waitcnt vmcnt(0)
	v_cmp_lt_i16_e32 vcc, -1, v7
	s_nop 1
	v_cndmask_b32_e32 v8, v40, v41, vcc
	v_xor_b32_sdwa v8, v8, v7 dst_sel:DWORD dst_unused:UNUSED_PAD src0_sel:DWORD src1_sel:WORD_0
	v_cmp_o_f16_e32 vcc, v7, v7
	s_nop 1
	v_cndmask_b32_e32 v8, v40, v8, vcc
	v_and_b32_e32 v8, v8, v45
	v_cmp_eq_u32_e32 vcc, v8, v35
	s_and_b64 exec, exec, vcc
	s_cbranch_execz .LBB130_199
; %bb.204:                              ;   in Loop: Header=BB130_202 Depth=2
	v_perm_b32 v7, v7, s20, v44
	ds_write_b32 v15, v7 offset:3072
	s_branch .LBB130_199
.LBB130_205:                            ;   in Loop: Header=BB130_202 Depth=2
	s_mov_b64 s[50:51], -1
                                        ; implicit-def: $vgpr5
	s_mov_b64 s[48:49], -1
	s_branch .LBB130_201
.LBB130_206:                            ;   in Loop: Header=BB130_20 Depth=1
	s_or_b64 exec, exec, s[40:41]
	s_andn2_b64 s[40:41], s[44:45], exec
	s_and_b64 s[44:45], s[46:47], exec
	v_lshrrev_b32_e32 v46, 16, v7
	s_or_b64 s[44:45], s[40:41], s[44:45]
.LBB130_207:                            ;   in Loop: Header=BB130_20 Depth=1
	s_or_b64 exec, exec, s[38:39]
	s_mov_b64 s[38:39], 0
	s_mov_b64 s[40:41], -1
.LBB130_208:                            ;   in Loop: Header=BB130_20 Depth=1
	s_orn2_b64 s[44:45], s[44:45], exec
.LBB130_209:                            ;   in Loop: Header=BB130_20 Depth=1
	s_or_b64 exec, exec, s[42:43]
	s_mov_b64 s[46:47], 0
	s_and_saveexec_b64 s[42:43], s[44:45]
	s_cbranch_execz .LBB130_261
; %bb.210:                              ;   in Loop: Header=BB130_20 Depth=1
	s_xor_b64 s[44:45], s[8:9], -1
	s_mov_b64 s[50:51], 0
	v_mov_b32_e32 v5, 1
	v_mov_b32_e32 v3, 1
	s_and_saveexec_b64 s[8:9], s[44:45]
	s_cbranch_execz .LBB130_219
; %bb.211:                              ;   in Loop: Header=BB130_20 Depth=1
	v_cmp_ge_u32_e32 vcc, s56, v6
	s_and_saveexec_b64 s[44:45], vcc
	s_xor_b64 s[44:45], exec, s[44:45]
	s_cbranch_execz .LBB130_216
; %bb.212:                              ;   in Loop: Header=BB130_20 Depth=1
	ds_read_b32 v3, v15 offset:4104
	v_and_b32_e32 v4, v35, v4
	v_lshl_or_b32 v35, 2, v39, v4
	v_or_b32_e32 v45, v45, v2
	s_waitcnt lgkmcnt(0)
	v_cmp_ne_u32_e32 vcc, 0, v3
	s_cbranch_vccnz .LBB130_216
; %bb.213:                              ;   in Loop: Header=BB130_20 Depth=1
	s_and_saveexec_b64 s[46:47], s[24:25]
; %bb.214:                              ;   in Loop: Header=BB130_20 Depth=1
	v_mov_b32_e32 v3, s56
	ds_write_b32 v15, v3 offset:4108
; %bb.215:                              ;   in Loop: Header=BB130_20 Depth=1
	s_or_b64 exec, exec, s[46:47]
	s_waitcnt lgkmcnt(0)
	s_barrier
.LBB130_216:                            ;   in Loop: Header=BB130_20 Depth=1
	s_or_saveexec_b64 s[44:45], s[44:45]
	s_mov_b64 s[46:47], 0
	v_mov_b32_e32 v3, 8
	s_xor_b64 exec, exec, s[44:45]
; %bb.217:                              ;   in Loop: Header=BB130_20 Depth=1
	s_mov_b64 s[46:47], exec
	v_subrev_u32_e32 v6, s56, v6
	v_mov_b32_e32 v3, 0
; %bb.218:                              ;   in Loop: Header=BB130_20 Depth=1
	s_or_b64 exec, exec, s[44:45]
	s_and_b64 s[50:51], s[46:47], exec
	v_mov_b32_e32 v5, v6
.LBB130_219:                            ;   in Loop: Header=BB130_20 Depth=1
	s_or_b64 exec, exec, s[8:9]
	s_mov_b64 s[48:49], -1
                                        ; implicit-def: $sgpr8_sgpr9
                                        ; implicit-def: $sgpr46_sgpr47
	s_and_saveexec_b64 s[44:45], s[50:51]
	s_cbranch_execz .LBB130_260
; %bb.220:                              ;   in Loop: Header=BB130_20 Depth=1
	s_cmp_eq_u32 s74, 1
	s_cselect_b64 s[8:9], -1, 0
	v_cmp_eq_u32_e32 vcc, 1, v5
	s_and_b64 s[48:49], s[8:9], vcc
	s_mov_b64 s[52:53], -1
                                        ; implicit-def: $sgpr8_sgpr9
                                        ; implicit-def: $sgpr46_sgpr47
	s_and_saveexec_b64 s[50:51], s[48:49]
	s_cbranch_execz .LBB130_248
; %bb.221:                              ;   in Loop: Header=BB130_20 Depth=1
	ds_read_b32 v4, v15 offset:4104
	s_waitcnt lgkmcnt(0)
	s_barrier
	v_readfirstlane_b32 s75, v4
	s_and_saveexec_b64 s[8:9], s[6:7]
; %bb.222:                              ;   in Loop: Header=BB130_20 Depth=1
	ds_write_b16 v24, v15
; %bb.223:                              ;   in Loop: Header=BB130_20 Depth=1
	s_or_b64 exec, exec, s[8:9]
	v_or_b32_e32 v35, v35, v2
	v_or_b32_e32 v45, v45, v2
	s_mov_b64 s[46:47], -1
	s_mov_b64 s[8:9], 0
	s_cmp_eq_u32 s75, 0
	s_mov_b64 s[52:53], 0
	s_mov_b64 s[54:55], -1
	s_waitcnt lgkmcnt(0)
	s_barrier
                                        ; implicit-def: $vgpr46
	s_cbranch_scc1 .LBB130_235
; %bb.224:                              ;   in Loop: Header=BB130_20 Depth=1
	s_add_i32 s52, s75, s78
	s_mul_hi_u32 s53, s52, s93
	s_mul_i32 s53, s53, s67
	s_sub_i32 s53, s52, s53
	s_sub_i32 s54, s53, s67
	s_cmp_ge_u32 s53, s67
	s_cselect_b32 s53, s54, s53
	s_sub_i32 s54, s53, s67
	s_cmp_ge_u32 s53, s67
	s_cselect_b32 s53, s54, s53
	s_sub_i32 s84, s52, s53
	v_cmp_gt_u32_e32 vcc, s84, v0
	s_mov_b64 s[54:55], 0
	s_mov_b64 s[52:53], 0
                                        ; implicit-def: $vgpr46
	s_and_saveexec_b64 s[56:57], vcc
	s_cbranch_execz .LBB130_234
; %bb.225:                              ;   in Loop: Header=BB130_20 Depth=1
	v_mov_b32_e32 v4, v23
	v_mov_b32_e32 v6, v0
                                        ; implicit-def: $sgpr58_sgpr59
	s_branch .LBB130_229
.LBB130_226:                            ;   in Loop: Header=BB130_229 Depth=2
	s_or_b64 exec, exec, s[60:61]
	s_waitcnt lgkmcnt(0)
	s_barrier
	ds_read_b32 v7, v15 offset:3072
	s_waitcnt lgkmcnt(0)
	s_barrier
	v_cmp_neq_f16_e32 vcc, 0, v7
	s_cbranch_vccnz .LBB130_232
; %bb.227:                              ;   in Loop: Header=BB130_229 Depth=2
	v_add_u32_e32 v6, s67, v6
	v_cmp_le_u32_e32 vcc, s84, v6
	v_add_u32_e32 v4, s83, v4
	s_mov_b64 s[60:61], 0
	s_orn2_b64 s[62:63], vcc, exec
.LBB130_228:                            ;   in Loop: Header=BB130_229 Depth=2
	s_and_b64 s[62:63], exec, s[62:63]
	s_or_b64 s[52:53], s[62:63], s[52:53]
	s_andn2_b64 s[58:59], s[58:59], exec
	s_and_b64 s[60:61], s[60:61], exec
	s_or_b64 s[58:59], s[58:59], s[60:61]
	s_andn2_b64 exec, exec, s[52:53]
	s_cbranch_execz .LBB130_233
.LBB130_229:                            ;   Parent Loop BB130_20 Depth=1
                                        ; =>  This Inner Loop Header: Depth=2
	v_cmp_gt_u32_e32 vcc, s75, v6
	s_and_saveexec_b64 s[60:61], vcc
	s_cbranch_execz .LBB130_226
; %bb.230:                              ;   in Loop: Header=BB130_229 Depth=2
	ds_read_u16 v7, v4
	s_waitcnt lgkmcnt(0)
	v_cmp_lt_i16_e32 vcc, -1, v7
	s_nop 1
	v_cndmask_b32_e32 v8, v40, v41, vcc
	v_xor_b32_sdwa v8, v8, v7 dst_sel:DWORD dst_unused:UNUSED_PAD src0_sel:DWORD src1_sel:WORD_0
	v_cmp_o_f16_e32 vcc, v7, v7
	s_nop 1
	v_cndmask_b32_e32 v8, v40, v8, vcc
	v_and_b32_e32 v8, v8, v45
	v_cmp_eq_u32_e32 vcc, v8, v35
	s_and_b64 exec, exec, vcc
	s_cbranch_execz .LBB130_226
; %bb.231:                              ;   in Loop: Header=BB130_229 Depth=2
	v_perm_b32 v7, v7, s20, v44
	ds_write_b32 v15, v7 offset:3072
	s_branch .LBB130_226
.LBB130_232:                            ;   in Loop: Header=BB130_229 Depth=2
	s_mov_b64 s[62:63], -1
                                        ; implicit-def: $vgpr6
                                        ; implicit-def: $vgpr4
	s_mov_b64 s[60:61], -1
	s_branch .LBB130_228
.LBB130_233:                            ;   in Loop: Header=BB130_20 Depth=1
	s_or_b64 exec, exec, s[52:53]
	v_lshrrev_b32_e32 v46, 16, v7
	s_and_b64 s[52:53], s[58:59], exec
.LBB130_234:                            ;   in Loop: Header=BB130_20 Depth=1
	s_or_b64 exec, exec, s[56:57]
.LBB130_235:                            ;   in Loop: Header=BB130_20 Depth=1
	s_and_b64 vcc, exec, s[54:55]
	s_cbranch_vccz .LBB130_247
; %bb.236:                              ;   in Loop: Header=BB130_20 Depth=1
                                        ; implicit-def: $vgpr46
	s_mov_b64 s[8:9], exec
	v_readlane_b32 s46, v82, 47
	v_readlane_b32 s47, v82, 48
	s_and_b64 s[46:47], s[8:9], s[46:47]
	s_mov_b64 exec, s[46:47]
	s_cbranch_execz .LBB130_246
; %bb.237:                              ;   in Loop: Header=BB130_20 Depth=1
	s_mov_b64 s[46:47], 0
	v_mov_b32_e32 v14, v12
	v_mov_b32_e32 v4, v0
                                        ; implicit-def: $sgpr54_sgpr55
	s_branch .LBB130_241
.LBB130_238:                            ;   in Loop: Header=BB130_241 Depth=2
	s_or_b64 exec, exec, s[56:57]
	s_waitcnt lgkmcnt(0)
	s_barrier
	ds_read_b32 v6, v15 offset:3072
	s_waitcnt lgkmcnt(0)
	s_barrier
	v_cmp_eq_f16_e32 vcc, 0, v6
	s_cbranch_vccz .LBB130_244
; %bb.239:                              ;   in Loop: Header=BB130_241 Depth=2
	v_add_u32_e32 v4, s67, v4
	v_cmp_le_u32_e32 vcc, s94, v4
	v_add_u32_e32 v14, s65, v14
	s_mov_b64 s[56:57], 0
	s_orn2_b64 s[58:59], vcc, exec
.LBB130_240:                            ;   in Loop: Header=BB130_241 Depth=2
	s_and_b64 s[58:59], exec, s[58:59]
	s_or_b64 s[46:47], s[58:59], s[46:47]
	s_andn2_b64 s[54:55], s[54:55], exec
	s_and_b64 s[56:57], s[56:57], exec
	s_or_b64 s[54:55], s[54:55], s[56:57]
	s_andn2_b64 exec, exec, s[46:47]
	s_cbranch_execz .LBB130_245
.LBB130_241:                            ;   Parent Loop BB130_20 Depth=1
                                        ; =>  This Inner Loop Header: Depth=2
	v_cmp_gt_u32_e32 vcc, s64, v4
	s_and_saveexec_b64 s[56:57], vcc
	s_cbranch_execz .LBB130_238
; %bb.242:                              ;   in Loop: Header=BB130_241 Depth=2
	v_lshl_add_u64 v[6:7], v[14:15], 1, v[10:11]
	global_load_ushort v6, v[6:7], off
	s_waitcnt vmcnt(0)
	v_cmp_lt_i16_e32 vcc, -1, v6
	s_nop 1
	v_cndmask_b32_e32 v7, v40, v41, vcc
	v_xor_b32_sdwa v7, v7, v6 dst_sel:DWORD dst_unused:UNUSED_PAD src0_sel:DWORD src1_sel:WORD_0
	v_cmp_o_f16_e32 vcc, v6, v6
	s_nop 1
	v_cndmask_b32_e32 v7, v40, v7, vcc
	v_and_b32_e32 v7, v7, v45
	v_cmp_eq_u32_e32 vcc, v7, v35
	s_and_b64 exec, exec, vcc
	s_cbranch_execz .LBB130_238
; %bb.243:                              ;   in Loop: Header=BB130_241 Depth=2
	v_perm_b32 v6, v6, s20, v44
	ds_write_b32 v15, v6 offset:3072
	s_branch .LBB130_238
.LBB130_244:                            ;   in Loop: Header=BB130_241 Depth=2
	s_mov_b64 s[58:59], -1
                                        ; implicit-def: $vgpr4
	s_mov_b64 s[56:57], -1
	s_branch .LBB130_240
.LBB130_245:                            ;   in Loop: Header=BB130_20 Depth=1
	s_or_b64 exec, exec, s[46:47]
	s_andn2_b64 s[46:47], s[52:53], exec
	s_and_b64 s[52:53], s[54:55], exec
	v_lshrrev_b32_e32 v46, 16, v6
	s_or_b64 s[52:53], s[46:47], s[52:53]
.LBB130_246:                            ;   in Loop: Header=BB130_20 Depth=1
	s_or_b64 exec, exec, s[8:9]
	s_mov_b64 s[46:47], 0
	s_mov_b64 s[8:9], -1
.LBB130_247:                            ;   in Loop: Header=BB130_20 Depth=1
	s_orn2_b64 s[52:53], s[52:53], exec
.LBB130_248:                            ;   in Loop: Header=BB130_20 Depth=1
	s_or_b64 exec, exec, s[50:51]
	s_mov_b64 s[54:55], 0
	s_and_saveexec_b64 s[50:51], s[52:53]
	s_cbranch_execz .LBB130_259
; %bb.249:                              ;   in Loop: Header=BB130_20 Depth=1
	s_xor_b64 s[52:53], s[48:49], -1
	v_mov_b32_e32 v3, 1
	v_mov_b32_e32 v4, 1
	s_and_saveexec_b64 s[48:49], s[52:53]
	s_cbranch_execz .LBB130_258
; %bb.250:                              ;   in Loop: Header=BB130_20 Depth=1
	v_cmp_ge_u32_e32 vcc, s74, v5
	s_and_saveexec_b64 s[52:53], vcc
	s_xor_b64 s[52:53], exec, s[52:53]
	s_cbranch_execz .LBB130_255
; %bb.251:                              ;   in Loop: Header=BB130_20 Depth=1
	ds_read_b32 v3, v15 offset:4104
	v_or_b32_e32 v35, v35, v2
	v_or_b32_e32 v45, v45, v2
	s_waitcnt lgkmcnt(0)
	v_cmp_ne_u32_e32 vcc, 0, v3
	s_cbranch_vccnz .LBB130_255
; %bb.252:                              ;   in Loop: Header=BB130_20 Depth=1
	s_and_saveexec_b64 s[54:55], s[24:25]
; %bb.253:                              ;   in Loop: Header=BB130_20 Depth=1
	v_mov_b32_e32 v2, s74
	ds_write_b32 v15, v2 offset:4108
; %bb.254:                              ;   in Loop: Header=BB130_20 Depth=1
	s_or_b64 exec, exec, s[54:55]
	s_waitcnt lgkmcnt(0)
	s_barrier
.LBB130_255:                            ;   in Loop: Header=BB130_20 Depth=1
	s_andn2_saveexec_b64 s[52:53], s[52:53]
; %bb.256:                              ;   in Loop: Header=BB130_20 Depth=1
	v_subrev_u32_e32 v5, s74, v5
; %bb.257:                              ;   in Loop: Header=BB130_20 Depth=1
	s_or_b64 exec, exec, s[52:53]
	v_mov_b32_e32 v3, 8
	v_mov_b32_e32 v4, v5
.LBB130_258:                            ;   in Loop: Header=BB130_20 Depth=1
	s_or_b64 exec, exec, s[48:49]
	s_mov_b64 s[54:55], exec
	v_mov_b32_e32 v5, v4
.LBB130_259:                            ;   in Loop: Header=BB130_20 Depth=1
	s_or_b64 exec, exec, s[50:51]
	s_orn2_b64 s[48:49], s[54:55], exec
.LBB130_260:                            ;   in Loop: Header=BB130_20 Depth=1
	s_or_b64 exec, exec, s[44:45]
	s_andn2_b64 s[40:41], s[40:41], exec
	s_and_b64 s[8:9], s[8:9], exec
	s_or_b64 s[40:41], s[40:41], s[8:9]
	s_andn2_b64 s[8:9], s[38:39], exec
	s_and_b64 s[38:39], s[46:47], exec
	s_or_b64 s[38:39], s[8:9], s[38:39]
	s_and_b64 s[46:47], s[48:49], exec
	v_mov_b32_e32 v6, v5
.LBB130_261:                            ;   in Loop: Header=BB130_20 Depth=1
	s_or_b64 exec, exec, s[42:43]
	s_orn2_b64 s[8:9], s[46:47], exec
.LBB130_262:                            ;   in Loop: Header=BB130_20 Depth=1
	s_or_b64 exec, exec, s[36:37]
	s_andn2_b64 s[30:31], s[30:31], exec
	s_and_b64 s[36:37], s[40:41], exec
	s_or_b64 s[30:31], s[30:31], s[36:37]
	s_andn2_b64 s[28:29], s[28:29], exec
	s_and_b64 s[36:37], s[38:39], exec
	s_or_b64 s[28:29], s[28:29], s[36:37]
	s_and_b64 s[38:39], s[8:9], exec
	v_mov_b32_e32 v5, v6
.LBB130_263:                            ;   in Loop: Header=BB130_20 Depth=1
	s_or_b64 exec, exec, s[34:35]
	s_orn2_b64 s[8:9], s[38:39], exec
.LBB130_264:                            ;   in Loop: Header=BB130_20 Depth=1
	s_or_b64 exec, exec, s[26:27]
	s_mov_b64 s[26:27], 0
                                        ; implicit-def: $sgpr36
	s_and_saveexec_b64 s[34:35], s[8:9]
	s_xor_b64 s[8:9], exec, s[34:35]
	s_cbranch_execz .LBB130_18
; %bb.265:                              ;   in Loop: Header=BB130_20 Depth=1
	v_and_b32_e32 v2, 7, v3
	v_cmp_eq_u32_e32 vcc, 0, v2
	s_mov_b64 s[22:23], -1
	s_mov_b64 s[26:27], -1
                                        ; implicit-def: $sgpr36
	s_and_saveexec_b64 s[34:35], vcc
	s_cbranch_execz .LBB130_17
; %bb.266:                              ;   in Loop: Header=BB130_20 Depth=1
	v_add_u32_e32 v2, -2, v39
	v_cmp_eq_u32_e32 vcc, 0, v39
	s_xor_b32 s36, s21, 1
	s_xor_b64 s[26:27], exec, -1
	s_orn2_b64 s[22:23], vcc, exec
	v_mov_b32_e32 v39, v2
	s_branch .LBB130_17
.LBB130_267:
	s_or_b64 exec, exec, s[68:69]
	s_xor_b64 s[8:9], s[10:11], -1
	s_xor_b64 s[0:1], s[70:71], -1
	s_xor_b64 s[6:7], s[80:81], -1
	s_mov_b64 s[4:5], 0
	s_and_saveexec_b64 s[2:3], s[0:1]
	s_xor_b64 s[2:3], exec, s[2:3]
	s_cbranch_execnz .LBB130_272
; %bb.268:
	s_andn2_saveexec_b64 s[0:1], s[2:3]
	s_cbranch_execnz .LBB130_285
.LBB130_269:
	s_or_b64 exec, exec, s[0:1]
	s_and_saveexec_b64 s[0:1], s[4:5]
.LBB130_270:
	; divergent unreachable
.LBB130_271:
	s_endpgm
.LBB130_272:
	s_and_saveexec_b64 s[0:1], s[8:9]
	s_xor_b64 s[4:5], exec, s[0:1]
	s_cbranch_execz .LBB130_283
; %bb.273:
	s_and_saveexec_b64 s[0:1], s[6:7]
	s_xor_b64 s[6:7], exec, s[0:1]
; %bb.274:
	v_and_b32_e32 v1, 0x8000, v35
	v_mov_b32_e32 v2, 0x8000
	v_mov_b32_e32 v3, 0xffff
	v_cmp_eq_u32_e32 vcc, 0, v1
	s_nop 1
	v_cndmask_b32_e32 v1, v2, v3, vcc
	v_xor_b32_e32 v46, v1, v35
; %bb.275:
	s_or_b64 exec, exec, s[6:7]
	v_readlane_b32 s8, v82, 13
	v_readlane_b32 s9, v82, 14
	;; [unrolled: 1-line block ×3, first 2 shown]
	s_mul_i32 s0, s10, s9
	v_readlane_b32 s1, v82, 12
	v_readlane_b32 s9, v82, 16
	s_sub_i32 s0, s1, s0
	s_mul_i32 s1, s9, s8
	s_sub_i32 s1, s10, s1
	s_add_i32 s6, s9, 1
	s_sub_i32 s7, s1, s8
	s_cmp_ge_u32 s1, s8
	s_cselect_b32 s6, s6, s9
	s_cselect_b32 s1, s7, s1
	s_add_i32 s7, s6, 1
	s_cmp_ge_u32 s1, s8
	s_cselect_b32 s1, s7, s6
	v_readlane_b32 s12, v82, 8
	s_mul_i32 s6, s1, s8
	v_readlane_b32 s13, v82, 9
	v_readlane_b32 s14, v82, 10
	s_sub_i32 s6, s10, s6
	s_mul_i32 s0, s0, s14
	s_mul_i32 s6, s6, s13
	s_add_i32 s0, s6, s0
	s_mul_i32 s1, s1, s12
	s_add_i32 s0, s0, s1
	s_mov_b32 s1, 0
	s_lshl_b64 s[0:1], s[0:1], 1
	v_readlane_b32 s6, v82, 0
	v_readlane_b32 s7, v82, 1
	s_add_u32 s0, s6, s0
	s_addc_u32 s1, s7, s1
	v_mov_b32_e32 v13, 0
	v_readlane_b32 s15, v82, 11
	global_store_short v13, v46, s[0:1]
	s_mov_b64 s[6:7], exec
	v_readlane_b32 s0, v82, 21
	v_readlane_b32 s1, v82, 22
	s_and_b64 s[0:1], s[6:7], s[0:1]
	s_mov_b64 exec, s[0:1]
	s_cbranch_execz .LBB130_282
; %bb.276:
	v_cmp_u_f16_e32 vcc, v46, v46
	s_mov_b64 s[8:9], 0
	s_xor_b64 s[12:13], vcc, -1
                                        ; implicit-def: $sgpr10_sgpr11
                                        ; implicit-def: $sgpr16_sgpr17
                                        ; implicit-def: $sgpr14_sgpr15
	s_branch .LBB130_278
.LBB130_277:                            ;   in Loop: Header=BB130_278 Depth=1
	s_or_b64 exec, exec, s[0:1]
	s_and_b64 s[0:1], exec, s[16:17]
	s_or_b64 s[8:9], s[0:1], s[8:9]
	s_andn2_b64 s[0:1], s[10:11], exec
	s_and_b64 s[10:11], s[14:15], exec
	s_or_b64 s[10:11], s[0:1], s[10:11]
	s_andn2_b64 exec, exec, s[8:9]
	s_cbranch_execz .LBB130_280
.LBB130_278:                            ; =>This Inner Loop Header: Depth=1
	v_lshl_add_u64 v[2:3], v[12:13], 1, v[10:11]
	global_load_ushort v1, v[2:3], off
	v_mov_b32_e32 v2, v0
	s_or_b64 s[14:15], s[14:15], exec
	s_or_b64 s[16:17], s[16:17], exec
                                        ; implicit-def: $vgpr0
	s_waitcnt vmcnt(0)
	v_cmp_o_f16_e64 s[0:1], v1, v1
	v_cmp_neq_f16_e32 vcc, v1, v46
	s_or_b64 s[0:1], s[12:13], s[0:1]
	s_and_b64 s[18:19], vcc, s[0:1]
	s_and_saveexec_b64 s[0:1], s[18:19]
	s_cbranch_execz .LBB130_277
; %bb.279:                              ;   in Loop: Header=BB130_278 Depth=1
	v_add_u32_e32 v0, s67, v2
	v_cmp_le_u32_e32 vcc, s64, v0
	s_andn2_b64 s[16:17], s[16:17], exec
	s_and_b64 s[18:19], vcc, exec
	v_add_u32_e32 v12, s65, v12
	s_andn2_b64 s[14:15], s[14:15], exec
	s_or_b64 s[16:17], s[16:17], s[18:19]
	s_branch .LBB130_277
.LBB130_280:
	s_or_b64 exec, exec, s[8:9]
	s_and_saveexec_b64 s[0:1], s[10:11]
	s_xor_b64 s[0:1], exec, s[0:1]
	s_cbranch_execz .LBB130_282
; %bb.281:
	v_readlane_b32 s8, v82, 2
	v_readlane_b32 s16, v82, 17
	;; [unrolled: 1-line block ×6, first 2 shown]
	s_mov_b32 s14, s10
	s_mul_i32 s0, s15, s17
	v_readlane_b32 s1, v82, 12
	s_mov_b64 s[12:13], s[8:9]
	v_readlane_b32 s10, v82, 20
	s_sub_i32 s0, s1, s0
	s_mul_i32 s1, s10, s16
	s_sub_i32 s1, s15, s1
	s_add_i32 s8, s10, 1
	s_sub_i32 s9, s1, s16
	s_cmp_ge_u32 s1, s16
	s_cselect_b32 s8, s8, s10
	s_cselect_b32 s1, s9, s1
	s_add_i32 s9, s8, 1
	s_cmp_ge_u32 s1, s16
	s_cselect_b32 s1, s9, s8
	s_mul_i32 s8, s1, s16
	s_sub_i32 s8, s15, s8
	s_mul_i32 s0, s0, s14
	s_mul_i32 s8, s8, s13
	s_add_i32 s0, s8, s0
	s_mul_i32 s1, s1, s12
	s_add_i32 s0, s0, s1
	s_mov_b32 s1, 0
	s_lshl_b64 s[0:1], s[0:1], 3
	v_readlane_b32 s8, v82, 6
	v_readlane_b32 s9, v82, 7
	s_add_u32 s0, s8, s0
	s_addc_u32 s1, s9, s1
	v_mov_b32_e32 v3, 0
	v_readlane_b32 s11, v82, 5
	global_store_dwordx2 v3, v[2:3], s[0:1]
.LBB130_282:
	s_or_b64 exec, exec, s[6:7]
.LBB130_283:
	s_or_saveexec_b64 s[0:1], s[4:5]
	s_mov_b64 s[4:5], 0
	s_xor_b64 exec, exec, s[0:1]
	s_cbranch_execnz .LBB130_286
.LBB130_284:
	s_or_b64 exec, exec, s[0:1]
	s_and_b64 s[4:5], s[4:5], exec
	s_andn2_saveexec_b64 s[0:1], s[2:3]
	s_cbranch_execz .LBB130_269
.LBB130_285:
	s_or_b64 s[4:5], s[4:5], exec
	s_trap 2
	s_or_b64 exec, exec, s[0:1]
	s_and_saveexec_b64 s[0:1], s[4:5]
	s_cbranch_execnz .LBB130_270
	s_branch .LBB130_271
.LBB130_286:
	s_mov_b64 s[4:5], exec
	s_trap 2
	s_branch .LBB130_284
	.section	.rodata,"a",@progbits
	.p2align	6, 0x0
	.amdhsa_kernel _ZN2at6native12_GLOBAL__N_112gatherMedianIN3c104HalfEjLi3EEEvNS_4cuda6detail10TensorInfoIT_T0_EENS7_IlS9_EENS7_IKS8_S9_EES9_S9_S9_b
		.amdhsa_group_segment_fixed_size 4120
		.amdhsa_private_segment_fixed_size 0
		.amdhsa_kernarg_size 920
		.amdhsa_user_sgpr_count 2
		.amdhsa_user_sgpr_dispatch_ptr 0
		.amdhsa_user_sgpr_queue_ptr 0
		.amdhsa_user_sgpr_kernarg_segment_ptr 1
		.amdhsa_user_sgpr_dispatch_id 0
		.amdhsa_user_sgpr_kernarg_preload_length 0
		.amdhsa_user_sgpr_kernarg_preload_offset 0
		.amdhsa_user_sgpr_private_segment_size 0
		.amdhsa_uses_dynamic_stack 0
		.amdhsa_enable_private_segment 0
		.amdhsa_system_sgpr_workgroup_id_x 1
		.amdhsa_system_sgpr_workgroup_id_y 1
		.amdhsa_system_sgpr_workgroup_id_z 1
		.amdhsa_system_sgpr_workgroup_info 0
		.amdhsa_system_vgpr_workitem_id 0
		.amdhsa_next_free_vgpr 83
		.amdhsa_next_free_sgpr 100
		.amdhsa_accum_offset 84
		.amdhsa_reserve_vcc 1
		.amdhsa_float_round_mode_32 0
		.amdhsa_float_round_mode_16_64 0
		.amdhsa_float_denorm_mode_32 3
		.amdhsa_float_denorm_mode_16_64 3
		.amdhsa_dx10_clamp 1
		.amdhsa_ieee_mode 1
		.amdhsa_fp16_overflow 0
		.amdhsa_tg_split 0
		.amdhsa_exception_fp_ieee_invalid_op 0
		.amdhsa_exception_fp_denorm_src 0
		.amdhsa_exception_fp_ieee_div_zero 0
		.amdhsa_exception_fp_ieee_overflow 0
		.amdhsa_exception_fp_ieee_underflow 0
		.amdhsa_exception_fp_ieee_inexact 0
		.amdhsa_exception_int_div_zero 0
	.end_amdhsa_kernel
	.section	.text._ZN2at6native12_GLOBAL__N_112gatherMedianIN3c104HalfEjLi3EEEvNS_4cuda6detail10TensorInfoIT_T0_EENS7_IlS9_EENS7_IKS8_S9_EES9_S9_S9_b,"axG",@progbits,_ZN2at6native12_GLOBAL__N_112gatherMedianIN3c104HalfEjLi3EEEvNS_4cuda6detail10TensorInfoIT_T0_EENS7_IlS9_EENS7_IKS8_S9_EES9_S9_S9_b,comdat
.Lfunc_end130:
	.size	_ZN2at6native12_GLOBAL__N_112gatherMedianIN3c104HalfEjLi3EEEvNS_4cuda6detail10TensorInfoIT_T0_EENS7_IlS9_EENS7_IKS8_S9_EES9_S9_S9_b, .Lfunc_end130-_ZN2at6native12_GLOBAL__N_112gatherMedianIN3c104HalfEjLi3EEEvNS_4cuda6detail10TensorInfoIT_T0_EENS7_IlS9_EENS7_IKS8_S9_EES9_S9_S9_b
                                        ; -- End function
	.set _ZN2at6native12_GLOBAL__N_112gatherMedianIN3c104HalfEjLi3EEEvNS_4cuda6detail10TensorInfoIT_T0_EENS7_IlS9_EENS7_IKS8_S9_EES9_S9_S9_b.num_vgpr, 83
	.set _ZN2at6native12_GLOBAL__N_112gatherMedianIN3c104HalfEjLi3EEEvNS_4cuda6detail10TensorInfoIT_T0_EENS7_IlS9_EENS7_IKS8_S9_EES9_S9_S9_b.num_agpr, 0
	.set _ZN2at6native12_GLOBAL__N_112gatherMedianIN3c104HalfEjLi3EEEvNS_4cuda6detail10TensorInfoIT_T0_EENS7_IlS9_EENS7_IKS8_S9_EES9_S9_S9_b.numbered_sgpr, 100
	.set _ZN2at6native12_GLOBAL__N_112gatherMedianIN3c104HalfEjLi3EEEvNS_4cuda6detail10TensorInfoIT_T0_EENS7_IlS9_EENS7_IKS8_S9_EES9_S9_S9_b.num_named_barrier, 0
	.set _ZN2at6native12_GLOBAL__N_112gatherMedianIN3c104HalfEjLi3EEEvNS_4cuda6detail10TensorInfoIT_T0_EENS7_IlS9_EENS7_IKS8_S9_EES9_S9_S9_b.private_seg_size, 0
	.set _ZN2at6native12_GLOBAL__N_112gatherMedianIN3c104HalfEjLi3EEEvNS_4cuda6detail10TensorInfoIT_T0_EENS7_IlS9_EENS7_IKS8_S9_EES9_S9_S9_b.uses_vcc, 1
	.set _ZN2at6native12_GLOBAL__N_112gatherMedianIN3c104HalfEjLi3EEEvNS_4cuda6detail10TensorInfoIT_T0_EENS7_IlS9_EENS7_IKS8_S9_EES9_S9_S9_b.uses_flat_scratch, 0
	.set _ZN2at6native12_GLOBAL__N_112gatherMedianIN3c104HalfEjLi3EEEvNS_4cuda6detail10TensorInfoIT_T0_EENS7_IlS9_EENS7_IKS8_S9_EES9_S9_S9_b.has_dyn_sized_stack, 0
	.set _ZN2at6native12_GLOBAL__N_112gatherMedianIN3c104HalfEjLi3EEEvNS_4cuda6detail10TensorInfoIT_T0_EENS7_IlS9_EENS7_IKS8_S9_EES9_S9_S9_b.has_recursion, 0
	.set _ZN2at6native12_GLOBAL__N_112gatherMedianIN3c104HalfEjLi3EEEvNS_4cuda6detail10TensorInfoIT_T0_EENS7_IlS9_EENS7_IKS8_S9_EES9_S9_S9_b.has_indirect_call, 0
	.section	.AMDGPU.csdata,"",@progbits
; Kernel info:
; codeLenInByte = 12244
; TotalNumSgprs: 106
; NumVgprs: 83
; NumAgprs: 0
; TotalNumVgprs: 83
; ScratchSize: 0
; MemoryBound: 0
; FloatMode: 240
; IeeeMode: 1
; LDSByteSize: 4120 bytes/workgroup (compile time only)
; SGPRBlocks: 13
; VGPRBlocks: 10
; NumSGPRsForWavesPerEU: 106
; NumVGPRsForWavesPerEU: 83
; AccumOffset: 84
; Occupancy: 5
; WaveLimiterHint : 1
; COMPUTE_PGM_RSRC2:SCRATCH_EN: 0
; COMPUTE_PGM_RSRC2:USER_SGPR: 2
; COMPUTE_PGM_RSRC2:TRAP_HANDLER: 0
; COMPUTE_PGM_RSRC2:TGID_X_EN: 1
; COMPUTE_PGM_RSRC2:TGID_Y_EN: 1
; COMPUTE_PGM_RSRC2:TGID_Z_EN: 1
; COMPUTE_PGM_RSRC2:TIDIG_COMP_CNT: 0
; COMPUTE_PGM_RSRC3_GFX90A:ACCUM_OFFSET: 20
; COMPUTE_PGM_RSRC3_GFX90A:TG_SPLIT: 0
	.section	.text._ZN2at6native12_GLOBAL__N_112gatherMedianIN3c104HalfEjLin1EEEvNS_4cuda6detail10TensorInfoIT_T0_EENS7_IlS9_EENS7_IKS8_S9_EES9_S9_S9_b,"axG",@progbits,_ZN2at6native12_GLOBAL__N_112gatherMedianIN3c104HalfEjLin1EEEvNS_4cuda6detail10TensorInfoIT_T0_EENS7_IlS9_EENS7_IKS8_S9_EES9_S9_S9_b,comdat
	.globl	_ZN2at6native12_GLOBAL__N_112gatherMedianIN3c104HalfEjLin1EEEvNS_4cuda6detail10TensorInfoIT_T0_EENS7_IlS9_EENS7_IKS8_S9_EES9_S9_S9_b ; -- Begin function _ZN2at6native12_GLOBAL__N_112gatherMedianIN3c104HalfEjLin1EEEvNS_4cuda6detail10TensorInfoIT_T0_EENS7_IlS9_EENS7_IKS8_S9_EES9_S9_S9_b
	.p2align	8
	.type	_ZN2at6native12_GLOBAL__N_112gatherMedianIN3c104HalfEjLin1EEEvNS_4cuda6detail10TensorInfoIT_T0_EENS7_IlS9_EENS7_IKS8_S9_EES9_S9_S9_b,@function
_ZN2at6native12_GLOBAL__N_112gatherMedianIN3c104HalfEjLin1EEEvNS_4cuda6detail10TensorInfoIT_T0_EENS7_IlS9_EENS7_IKS8_S9_EES9_S9_S9_b: ; @_ZN2at6native12_GLOBAL__N_112gatherMedianIN3c104HalfEjLin1EEEvNS_4cuda6detail10TensorInfoIT_T0_EENS7_IlS9_EENS7_IKS8_S9_EES9_S9_S9_b
; %bb.0:
	s_load_dwordx2 s[10:11], s[0:1], 0x298
	s_load_dwordx4 s[64:67], s[0:1], 0x288
	s_add_u32 s8, s0, 0x298
	s_addc_u32 s9, s1, 0
	s_waitcnt lgkmcnt(0)
	s_mul_i32 s4, s11, s4
	s_add_i32 s3, s4, s3
	s_mul_i32 s3, s3, s10
	s_add_i32 s3, s3, s2
	s_cmp_ge_u32 s3, s65
	s_cbranch_scc1 .LBB131_280
; %bb.1:
	s_load_dword s4, s[0:1], 0xd0
	s_mov_b32 s69, 0
	s_mov_b32 s33, s3
	s_waitcnt lgkmcnt(0)
	s_cmp_lt_i32 s4, 2
	s_cbranch_scc1 .LBB131_4
; %bb.2:
	s_add_i32 s68, s4, -1
	s_add_i32 s6, s4, 1
	s_lshl_b64 s[4:5], s[68:69], 2
	s_add_u32 s4, s0, s4
	s_addc_u32 s5, s1, s5
	s_add_u32 s4, s4, 8
	s_addc_u32 s5, s5, 0
	s_mov_b32 s33, s3
.LBB131_3:                              ; =>This Inner Loop Header: Depth=1
	s_load_dword s7, s[4:5], 0x0
	s_load_dword s12, s[4:5], 0x64
	s_mov_b32 s11, s33
	s_waitcnt lgkmcnt(0)
	v_cvt_f32_u32_e32 v1, s7
	s_sub_i32 s13, 0, s7
	v_rcp_iflag_f32_e32 v1, v1
	s_nop 0
	v_mul_f32_e32 v1, 0x4f7ffffe, v1
	v_cvt_u32_f32_e32 v1, v1
	s_nop 0
	v_readfirstlane_b32 s14, v1
	s_mul_i32 s13, s13, s14
	s_mul_hi_u32 s13, s14, s13
	s_add_i32 s14, s14, s13
	s_mul_hi_u32 s13, s33, s14
	s_mul_i32 s14, s13, s7
	s_sub_i32 s14, s33, s14
	s_add_i32 s15, s13, 1
	s_sub_i32 s16, s14, s7
	s_cmp_ge_u32 s14, s7
	s_cselect_b32 s13, s15, s13
	s_cselect_b32 s14, s16, s14
	s_add_i32 s15, s13, 1
	s_cmp_ge_u32 s14, s7
	s_cselect_b32 s33, s15, s13
	s_mul_i32 s7, s33, s7
	s_sub_i32 s7, s11, s7
	s_mul_i32 s7, s12, s7
	s_add_i32 s6, s6, -1
	s_add_i32 s69, s7, s69
	s_add_u32 s4, s4, -4
	s_addc_u32 s5, s5, -1
	s_cmp_gt_u32 s6, 2
	s_cbranch_scc1 .LBB131_3
.LBB131_4:
	s_load_dword s6, s[0:1], 0x1a8
	s_add_u32 s4, s0, 0xd8
	s_addc_u32 s5, s1, 0
	s_mov_b32 s71, 0
	s_mov_b32 s65, s3
	s_waitcnt lgkmcnt(0)
	s_cmp_lt_i32 s6, 2
	s_cbranch_scc1 .LBB131_7
; %bb.5:
	s_add_i32 s70, s6, -1
	s_add_i32 s11, s6, 1
	s_lshl_b64 s[6:7], s[70:71], 2
	s_add_u32 s6, s4, s6
	s_addc_u32 s7, s5, s7
	s_add_u32 s6, s6, 8
	s_addc_u32 s7, s7, 0
	s_mov_b32 s65, s3
.LBB131_6:                              ; =>This Inner Loop Header: Depth=1
	s_load_dword s12, s[6:7], 0x0
	s_load_dword s14, s[6:7], 0x64
	s_mov_b32 s13, s65
	s_waitcnt lgkmcnt(0)
	v_cvt_f32_u32_e32 v1, s12
	s_sub_i32 s15, 0, s12
	v_rcp_iflag_f32_e32 v1, v1
	s_nop 0
	v_mul_f32_e32 v1, 0x4f7ffffe, v1
	v_cvt_u32_f32_e32 v1, v1
	s_nop 0
	v_readfirstlane_b32 s16, v1
	s_mul_i32 s15, s15, s16
	s_mul_hi_u32 s15, s16, s15
	s_add_i32 s16, s16, s15
	s_mul_hi_u32 s15, s65, s16
	s_mul_i32 s16, s15, s12
	s_sub_i32 s16, s65, s16
	s_add_i32 s17, s15, 1
	s_sub_i32 s18, s16, s12
	s_cmp_ge_u32 s16, s12
	s_cselect_b32 s15, s17, s15
	s_cselect_b32 s16, s18, s16
	s_add_i32 s17, s15, 1
	s_cmp_ge_u32 s16, s12
	s_cselect_b32 s65, s17, s15
	s_mul_i32 s12, s65, s12
	s_sub_i32 s12, s13, s12
	s_mul_i32 s12, s14, s12
	s_add_i32 s11, s11, -1
	s_add_i32 s71, s12, s71
	s_add_u32 s6, s6, -4
	s_addc_u32 s7, s7, -1
	s_cmp_gt_u32 s11, 2
	s_cbranch_scc1 .LBB131_6
.LBB131_7:
	s_load_dword s6, s[0:1], 0x6c
	s_load_dword s12, s[0:1], 0x280
                                        ; implicit-def: $vgpr82 : SGPR spill to VGPR lane
	v_mov_b32_e32 v2, s3
	v_mov_b32_e32 v1, 0
	s_waitcnt lgkmcnt(0)
	v_writelane_b32 v82, s6, 0
	s_add_u32 s6, s0, 0x1b0
	s_addc_u32 s7, s1, 0
	s_cmp_lt_i32 s12, 2
	s_cbranch_scc1 .LBB131_10
; %bb.8:
	s_add_i32 s11, s12, 1
	s_add_i32 s12, s12, -1
	s_mov_b32 s13, 0
	s_lshl_b64 s[12:13], s[12:13], 2
	s_add_u32 s6, s6, s12
	s_addc_u32 s7, s7, s13
	s_add_u32 s6, s6, 8
	s_addc_u32 s7, s7, 0
	v_mov_b32_e32 v2, s3
	v_mov_b32_e32 v1, 0
.LBB131_9:                              ; =>This Inner Loop Header: Depth=1
	s_load_dword s3, s[6:7], 0x0
	s_load_dword s12, s[6:7], 0x64
	v_mov_b32_e32 v3, v2
	s_add_i32 s11, s11, -1
	s_waitcnt lgkmcnt(0)
	v_cvt_f32_u32_e32 v2, s3
	s_sub_i32 s13, 0, s3
	s_add_u32 s6, s6, -4
	s_addc_u32 s7, s7, -1
	v_rcp_iflag_f32_e32 v2, v2
	s_cmp_gt_u32 s11, 2
	v_mul_f32_e32 v2, 0x4f7ffffe, v2
	v_cvt_u32_f32_e32 v2, v2
	v_mul_lo_u32 v4, s13, v2
	v_mul_hi_u32 v4, v2, v4
	v_add_u32_e32 v2, v2, v4
	v_mul_hi_u32 v2, v3, v2
	v_mul_lo_u32 v4, v2, s3
	v_sub_u32_e32 v4, v3, v4
	v_add_u32_e32 v5, 1, v2
	v_subrev_u32_e32 v6, s3, v4
	v_cmp_le_u32_e32 vcc, s3, v4
	s_nop 1
	v_cndmask_b32_e32 v2, v2, v5, vcc
	v_cndmask_b32_e32 v4, v4, v6, vcc
	v_add_u32_e32 v5, 1, v2
	v_cmp_le_u32_e32 vcc, s3, v4
	s_nop 1
	v_cndmask_b32_e32 v2, v2, v5, vcc
	v_mul_lo_u32 v4, v2, s3
	v_sub_u32_e32 v3, v3, v4
	v_mul_lo_u32 v3, s12, v3
	v_add_u32_e32 v1, v3, v1
	s_cbranch_scc1 .LBB131_9
.LBB131_10:
	s_load_dword s3, s[4:5], 0x6c
	v_mov_b32_e32 v3, 0
                                        ; kill: killed $sgpr0 killed $sgpr1
	s_waitcnt lgkmcnt(0)
	v_writelane_b32 v82, s3, 1
	s_load_dword s3, s[0:1], 0x21c
	s_load_dwordx2 s[4:5], s[0:1], 0x0
	s_waitcnt lgkmcnt(0)
	v_mul_lo_u32 v2, s3, v2
	v_writelane_b32 v82, s4, 2
	v_add_u32_e32 v2, v2, v1
	v_lshlrev_b64 v[4:5], 1, v[2:3]
	v_writelane_b32 v82, s5, 3
	s_load_dwordx2 s[4:5], s[0:1], 0xd8
	v_mov_b32_e32 v2, v3
	s_waitcnt lgkmcnt(0)
	v_writelane_b32 v82, s4, 4
	s_nop 1
	v_writelane_b32 v82, s5, 5
	s_load_dwordx2 s[4:5], s[0:1], 0x1b0
	v_cmp_gt_u32_e64 s[0:1], s64, v0
	s_waitcnt lgkmcnt(0)
	v_lshl_add_u64 v[10:11], s[4:5], 0, v[4:5]
	s_mov_b64 s[4:5], exec
	v_writelane_b32 v82, s0, 6
	s_nop 1
	v_writelane_b32 v82, s1, 7
	s_and_b64 s[0:1], s[4:5], s[0:1]
	s_mov_b64 exec, s[0:1]
	s_cbranch_execz .LBB131_14
; %bb.11:
	s_load_dword s0, s[8:9], 0xc
	v_mov_b32_e32 v5, 0
	v_mul_lo_u32 v4, v0, s66
	s_mov_b64 s[6:7], 0
	v_mov_b32_e32 v2, v5
	s_waitcnt lgkmcnt(0)
	s_and_b32 s0, s0, 0xffff
	s_mul_i32 s1, s66, s0
	v_mov_b32_e32 v1, v0
.LBB131_12:                             ; =>This Inner Loop Header: Depth=1
	v_lshl_add_u64 v[6:7], v[4:5], 1, v[10:11]
	global_load_ushort v3, v[6:7], off
	v_add_u32_e32 v1, s0, v1
	v_cmp_le_u32_e32 vcc, s64, v1
	s_or_b64 s[6:7], vcc, s[6:7]
	v_add_u32_e32 v4, s1, v4
	s_waitcnt vmcnt(0)
	v_cmp_u_f16_e32 vcc, v3, v3
	s_nop 1
	v_addc_co_u32_e32 v2, vcc, 0, v2, vcc
	s_andn2_b64 exec, exec, s[6:7]
	s_cbranch_execnz .LBB131_12
; %bb.13:
	s_or_b64 exec, exec, s[6:7]
.LBB131_14:
	s_or_b64 exec, exec, s[4:5]
	v_cmp_eq_u32_e64 s[0:1], 0, v0
	s_mov_b64 s[4:5], exec
	s_nop 0
	v_writelane_b32 v82, s0, 8
	s_nop 1
	v_writelane_b32 v82, s1, 9
	s_and_b64 s[0:1], s[4:5], s[0:1]
	s_mov_b64 exec, s[0:1]
; %bb.15:
	v_mov_b32_e32 v4, 0
	v_mov_b32_e32 v5, v4
	ds_write_b64 v4, v[4:5] offset:4096
; %bb.16:
	s_or_b64 exec, exec, s[4:5]
	v_cmp_ne_u32_e32 vcc, 0, v2
	s_waitcnt lgkmcnt(0)
	s_barrier
	s_and_saveexec_b64 s[4:5], vcc
	s_cbranch_execz .LBB131_21
; %bb.17:
	s_mov_b64 s[12:13], exec
	v_mov_b32_e32 v1, 0
	s_mov_b64 s[6:7], 0
.LBB131_18:                             ; =>This Inner Loop Header: Depth=1
	s_ff1_i32_b64 s0, s[12:13]
	v_readlane_b32 s3, v2, s0
	v_readlane_b32 s1, v1, s0
	s_add_u32 s6, s6, s3
	s_addc_u32 s7, s7, s1
	s_lshl_b64 s[0:1], 1, s0
	s_andn2_b64 s[12:13], s[12:13], s[0:1]
	s_cmp_lg_u64 s[12:13], 0
	s_cbranch_scc1 .LBB131_18
; %bb.19:
	v_mbcnt_lo_u32_b32 v1, exec_lo, 0
	v_mbcnt_hi_u32_b32 v1, exec_hi, v1
	v_cmp_eq_u32_e32 vcc, 0, v1
	s_and_saveexec_b64 s[0:1], vcc
	s_xor_b64 s[0:1], exec, s[0:1]
; %bb.20:
	v_mov_b32_e32 v1, 0
	v_mov_b64_e32 v[2:3], s[6:7]
	ds_add_u64 v1, v[2:3] offset:4096
.LBB131_21:
	s_or_b64 exec, exec, s[4:5]
	v_mov_b32_e32 v1, 0
	s_waitcnt lgkmcnt(0)
	s_barrier
	ds_read_b64 v[2:3], v1 offset:4096
	s_bitcmp1_b32 s67, 0
	s_cselect_b64 s[0:1], -1, 0
	s_mov_b32 s3, s64
	s_waitcnt lgkmcnt(0)
	v_readfirstlane_b32 s4, v2
	v_readfirstlane_b32 s5, v3
	s_nop 1
	v_cmp_lt_i64_e64 s[6:7], s[4:5], 1
	s_or_b64 s[0:1], s[0:1], s[6:7]
	s_andn2_b64 vcc, exec, s[0:1]
	s_cbranch_vccnz .LBB131_23
; %bb.22:
	s_not_b64 s[0:1], s[4:5]
	s_add_u32 s0, s0, s64
	s_addc_u32 s1, s1, 0
	s_lshr_b32 s3, s1, 31
	s_add_u32 s0, s0, s3
	s_addc_u32 s1, s1, 0
	s_lshr_b64 s[0:1], s[0:1], 1
	s_add_i32 s3, s0, 1
.LBB131_23:
	s_mov_b64 s[4:5], exec
	v_readlane_b32 s0, v82, 8
	v_readlane_b32 s1, v82, 9
	s_and_b64 s[0:1], s[4:5], s[0:1]
	s_mov_b64 exec, s[0:1]
	s_cbranch_execz .LBB131_25
; %bb.24:
	v_mov_b32_e32 v2, 0
	v_mov_b32_e32 v3, s64
	ds_write_b32 v2, v2 offset:4112
	ds_write_b64 v2, v[2:3] offset:4104
.LBB131_25:
	s_or_b64 exec, exec, s[4:5]
	s_waitcnt lgkmcnt(0)
	s_barrier
	s_load_dword s0, s[8:9], 0xc
	v_mbcnt_lo_u32_b32 v1, -1, 0
	v_mbcnt_hi_u32_b32 v22, -1, v1
	v_cmp_gt_u32_e32 vcc, 64, v0
	v_cmp_gt_i32_e64 s[6:7], 4, v22
	s_waitcnt lgkmcnt(0)
	s_and_b32 s67, s0, 0xffff
	s_add_i32 s1, s67, -1
	s_lshl_b32 s68, s67, 2
	s_and_b64 s[78:79], vcc, s[6:7]
	s_add_i32 s11, s1, s64
	s_cmpk_gt_u32 s64, 0x600
	s_cselect_b64 s[12:13], -1, 0
	s_cmp_gt_u32 s67, 63
	s_cselect_b64 s[82:83], -1, 0
	s_cmp_lt_u32 s2, s10
	v_writelane_b32 v82, s1, 10
	s_cselect_b32 s1, 12, 18
	v_writelane_b32 v82, s12, 11
	v_lshlrev_b64 v[2:3], v22, -1
	s_add_u32 s8, s8, s1
	v_writelane_b32 v82, s13, 12
	v_not_b32_e32 v18, v2
	v_lshrrev_b32_e32 v2, 2, v0
	s_addc_u32 s9, s9, 0
	v_and_b32_e32 v2, 0xf0, v2
	v_writelane_b32 v82, s8, 13
	v_or_b32_e32 v25, 0xc00, v2
	v_add_u32_e32 v2, 2, v0
	v_writelane_b32 v82, s9, 14
	s_bfe_u32 s9, s0, 0xa0006
	v_max_u32_e32 v2, s64, v2
	s_add_i32 s2, s9, -2
	v_xad_u32 v2, v0, -1, v2
	s_lshr_b32 s0, s2, 1
	v_not_b32_e32 v1, v3
	v_add_u32_e32 v3, -4, v2
	s_add_i32 s8, s0, 1
	v_cmp_lt_u32_e64 s[0:1], 31, v2
	v_lshrrev_b32_e32 v5, 2, v3
	v_add_u32_e32 v5, 1, v5
	v_writelane_b32 v82, s0, 15
	v_cmp_lt_u32_e64 s[12:13], 11, v3
	v_and_b32_e32 v6, 3, v5
	v_writelane_b32 v82, s1, 16
	v_writelane_b32 v82, s12, 17
	v_and_b32_e32 v26, -4, v2
	s_cmpk_gt_u32 s67, 0x7f
	v_writelane_b32 v82, s13, 18
	v_cmp_ne_u32_e64 s[12:13], 0, v6
	v_lshlrev_b32_e32 v19, 2, v0
	v_mov_b32_e32 v15, 0
	v_writelane_b32 v82, s12, 19
	s_mov_b32 s14, 0
	v_lshlrev_b32_e32 v23, 1, v0
	v_writelane_b32 v82, s13, 20
	v_cmp_ne_u32_e64 s[12:13], v2, v26
	v_cvt_f32_u32_e32 v2, s68
	v_mul_lo_u32 v12, s66, v0
	v_writelane_b32 v82, s12, 21
	v_mov_b32_e32 v13, v15
	v_rcp_iflag_f32_e32 v2, v2
	v_writelane_b32 v82, s13, 22
	s_cselect_b64 s[12:13], -1, 0
	v_writelane_b32 v82, s12, 23
	s_and_b32 s10, s9, 0x3fe
	v_mul_f32_e32 v2, 0x4f7ffffe, v2
	v_writelane_b32 v82, s13, 24
	s_and_b32 s12, s8, 7
	s_cmp_gt_u32 s2, 13
	s_cselect_b64 s[16:17], -1, 0
	v_writelane_b32 v82, s16, 25
	s_and_b32 s2, s8, -8
	s_cmp_lg_u32 s12, 0
	v_writelane_b32 v82, s17, 26
	v_writelane_b32 v82, s2, 27
	;; [unrolled: 1-line block ×3, first 2 shown]
	s_cselect_b64 s[12:13], -1, 0
	v_writelane_b32 v82, s12, 29
	v_cvt_u32_f32_e32 v2, v2
	s_cmp_lg_u32 s10, s9
	v_writelane_b32 v82, s13, 30
	v_writelane_b32 v82, s9, 31
	;; [unrolled: 1-line block ×3, first 2 shown]
	s_cselect_b64 s[8:9], -1, 0
	v_writelane_b32 v82, s8, 33
	s_sub_i32 s2, 0, s68
	v_lshlrev_b32_e32 v4, 2, v22
	v_writelane_b32 v82, s9, 34
	v_readfirstlane_b32 s8, v2
	v_cvt_f32_u32_e32 v2, s67
	s_mul_i32 s2, s2, s8
	s_mul_hi_u32 s2, s8, s2
	s_add_i32 s84, s8, s2
	v_rcp_iflag_f32_e32 v2, v2
	s_mul_hi_u32 s2, s64, s84
	s_mul_i32 s2, s2, s68
	s_sub_i32 s2, s64, s2
	s_sub_i32 s8, s2, s68
	v_mul_f32_e32 v2, 0x4f7ffffe, v2
	s_cmp_ge_u32 s2, s68
	v_cvt_u32_f32_e32 v2, v2
	s_cselect_b32 s2, s8, s2
	s_sub_i32 s8, s2, s68
	s_cmp_ge_u32 s2, s68
	s_cselect_b32 s2, s8, s2
	s_sub_i32 s8, 0, s67
	v_readfirstlane_b32 s9, v2
	s_mul_i32 s8, s8, s9
	s_mul_hi_u32 s8, s9, s8
	s_add_i32 s8, s9, s8
	v_writelane_b32 v82, s8, 35
	s_mul_hi_u32 s8, s11, s8
	s_mul_i32 s8, s8, s67
	s_sub_i32 s8, s11, s8
	s_sub_i32 s85, s64, s2
	s_sub_i32 s9, s8, s67
	s_cmp_ge_u32 s8, s67
	s_cselect_b32 s8, s9, s8
	s_sub_i32 s9, s8, s67
	s_cmp_ge_u32 s8, s67
	s_cselect_b32 s8, s9, s8
	s_sub_i32 s87, s11, s8
	v_cmp_gt_u32_e64 s[8:9], s87, v0
	v_mul_lo_u32 v2, s66, v19
	v_add_u32_e32 v31, s66, v2
	v_writelane_b32 v82, s8, 36
	v_or_b32_e32 v2, 2, v19
	v_mul_lo_u32 v32, s66, v2
	v_writelane_b32 v82, s9, 37
	v_or_b32_e32 v2, 3, v19
	s_add_i32 s8, s67, s64
	v_add_u32_e32 v29, s85, v0
	v_mul_lo_u32 v33, s66, v2
	v_add_u32_e32 v2, s8, v0
	v_mul_lo_u32 v14, v29, s66
	s_mul_i32 s90, s66, s67
	v_subrev_u32_e32 v2, s2, v2
	s_mov_b32 s70, 0xffff
	s_mov_b32 s15, 1
	v_cmp_eq_u32_e64 s[4:5], 0, v22
	v_cmp_gt_u32_e64 s[6:7], 2, v0
	v_add_u32_e32 v24, 0xc00, v23
	v_lshl_add_u64 v[16:17], v[12:13], 1, v[10:11]
	v_and_b32_e32 v13, 0x100, v4
	v_add_u32_e32 v27, v0, v26
	s_mov_b32 s93, s66
	s_mov_b32 s0, s66
	;; [unrolled: 1-line block ×4, first 2 shown]
	v_and_b32_e32 v28, 0x7ffffffc, v5
	v_cmp_gt_u32_e64 s[16:17], s85, v19
	v_cmp_gt_u32_e64 s[18:19], s64, v29
	v_lshl_add_u64 v[20:21], v[14:15], 1, v[10:11]
	v_lshlrev_b32_e32 v30, 3, v6
	s_lshl_b32 s20, s90, 2
	v_lshlrev_b32_e32 v34, 2, v12
	v_mul_lo_u32 v36, s66, v2
	v_lshlrev_b32_e32 v37, 3, v0
	s_lshl_b32 s21, s67, 3
	s_lshl_b32 s80, s67, 1
	v_or_b32_e32 v38, 0xc00, v4
	s_mov_b64 s[94:95], 0
	v_mov_b32_e32 v39, 14
	v_mov_b32_e32 v47, s3
	s_mov_b32 s81, 0x5040100
	v_mov_b32_e32 v52, s64
	s_movk_i32 s24, 0x3c00
	v_mov_b32_e32 v40, 0xffff
	v_mov_b32_e32 v41, 0x8000
	v_mov_b32_e32 v42, -1
	v_mov_b32_e32 v43, 0xc00
	v_mov_b32_e32 v44, 0x5040100
	;; [unrolled: 1-line block ×3, first 2 shown]
	s_mov_b32 s25, s14
	v_mov_b32_e32 v35, 0
	v_mov_b32_e32 v45, 0
                                        ; implicit-def: $sgpr96_sgpr97
                                        ; implicit-def: $sgpr72_sgpr73
                                        ; implicit-def: $sgpr98_sgpr99
                                        ; implicit-def: $sgpr10_sgpr11
                                        ; implicit-def: $sgpr12_sgpr13
                                        ; implicit-def: $sgpr14_sgpr15
	s_branch .LBB131_29
.LBB131_26:                             ;   in Loop: Header=BB131_29 Depth=1
	s_or_b64 exec, exec, s[34:35]
	s_and_b64 s[26:27], s[26:27], exec
	s_andn2_b64 s[30:31], s[30:31], exec
	s_andn2_b64 s[28:29], s[28:29], exec
	s_orn2_b64 s[22:23], s[22:23], exec
.LBB131_27:                             ;   in Loop: Header=BB131_29 Depth=1
	s_or_b64 exec, exec, s[8:9]
	s_andn2_b64 s[8:9], s[14:15], exec
	s_and_b64 s[14:15], s[26:27], exec
	s_or_b64 s[14:15], s[8:9], s[14:15]
	s_andn2_b64 s[8:9], s[12:13], exec
	s_and_b64 s[12:13], s[30:31], exec
	s_or_b64 s[12:13], s[8:9], s[12:13]
	;; [unrolled: 3-line block ×3, first 2 shown]
	s_orn2_b64 s[22:23], s[22:23], exec
.LBB131_28:                             ;   in Loop: Header=BB131_29 Depth=1
	s_or_b64 exec, exec, s[2:3]
	s_and_b64 s[2:3], exec, s[22:23]
	s_or_b64 s[94:95], s[2:3], s[94:95]
	s_andn2_b64 s[2:3], s[98:99], exec
	s_and_b64 s[8:9], s[14:15], exec
	s_or_b64 s[98:99], s[2:3], s[8:9]
	s_andn2_b64 s[2:3], s[72:73], exec
	s_and_b64 s[8:9], s[12:13], exec
	;; [unrolled: 3-line block ×3, first 2 shown]
	s_or_b64 s[96:97], s[2:3], s[8:9]
	s_mov_b32 s25, s36
	v_mov_b32_e32 v47, v5
	s_andn2_b64 exec, exec, s[94:95]
	s_cbranch_execz .LBB131_276
.LBB131_29:                             ; =>This Loop Header: Depth=1
                                        ;     Child Loop BB131_34 Depth 2
                                        ;     Child Loop BB131_55 Depth 2
	;; [unrolled: 1-line block ×19, first 2 shown]
	ds_read_b64 v[2:3], v15 offset:4104
	s_waitcnt lgkmcnt(0)
	v_readfirstlane_b32 s91, v2
	s_cmp_lg_u32 s91, 0
	s_cbranch_scc1 .LBB131_74
; %bb.30:                               ;   in Loop: Header=BB131_29 Depth=1
	v_readlane_b32 s2, v82, 11
	v_readlane_b32 s3, v82, 12
	s_and_b64 vcc, exec, s[2:3]
	s_cbranch_vccz .LBB131_42
; %bb.31:                               ;   in Loop: Header=BB131_29 Depth=1
	s_movk_i32 s2, 0x601
	v_cmp_gt_u32_e32 vcc, s2, v3
	s_mov_b64 s[8:9], 0
	s_mov_b64 s[2:3], 0
	s_cbranch_vccz .LBB131_43
; %bb.32:                               ;   in Loop: Header=BB131_29 Depth=1
	v_readlane_b32 s2, v82, 13
	v_readlane_b32 s3, v82, 14
	s_nop 4
	global_load_ushort v2, v15, s[2:3]
	global_load_ushort v4, v[16:17], off
	s_mov_b64 s[26:27], 0
	s_waitcnt vmcnt(1)
	v_add_u32_e32 v5, v0, v2
	v_mul_lo_u32 v3, s66, v2
	v_mul_lo_u32 v14, s66, v5
	v_mov_b32_e32 v5, v0
	s_branch .LBB131_34
.LBB131_33:                             ;   in Loop: Header=BB131_34 Depth=2
	s_or_b64 exec, exec, s[2:3]
	v_add_u32_e32 v14, v14, v3
	v_mov_b32_e32 v4, v6
	s_andn2_b64 exec, exec, s[26:27]
	s_cbranch_execz .LBB131_49
.LBB131_34:                             ;   Parent Loop BB131_29 Depth=1
                                        ; =>  This Inner Loop Header: Depth=2
	v_add_u32_e32 v5, v5, v2
	v_cmp_gt_u32_e64 s[2:3], s64, v5
	v_cmp_le_u32_e32 vcc, s64, v5
	s_waitcnt lgkmcnt(0)
	v_mov_b32_e32 v7, 0
	v_mov_b32_e32 v6, 0
	s_and_saveexec_b64 s[22:23], s[2:3]
	s_cbranch_execz .LBB131_36
; %bb.35:                               ;   in Loop: Header=BB131_34 Depth=2
	v_lshl_add_u64 v[8:9], v[14:15], 1, v[10:11]
	global_load_ushort v6, v[8:9], off
.LBB131_36:                             ;   in Loop: Header=BB131_34 Depth=2
	s_or_b64 exec, exec, s[22:23]
	s_waitcnt vmcnt(0)
	v_cmp_lt_i16_e64 s[2:3], -1, v4
	s_nop 1
	v_cndmask_b32_e64 v8, v40, v41, s[2:3]
	v_xor_b32_sdwa v8, v8, v4 dst_sel:DWORD dst_unused:UNUSED_PAD src0_sel:DWORD src1_sel:WORD_0
	v_cmp_o_f16_e64 s[2:3], v4, v4
	s_nop 1
	v_cndmask_b32_e64 v8, v40, v8, s[2:3]
	v_and_b32_e32 v8, v8, v45
	v_cmp_eq_u32_e64 s[22:23], v8, v35
	s_cmp_lg_u64 s[22:23], 0
	s_cselect_b64 s[2:3], -1, 0
	s_and_b64 s[2:3], s[4:5], s[2:3]
	s_and_saveexec_b64 s[28:29], s[2:3]
	s_cbranch_execz .LBB131_40
; %bb.37:                               ;   in Loop: Header=BB131_34 Depth=2
	s_mov_b64 s[34:35], exec
	v_mbcnt_lo_u32_b32 v7, s34, 0
	v_mbcnt_hi_u32_b32 v7, s35, v7
	s_bcnt1_i32_b64 s36, s[22:23]
	v_cmp_eq_u32_e64 s[2:3], 0, v7
                                        ; implicit-def: $vgpr8
	s_and_saveexec_b64 s[30:31], s[2:3]
; %bb.38:                               ;   in Loop: Header=BB131_34 Depth=2
	s_bcnt1_i32_b64 s2, s[34:35]
	s_mul_i32 s2, s36, s2
	v_mov_b32_e32 v8, s2
	ds_add_rtn_u32 v8, v15, v8 offset:4112
; %bb.39:                               ;   in Loop: Header=BB131_34 Depth=2
	s_or_b64 exec, exec, s[30:31]
	s_waitcnt lgkmcnt(0)
	v_readfirstlane_b32 s2, v8
	s_nop 1
	v_mov_b32_e32 v8, s2
	v_mad_u32_u24 v7, s36, v7, v8
.LBB131_40:                             ;   in Loop: Header=BB131_34 Depth=2
	s_or_b64 exec, exec, s[28:29]
	ds_bpermute_b32 v7, v13, v7
	s_and_b64 s[2:3], exec, vcc
	s_or_b64 s[26:27], s[2:3], s[26:27]
	s_and_saveexec_b64 s[2:3], s[22:23]
	s_cbranch_execz .LBB131_33
; %bb.41:                               ;   in Loop: Header=BB131_34 Depth=2
	v_and_b32_e32 v9, s22, v18
	v_and_b32_e32 v8, s23, v1
	v_bcnt_u32_b32 v9, v9, 0
	v_bcnt_u32_b32 v8, v8, v9
	v_lshlrev_b32_e32 v8, 1, v8
	s_waitcnt lgkmcnt(0)
	v_lshl_add_u32 v7, v7, 1, v8
	ds_write_b16 v7, v4
	s_branch .LBB131_33
.LBB131_42:                             ;   in Loop: Header=BB131_29 Depth=1
	s_mov_b64 s[8:9], -1
	s_mov_b64 s[2:3], 0
.LBB131_43:                             ;   in Loop: Header=BB131_29 Depth=1
	s_and_b64 vcc, exec, s[8:9]
	s_cbranch_vccz .LBB131_72
.LBB131_44:                             ;   in Loop: Header=BB131_29 Depth=1
	s_mov_b64 s[22:23], exec
	v_readlane_b32 s2, v82, 6
	v_readlane_b32 s3, v82, 7
	s_and_b64 s[2:3], s[22:23], s[2:3]
	s_mov_b64 exec, s[2:3]
	s_cbranch_execz .LBB131_69
; %bb.45:                               ;   in Loop: Header=BB131_29 Depth=1
	v_readlane_b32 s2, v82, 13
	v_readlane_b32 s3, v82, 14
	s_nop 4
	global_load_ushort v2, v15, s[2:3]
	global_load_ushort v48, v[16:17], off
	v_mov_b32_e32 v3, v0
	s_waitcnt vmcnt(1)
	v_readfirstlane_b32 s34, v2
	v_add_u32_e32 v2, v0, v2
	v_cmp_gt_u32_e32 vcc, s64, v2
	s_and_saveexec_b64 s[26:27], vcc
	s_cbranch_execz .LBB131_68
; %bb.46:                               ;   in Loop: Header=BB131_29 Depth=1
	v_readlane_b32 s28, v82, 15
	s_mov_b64 s[2:3], 0
	s_mul_i32 s35, s66, s34
	v_readlane_b32 s29, v82, 16
                                        ; implicit-def: $vgpr3
                                        ; implicit-def: $vgpr4
                                        ; implicit-def: $vgpr5
	s_and_saveexec_b64 s[8:9], s[28:29]
	s_xor_b64 s[28:29], exec, s[8:9]
	s_cbranch_execnz .LBB131_52
; %bb.47:                               ;   in Loop: Header=BB131_29 Depth=1
	s_andn2_saveexec_b64 s[8:9], s[28:29]
	s_cbranch_execnz .LBB131_63
.LBB131_48:                             ;   in Loop: Header=BB131_29 Depth=1
	s_or_b64 exec, exec, s[8:9]
	s_and_saveexec_b64 s[8:9], s[2:3]
	s_cbranch_execnz .LBB131_64
	s_branch .LBB131_67
.LBB131_49:                             ;   in Loop: Header=BB131_29 Depth=1
	s_or_b64 exec, exec, s[26:27]
	s_waitcnt lgkmcnt(0)
	s_barrier
	s_mov_b64 s[2:3], exec
	v_readlane_b32 s22, v82, 8
	v_readlane_b32 s23, v82, 9
	s_and_b64 s[22:23], s[2:3], s[22:23]
	s_mov_b64 exec, s[22:23]
	s_cbranch_execz .LBB131_51
; %bb.50:                               ;   in Loop: Header=BB131_29 Depth=1
	ds_read_b32 v2, v15 offset:4112
	s_waitcnt lgkmcnt(0)
	ds_write_b32 v15, v2 offset:4104
.LBB131_51:                             ;   in Loop: Header=BB131_29 Depth=1
	s_or_b64 exec, exec, s[2:3]
	s_waitcnt lgkmcnt(0)
	s_barrier
	s_mov_b64 s[2:3], -1
	s_and_b64 vcc, exec, s[8:9]
	s_cbranch_vccnz .LBB131_44
	s_branch .LBB131_72
.LBB131_52:                             ;   in Loop: Header=BB131_29 Depth=1
	v_cvt_f32_u32_e32 v3, s34
	v_add_u32_e32 v4, s34, v2
	v_max_u32_e32 v4, s64, v4
	s_lshl_b32 s2, s34, 1
	v_rcp_iflag_f32_e32 v3, v3
	v_sub_u32_e32 v4, v4, v0
	v_cmp_ne_u32_e32 vcc, s2, v4
	s_sub_i32 s3, 0, s34
	v_mul_f32_e32 v3, 0x4f7ffffe, v3
	v_cvt_u32_f32_e32 v3, v3
	v_cndmask_b32_e64 v5, 0, 1, vcc
	v_or_b32_e32 v5, s2, v5
	v_sub_u32_e32 v4, v4, v5
	v_mul_lo_u32 v5, s3, v3
	v_mul_hi_u32 v5, v3, v5
	v_add_u32_e32 v3, v3, v5
	v_mul_hi_u32 v3, v4, v3
	v_mul_lo_u32 v5, v3, s34
	v_sub_u32_e32 v4, v4, v5
	v_add_u32_e32 v5, 1, v3
	v_cmp_le_u32_e64 s[2:3], s34, v4
	s_nop 1
	v_cndmask_b32_e64 v3, v3, v5, s[2:3]
	v_subrev_u32_e32 v5, s34, v4
	v_cndmask_b32_e64 v4, v4, v5, s[2:3]
	v_add_u32_e32 v5, 1, v3
	v_cmp_le_u32_e64 s[2:3], s34, v4
	v_mul_lo_u32 v4, s66, v2
	s_nop 0
	v_cndmask_b32_e64 v3, v3, v5, s[2:3]
	v_addc_co_u32_e32 v3, vcc, 0, v3, vcc
	s_abs_i32 s2, s35
	v_mul_hi_u32 v5, s2, v3
	v_mul_lo_u32 v3, s2, v3
	s_not_b32 s2, s35
	s_ashr_i32 s2, s2, 31
	s_cmp_eq_u32 s34, 1
	v_cmp_eq_u32_e32 vcc, 0, v5
	v_xor_b32_e32 v4, s2, v4
	s_cselect_b64 s[8:9], -1, 0
	v_cmp_le_u32_e64 s[2:3], v3, v4
	s_and_b64 s[8:9], vcc, s[8:9]
	s_and_b64 s[30:31], s[8:9], s[2:3]
	s_mov_b64 s[8:9], -1
	v_mov_b32_e32 v4, v0
                                        ; implicit-def: $vgpr3
	s_and_saveexec_b64 s[2:3], s[30:31]
	s_cbranch_execz .LBB131_62
; %bb.53:                               ;   in Loop: Header=BB131_29 Depth=1
	v_add_u32_e32 v5, 3, v2
	v_add_u32_e32 v4, 2, v2
	;; [unrolled: 1-line block ×3, first 2 shown]
	v_mov_b64_e32 v[8:9], v[4:5]
	s_waitcnt vmcnt(0)
	v_lshlrev_b32_e32 v49, 16, v48
	v_mov_b32_e32 v14, 0
	v_mov_b64_e32 v[6:7], v[2:3]
                                        ; implicit-def: $vgpr48
	s_mov_b64 s[8:9], exec
	v_readlane_b32 s30, v82, 17
	v_readlane_b32 s31, v82, 18
	s_and_b64 s[30:31], s[8:9], s[30:31]
	s_mov_b64 exec, s[30:31]
	s_cbranch_execz .LBB131_57
; %bb.54:                               ;   in Loop: Header=BB131_29 Depth=1
	v_mov_b64_e32 v[8:9], v[4:5]
	s_mov_b32 s36, 0
	s_mov_b64 s[30:31], 0
	v_mov_b32_e32 v50, v28
	v_mov_b32_e32 v51, v23
	v_mov_b64_e32 v[6:7], v[2:3]
.LBB131_55:                             ;   Parent Loop BB131_29 Depth=1
                                        ; =>  This Inner Loop Header: Depth=2
	v_mul_lo_u32 v14, v6, s93
	v_add_u32_e32 v3, 4, v6
	v_add_u32_e32 v48, 4, v7
	;; [unrolled: 1-line block ×4, first 2 shown]
	v_mul_lo_u32 v4, v9, s92
	v_mul_lo_u32 v56, v7, s0
	v_mov_b32_e32 v57, v15
	v_mov_b32_e32 v5, v15
	;; [unrolled: 1-line block ×4, first 2 shown]
	v_add_u32_e32 v80, 8, v6
	v_lshl_add_u64 v[76:77], v[14:15], 1, v[10:11]
	v_mul_lo_u32 v62, v58, s92
	v_mul_lo_u32 v60, v53, s1
	v_mul_lo_u32 v58, v48, s0
	v_mul_lo_u32 v14, v3, s93
	v_mul_lo_u32 v54, v8, s1
	v_mov_b32_e32 v55, v15
	v_mov_b32_e32 v63, v15
	v_add_u32_e32 v64, 8, v7
	v_add_u32_e32 v81, 12, v6
	v_lshl_add_u64 v[56:57], v[56:57], 1, v[10:11]
	v_lshl_add_u64 v[4:5], v[4:5], 1, v[10:11]
	;; [unrolled: 1-line block ×5, first 2 shown]
	v_mul_lo_u32 v14, v80, s93
	v_add_u32_e32 v66, 8, v8
	v_add_u32_e32 v68, 8, v9
	v_mov_b32_e32 v65, v15
	v_add_u32_e32 v70, 12, v7
	v_add_u32_e32 v72, 12, v8
	;; [unrolled: 1-line block ×3, first 2 shown]
	v_lshl_add_u64 v[54:55], v[54:55], 1, v[10:11]
	v_mul_lo_u32 v64, v64, s0
	v_lshl_add_u64 v[62:63], v[62:63], 1, v[10:11]
	global_load_ushort v3, v[76:77], off
	global_load_ushort v53, v[56:57], off
	s_nop 0
	global_load_ushort v56, v[54:55], off
	global_load_ushort v76, v[4:5], off
	global_load_ushort v77, v[78:79], off
	global_load_ushort v57, v[58:59], off
	s_nop 0
	global_load_ushort v58, v[60:61], off
	s_nop 0
	global_load_ushort v60, v[62:63], off
	v_lshl_add_u64 v[4:5], v[14:15], 1, v[10:11]
	v_mul_lo_u32 v14, v81, s93
	v_mov_b32_e32 v67, v15
	v_mov_b32_e32 v69, v15
	;; [unrolled: 1-line block ×5, first 2 shown]
	v_mul_lo_u32 v68, v68, s92
	v_mul_lo_u32 v66, v66, s1
	v_mul_lo_u32 v74, v74, s92
	v_mul_lo_u32 v72, v72, s1
	v_mul_lo_u32 v70, v70, s0
	v_lshl_add_u64 v[64:65], v[64:65], 1, v[10:11]
	v_lshl_add_u64 v[54:55], v[14:15], 1, v[10:11]
	;; [unrolled: 1-line block ×7, first 2 shown]
	global_load_ushort v59, v[64:65], off
	global_load_ushort v61, v[66:67], off
	;; [unrolled: 1-line block ×4, first 2 shown]
	s_nop 0
	global_load_ushort v64, v[72:73], off
	global_load_ushort v48, v[74:75], off
	;; [unrolled: 1-line block ×3, first 2 shown]
	s_nop 0
	global_load_ushort v4, v[4:5], off
	v_add_u32_e32 v50, -4, v50
	s_add_i32 s36, s36, 16
	v_cmp_eq_u32_e32 vcc, 0, v50
	v_add_u32_e32 v9, 16, v9
	v_add_u32_e32 v8, 16, v8
	;; [unrolled: 1-line block ×4, first 2 shown]
	v_mov_b32_e32 v14, s36
	s_or_b64 s[30:31], vcc, s[30:31]
	s_waitcnt vmcnt(15)
	v_alignbit_b32 v54, v3, v49, 16
	s_waitcnt vmcnt(13)
	v_perm_b32 v55, v56, v53, s81
	s_waitcnt vmcnt(11)
	v_perm_b32 v56, v77, v76, s81
	;; [unrolled: 2-line block ×3, first 2 shown]
	ds_write_b128 v51, v[54:57]
	s_waitcnt vmcnt(6)
	v_perm_b32 v59, v61, v59, s81
	s_waitcnt vmcnt(3)
	v_perm_b32 v61, v64, v63, s81
	;; [unrolled: 2-line block ×4, first 2 shown]
	v_perm_b32 v60, v65, v62, s81
	ds_write_b128 v51, v[58:61] offset:16
	v_add_u32_e32 v51, 32, v51
	s_andn2_b64 exec, exec, s[30:31]
	s_cbranch_execnz .LBB131_55
; %bb.56:                               ;   in Loop: Header=BB131_29 Depth=1
	s_or_b64 exec, exec, s[30:31]
.LBB131_57:                             ;   in Loop: Header=BB131_29 Depth=1
	s_or_b64 exec, exec, s[8:9]
	s_mov_b64 s[8:9], exec
	v_readlane_b32 s30, v82, 19
	v_readlane_b32 s31, v82, 20
	s_and_b64 s[30:31], s[8:9], s[30:31]
	s_mov_b64 exec, s[30:31]
	s_cbranch_execz .LBB131_61
; %bb.58:                               ;   in Loop: Header=BB131_29 Depth=1
	v_lshl_add_u32 v3, v14, 1, v23
	s_mov_b64 s[30:31], 0
	v_mov_b32_e32 v4, v30
.LBB131_59:                             ;   Parent Loop BB131_29 Depth=1
                                        ; =>  This Inner Loop Header: Depth=2
	v_mul_lo_u32 v50, v9, s92
	v_mul_lo_u32 v54, v8, s1
	v_mov_b32_e32 v55, v15
	v_mov_b32_e32 v51, v15
	v_mul_lo_u32 v56, v7, s0
	v_mul_lo_u32 v14, v6, s93
	v_mov_b32_e32 v57, v15
	v_lshl_add_u64 v[54:55], v[54:55], 1, v[10:11]
	v_lshl_add_u64 v[50:51], v[50:51], 1, v[10:11]
	;; [unrolled: 1-line block ×4, first 2 shown]
	global_load_ushort v5, v[54:55], off
	global_load_ushort v48, v[50:51], off
	global_load_ushort v14, v[56:57], off
	s_nop 0
	global_load_ushort v50, v[58:59], off
	v_add_u32_e32 v4, -8, v4
	v_cmp_eq_u32_e32 vcc, 0, v4
	v_add_u32_e32 v9, 4, v9
	v_add_u32_e32 v8, 4, v8
	;; [unrolled: 1-line block ×4, first 2 shown]
	s_or_b64 s[30:31], vcc, s[30:31]
	s_waitcnt vmcnt(2)
	v_perm_b32 v53, v48, v5, s81
	s_waitcnt vmcnt(1)
	v_perm_b32 v51, v5, v14, s81
	s_waitcnt vmcnt(0)
	v_alignbit_b32 v50, v50, v49, 16
	ds_write_b64 v3, v[50:51]
	v_add_u32_e32 v3, 8, v3
	v_mov_b32_e32 v49, v53
	s_andn2_b64 exec, exec, s[30:31]
	s_cbranch_execnz .LBB131_59
; %bb.60:                               ;   in Loop: Header=BB131_29 Depth=1
	s_or_b64 exec, exec, s[30:31]
.LBB131_61:                             ;   in Loop: Header=BB131_29 Depth=1
	s_or_b64 exec, exec, s[8:9]
	v_readlane_b32 s8, v82, 21
	v_add_u32_e32 v2, v2, v26
	v_readlane_b32 s9, v82, 22
	v_add_u32_e32 v3, -1, v2
	s_orn2_b64 s[8:9], s[8:9], exec
	v_mov_b32_e32 v4, v27
.LBB131_62:                             ;   in Loop: Header=BB131_29 Depth=1
	s_or_b64 exec, exec, s[2:3]
	v_mov_b32_e32 v5, s35
	s_and_b64 s[2:3], s[8:9], exec
	s_andn2_saveexec_b64 s[8:9], s[28:29]
	s_cbranch_execz .LBB131_48
.LBB131_63:                             ;   in Loop: Header=BB131_29 Depth=1
	v_mov_b32_e32 v5, s35
	s_or_b64 s[2:3], s[2:3], exec
	v_mov_b32_e32 v4, v0
	s_or_b64 exec, exec, s[8:9]
	s_and_saveexec_b64 s[8:9], s[2:3]
	s_cbranch_execz .LBB131_67
.LBB131_64:                             ;   in Loop: Header=BB131_29 Depth=1
	s_sub_i32 s28, 0, s34
	v_mul_lo_u32 v14, s66, v2
	s_mov_b64 s[2:3], 0
.LBB131_65:                             ;   Parent Loop BB131_29 Depth=1
                                        ; =>  This Inner Loop Header: Depth=2
	v_lshl_add_u64 v[6:7], v[14:15], 1, v[10:11]
	s_waitcnt vmcnt(0)
	v_mov_b32_e32 v3, v48
	global_load_ushort v48, v[6:7], off
	v_mov_b32_e32 v6, v2
	v_lshlrev_b32_e32 v2, 1, v4
	ds_write_b16 v2, v3
	v_add_u32_e32 v2, s34, v6
	v_cmp_le_u32_e32 vcc, s64, v2
	v_add_u32_e32 v14, v14, v5
	s_or_b64 s[2:3], vcc, s[2:3]
	v_mov_b32_e32 v4, v6
	s_andn2_b64 exec, exec, s[2:3]
	s_cbranch_execnz .LBB131_65
; %bb.66:                               ;   in Loop: Header=BB131_29 Depth=1
	s_or_b64 exec, exec, s[2:3]
	v_add_u32_e32 v3, s28, v2
.LBB131_67:                             ;   in Loop: Header=BB131_29 Depth=1
	s_or_b64 exec, exec, s[8:9]
.LBB131_68:                             ;   in Loop: Header=BB131_29 Depth=1
	s_or_b64 exec, exec, s[26:27]
	v_lshlrev_b32_e32 v2, 1, v3
	s_waitcnt vmcnt(0)
	ds_write_b16 v2, v48
.LBB131_69:                             ;   in Loop: Header=BB131_29 Depth=1
	s_or_b64 exec, exec, s[22:23]
	s_waitcnt lgkmcnt(0)
	s_barrier
	s_mov_b64 s[2:3], exec
	v_readlane_b32 s8, v82, 8
	v_readlane_b32 s9, v82, 9
	s_and_b64 s[8:9], s[2:3], s[8:9]
	s_mov_b64 exec, s[8:9]
; %bb.70:                               ;   in Loop: Header=BB131_29 Depth=1
	ds_write_b32 v15, v52 offset:4104
; %bb.71:                               ;   in Loop: Header=BB131_29 Depth=1
	s_or_b64 exec, exec, s[2:3]
	s_mov_b64 s[2:3], -1
	s_waitcnt lgkmcnt(0)
	s_barrier
.LBB131_72:                             ;   in Loop: Header=BB131_29 Depth=1
	s_mov_b32 s91, 0
	s_and_b64 vcc, exec, s[2:3]
	s_cbranch_vccz .LBB131_74
; %bb.73:                               ;   in Loop: Header=BB131_29 Depth=1
	ds_read_b32 v2, v15 offset:4104
	s_waitcnt lgkmcnt(0)
	v_readfirstlane_b32 s91, v2
.LBB131_74:                             ;   in Loop: Header=BB131_29 Depth=1
	s_cmp_lt_i32 s91, 1
	s_mov_b64 s[2:3], -1
                                        ; implicit-def: $vgpr4_vgpr5
	s_cbranch_scc1 .LBB131_84
; %bb.75:                               ;   in Loop: Header=BB131_29 Depth=1
	s_and_b64 vcc, exec, s[2:3]
	s_cbranch_vccnz .LBB131_95
.LBB131_76:                             ;   in Loop: Header=BB131_29 Depth=1
	s_lshl_b32 s22, s25, 6
	s_and_saveexec_b64 s[2:3], s[4:5]
.LBB131_77:                             ;   in Loop: Header=BB131_29 Depth=1
	v_lshl_add_u32 v6, s22, 2, v25
	ds_write_b128 v6, v[2:5]
.LBB131_78:                             ;   in Loop: Header=BB131_29 Depth=1
	s_or_b64 exec, exec, s[2:3]
	s_waitcnt lgkmcnt(0)
	s_barrier
	s_and_saveexec_b64 s[2:3], s[78:79]
	s_cbranch_execz .LBB131_112
; %bb.79:                               ;   in Loop: Header=BB131_29 Depth=1
	v_add_u32_e32 v4, s22, v22
	s_andn2_b64 vcc, exec, s[82:83]
	v_mov_b32_e32 v2, 0
	s_cbranch_vccnz .LBB131_111
; %bb.80:                               ;   in Loop: Header=BB131_29 Depth=1
	v_readlane_b32 s8, v82, 23
	v_readlane_b32 s9, v82, 24
	s_andn2_b64 vcc, exec, s[8:9]
	s_cbranch_vccnz .LBB131_104
; %bb.81:                               ;   in Loop: Header=BB131_29 Depth=1
	v_readlane_b32 s8, v82, 25
	v_readlane_b32 s9, v82, 26
	s_andn2_b64 vcc, exec, s[8:9]
	v_lshl_add_u32 v5, v4, 2, v43
	s_cbranch_vccnz .LBB131_105
; %bb.82:                               ;   in Loop: Header=BB131_29 Depth=1
	s_mov_b32 s9, 1
	s_mov_b32 s8, 0
	v_mov_b32_e32 v2, 0
	v_mov_b32_e32 v3, 0
	v_readlane_b32 s23, v82, 27
.LBB131_83:                             ;   Parent Loop BB131_29 Depth=1
                                        ; =>  This Inner Loop Header: Depth=2
	v_lshl_add_u32 v14, s8, 4, v5
	v_lshl_add_u32 v53, s9, 4, v5
	ds_read2_b32 v[6:7], v14 offset1:8
	ds_read2_b32 v[8:9], v53 offset1:8
	ds_read2_b32 v[48:49], v14 offset0:16 offset1:24
	ds_read2_b32 v[50:51], v53 offset0:16 offset1:24
	;; [unrolled: 1-line block ×6, first 2 shown]
	s_waitcnt lgkmcnt(7)
	v_add3_u32 v2, v6, v2, v7
	s_waitcnt lgkmcnt(6)
	v_add3_u32 v3, v8, v3, v9
	;; [unrolled: 2-line block ×3, first 2 shown]
	v_add3_u32 v2, v48, v2, v49
	s_add_i32 s9, s9, 16
	s_add_i32 s8, s8, 16
	s_add_i32 s23, s23, -8
	s_waitcnt lgkmcnt(3)
	v_add3_u32 v2, v54, v2, v55
	s_waitcnt lgkmcnt(2)
	v_add3_u32 v3, v56, v3, v57
	s_cmp_lg_u32 s23, 0
	s_waitcnt lgkmcnt(0)
	v_add3_u32 v3, v60, v3, v61
	v_add3_u32 v2, v58, v2, v59
	s_cbranch_scc1 .LBB131_83
	s_branch .LBB131_106
.LBB131_84:                             ;   in Loop: Header=BB131_29 Depth=1
	v_mov_b32_e32 v14, v15
	v_mov_b64_e32 v[4:5], v[14:15]
	v_mov_b64_e32 v[2:3], v[14:15]
	s_and_saveexec_b64 s[52:53], s[16:17]
	s_cbranch_execz .LBB131_88
; %bb.85:                               ;   in Loop: Header=BB131_29 Depth=1
	s_mov_b32 s8, 0
	s_mov_b64 s[54:55], 0
	v_mov_b32_e32 v6, v19
	s_mov_b32 s58, 0
	s_mov_b32 s59, s8
	;; [unrolled: 1-line block ×4, first 2 shown]
.LBB131_86:                             ;   Parent Loop BB131_29 Depth=1
                                        ; =>  This Inner Loop Header: Depth=2
	v_add_u32_e32 v14, s8, v34
	v_lshl_add_u64 v[2:3], v[14:15], 1, v[10:11]
	v_add_u32_e32 v14, s8, v31
	global_load_ushort v4, v[2:3], off
	v_lshl_add_u64 v[2:3], v[14:15], 1, v[10:11]
	v_add_u32_e32 v14, s8, v32
	global_load_ushort v5, v[2:3], off
	;; [unrolled: 3-line block ×3, first 2 shown]
	v_lshl_add_u64 v[2:3], v[14:15], 1, v[10:11]
	global_load_ushort v2, v[2:3], off
	v_add_u32_e32 v6, s68, v6
	v_cmp_le_u32_e32 vcc, s85, v6
	s_add_i32 s8, s8, s20
	s_waitcnt vmcnt(3)
	v_cmp_lt_i16_e64 s[2:3], -1, v4
	s_nop 1
	v_cndmask_b32_e64 v3, v40, v41, s[2:3]
	v_xor_b32_sdwa v3, v3, v4 dst_sel:DWORD dst_unused:UNUSED_PAD src0_sel:DWORD src1_sel:WORD_0
	s_waitcnt vmcnt(2)
	v_cmp_lt_i16_e64 s[2:3], -1, v5
	s_waitcnt vmcnt(0)
	v_cmp_o_f16_e64 s[34:35], v2, v2
	v_cndmask_b32_e64 v8, v40, v41, s[2:3]
	v_cmp_o_f16_e64 s[2:3], v4, v4
	v_xor_b32_sdwa v4, v8, v5 dst_sel:DWORD dst_unused:UNUSED_PAD src0_sel:DWORD src1_sel:WORD_0
	s_nop 0
	v_cndmask_b32_e64 v3, v40, v3, s[2:3]
	v_cmp_lt_i16_e64 s[2:3], -1, v7
	v_and_b32_e32 v9, v3, v45
	v_bfe_u32 v3, v3, v39, 2
	v_cndmask_b32_e64 v8, v40, v41, s[2:3]
	v_cmp_o_f16_e64 s[2:3], v5, v5
	v_xor_b32_sdwa v5, v8, v7 dst_sel:DWORD dst_unused:UNUSED_PAD src0_sel:DWORD src1_sel:WORD_0
	v_cmp_eq_u32_e64 s[22:23], 0, v3
	v_cndmask_b32_e64 v4, v40, v4, s[2:3]
	v_cmp_lt_i16_e64 s[2:3], -1, v2
	v_cmp_eq_u32_e64 s[26:27], 1, v3
	v_cmp_eq_u32_e64 s[28:29], 2, v3
	v_cndmask_b32_e64 v8, v40, v41, s[2:3]
	v_cmp_o_f16_e64 s[2:3], v7, v7
	v_xor_b32_sdwa v7, v8, v2 dst_sel:DWORD dst_unused:UNUSED_PAD src0_sel:DWORD src1_sel:WORD_0
	v_and_b32_e32 v8, v4, v45
	v_cndmask_b32_e64 v5, v40, v5, s[2:3]
	v_cmp_eq_u32_e64 s[2:3], v9, v35
	v_bfe_u32 v4, v4, v39, 2
	s_and_b64 s[22:23], s[2:3], s[22:23]
	v_cmp_eq_u32_e64 s[30:31], 3, v3
	v_cmp_eq_u32_e64 s[36:37], 0, v4
	;; [unrolled: 1-line block ×5, first 2 shown]
	v_cndmask_b32_e64 v4, 0, 1, s[22:23]
	s_and_b64 s[22:23], s[2:3], s[26:27]
	v_cndmask_b32_e64 v2, v40, v7, s[34:35]
	v_cmp_eq_u32_e64 s[34:35], v8, v35
	v_and_b32_e32 v3, v5, v45
	v_bfe_u32 v5, v5, v39, 2
	v_cndmask_b32_e64 v7, 0, 1, s[22:23]
	s_and_b64 s[22:23], s[2:3], s[28:29]
	s_and_b64 s[2:3], s[2:3], s[30:31]
	v_cndmask_b32_e64 v8, 0, 1, s[22:23]
	v_cndmask_b32_e64 v9, 0, 1, s[2:3]
	v_cmp_eq_u32_e64 s[2:3], v3, v35
	v_and_b32_e32 v3, v2, v45
	v_bfe_u32 v2, v2, v39, 2
	v_cmp_eq_u32_e64 s[22:23], 0, v5
	s_and_b64 s[36:37], s[34:35], s[36:37]
	s_and_b64 s[38:39], s[34:35], s[38:39]
	;; [unrolled: 1-line block ×4, first 2 shown]
	v_cmp_eq_u32_e64 s[26:27], 1, v5
	v_cmp_eq_u32_e64 s[28:29], 2, v5
	;; [unrolled: 1-line block ×3, first 2 shown]
	v_cndmask_b32_e64 v5, 0, 1, s[38:39]
	v_cmp_ne_u32_e64 s[38:39], 0, v8
	v_cndmask_b32_e64 v8, 0, 1, s[34:35]
	v_cmp_eq_u32_e64 s[34:35], v3, v35
	v_cmp_eq_u32_e64 s[42:43], 0, v2
	s_and_b64 s[22:23], s[2:3], s[22:23]
	v_cmp_eq_u32_e64 s[46:47], 1, v2
	v_cmp_eq_u32_e64 s[48:49], 2, v2
	;; [unrolled: 1-line block ×3, first 2 shown]
	v_cndmask_b32_e64 v2, 0, 1, s[22:23]
	s_and_b64 s[26:27], s[2:3], s[26:27]
	s_and_b64 s[28:29], s[2:3], s[28:29]
	;; [unrolled: 1-line block ×4, first 2 shown]
	v_cmp_ne_u32_e64 s[44:45], 0, v4
	v_cndmask_b32_e64 v4, 0, 1, s[36:37]
	v_cmp_ne_u32_e64 s[36:37], 0, v7
	v_cndmask_b32_e64 v7, 0, 1, s[40:41]
	v_cmp_ne_u32_e64 s[40:41], 0, v9
	v_cmp_ne_u32_e64 s[22:23], 0, v5
	v_cndmask_b32_e64 v3, 0, 1, s[26:27]
	v_cndmask_b32_e64 v5, 0, 1, s[2:3]
	v_cmp_ne_u32_e64 s[2:3], 0, v2
	v_cndmask_b32_e64 v2, 0, 1, s[30:31]
	s_and_b64 s[30:31], s[34:35], s[46:47]
	s_bcnt1_i32_b64 s9, s[44:45]
	v_cmp_ne_u32_e64 s[44:45], 0, v4
	s_bcnt1_i32_b64 s36, s[36:37]
	s_bcnt1_i32_b64 s37, s[38:39]
	v_cmp_ne_u32_e64 s[26:27], 0, v7
	v_cndmask_b32_e64 v4, 0, 1, s[28:29]
	s_bcnt1_i32_b64 s38, s[40:41]
	s_bcnt1_i32_b64 s40, s[22:23]
	v_cmp_ne_u32_e64 s[22:23], 0, v3
	v_cndmask_b32_e64 v3, 0, 1, s[30:31]
	s_and_b64 s[30:31], s[34:35], s[48:49]
	v_cmp_ne_u32_e64 s[28:29], 0, v8
	s_bcnt1_i32_b64 s41, s[26:27]
	v_cmp_ne_u32_e64 s[26:27], 0, v4
	v_cndmask_b32_e64 v4, 0, 1, s[30:31]
	s_and_b64 s[30:31], s[34:35], s[50:51]
	s_bcnt1_i32_b64 s39, s[44:45]
	s_add_i32 s9, s58, s9
	s_add_i32 s36, s59, s36
	s_bcnt1_i32_b64 s42, s[28:29]
	v_cmp_ne_u32_e64 s[28:29], 0, v5
	v_cndmask_b32_e64 v5, 0, 1, s[30:31]
	s_add_i32 s30, s56, s37
	s_add_i32 s31, s57, s38
	s_bcnt1_i32_b64 s34, s[2:3]
	v_cmp_ne_u32_e64 s[2:3], 0, v2
	s_bcnt1_i32_b64 s35, s[22:23]
	v_cmp_ne_u32_e64 s[22:23], 0, v3
	s_add_i32 s36, s36, s40
	s_add_i32 s9, s9, s39
	s_bcnt1_i32_b64 s37, s[26:27]
	v_cmp_ne_u32_e64 s[26:27], 0, v4
	s_bcnt1_i32_b64 s38, s[28:29]
	v_cmp_ne_u32_e64 s[28:29], 0, v5
	s_add_i32 s31, s31, s42
	s_add_i32 s30, s30, s41
	s_bcnt1_i32_b64 s2, s[2:3]
	s_bcnt1_i32_b64 s3, s[22:23]
	s_add_i32 s9, s9, s34
	s_add_i32 s22, s36, s35
	s_bcnt1_i32_b64 s23, s[26:27]
	s_bcnt1_i32_b64 s26, s[28:29]
	s_add_i32 s27, s30, s37
	s_add_i32 s28, s31, s38
	;; [unrolled: 1-line block ×6, first 2 shown]
	s_or_b64 s[54:55], vcc, s[54:55]
	v_mov_b64_e32 v[2:3], s[58:59]
	v_mov_b64_e32 v[4:5], s[56:57]
	s_andn2_b64 exec, exec, s[54:55]
	s_cbranch_execnz .LBB131_86
; %bb.87:                               ;   in Loop: Header=BB131_29 Depth=1
	s_or_b64 exec, exec, s[54:55]
.LBB131_88:                             ;   in Loop: Header=BB131_29 Depth=1
	s_or_b64 exec, exec, s[52:53]
	s_and_saveexec_b64 s[8:9], s[18:19]
	s_cbranch_execz .LBB131_94
; %bb.89:                               ;   in Loop: Header=BB131_29 Depth=1
	global_load_ushort v8, v[20:21], off
	s_mov_b64 s[22:23], 0
	v_mov_b32_e32 v14, v36
	v_mov_b32_e32 v6, v29
	s_branch .LBB131_91
.LBB131_90:                             ;   in Loop: Header=BB131_91 Depth=2
	s_or_b64 exec, exec, s[26:27]
	s_and_b64 s[2:3], exec, vcc
	s_waitcnt vmcnt(0)
	v_cmp_lt_i16_e32 vcc, -1, v8
	s_or_b64 s[22:23], s[2:3], s[22:23]
	v_add_u32_e32 v14, s90, v14
	v_cndmask_b32_e32 v9, v40, v41, vcc
	v_xor_b32_sdwa v9, v9, v8 dst_sel:DWORD dst_unused:UNUSED_PAD src0_sel:DWORD src1_sel:WORD_0
	v_cmp_o_f16_e32 vcc, v8, v8
	s_nop 1
	v_cndmask_b32_e32 v8, v40, v9, vcc
	v_and_b32_e32 v9, v8, v45
	v_bfe_u32 v8, v8, v39, 2
	v_cmp_eq_u32_e32 vcc, v9, v35
	v_cmp_eq_u32_e64 s[2:3], 0, v8
	s_and_b64 s[2:3], vcc, s[2:3]
	s_nop 0
	v_cndmask_b32_e64 v9, 0, 1, s[2:3]
	v_cmp_ne_u32_e64 s[2:3], 0, v9
	s_bcnt1_i32_b64 s26, s[2:3]
	v_cmp_eq_u32_e64 s[2:3], 1, v8
	s_and_b64 s[2:3], vcc, s[2:3]
	v_add_u32_e32 v2, s26, v2
	v_cndmask_b32_e64 v9, 0, 1, s[2:3]
	v_cmp_ne_u32_e64 s[2:3], 0, v9
	s_bcnt1_i32_b64 s2, s[2:3]
	s_nop 0
	v_add_u32_e32 v3, s2, v3
	v_cmp_eq_u32_e64 s[2:3], 2, v8
	s_and_b64 s[2:3], vcc, s[2:3]
	s_nop 0
	v_cndmask_b32_e64 v9, 0, 1, s[2:3]
	v_cmp_ne_u32_e64 s[2:3], 0, v9
	s_bcnt1_i32_b64 s26, s[2:3]
	v_cmp_eq_u32_e64 s[2:3], 3, v8
	s_and_b64 s[2:3], vcc, s[2:3]
	v_add_u32_e32 v4, s26, v4
	v_cndmask_b32_e64 v8, 0, 1, s[2:3]
	v_cmp_ne_u32_e32 vcc, 0, v8
	s_bcnt1_i32_b64 s2, vcc
	v_add_u32_e32 v5, s2, v5
	v_mov_b32_e32 v8, v7
	s_andn2_b64 exec, exec, s[22:23]
	s_cbranch_execz .LBB131_93
.LBB131_91:                             ;   Parent Loop BB131_29 Depth=1
                                        ; =>  This Inner Loop Header: Depth=2
	v_add_u32_e32 v6, s67, v6
	v_cmp_gt_u32_e64 s[2:3], s64, v6
	v_cmp_le_u32_e32 vcc, s64, v6
	v_mov_b32_e32 v7, 0
	s_and_saveexec_b64 s[26:27], s[2:3]
	s_cbranch_execz .LBB131_90
; %bb.92:                               ;   in Loop: Header=BB131_91 Depth=2
	v_lshl_add_u64 v[48:49], v[14:15], 1, v[10:11]
	global_load_ushort v7, v[48:49], off
	s_branch .LBB131_90
.LBB131_93:                             ;   in Loop: Header=BB131_29 Depth=1
	s_or_b64 exec, exec, s[22:23]
.LBB131_94:                             ;   in Loop: Header=BB131_29 Depth=1
	s_or_b64 exec, exec, s[8:9]
	s_branch .LBB131_76
.LBB131_95:                             ;   in Loop: Header=BB131_29 Depth=1
	s_mul_hi_u32 s2, s91, s84
	s_mul_i32 s2, s2, s68
	s_sub_i32 s2, s91, s2
	s_sub_i32 s3, s2, s68
	s_cmp_ge_u32 s2, s68
	s_cselect_b32 s2, s3, s2
	s_sub_i32 s3, s2, s68
	s_cmp_ge_u32 s2, s68
	s_cselect_b32 s2, s3, s2
	s_sub_i32 s86, s91, s2
	v_mov_b32_e32 v14, v15
	v_cmp_gt_u32_e32 vcc, s86, v19
	v_mov_b64_e32 v[4:5], v[14:15]
	v_mov_b64_e32 v[2:3], v[14:15]
	s_and_saveexec_b64 s[74:75], vcc
	s_cbranch_execz .LBB131_99
; %bb.96:                               ;   in Loop: Header=BB131_29 Depth=1
	s_mov_b32 s88, 0
	s_mov_b64 s[76:77], 0
	v_mov_b32_e32 v6, v37
	v_mov_b32_e32 v7, v19
	s_mov_b32 s89, s88
	s_mov_b32 s8, s88
	;; [unrolled: 1-line block ×3, first 2 shown]
.LBB131_97:                             ;   Parent Loop BB131_29 Depth=1
                                        ; =>  This Inner Loop Header: Depth=2
	ds_read_b64 v[2:3], v6
	v_add_u32_e32 v7, s68, v7
	v_cmp_le_u32_e32 vcc, s86, v7
	v_add_u32_e32 v6, s21, v6
	s_waitcnt lgkmcnt(0)
	v_cmp_lt_i16_e64 s[2:3], -1, v2
	v_cmp_o_f16_e64 s[22:23], v3, v3
	s_nop 0
	v_cndmask_b32_e64 v4, v40, v41, s[2:3]
	v_cmp_gt_i16_sdwa s[2:3], v2, v42 src0_sel:WORD_1 src1_sel:DWORD
	v_cmp_o_f16_sdwa s[26:27], v3, v3 src0_sel:WORD_1 src1_sel:WORD_1
	v_cmp_o_f16_e64 s[28:29], v2, v2
	v_cndmask_b32_e64 v5, v40, v41, s[2:3]
	v_cmp_lt_i16_e64 s[2:3], -1, v3
	v_xor_b32_sdwa v5, v5, v2 dst_sel:DWORD dst_unused:UNUSED_PAD src0_sel:DWORD src1_sel:WORD_1
	s_nop 0
	v_cndmask_b32_e64 v8, v40, v41, s[2:3]
	v_cmp_gt_i16_sdwa s[2:3], v3, v42 src0_sel:WORD_1 src1_sel:DWORD
	v_bitop3_b32 v8, v8, v3, s70 bitop3:0x78
	s_nop 0
	v_cndmask_b32_e64 v9, v40, v41, s[2:3]
	v_xor_b32_sdwa v9, v9, v3 dst_sel:DWORD dst_unused:UNUSED_PAD src0_sel:DWORD src1_sel:WORD_1
	v_bitop3_b32 v3, v4, v2, s70 bitop3:0x78
	v_cmp_o_f16_sdwa s[2:3], v2, v2 src0_sel:WORD_1 src1_sel:WORD_1
	v_cndmask_b32_e64 v2, v40, v3, s[28:29]
	v_cndmask_b32_e64 v4, v40, v8, s[22:23]
	;; [unrolled: 1-line block ×3, first 2 shown]
	v_and_b32_e32 v8, v2, v45
	v_bfe_u32 v2, v2, v39, 2
	v_cndmask_b32_e64 v5, v40, v9, s[26:27]
	v_and_b32_e32 v9, v3, v45
	v_bfe_u32 v3, v3, v39, 2
	v_cmp_eq_u32_e64 s[2:3], v8, v35
	v_cmp_eq_u32_e64 s[30:31], 0, v2
	v_and_b32_e32 v14, v4, v45
	v_bfe_u32 v4, v4, v39, 2
	v_cmp_eq_u32_e64 s[22:23], v9, v35
	v_cmp_eq_u32_e64 s[34:35], 0, v3
	s_and_b64 s[30:31], s[2:3], s[30:31]
	v_and_b32_e32 v48, v5, v45
	v_bfe_u32 v5, v5, v39, 2
	v_cmp_eq_u32_e64 s[26:27], v14, v35
	v_cmp_eq_u32_e64 s[36:37], 0, v4
	;; [unrolled: 1-line block ×5, first 2 shown]
	v_cndmask_b32_e64 v2, 0, 1, s[30:31]
	s_and_b64 s[30:31], s[22:23], s[34:35]
	v_cmp_eq_u32_e64 s[28:29], v48, v35
	v_cmp_eq_u32_e64 s[38:39], 0, v5
	;; [unrolled: 1-line block ×5, first 2 shown]
	v_cndmask_b32_e64 v3, 0, 1, s[30:31]
	s_and_b64 s[30:31], s[26:27], s[36:37]
	v_cmp_eq_u32_e64 s[44:45], 1, v4
	v_cmp_eq_u32_e64 s[52:53], 2, v4
	;; [unrolled: 1-line block ×3, first 2 shown]
	v_cndmask_b32_e64 v4, 0, 1, s[30:31]
	s_and_b64 s[30:31], s[28:29], s[38:39]
	v_cmp_eq_u32_e64 s[46:47], 1, v5
	v_cmp_eq_u32_e64 s[54:55], 2, v5
	;; [unrolled: 1-line block ×3, first 2 shown]
	v_cndmask_b32_e64 v5, 0, 1, s[30:31]
	s_and_b64 s[30:31], s[2:3], s[40:41]
	v_cndmask_b32_e64 v8, 0, 1, s[30:31]
	s_and_b64 s[30:31], s[22:23], s[42:43]
	;; [unrolled: 2-line block ×5, first 2 shown]
	s_and_b64 s[2:3], s[2:3], s[56:57]
	v_cndmask_b32_e64 v49, 0, 1, s[30:31]
	s_and_b64 s[30:31], s[22:23], s[50:51]
	v_cndmask_b32_e64 v54, 0, 1, s[2:3]
	;; [unrolled: 2-line block ×7, first 2 shown]
	v_cndmask_b32_e64 v57, 0, 1, s[2:3]
	v_cmp_ne_u32_e64 s[2:3], 0, v2
	v_cmp_ne_u32_e64 s[22:23], 0, v3
	;; [unrolled: 1-line block ×11, first 2 shown]
	s_bcnt1_i32_b64 s2, s[2:3]
	s_bcnt1_i32_b64 s3, s[22:23]
	;; [unrolled: 1-line block ×8, first 2 shown]
	v_cmp_ne_u32_e64 s[38:39], 0, v48
	v_cmp_ne_u32_e64 s[44:45], 0, v51
	;; [unrolled: 1-line block ×3, first 2 shown]
	s_bcnt1_i32_b64 s27, s[34:35]
	s_bcnt1_i32_b64 s31, s[42:43]
	;; [unrolled: 1-line block ×3, first 2 shown]
	s_add_i32 s2, s88, s2
	s_add_i32 s26, s89, s26
	;; [unrolled: 1-line block ×4, first 2 shown]
	v_cmp_ne_u32_e64 s[46:47], 0, v53
	v_cmp_ne_u32_e64 s[54:55], 0, v57
	s_bcnt1_i32_b64 s29, s[38:39]
	s_bcnt1_i32_b64 s34, s[44:45]
	;; [unrolled: 1-line block ×3, first 2 shown]
	s_add_i32 s26, s26, s27
	s_add_i32 s2, s2, s3
	;; [unrolled: 1-line block ×4, first 2 shown]
	s_bcnt1_i32_b64 s35, s[46:47]
	s_bcnt1_i32_b64 s39, s[54:55]
	s_add_i32 s2, s2, s22
	s_add_i32 s9, s26, s28
	;; [unrolled: 1-line block ×8, first 2 shown]
	s_or_b64 s[76:77], vcc, s[76:77]
	v_mov_b64_e32 v[2:3], s[88:89]
	v_mov_b64_e32 v[4:5], s[8:9]
	s_andn2_b64 exec, exec, s[76:77]
	s_cbranch_execnz .LBB131_97
; %bb.98:                               ;   in Loop: Header=BB131_29 Depth=1
	s_or_b64 exec, exec, s[76:77]
.LBB131_99:                             ;   in Loop: Header=BB131_29 Depth=1
	s_or_b64 exec, exec, s[74:75]
	v_add_u32_e32 v6, s86, v0
	v_cmp_gt_u32_e32 vcc, s91, v6
	s_and_saveexec_b64 s[8:9], vcc
	s_cbranch_execz .LBB131_103
; %bb.100:                              ;   in Loop: Header=BB131_29 Depth=1
	v_lshlrev_b32_e32 v7, 1, v6
	s_mov_b64 s[34:35], 0
.LBB131_101:                            ;   Parent Loop BB131_29 Depth=1
                                        ; =>  This Inner Loop Header: Depth=2
	ds_read_u16 v8, v7
	v_add_u32_e32 v6, s67, v6
	v_cmp_le_u32_e32 vcc, s91, v6
	v_add_u32_e32 v7, s80, v7
	s_waitcnt lgkmcnt(0)
	v_cmp_lt_i16_e64 s[2:3], -1, v8
	s_nop 1
	v_cndmask_b32_e64 v9, v40, v41, s[2:3]
	v_xor_b32_sdwa v9, v9, v8 dst_sel:DWORD dst_unused:UNUSED_PAD src0_sel:DWORD src1_sel:WORD_0
	v_cmp_o_f16_e64 s[2:3], v8, v8
	s_nop 1
	v_cndmask_b32_e64 v8, v40, v9, s[2:3]
	v_and_b32_e32 v9, v8, v45
	v_bfe_u32 v8, v8, v39, 2
	v_cmp_eq_u32_e64 s[2:3], v9, v35
	v_cmp_eq_u32_e64 s[22:23], 0, v8
	;; [unrolled: 1-line block ×3, first 2 shown]
	s_and_b64 s[22:23], s[2:3], s[22:23]
	v_cmp_eq_u32_e64 s[28:29], 2, v8
	v_cmp_eq_u32_e64 s[30:31], 3, v8
	v_cndmask_b32_e64 v8, 0, 1, s[22:23]
	s_and_b64 s[22:23], s[2:3], s[26:27]
	v_cndmask_b32_e64 v9, 0, 1, s[22:23]
	s_and_b64 s[22:23], s[2:3], s[28:29]
	s_and_b64 s[2:3], s[2:3], s[30:31]
	v_cndmask_b32_e64 v14, 0, 1, s[22:23]
	v_cndmask_b32_e64 v48, 0, 1, s[2:3]
	v_cmp_ne_u32_e64 s[2:3], 0, v8
	v_cmp_ne_u32_e64 s[22:23], 0, v9
	;; [unrolled: 1-line block ×4, first 2 shown]
	s_bcnt1_i32_b64 s2, s[2:3]
	s_bcnt1_i32_b64 s3, s[22:23]
	;; [unrolled: 1-line block ×4, first 2 shown]
	v_add_u32_e32 v3, s3, v3
	v_add_u32_e32 v2, s2, v2
	;; [unrolled: 1-line block ×3, first 2 shown]
	s_or_b64 s[34:35], vcc, s[34:35]
	v_add_u32_e32 v4, s22, v4
	s_andn2_b64 exec, exec, s[34:35]
	s_cbranch_execnz .LBB131_101
; %bb.102:                              ;   in Loop: Header=BB131_29 Depth=1
	s_or_b64 exec, exec, s[34:35]
.LBB131_103:                            ;   in Loop: Header=BB131_29 Depth=1
	s_or_b64 exec, exec, s[8:9]
	s_lshl_b32 s22, s25, 6
	s_and_saveexec_b64 s[2:3], s[4:5]
	s_cbranch_execnz .LBB131_77
	s_branch .LBB131_78
.LBB131_104:                            ;   in Loop: Header=BB131_29 Depth=1
	v_mov_b32_e32 v2, 0
	s_mov_b32 s23, 0
	s_cbranch_execnz .LBB131_109
	s_branch .LBB131_111
.LBB131_105:                            ;   in Loop: Header=BB131_29 Depth=1
	v_mov_b32_e32 v14, v15
	s_mov_b32 s8, 0
	v_mov_b64_e32 v[2:3], v[14:15]
	s_mov_b32 s9, 1
.LBB131_106:                            ;   in Loop: Header=BB131_29 Depth=1
	v_readlane_b32 s26, v82, 29
	v_readlane_b32 s27, v82, 30
	s_andn2_b64 vcc, exec, s[26:27]
	v_readlane_b32 s23, v82, 28
	s_cbranch_vccnz .LBB131_108
.LBB131_107:                            ;   Parent Loop BB131_29 Depth=1
                                        ; =>  This Inner Loop Header: Depth=2
	v_lshl_add_u32 v6, s8, 4, v5
	v_lshl_add_u32 v7, s9, 4, v5
	ds_read_b32 v7, v7
	ds_read_b32 v6, v6
	s_add_i32 s9, s9, 2
	s_add_i32 s8, s8, 2
	s_add_i32 s23, s23, -1
	s_cmp_lg_u32 s23, 0
	s_waitcnt lgkmcnt(1)
	v_add_u32_e32 v3, v7, v3
	s_waitcnt lgkmcnt(0)
	v_add_u32_e32 v2, v6, v2
	s_cbranch_scc1 .LBB131_107
.LBB131_108:                            ;   in Loop: Header=BB131_29 Depth=1
	v_readlane_b32 s8, v82, 33
	v_add_u32_e32 v2, v2, v3
	v_readlane_b32 s23, v82, 32
	v_readlane_b32 s9, v82, 34
	s_and_b64 vcc, exec, s[8:9]
	s_cbranch_vccz .LBB131_111
.LBB131_109:                            ;   in Loop: Header=BB131_29 Depth=1
	s_lshl_b32 s8, s25, 8
	s_lshl_b32 s9, s23, 4
	s_add_i32 s8, s8, s9
	v_add_u32_e32 v3, s8, v38
	v_readlane_b32 s8, v82, 31
	s_sub_i32 s8, s8, s23
.LBB131_110:                            ;   Parent Loop BB131_29 Depth=1
                                        ; =>  This Inner Loop Header: Depth=2
	ds_read_b32 v5, v3
	s_add_i32 s8, s8, -1
	v_add_u32_e32 v3, 16, v3
	s_cmp_eq_u32 s8, 0
	s_waitcnt lgkmcnt(0)
	v_add_u32_e32 v2, v5, v2
	s_cbranch_scc0 .LBB131_110
.LBB131_111:                            ;   in Loop: Header=BB131_29 Depth=1
	v_lshlrev_b32_e32 v3, 2, v4
	ds_write_b32 v3, v2 offset:3072
.LBB131_112:                            ;   in Loop: Header=BB131_29 Depth=1
	s_or_b64 exec, exec, s[2:3]
	s_lshl_b32 s2, s22, 2
	v_mov_b32_e32 v2, s2
	s_waitcnt lgkmcnt(0)
	s_barrier
	ds_read_b128 v[2:5], v2 offset:3072
	v_cmp_eq_u32_e32 vcc, 1, v47
	s_mov_b64 s[22:23], -1
	s_mov_b64 s[30:31], -1
                                        ; implicit-def: $sgpr28_sgpr29
                                        ; implicit-def: $sgpr8_sgpr9
	s_waitcnt lgkmcnt(0)
	v_readfirstlane_b32 s44, v2
	s_cmp_eq_u32 s44, 1
	v_lshlrev_b32_e64 v2, v39, 3
	s_cselect_b64 s[2:3], -1, 0
	v_readfirstlane_b32 s48, v3
	v_readfirstlane_b32 s56, v4
	v_readfirstlane_b32 s74, v5
	v_not_b32_e32 v4, v2
	s_and_b64 s[26:27], s[2:3], vcc
	s_and_saveexec_b64 s[2:3], s[26:27]
	s_cbranch_execz .LBB131_140
; %bb.113:                              ;   in Loop: Header=BB131_29 Depth=1
	ds_read_b32 v3, v15 offset:4104
	s_waitcnt lgkmcnt(0)
	s_barrier
	v_readfirstlane_b32 s45, v3
	s_and_saveexec_b64 s[8:9], s[6:7]
; %bb.114:                              ;   in Loop: Header=BB131_29 Depth=1
	ds_write_b16 v24, v15
; %bb.115:                              ;   in Loop: Header=BB131_29 Depth=1
	s_or_b64 exec, exec, s[8:9]
	v_and_b32_e32 v35, v35, v4
	v_or_b32_e32 v45, v45, v2
	s_mov_b64 s[8:9], -1
	s_mov_b64 s[28:29], 0
	s_cmp_eq_u32 s45, 0
	s_mov_b64 s[30:31], 0
	s_mov_b64 s[34:35], -1
	s_waitcnt lgkmcnt(0)
	s_barrier
                                        ; implicit-def: $vgpr46
	s_cbranch_scc1 .LBB131_127
; %bb.116:                              ;   in Loop: Header=BB131_29 Depth=1
	v_readlane_b32 s30, v82, 10
	s_add_i32 s30, s45, s30
	v_readlane_b32 s31, v82, 35
	s_mul_hi_u32 s31, s30, s31
	s_mul_i32 s31, s31, s67
	s_sub_i32 s31, s30, s31
	s_sub_i32 s34, s31, s67
	s_cmp_ge_u32 s31, s67
	s_cselect_b32 s31, s34, s31
	s_sub_i32 s34, s31, s67
	s_cmp_ge_u32 s31, s67
	s_cselect_b32 s31, s34, s31
	s_sub_i32 s46, s30, s31
	v_cmp_gt_u32_e32 vcc, s46, v0
	s_mov_b64 s[34:35], 0
	s_mov_b64 s[30:31], 0
                                        ; implicit-def: $vgpr46
	s_and_saveexec_b64 s[36:37], vcc
	s_cbranch_execz .LBB131_126
; %bb.117:                              ;   in Loop: Header=BB131_29 Depth=1
	v_mov_b32_e32 v3, v23
	v_mov_b32_e32 v5, v0
                                        ; implicit-def: $sgpr38_sgpr39
	s_branch .LBB131_121
.LBB131_118:                            ;   in Loop: Header=BB131_121 Depth=2
	s_or_b64 exec, exec, s[40:41]
	s_waitcnt lgkmcnt(0)
	s_barrier
	ds_read_b32 v6, v15 offset:3072
	s_waitcnt lgkmcnt(0)
	s_barrier
	v_cmp_neq_f16_e32 vcc, 0, v6
	s_cbranch_vccnz .LBB131_124
; %bb.119:                              ;   in Loop: Header=BB131_121 Depth=2
	v_add_u32_e32 v5, s67, v5
	v_cmp_le_u32_e32 vcc, s46, v5
	v_add_u32_e32 v3, s80, v3
	s_mov_b64 s[40:41], 0
	s_orn2_b64 s[42:43], vcc, exec
.LBB131_120:                            ;   in Loop: Header=BB131_121 Depth=2
	s_and_b64 s[42:43], exec, s[42:43]
	s_or_b64 s[30:31], s[42:43], s[30:31]
	s_andn2_b64 s[38:39], s[38:39], exec
	s_and_b64 s[40:41], s[40:41], exec
	s_or_b64 s[38:39], s[38:39], s[40:41]
	s_andn2_b64 exec, exec, s[30:31]
	s_cbranch_execz .LBB131_125
.LBB131_121:                            ;   Parent Loop BB131_29 Depth=1
                                        ; =>  This Inner Loop Header: Depth=2
	v_cmp_gt_u32_e32 vcc, s45, v5
	s_and_saveexec_b64 s[40:41], vcc
	s_cbranch_execz .LBB131_118
; %bb.122:                              ;   in Loop: Header=BB131_121 Depth=2
	ds_read_u16 v6, v3
	s_waitcnt lgkmcnt(0)
	v_cmp_lt_i16_e32 vcc, -1, v6
	s_nop 1
	v_cndmask_b32_e32 v7, v40, v41, vcc
	v_xor_b32_sdwa v7, v7, v6 dst_sel:DWORD dst_unused:UNUSED_PAD src0_sel:DWORD src1_sel:WORD_0
	v_cmp_o_f16_e32 vcc, v6, v6
	s_nop 1
	v_cndmask_b32_e32 v7, v40, v7, vcc
	v_and_b32_e32 v7, v7, v45
	v_cmp_eq_u32_e32 vcc, v7, v35
	s_and_b64 exec, exec, vcc
	s_cbranch_execz .LBB131_118
; %bb.123:                              ;   in Loop: Header=BB131_121 Depth=2
	v_perm_b32 v6, v6, s24, v44
	ds_write_b32 v15, v6 offset:3072
	s_branch .LBB131_118
.LBB131_124:                            ;   in Loop: Header=BB131_121 Depth=2
	s_mov_b64 s[42:43], -1
                                        ; implicit-def: $vgpr5
                                        ; implicit-def: $vgpr3
	s_mov_b64 s[40:41], -1
	s_branch .LBB131_120
.LBB131_125:                            ;   in Loop: Header=BB131_29 Depth=1
	s_or_b64 exec, exec, s[30:31]
	v_lshrrev_b32_e32 v46, 16, v6
	s_and_b64 s[30:31], s[38:39], exec
.LBB131_126:                            ;   in Loop: Header=BB131_29 Depth=1
	s_or_b64 exec, exec, s[36:37]
.LBB131_127:                            ;   in Loop: Header=BB131_29 Depth=1
	s_and_b64 vcc, exec, s[34:35]
	s_cbranch_vccz .LBB131_139
; %bb.128:                              ;   in Loop: Header=BB131_29 Depth=1
                                        ; implicit-def: $vgpr46
	s_mov_b64 s[8:9], exec
	v_readlane_b32 s28, v82, 36
	v_readlane_b32 s29, v82, 37
	s_and_b64 s[28:29], s[8:9], s[28:29]
	s_mov_b64 exec, s[28:29]
	s_cbranch_execz .LBB131_138
; %bb.129:                              ;   in Loop: Header=BB131_29 Depth=1
	s_mov_b64 s[28:29], 0
	v_mov_b32_e32 v14, v12
	v_mov_b32_e32 v3, v0
                                        ; implicit-def: $sgpr34_sgpr35
	s_branch .LBB131_133
.LBB131_130:                            ;   in Loop: Header=BB131_133 Depth=2
	s_or_b64 exec, exec, s[36:37]
	s_waitcnt lgkmcnt(0)
	s_barrier
	ds_read_b32 v5, v15 offset:3072
	s_waitcnt lgkmcnt(0)
	s_barrier
	v_cmp_neq_f16_e32 vcc, 0, v5
	s_cbranch_vccnz .LBB131_136
; %bb.131:                              ;   in Loop: Header=BB131_133 Depth=2
	v_add_u32_e32 v3, s67, v3
	v_cmp_le_u32_e32 vcc, s87, v3
	v_add_u32_e32 v14, s90, v14
	s_mov_b64 s[36:37], 0
	s_orn2_b64 s[38:39], vcc, exec
.LBB131_132:                            ;   in Loop: Header=BB131_133 Depth=2
	s_and_b64 s[38:39], exec, s[38:39]
	s_or_b64 s[28:29], s[38:39], s[28:29]
	s_andn2_b64 s[34:35], s[34:35], exec
	s_and_b64 s[36:37], s[36:37], exec
	s_or_b64 s[34:35], s[34:35], s[36:37]
	s_andn2_b64 exec, exec, s[28:29]
	s_cbranch_execz .LBB131_137
.LBB131_133:                            ;   Parent Loop BB131_29 Depth=1
                                        ; =>  This Inner Loop Header: Depth=2
	v_cmp_gt_u32_e32 vcc, s64, v3
	s_and_saveexec_b64 s[36:37], vcc
	s_cbranch_execz .LBB131_130
; %bb.134:                              ;   in Loop: Header=BB131_133 Depth=2
	v_lshl_add_u64 v[6:7], v[14:15], 1, v[10:11]
	global_load_ushort v5, v[6:7], off
	s_waitcnt vmcnt(0)
	v_cmp_lt_i16_e32 vcc, -1, v5
	s_nop 1
	v_cndmask_b32_e32 v6, v40, v41, vcc
	v_xor_b32_sdwa v6, v6, v5 dst_sel:DWORD dst_unused:UNUSED_PAD src0_sel:DWORD src1_sel:WORD_0
	v_cmp_o_f16_e32 vcc, v5, v5
	s_nop 1
	v_cndmask_b32_e32 v6, v40, v6, vcc
	v_and_b32_e32 v6, v6, v45
	v_cmp_eq_u32_e32 vcc, v6, v35
	s_and_b64 exec, exec, vcc
	s_cbranch_execz .LBB131_130
; %bb.135:                              ;   in Loop: Header=BB131_133 Depth=2
	v_perm_b32 v5, v5, s24, v44
	ds_write_b32 v15, v5 offset:3072
	s_branch .LBB131_130
.LBB131_136:                            ;   in Loop: Header=BB131_133 Depth=2
	s_mov_b64 s[38:39], -1
                                        ; implicit-def: $vgpr3
	s_mov_b64 s[36:37], -1
	s_branch .LBB131_132
.LBB131_137:                            ;   in Loop: Header=BB131_29 Depth=1
	s_or_b64 exec, exec, s[28:29]
	s_andn2_b64 s[28:29], s[30:31], exec
	s_and_b64 s[30:31], s[34:35], exec
	v_lshrrev_b32_e32 v46, 16, v5
	s_or_b64 s[30:31], s[28:29], s[30:31]
.LBB131_138:                            ;   in Loop: Header=BB131_29 Depth=1
	s_or_b64 exec, exec, s[8:9]
	s_mov_b64 s[8:9], 0
	s_mov_b64 s[28:29], -1
.LBB131_139:                            ;   in Loop: Header=BB131_29 Depth=1
	s_orn2_b64 s[30:31], s[30:31], exec
.LBB131_140:                            ;   in Loop: Header=BB131_29 Depth=1
	s_or_b64 exec, exec, s[2:3]
	s_andn2_b64 s[2:3], s[12:13], exec
	s_and_b64 s[12:13], s[28:29], exec
	s_or_b64 s[12:13], s[2:3], s[12:13]
	s_andn2_b64 s[2:3], s[10:11], exec
	s_and_b64 s[8:9], s[8:9], exec
	v_readfirstlane_b32 s36, v0
	s_andn2_b64 s[14:15], s[14:15], exec
	s_or_b64 s[10:11], s[2:3], s[8:9]
                                        ; implicit-def: $vgpr5
	s_and_saveexec_b64 s[2:3], s[30:31]
	s_cbranch_execz .LBB131_28
; %bb.141:                              ;   in Loop: Header=BB131_29 Depth=1
	s_xor_b64 s[22:23], s[26:27], -1
	s_mov_b64 s[26:27], 0
	v_mov_b32_e32 v5, 1
	v_mov_b32_e32 v3, 1
	s_and_saveexec_b64 s[8:9], s[22:23]
	s_cbranch_execz .LBB131_150
; %bb.142:                              ;   in Loop: Header=BB131_29 Depth=1
	v_cmp_ge_u32_e32 vcc, s44, v47
	s_and_saveexec_b64 s[22:23], vcc
	s_xor_b64 s[22:23], exec, s[22:23]
	s_cbranch_execz .LBB131_147
; %bb.143:                              ;   in Loop: Header=BB131_29 Depth=1
	ds_read_b32 v3, v15 offset:4104
	v_and_b32_e32 v35, v35, v4
	v_or_b32_e32 v45, v45, v2
	s_waitcnt lgkmcnt(0)
	v_cmp_ne_u32_e32 vcc, 0, v3
	s_cbranch_vccnz .LBB131_147
; %bb.144:                              ;   in Loop: Header=BB131_29 Depth=1
	s_mov_b64 s[26:27], exec
	v_readlane_b32 s28, v82, 8
	v_readlane_b32 s29, v82, 9
	s_and_b64 s[28:29], s[26:27], s[28:29]
	s_mov_b64 exec, s[28:29]
; %bb.145:                              ;   in Loop: Header=BB131_29 Depth=1
	v_mov_b32_e32 v3, s44
	ds_write_b32 v15, v3 offset:4108
; %bb.146:                              ;   in Loop: Header=BB131_29 Depth=1
	s_or_b64 exec, exec, s[26:27]
	s_waitcnt lgkmcnt(0)
	s_barrier
.LBB131_147:                            ;   in Loop: Header=BB131_29 Depth=1
	s_or_saveexec_b64 s[22:23], s[22:23]
	s_mov_b64 s[26:27], 0
	v_mov_b32_e32 v3, 8
	s_xor_b64 exec, exec, s[22:23]
; %bb.148:                              ;   in Loop: Header=BB131_29 Depth=1
	s_mov_b64 s[26:27], exec
	v_subrev_u32_e32 v47, s44, v47
	v_mov_b32_e32 v3, 0
; %bb.149:                              ;   in Loop: Header=BB131_29 Depth=1
	s_or_b64 exec, exec, s[22:23]
	s_and_b64 s[26:27], s[26:27], exec
	v_mov_b32_e32 v5, v47
.LBB131_150:                            ;   in Loop: Header=BB131_29 Depth=1
	s_or_b64 exec, exec, s[8:9]
	s_mov_b64 s[22:23], -1
	s_mov_b64 s[8:9], -1
                                        ; implicit-def: $sgpr28_sgpr29
                                        ; implicit-def: $sgpr30_sgpr31
	s_and_saveexec_b64 s[34:35], s[26:27]
	s_xor_b64 s[26:27], exec, s[34:35]
	s_cbranch_execz .LBB131_273
; %bb.151:                              ;   in Loop: Header=BB131_29 Depth=1
	s_cmp_eq_u32 s48, 1
	s_cselect_b64 s[8:9], -1, 0
	v_cmp_eq_u32_e32 vcc, 1, v5
	s_and_b64 s[8:9], s[8:9], vcc
	s_mov_b64 s[36:37], -1
                                        ; implicit-def: $sgpr30_sgpr31
                                        ; implicit-def: $sgpr28_sgpr29
	s_and_saveexec_b64 s[34:35], s[8:9]
	s_cbranch_execz .LBB131_179
; %bb.152:                              ;   in Loop: Header=BB131_29 Depth=1
	ds_read_b32 v6, v15 offset:4104
	s_waitcnt lgkmcnt(0)
	s_barrier
	v_readfirstlane_b32 s49, v6
	s_and_saveexec_b64 s[28:29], s[6:7]
; %bb.153:                              ;   in Loop: Header=BB131_29 Depth=1
	ds_write_b16 v24, v15
; %bb.154:                              ;   in Loop: Header=BB131_29 Depth=1
	s_or_b64 exec, exec, s[28:29]
	v_and_b32_e32 v6, v35, v4
	v_lshl_or_b32 v35, 1, v39, v6
	v_or_b32_e32 v45, v45, v2
	s_mov_b64 s[28:29], -1
	s_mov_b64 s[30:31], 0
	s_cmp_eq_u32 s49, 0
	s_mov_b64 s[36:37], 0
	s_mov_b64 s[38:39], -1
	s_waitcnt lgkmcnt(0)
	s_barrier
                                        ; implicit-def: $vgpr46
	s_cbranch_scc1 .LBB131_166
; %bb.155:                              ;   in Loop: Header=BB131_29 Depth=1
	v_readlane_b32 s36, v82, 10
	s_add_i32 s36, s49, s36
	v_readlane_b32 s37, v82, 35
	s_mul_hi_u32 s37, s36, s37
	s_mul_i32 s37, s37, s67
	s_sub_i32 s37, s36, s37
	s_sub_i32 s38, s37, s67
	s_cmp_ge_u32 s37, s67
	s_cselect_b32 s37, s38, s37
	s_sub_i32 s38, s37, s67
	s_cmp_ge_u32 s37, s67
	s_cselect_b32 s37, s38, s37
	s_sub_i32 s50, s36, s37
	v_cmp_gt_u32_e32 vcc, s50, v0
	s_mov_b64 s[38:39], 0
	s_mov_b64 s[36:37], 0
                                        ; implicit-def: $vgpr46
	s_and_saveexec_b64 s[40:41], vcc
	s_cbranch_execz .LBB131_165
; %bb.156:                              ;   in Loop: Header=BB131_29 Depth=1
	v_mov_b32_e32 v6, v23
	v_mov_b32_e32 v7, v0
                                        ; implicit-def: $sgpr42_sgpr43
	s_branch .LBB131_160
.LBB131_157:                            ;   in Loop: Header=BB131_160 Depth=2
	s_or_b64 exec, exec, s[44:45]
	s_waitcnt lgkmcnt(0)
	s_barrier
	ds_read_b32 v8, v15 offset:3072
	s_waitcnt lgkmcnt(0)
	s_barrier
	v_cmp_neq_f16_e32 vcc, 0, v8
	s_cbranch_vccnz .LBB131_163
; %bb.158:                              ;   in Loop: Header=BB131_160 Depth=2
	v_add_u32_e32 v7, s67, v7
	v_cmp_le_u32_e32 vcc, s50, v7
	v_add_u32_e32 v6, s80, v6
	s_mov_b64 s[44:45], 0
	s_orn2_b64 s[46:47], vcc, exec
.LBB131_159:                            ;   in Loop: Header=BB131_160 Depth=2
	s_and_b64 s[46:47], exec, s[46:47]
	s_or_b64 s[36:37], s[46:47], s[36:37]
	s_andn2_b64 s[42:43], s[42:43], exec
	s_and_b64 s[44:45], s[44:45], exec
	s_or_b64 s[42:43], s[42:43], s[44:45]
	s_andn2_b64 exec, exec, s[36:37]
	s_cbranch_execz .LBB131_164
.LBB131_160:                            ;   Parent Loop BB131_29 Depth=1
                                        ; =>  This Inner Loop Header: Depth=2
	v_cmp_gt_u32_e32 vcc, s49, v7
	s_and_saveexec_b64 s[44:45], vcc
	s_cbranch_execz .LBB131_157
; %bb.161:                              ;   in Loop: Header=BB131_160 Depth=2
	ds_read_u16 v8, v6
	s_waitcnt lgkmcnt(0)
	v_cmp_lt_i16_e32 vcc, -1, v8
	s_nop 1
	v_cndmask_b32_e32 v9, v40, v41, vcc
	v_xor_b32_sdwa v9, v9, v8 dst_sel:DWORD dst_unused:UNUSED_PAD src0_sel:DWORD src1_sel:WORD_0
	v_cmp_o_f16_e32 vcc, v8, v8
	s_nop 1
	v_cndmask_b32_e32 v9, v40, v9, vcc
	v_and_b32_e32 v9, v9, v45
	v_cmp_eq_u32_e32 vcc, v9, v35
	s_and_b64 exec, exec, vcc
	s_cbranch_execz .LBB131_157
; %bb.162:                              ;   in Loop: Header=BB131_160 Depth=2
	v_perm_b32 v8, v8, s24, v44
	ds_write_b32 v15, v8 offset:3072
	s_branch .LBB131_157
.LBB131_163:                            ;   in Loop: Header=BB131_160 Depth=2
	s_mov_b64 s[46:47], -1
                                        ; implicit-def: $vgpr7
                                        ; implicit-def: $vgpr6
	s_mov_b64 s[44:45], -1
	s_branch .LBB131_159
.LBB131_164:                            ;   in Loop: Header=BB131_29 Depth=1
	s_or_b64 exec, exec, s[36:37]
	v_lshrrev_b32_e32 v46, 16, v8
	s_and_b64 s[36:37], s[42:43], exec
.LBB131_165:                            ;   in Loop: Header=BB131_29 Depth=1
	s_or_b64 exec, exec, s[40:41]
.LBB131_166:                            ;   in Loop: Header=BB131_29 Depth=1
	s_and_b64 vcc, exec, s[38:39]
	s_cbranch_vccz .LBB131_178
; %bb.167:                              ;   in Loop: Header=BB131_29 Depth=1
                                        ; implicit-def: $vgpr46
	s_mov_b64 s[28:29], exec
	v_readlane_b32 s30, v82, 36
	v_readlane_b32 s31, v82, 37
	s_and_b64 s[30:31], s[28:29], s[30:31]
	s_mov_b64 exec, s[30:31]
	s_cbranch_execz .LBB131_177
; %bb.168:                              ;   in Loop: Header=BB131_29 Depth=1
	s_mov_b64 s[30:31], 0
	v_mov_b32_e32 v14, v12
	v_mov_b32_e32 v6, v0
                                        ; implicit-def: $sgpr38_sgpr39
	s_branch .LBB131_172
.LBB131_169:                            ;   in Loop: Header=BB131_172 Depth=2
	s_or_b64 exec, exec, s[40:41]
	s_waitcnt lgkmcnt(0)
	s_barrier
	ds_read_b32 v7, v15 offset:3072
	s_waitcnt lgkmcnt(0)
	s_barrier
	v_cmp_eq_f16_e32 vcc, 0, v7
	s_cbranch_vccz .LBB131_175
; %bb.170:                              ;   in Loop: Header=BB131_172 Depth=2
	v_add_u32_e32 v6, s67, v6
	v_cmp_le_u32_e32 vcc, s87, v6
	v_add_u32_e32 v14, s90, v14
	s_mov_b64 s[40:41], 0
	s_orn2_b64 s[42:43], vcc, exec
.LBB131_171:                            ;   in Loop: Header=BB131_172 Depth=2
	s_and_b64 s[42:43], exec, s[42:43]
	s_or_b64 s[30:31], s[42:43], s[30:31]
	s_andn2_b64 s[38:39], s[38:39], exec
	s_and_b64 s[40:41], s[40:41], exec
	s_or_b64 s[38:39], s[38:39], s[40:41]
	s_andn2_b64 exec, exec, s[30:31]
	s_cbranch_execz .LBB131_176
.LBB131_172:                            ;   Parent Loop BB131_29 Depth=1
                                        ; =>  This Inner Loop Header: Depth=2
	v_cmp_gt_u32_e32 vcc, s64, v6
	s_and_saveexec_b64 s[40:41], vcc
	s_cbranch_execz .LBB131_169
; %bb.173:                              ;   in Loop: Header=BB131_172 Depth=2
	v_lshl_add_u64 v[8:9], v[14:15], 1, v[10:11]
	global_load_ushort v7, v[8:9], off
	s_waitcnt vmcnt(0)
	v_cmp_lt_i16_e32 vcc, -1, v7
	s_nop 1
	v_cndmask_b32_e32 v8, v40, v41, vcc
	v_xor_b32_sdwa v8, v8, v7 dst_sel:DWORD dst_unused:UNUSED_PAD src0_sel:DWORD src1_sel:WORD_0
	v_cmp_o_f16_e32 vcc, v7, v7
	s_nop 1
	v_cndmask_b32_e32 v8, v40, v8, vcc
	v_and_b32_e32 v8, v8, v45
	v_cmp_eq_u32_e32 vcc, v8, v35
	s_and_b64 exec, exec, vcc
	s_cbranch_execz .LBB131_169
; %bb.174:                              ;   in Loop: Header=BB131_172 Depth=2
	v_perm_b32 v7, v7, s24, v44
	ds_write_b32 v15, v7 offset:3072
	s_branch .LBB131_169
.LBB131_175:                            ;   in Loop: Header=BB131_172 Depth=2
	s_mov_b64 s[42:43], -1
                                        ; implicit-def: $vgpr6
	s_mov_b64 s[40:41], -1
	s_branch .LBB131_171
.LBB131_176:                            ;   in Loop: Header=BB131_29 Depth=1
	s_or_b64 exec, exec, s[30:31]
	s_andn2_b64 s[30:31], s[36:37], exec
	s_and_b64 s[36:37], s[38:39], exec
	v_lshrrev_b32_e32 v46, 16, v7
	s_or_b64 s[36:37], s[30:31], s[36:37]
.LBB131_177:                            ;   in Loop: Header=BB131_29 Depth=1
	s_or_b64 exec, exec, s[28:29]
	s_mov_b64 s[28:29], 0
	s_mov_b64 s[30:31], -1
.LBB131_178:                            ;   in Loop: Header=BB131_29 Depth=1
	s_orn2_b64 s[36:37], s[36:37], exec
.LBB131_179:                            ;   in Loop: Header=BB131_29 Depth=1
	s_or_b64 exec, exec, s[34:35]
	s_mov_b64 s[38:39], 0
	s_and_saveexec_b64 s[34:35], s[36:37]
	s_cbranch_execz .LBB131_272
; %bb.180:                              ;   in Loop: Header=BB131_29 Depth=1
	s_xor_b64 s[36:37], s[8:9], -1
	s_mov_b64 s[42:43], 0
	v_mov_b32_e32 v6, 1
	v_mov_b32_e32 v3, 1
	s_and_saveexec_b64 s[8:9], s[36:37]
	s_cbranch_execz .LBB131_189
; %bb.181:                              ;   in Loop: Header=BB131_29 Depth=1
	v_cmp_ge_u32_e32 vcc, s48, v5
	s_and_saveexec_b64 s[36:37], vcc
	s_xor_b64 s[36:37], exec, s[36:37]
	s_cbranch_execz .LBB131_186
; %bb.182:                              ;   in Loop: Header=BB131_29 Depth=1
	ds_read_b32 v3, v15 offset:4104
	v_and_b32_e32 v6, v35, v4
	v_lshl_or_b32 v35, 1, v39, v6
	v_or_b32_e32 v45, v45, v2
	s_waitcnt lgkmcnt(0)
	v_cmp_ne_u32_e32 vcc, 0, v3
	s_cbranch_vccnz .LBB131_186
; %bb.183:                              ;   in Loop: Header=BB131_29 Depth=1
	s_mov_b64 s[38:39], exec
	v_readlane_b32 s40, v82, 8
	v_readlane_b32 s41, v82, 9
	s_and_b64 s[40:41], s[38:39], s[40:41]
	s_mov_b64 exec, s[40:41]
; %bb.184:                              ;   in Loop: Header=BB131_29 Depth=1
	v_mov_b32_e32 v3, s48
	ds_write_b32 v15, v3 offset:4108
; %bb.185:                              ;   in Loop: Header=BB131_29 Depth=1
	s_or_b64 exec, exec, s[38:39]
	s_waitcnt lgkmcnt(0)
	s_barrier
.LBB131_186:                            ;   in Loop: Header=BB131_29 Depth=1
	s_or_saveexec_b64 s[36:37], s[36:37]
	s_mov_b64 s[38:39], 0
	v_mov_b32_e32 v3, 8
	s_xor_b64 exec, exec, s[36:37]
; %bb.187:                              ;   in Loop: Header=BB131_29 Depth=1
	s_mov_b64 s[38:39], exec
	v_subrev_u32_e32 v5, s48, v5
	v_mov_b32_e32 v3, 0
; %bb.188:                              ;   in Loop: Header=BB131_29 Depth=1
	s_or_b64 exec, exec, s[36:37]
	s_and_b64 s[42:43], s[38:39], exec
	v_mov_b32_e32 v6, v5
.LBB131_189:                            ;   in Loop: Header=BB131_29 Depth=1
	s_or_b64 exec, exec, s[8:9]
	s_mov_b64 s[8:9], -1
                                        ; implicit-def: $sgpr38_sgpr39
                                        ; implicit-def: $sgpr40_sgpr41
	s_and_saveexec_b64 s[36:37], s[42:43]
	s_cbranch_execz .LBB131_271
; %bb.190:                              ;   in Loop: Header=BB131_29 Depth=1
	s_cmp_eq_u32 s56, 1
	s_cselect_b64 s[8:9], -1, 0
	v_cmp_eq_u32_e32 vcc, 1, v6
	s_and_b64 s[8:9], s[8:9], vcc
	s_mov_b64 s[44:45], -1
                                        ; implicit-def: $sgpr40_sgpr41
                                        ; implicit-def: $sgpr38_sgpr39
	s_and_saveexec_b64 s[42:43], s[8:9]
	s_cbranch_execz .LBB131_218
; %bb.191:                              ;   in Loop: Header=BB131_29 Depth=1
	ds_read_b32 v5, v15 offset:4104
	s_waitcnt lgkmcnt(0)
	s_barrier
	v_readfirstlane_b32 s57, v5
	s_and_saveexec_b64 s[38:39], s[6:7]
; %bb.192:                              ;   in Loop: Header=BB131_29 Depth=1
	ds_write_b16 v24, v15
; %bb.193:                              ;   in Loop: Header=BB131_29 Depth=1
	s_or_b64 exec, exec, s[38:39]
	v_and_b32_e32 v5, v35, v4
	v_lshl_or_b32 v35, 2, v39, v5
	v_or_b32_e32 v45, v45, v2
	s_mov_b64 s[38:39], -1
	s_mov_b64 s[40:41], 0
	s_cmp_eq_u32 s57, 0
	s_mov_b64 s[44:45], 0
	s_mov_b64 s[46:47], -1
	s_waitcnt lgkmcnt(0)
	s_barrier
                                        ; implicit-def: $vgpr46
	s_cbranch_scc1 .LBB131_205
; %bb.194:                              ;   in Loop: Header=BB131_29 Depth=1
	v_readlane_b32 s44, v82, 10
	s_add_i32 s44, s57, s44
	v_readlane_b32 s45, v82, 35
	s_mul_hi_u32 s45, s44, s45
	s_mul_i32 s45, s45, s67
	s_sub_i32 s45, s44, s45
	s_sub_i32 s46, s45, s67
	s_cmp_ge_u32 s45, s67
	s_cselect_b32 s45, s46, s45
	s_sub_i32 s46, s45, s67
	s_cmp_ge_u32 s45, s67
	s_cselect_b32 s45, s46, s45
	s_sub_i32 s58, s44, s45
	v_cmp_gt_u32_e32 vcc, s58, v0
	s_mov_b64 s[46:47], 0
	s_mov_b64 s[44:45], 0
                                        ; implicit-def: $vgpr46
	s_and_saveexec_b64 s[48:49], vcc
	s_cbranch_execz .LBB131_204
; %bb.195:                              ;   in Loop: Header=BB131_29 Depth=1
	v_mov_b32_e32 v5, v23
	v_mov_b32_e32 v7, v0
                                        ; implicit-def: $sgpr50_sgpr51
	s_branch .LBB131_199
.LBB131_196:                            ;   in Loop: Header=BB131_199 Depth=2
	s_or_b64 exec, exec, s[52:53]
	s_waitcnt lgkmcnt(0)
	s_barrier
	ds_read_b32 v8, v15 offset:3072
	s_waitcnt lgkmcnt(0)
	s_barrier
	v_cmp_neq_f16_e32 vcc, 0, v8
	s_cbranch_vccnz .LBB131_202
; %bb.197:                              ;   in Loop: Header=BB131_199 Depth=2
	v_add_u32_e32 v7, s67, v7
	v_cmp_le_u32_e32 vcc, s58, v7
	v_add_u32_e32 v5, s80, v5
	s_mov_b64 s[52:53], 0
	s_orn2_b64 s[54:55], vcc, exec
.LBB131_198:                            ;   in Loop: Header=BB131_199 Depth=2
	s_and_b64 s[54:55], exec, s[54:55]
	s_or_b64 s[44:45], s[54:55], s[44:45]
	s_andn2_b64 s[50:51], s[50:51], exec
	s_and_b64 s[52:53], s[52:53], exec
	s_or_b64 s[50:51], s[50:51], s[52:53]
	s_andn2_b64 exec, exec, s[44:45]
	s_cbranch_execz .LBB131_203
.LBB131_199:                            ;   Parent Loop BB131_29 Depth=1
                                        ; =>  This Inner Loop Header: Depth=2
	v_cmp_gt_u32_e32 vcc, s57, v7
	s_and_saveexec_b64 s[52:53], vcc
	s_cbranch_execz .LBB131_196
; %bb.200:                              ;   in Loop: Header=BB131_199 Depth=2
	ds_read_u16 v8, v5
	s_waitcnt lgkmcnt(0)
	v_cmp_lt_i16_e32 vcc, -1, v8
	s_nop 1
	v_cndmask_b32_e32 v9, v40, v41, vcc
	v_xor_b32_sdwa v9, v9, v8 dst_sel:DWORD dst_unused:UNUSED_PAD src0_sel:DWORD src1_sel:WORD_0
	v_cmp_o_f16_e32 vcc, v8, v8
	s_nop 1
	v_cndmask_b32_e32 v9, v40, v9, vcc
	v_and_b32_e32 v9, v9, v45
	v_cmp_eq_u32_e32 vcc, v9, v35
	s_and_b64 exec, exec, vcc
	s_cbranch_execz .LBB131_196
; %bb.201:                              ;   in Loop: Header=BB131_199 Depth=2
	v_perm_b32 v8, v8, s24, v44
	ds_write_b32 v15, v8 offset:3072
	s_branch .LBB131_196
.LBB131_202:                            ;   in Loop: Header=BB131_199 Depth=2
	s_mov_b64 s[54:55], -1
                                        ; implicit-def: $vgpr7
                                        ; implicit-def: $vgpr5
	s_mov_b64 s[52:53], -1
	s_branch .LBB131_198
.LBB131_203:                            ;   in Loop: Header=BB131_29 Depth=1
	s_or_b64 exec, exec, s[44:45]
	v_lshrrev_b32_e32 v46, 16, v8
	s_and_b64 s[44:45], s[50:51], exec
.LBB131_204:                            ;   in Loop: Header=BB131_29 Depth=1
	s_or_b64 exec, exec, s[48:49]
.LBB131_205:                            ;   in Loop: Header=BB131_29 Depth=1
	s_and_b64 vcc, exec, s[46:47]
	s_cbranch_vccz .LBB131_217
; %bb.206:                              ;   in Loop: Header=BB131_29 Depth=1
                                        ; implicit-def: $vgpr46
	s_mov_b64 s[38:39], exec
	v_readlane_b32 s40, v82, 36
	v_readlane_b32 s41, v82, 37
	s_and_b64 s[40:41], s[38:39], s[40:41]
	s_mov_b64 exec, s[40:41]
	s_cbranch_execz .LBB131_216
; %bb.207:                              ;   in Loop: Header=BB131_29 Depth=1
	s_mov_b64 s[40:41], 0
	v_mov_b32_e32 v14, v12
	v_mov_b32_e32 v5, v0
                                        ; implicit-def: $sgpr46_sgpr47
	s_branch .LBB131_211
.LBB131_208:                            ;   in Loop: Header=BB131_211 Depth=2
	s_or_b64 exec, exec, s[48:49]
	s_waitcnt lgkmcnt(0)
	s_barrier
	ds_read_b32 v7, v15 offset:3072
	s_waitcnt lgkmcnt(0)
	s_barrier
	v_cmp_eq_f16_e32 vcc, 0, v7
	s_cbranch_vccz .LBB131_214
; %bb.209:                              ;   in Loop: Header=BB131_211 Depth=2
	v_add_u32_e32 v5, s67, v5
	v_cmp_le_u32_e32 vcc, s87, v5
	v_add_u32_e32 v14, s90, v14
	s_mov_b64 s[48:49], 0
	s_orn2_b64 s[50:51], vcc, exec
.LBB131_210:                            ;   in Loop: Header=BB131_211 Depth=2
	s_and_b64 s[50:51], exec, s[50:51]
	s_or_b64 s[40:41], s[50:51], s[40:41]
	s_andn2_b64 s[46:47], s[46:47], exec
	s_and_b64 s[48:49], s[48:49], exec
	s_or_b64 s[46:47], s[46:47], s[48:49]
	s_andn2_b64 exec, exec, s[40:41]
	s_cbranch_execz .LBB131_215
.LBB131_211:                            ;   Parent Loop BB131_29 Depth=1
                                        ; =>  This Inner Loop Header: Depth=2
	v_cmp_gt_u32_e32 vcc, s64, v5
	s_and_saveexec_b64 s[48:49], vcc
	s_cbranch_execz .LBB131_208
; %bb.212:                              ;   in Loop: Header=BB131_211 Depth=2
	v_lshl_add_u64 v[8:9], v[14:15], 1, v[10:11]
	global_load_ushort v7, v[8:9], off
	s_waitcnt vmcnt(0)
	v_cmp_lt_i16_e32 vcc, -1, v7
	s_nop 1
	v_cndmask_b32_e32 v8, v40, v41, vcc
	v_xor_b32_sdwa v8, v8, v7 dst_sel:DWORD dst_unused:UNUSED_PAD src0_sel:DWORD src1_sel:WORD_0
	v_cmp_o_f16_e32 vcc, v7, v7
	s_nop 1
	v_cndmask_b32_e32 v8, v40, v8, vcc
	v_and_b32_e32 v8, v8, v45
	v_cmp_eq_u32_e32 vcc, v8, v35
	s_and_b64 exec, exec, vcc
	s_cbranch_execz .LBB131_208
; %bb.213:                              ;   in Loop: Header=BB131_211 Depth=2
	v_perm_b32 v7, v7, s24, v44
	ds_write_b32 v15, v7 offset:3072
	s_branch .LBB131_208
.LBB131_214:                            ;   in Loop: Header=BB131_211 Depth=2
	s_mov_b64 s[50:51], -1
                                        ; implicit-def: $vgpr5
	s_mov_b64 s[48:49], -1
	s_branch .LBB131_210
.LBB131_215:                            ;   in Loop: Header=BB131_29 Depth=1
	s_or_b64 exec, exec, s[40:41]
	s_andn2_b64 s[40:41], s[44:45], exec
	s_and_b64 s[44:45], s[46:47], exec
	v_lshrrev_b32_e32 v46, 16, v7
	s_or_b64 s[44:45], s[40:41], s[44:45]
.LBB131_216:                            ;   in Loop: Header=BB131_29 Depth=1
	s_or_b64 exec, exec, s[38:39]
	s_mov_b64 s[38:39], 0
	s_mov_b64 s[40:41], -1
.LBB131_217:                            ;   in Loop: Header=BB131_29 Depth=1
	s_orn2_b64 s[44:45], s[44:45], exec
.LBB131_218:                            ;   in Loop: Header=BB131_29 Depth=1
	s_or_b64 exec, exec, s[42:43]
	s_mov_b64 s[46:47], 0
	s_and_saveexec_b64 s[42:43], s[44:45]
	s_cbranch_execz .LBB131_270
; %bb.219:                              ;   in Loop: Header=BB131_29 Depth=1
	s_xor_b64 s[44:45], s[8:9], -1
	s_mov_b64 s[50:51], 0
	v_mov_b32_e32 v5, 1
	v_mov_b32_e32 v3, 1
	s_and_saveexec_b64 s[8:9], s[44:45]
	s_cbranch_execz .LBB131_228
; %bb.220:                              ;   in Loop: Header=BB131_29 Depth=1
	v_cmp_ge_u32_e32 vcc, s56, v6
	s_and_saveexec_b64 s[44:45], vcc
	s_xor_b64 s[44:45], exec, s[44:45]
	s_cbranch_execz .LBB131_225
; %bb.221:                              ;   in Loop: Header=BB131_29 Depth=1
	ds_read_b32 v3, v15 offset:4104
	v_and_b32_e32 v4, v35, v4
	v_lshl_or_b32 v35, 2, v39, v4
	v_or_b32_e32 v45, v45, v2
	s_waitcnt lgkmcnt(0)
	v_cmp_ne_u32_e32 vcc, 0, v3
	s_cbranch_vccnz .LBB131_225
; %bb.222:                              ;   in Loop: Header=BB131_29 Depth=1
	s_mov_b64 s[46:47], exec
	v_readlane_b32 s48, v82, 8
	v_readlane_b32 s49, v82, 9
	s_and_b64 s[48:49], s[46:47], s[48:49]
	s_mov_b64 exec, s[48:49]
; %bb.223:                              ;   in Loop: Header=BB131_29 Depth=1
	v_mov_b32_e32 v3, s56
	ds_write_b32 v15, v3 offset:4108
; %bb.224:                              ;   in Loop: Header=BB131_29 Depth=1
	s_or_b64 exec, exec, s[46:47]
	s_waitcnt lgkmcnt(0)
	s_barrier
.LBB131_225:                            ;   in Loop: Header=BB131_29 Depth=1
	s_or_saveexec_b64 s[44:45], s[44:45]
	s_mov_b64 s[46:47], 0
	v_mov_b32_e32 v3, 8
	s_xor_b64 exec, exec, s[44:45]
; %bb.226:                              ;   in Loop: Header=BB131_29 Depth=1
	s_mov_b64 s[46:47], exec
	v_subrev_u32_e32 v6, s56, v6
	v_mov_b32_e32 v3, 0
; %bb.227:                              ;   in Loop: Header=BB131_29 Depth=1
	s_or_b64 exec, exec, s[44:45]
	s_and_b64 s[50:51], s[46:47], exec
	v_mov_b32_e32 v5, v6
.LBB131_228:                            ;   in Loop: Header=BB131_29 Depth=1
	s_or_b64 exec, exec, s[8:9]
	s_mov_b64 s[48:49], -1
                                        ; implicit-def: $sgpr8_sgpr9
                                        ; implicit-def: $sgpr46_sgpr47
	s_and_saveexec_b64 s[44:45], s[50:51]
	s_cbranch_execz .LBB131_269
; %bb.229:                              ;   in Loop: Header=BB131_29 Depth=1
	s_cmp_eq_u32 s74, 1
	s_cselect_b64 s[8:9], -1, 0
	v_cmp_eq_u32_e32 vcc, 1, v5
	s_and_b64 s[48:49], s[8:9], vcc
	s_mov_b64 s[52:53], -1
                                        ; implicit-def: $sgpr8_sgpr9
                                        ; implicit-def: $sgpr46_sgpr47
	s_and_saveexec_b64 s[50:51], s[48:49]
	s_cbranch_execz .LBB131_257
; %bb.230:                              ;   in Loop: Header=BB131_29 Depth=1
	ds_read_b32 v4, v15 offset:4104
	s_waitcnt lgkmcnt(0)
	s_barrier
	v_readfirstlane_b32 s75, v4
	s_and_saveexec_b64 s[8:9], s[6:7]
; %bb.231:                              ;   in Loop: Header=BB131_29 Depth=1
	ds_write_b16 v24, v15
; %bb.232:                              ;   in Loop: Header=BB131_29 Depth=1
	s_or_b64 exec, exec, s[8:9]
	v_or_b32_e32 v35, v35, v2
	v_or_b32_e32 v45, v45, v2
	s_mov_b64 s[46:47], -1
	s_mov_b64 s[8:9], 0
	s_cmp_eq_u32 s75, 0
	s_mov_b64 s[52:53], 0
	s_mov_b64 s[54:55], -1
	s_waitcnt lgkmcnt(0)
	s_barrier
                                        ; implicit-def: $vgpr46
	s_cbranch_scc1 .LBB131_244
; %bb.233:                              ;   in Loop: Header=BB131_29 Depth=1
	v_readlane_b32 s52, v82, 10
	s_add_i32 s52, s75, s52
	v_readlane_b32 s53, v82, 35
	s_mul_hi_u32 s53, s52, s53
	s_mul_i32 s53, s53, s67
	s_sub_i32 s53, s52, s53
	s_sub_i32 s54, s53, s67
	s_cmp_ge_u32 s53, s67
	s_cselect_b32 s53, s54, s53
	s_sub_i32 s54, s53, s67
	s_cmp_ge_u32 s53, s67
	s_cselect_b32 s53, s54, s53
	s_sub_i32 s76, s52, s53
	v_cmp_gt_u32_e32 vcc, s76, v0
	s_mov_b64 s[54:55], 0
	s_mov_b64 s[52:53], 0
                                        ; implicit-def: $vgpr46
	s_and_saveexec_b64 s[56:57], vcc
	s_cbranch_execz .LBB131_243
; %bb.234:                              ;   in Loop: Header=BB131_29 Depth=1
	v_mov_b32_e32 v4, v23
	v_mov_b32_e32 v6, v0
                                        ; implicit-def: $sgpr58_sgpr59
	s_branch .LBB131_238
.LBB131_235:                            ;   in Loop: Header=BB131_238 Depth=2
	s_or_b64 exec, exec, s[60:61]
	s_waitcnt lgkmcnt(0)
	s_barrier
	ds_read_b32 v7, v15 offset:3072
	s_waitcnt lgkmcnt(0)
	s_barrier
	v_cmp_neq_f16_e32 vcc, 0, v7
	s_cbranch_vccnz .LBB131_241
; %bb.236:                              ;   in Loop: Header=BB131_238 Depth=2
	v_add_u32_e32 v6, s67, v6
	v_cmp_le_u32_e32 vcc, s76, v6
	v_add_u32_e32 v4, s80, v4
	s_mov_b64 s[60:61], 0
	s_orn2_b64 s[62:63], vcc, exec
.LBB131_237:                            ;   in Loop: Header=BB131_238 Depth=2
	s_and_b64 s[62:63], exec, s[62:63]
	s_or_b64 s[52:53], s[62:63], s[52:53]
	s_andn2_b64 s[58:59], s[58:59], exec
	s_and_b64 s[60:61], s[60:61], exec
	s_or_b64 s[58:59], s[58:59], s[60:61]
	s_andn2_b64 exec, exec, s[52:53]
	s_cbranch_execz .LBB131_242
.LBB131_238:                            ;   Parent Loop BB131_29 Depth=1
                                        ; =>  This Inner Loop Header: Depth=2
	v_cmp_gt_u32_e32 vcc, s75, v6
	s_and_saveexec_b64 s[60:61], vcc
	s_cbranch_execz .LBB131_235
; %bb.239:                              ;   in Loop: Header=BB131_238 Depth=2
	ds_read_u16 v7, v4
	s_waitcnt lgkmcnt(0)
	v_cmp_lt_i16_e32 vcc, -1, v7
	s_nop 1
	v_cndmask_b32_e32 v8, v40, v41, vcc
	v_xor_b32_sdwa v8, v8, v7 dst_sel:DWORD dst_unused:UNUSED_PAD src0_sel:DWORD src1_sel:WORD_0
	v_cmp_o_f16_e32 vcc, v7, v7
	s_nop 1
	v_cndmask_b32_e32 v8, v40, v8, vcc
	v_and_b32_e32 v8, v8, v45
	v_cmp_eq_u32_e32 vcc, v8, v35
	s_and_b64 exec, exec, vcc
	s_cbranch_execz .LBB131_235
; %bb.240:                              ;   in Loop: Header=BB131_238 Depth=2
	v_perm_b32 v7, v7, s24, v44
	ds_write_b32 v15, v7 offset:3072
	s_branch .LBB131_235
.LBB131_241:                            ;   in Loop: Header=BB131_238 Depth=2
	s_mov_b64 s[62:63], -1
                                        ; implicit-def: $vgpr6
                                        ; implicit-def: $vgpr4
	s_mov_b64 s[60:61], -1
	s_branch .LBB131_237
.LBB131_242:                            ;   in Loop: Header=BB131_29 Depth=1
	s_or_b64 exec, exec, s[52:53]
	v_lshrrev_b32_e32 v46, 16, v7
	s_and_b64 s[52:53], s[58:59], exec
.LBB131_243:                            ;   in Loop: Header=BB131_29 Depth=1
	s_or_b64 exec, exec, s[56:57]
.LBB131_244:                            ;   in Loop: Header=BB131_29 Depth=1
	s_and_b64 vcc, exec, s[54:55]
	s_cbranch_vccz .LBB131_256
; %bb.245:                              ;   in Loop: Header=BB131_29 Depth=1
                                        ; implicit-def: $vgpr46
	s_mov_b64 s[8:9], exec
	v_readlane_b32 s46, v82, 36
	v_readlane_b32 s47, v82, 37
	s_and_b64 s[46:47], s[8:9], s[46:47]
	s_mov_b64 exec, s[46:47]
	s_cbranch_execz .LBB131_255
; %bb.246:                              ;   in Loop: Header=BB131_29 Depth=1
	s_mov_b64 s[46:47], 0
	v_mov_b32_e32 v14, v12
	v_mov_b32_e32 v4, v0
                                        ; implicit-def: $sgpr54_sgpr55
	s_branch .LBB131_250
.LBB131_247:                            ;   in Loop: Header=BB131_250 Depth=2
	s_or_b64 exec, exec, s[56:57]
	s_waitcnt lgkmcnt(0)
	s_barrier
	ds_read_b32 v6, v15 offset:3072
	s_waitcnt lgkmcnt(0)
	s_barrier
	v_cmp_eq_f16_e32 vcc, 0, v6
	s_cbranch_vccz .LBB131_253
; %bb.248:                              ;   in Loop: Header=BB131_250 Depth=2
	v_add_u32_e32 v4, s67, v4
	v_cmp_le_u32_e32 vcc, s87, v4
	v_add_u32_e32 v14, s90, v14
	s_mov_b64 s[56:57], 0
	s_orn2_b64 s[58:59], vcc, exec
.LBB131_249:                            ;   in Loop: Header=BB131_250 Depth=2
	s_and_b64 s[58:59], exec, s[58:59]
	s_or_b64 s[46:47], s[58:59], s[46:47]
	s_andn2_b64 s[54:55], s[54:55], exec
	s_and_b64 s[56:57], s[56:57], exec
	s_or_b64 s[54:55], s[54:55], s[56:57]
	s_andn2_b64 exec, exec, s[46:47]
	s_cbranch_execz .LBB131_254
.LBB131_250:                            ;   Parent Loop BB131_29 Depth=1
                                        ; =>  This Inner Loop Header: Depth=2
	v_cmp_gt_u32_e32 vcc, s64, v4
	s_and_saveexec_b64 s[56:57], vcc
	s_cbranch_execz .LBB131_247
; %bb.251:                              ;   in Loop: Header=BB131_250 Depth=2
	v_lshl_add_u64 v[6:7], v[14:15], 1, v[10:11]
	global_load_ushort v6, v[6:7], off
	s_waitcnt vmcnt(0)
	v_cmp_lt_i16_e32 vcc, -1, v6
	s_nop 1
	v_cndmask_b32_e32 v7, v40, v41, vcc
	v_xor_b32_sdwa v7, v7, v6 dst_sel:DWORD dst_unused:UNUSED_PAD src0_sel:DWORD src1_sel:WORD_0
	v_cmp_o_f16_e32 vcc, v6, v6
	s_nop 1
	v_cndmask_b32_e32 v7, v40, v7, vcc
	v_and_b32_e32 v7, v7, v45
	v_cmp_eq_u32_e32 vcc, v7, v35
	s_and_b64 exec, exec, vcc
	s_cbranch_execz .LBB131_247
; %bb.252:                              ;   in Loop: Header=BB131_250 Depth=2
	v_perm_b32 v6, v6, s24, v44
	ds_write_b32 v15, v6 offset:3072
	s_branch .LBB131_247
.LBB131_253:                            ;   in Loop: Header=BB131_250 Depth=2
	s_mov_b64 s[58:59], -1
                                        ; implicit-def: $vgpr4
	s_mov_b64 s[56:57], -1
	s_branch .LBB131_249
.LBB131_254:                            ;   in Loop: Header=BB131_29 Depth=1
	s_or_b64 exec, exec, s[46:47]
	s_andn2_b64 s[46:47], s[52:53], exec
	s_and_b64 s[52:53], s[54:55], exec
	v_lshrrev_b32_e32 v46, 16, v6
	s_or_b64 s[52:53], s[46:47], s[52:53]
.LBB131_255:                            ;   in Loop: Header=BB131_29 Depth=1
	s_or_b64 exec, exec, s[8:9]
	s_mov_b64 s[46:47], 0
	s_mov_b64 s[8:9], -1
.LBB131_256:                            ;   in Loop: Header=BB131_29 Depth=1
	s_orn2_b64 s[52:53], s[52:53], exec
.LBB131_257:                            ;   in Loop: Header=BB131_29 Depth=1
	s_or_b64 exec, exec, s[50:51]
	s_mov_b64 s[54:55], 0
	s_and_saveexec_b64 s[50:51], s[52:53]
	s_cbranch_execz .LBB131_268
; %bb.258:                              ;   in Loop: Header=BB131_29 Depth=1
	s_xor_b64 s[52:53], s[48:49], -1
	v_mov_b32_e32 v3, 1
	v_mov_b32_e32 v4, 1
	s_and_saveexec_b64 s[48:49], s[52:53]
	s_cbranch_execz .LBB131_267
; %bb.259:                              ;   in Loop: Header=BB131_29 Depth=1
	v_cmp_ge_u32_e32 vcc, s74, v5
	s_and_saveexec_b64 s[52:53], vcc
	s_xor_b64 s[52:53], exec, s[52:53]
	s_cbranch_execz .LBB131_264
; %bb.260:                              ;   in Loop: Header=BB131_29 Depth=1
	ds_read_b32 v3, v15 offset:4104
	v_or_b32_e32 v35, v35, v2
	v_or_b32_e32 v45, v45, v2
	s_waitcnt lgkmcnt(0)
	v_cmp_ne_u32_e32 vcc, 0, v3
	s_cbranch_vccnz .LBB131_264
; %bb.261:                              ;   in Loop: Header=BB131_29 Depth=1
	s_mov_b64 s[54:55], exec
	v_readlane_b32 s56, v82, 8
	v_readlane_b32 s57, v82, 9
	s_and_b64 s[56:57], s[54:55], s[56:57]
	s_mov_b64 exec, s[56:57]
; %bb.262:                              ;   in Loop: Header=BB131_29 Depth=1
	v_mov_b32_e32 v2, s74
	ds_write_b32 v15, v2 offset:4108
; %bb.263:                              ;   in Loop: Header=BB131_29 Depth=1
	s_or_b64 exec, exec, s[54:55]
	s_waitcnt lgkmcnt(0)
	s_barrier
.LBB131_264:                            ;   in Loop: Header=BB131_29 Depth=1
	s_andn2_saveexec_b64 s[52:53], s[52:53]
; %bb.265:                              ;   in Loop: Header=BB131_29 Depth=1
	v_subrev_u32_e32 v5, s74, v5
; %bb.266:                              ;   in Loop: Header=BB131_29 Depth=1
	s_or_b64 exec, exec, s[52:53]
	v_mov_b32_e32 v3, 8
	v_mov_b32_e32 v4, v5
.LBB131_267:                            ;   in Loop: Header=BB131_29 Depth=1
	s_or_b64 exec, exec, s[48:49]
	s_mov_b64 s[54:55], exec
	v_mov_b32_e32 v5, v4
.LBB131_268:                            ;   in Loop: Header=BB131_29 Depth=1
	s_or_b64 exec, exec, s[50:51]
	s_orn2_b64 s[48:49], s[54:55], exec
.LBB131_269:                            ;   in Loop: Header=BB131_29 Depth=1
	s_or_b64 exec, exec, s[44:45]
	s_andn2_b64 s[40:41], s[40:41], exec
	s_and_b64 s[8:9], s[8:9], exec
	s_or_b64 s[40:41], s[40:41], s[8:9]
	s_andn2_b64 s[8:9], s[38:39], exec
	s_and_b64 s[38:39], s[46:47], exec
	s_or_b64 s[38:39], s[8:9], s[38:39]
	s_and_b64 s[46:47], s[48:49], exec
	v_mov_b32_e32 v6, v5
.LBB131_270:                            ;   in Loop: Header=BB131_29 Depth=1
	s_or_b64 exec, exec, s[42:43]
	s_orn2_b64 s[8:9], s[46:47], exec
.LBB131_271:                            ;   in Loop: Header=BB131_29 Depth=1
	s_or_b64 exec, exec, s[36:37]
	s_andn2_b64 s[30:31], s[30:31], exec
	s_and_b64 s[36:37], s[40:41], exec
	s_or_b64 s[30:31], s[30:31], s[36:37]
	s_andn2_b64 s[28:29], s[28:29], exec
	s_and_b64 s[36:37], s[38:39], exec
	s_or_b64 s[28:29], s[28:29], s[36:37]
	s_and_b64 s[38:39], s[8:9], exec
	v_mov_b32_e32 v5, v6
.LBB131_272:                            ;   in Loop: Header=BB131_29 Depth=1
	s_or_b64 exec, exec, s[34:35]
	s_orn2_b64 s[8:9], s[38:39], exec
.LBB131_273:                            ;   in Loop: Header=BB131_29 Depth=1
	s_or_b64 exec, exec, s[26:27]
	s_mov_b64 s[26:27], 0
                                        ; implicit-def: $sgpr36
	s_and_saveexec_b64 s[34:35], s[8:9]
	s_xor_b64 s[8:9], exec, s[34:35]
	s_cbranch_execz .LBB131_27
; %bb.274:                              ;   in Loop: Header=BB131_29 Depth=1
	v_and_b32_e32 v2, 7, v3
	v_cmp_eq_u32_e32 vcc, 0, v2
	s_mov_b64 s[22:23], -1
	s_mov_b64 s[26:27], -1
                                        ; implicit-def: $sgpr36
	s_and_saveexec_b64 s[34:35], vcc
	s_cbranch_execz .LBB131_26
; %bb.275:                              ;   in Loop: Header=BB131_29 Depth=1
	v_add_u32_e32 v2, -2, v39
	v_cmp_eq_u32_e32 vcc, 0, v39
	s_xor_b32 s36, s25, 1
	s_xor_b64 s[26:27], exec, -1
	s_orn2_b64 s[22:23], vcc, exec
	v_mov_b32_e32 v39, v2
	s_branch .LBB131_26
.LBB131_276:
	s_or_b64 exec, exec, s[94:95]
	s_xor_b64 s[8:9], s[72:73], -1
	s_xor_b64 s[0:1], s[96:97], -1
	s_xor_b64 s[6:7], s[98:99], -1
	s_mov_b64 s[4:5], 0
	s_and_saveexec_b64 s[2:3], s[0:1]
	s_xor_b64 s[2:3], exec, s[2:3]
	s_cbranch_execnz .LBB131_281
; %bb.277:
	s_andn2_saveexec_b64 s[0:1], s[2:3]
	s_cbranch_execnz .LBB131_294
.LBB131_278:
	s_or_b64 exec, exec, s[0:1]
	s_and_saveexec_b64 s[0:1], s[4:5]
.LBB131_279:
	; divergent unreachable
.LBB131_280:
	s_endpgm
.LBB131_281:
	s_and_saveexec_b64 s[0:1], s[8:9]
	s_xor_b64 s[4:5], exec, s[0:1]
	s_cbranch_execz .LBB131_292
; %bb.282:
	s_and_saveexec_b64 s[0:1], s[6:7]
	s_xor_b64 s[6:7], exec, s[0:1]
; %bb.283:
	v_and_b32_e32 v1, 0x8000, v35
	v_mov_b32_e32 v2, 0x8000
	v_mov_b32_e32 v3, 0xffff
	v_cmp_eq_u32_e32 vcc, 0, v1
	s_nop 1
	v_cndmask_b32_e32 v1, v2, v3, vcc
	v_xor_b32_e32 v46, v1, v35
; %bb.284:
	s_or_b64 exec, exec, s[6:7]
	v_readlane_b32 s0, v82, 0
	s_mul_i32 s0, s0, s33
	s_add_i32 s0, s0, s69
	s_mov_b32 s1, 0
	s_lshl_b64 s[0:1], s[0:1], 1
	v_readlane_b32 s6, v82, 2
	v_readlane_b32 s7, v82, 3
	s_add_u32 s0, s6, s0
	s_addc_u32 s1, s7, s1
	v_mov_b32_e32 v13, 0
	global_store_short v13, v46, s[0:1]
	s_mov_b64 s[6:7], exec
	v_readlane_b32 s0, v82, 6
	v_readlane_b32 s1, v82, 7
	s_and_b64 s[0:1], s[6:7], s[0:1]
	s_mov_b64 exec, s[0:1]
	s_cbranch_execz .LBB131_291
; %bb.285:
	v_cmp_u_f16_e32 vcc, v46, v46
	s_mov_b64 s[8:9], 0
	s_xor_b64 s[12:13], vcc, -1
                                        ; implicit-def: $sgpr10_sgpr11
                                        ; implicit-def: $sgpr16_sgpr17
                                        ; implicit-def: $sgpr14_sgpr15
	s_branch .LBB131_287
.LBB131_286:                            ;   in Loop: Header=BB131_287 Depth=1
	s_or_b64 exec, exec, s[0:1]
	s_and_b64 s[0:1], exec, s[16:17]
	s_or_b64 s[8:9], s[0:1], s[8:9]
	s_andn2_b64 s[0:1], s[10:11], exec
	s_and_b64 s[10:11], s[14:15], exec
	s_or_b64 s[10:11], s[0:1], s[10:11]
	s_andn2_b64 exec, exec, s[8:9]
	s_cbranch_execz .LBB131_289
.LBB131_287:                            ; =>This Inner Loop Header: Depth=1
	v_lshl_add_u64 v[2:3], v[12:13], 1, v[10:11]
	global_load_ushort v1, v[2:3], off
	v_mov_b32_e32 v2, v0
	s_or_b64 s[14:15], s[14:15], exec
	s_or_b64 s[16:17], s[16:17], exec
                                        ; implicit-def: $vgpr0
	s_waitcnt vmcnt(0)
	v_cmp_o_f16_e64 s[0:1], v1, v1
	v_cmp_neq_f16_e32 vcc, v1, v46
	s_or_b64 s[0:1], s[12:13], s[0:1]
	s_and_b64 s[18:19], vcc, s[0:1]
	s_and_saveexec_b64 s[0:1], s[18:19]
	s_cbranch_execz .LBB131_286
; %bb.288:                              ;   in Loop: Header=BB131_287 Depth=1
	v_add_u32_e32 v0, s67, v2
	v_cmp_le_u32_e32 vcc, s64, v0
	s_andn2_b64 s[16:17], s[16:17], exec
	s_and_b64 s[18:19], vcc, exec
	v_add_u32_e32 v12, s90, v12
	s_andn2_b64 s[14:15], s[14:15], exec
	s_or_b64 s[16:17], s[16:17], s[18:19]
	s_branch .LBB131_286
.LBB131_289:
	s_or_b64 exec, exec, s[8:9]
	s_and_saveexec_b64 s[0:1], s[10:11]
	s_xor_b64 s[0:1], exec, s[0:1]
	s_cbranch_execz .LBB131_291
; %bb.290:
	v_readlane_b32 s0, v82, 1
	s_mul_i32 s0, s0, s65
	s_add_i32 s0, s0, s71
	s_mov_b32 s1, 0
	s_lshl_b64 s[0:1], s[0:1], 3
	v_readlane_b32 s8, v82, 4
	v_readlane_b32 s9, v82, 5
	s_add_u32 s0, s8, s0
	s_addc_u32 s1, s9, s1
	v_mov_b32_e32 v3, 0
	global_store_dwordx2 v3, v[2:3], s[0:1]
.LBB131_291:
	s_or_b64 exec, exec, s[6:7]
.LBB131_292:
	s_or_saveexec_b64 s[0:1], s[4:5]
	s_mov_b64 s[4:5], 0
	s_xor_b64 exec, exec, s[0:1]
	s_cbranch_execnz .LBB131_295
.LBB131_293:
	s_or_b64 exec, exec, s[0:1]
	s_and_b64 s[4:5], s[4:5], exec
	s_andn2_saveexec_b64 s[0:1], s[2:3]
	s_cbranch_execz .LBB131_278
.LBB131_294:
	s_or_b64 s[4:5], s[4:5], exec
	s_trap 2
	s_or_b64 exec, exec, s[0:1]
	s_and_saveexec_b64 s[0:1], s[4:5]
	s_cbranch_execnz .LBB131_279
	s_branch .LBB131_280
.LBB131_295:
	s_mov_b64 s[4:5], exec
	s_trap 2
	s_branch .LBB131_293
	.section	.rodata,"a",@progbits
	.p2align	6, 0x0
	.amdhsa_kernel _ZN2at6native12_GLOBAL__N_112gatherMedianIN3c104HalfEjLin1EEEvNS_4cuda6detail10TensorInfoIT_T0_EENS7_IlS9_EENS7_IKS8_S9_EES9_S9_S9_b
		.amdhsa_group_segment_fixed_size 4120
		.amdhsa_private_segment_fixed_size 0
		.amdhsa_kernarg_size 920
		.amdhsa_user_sgpr_count 2
		.amdhsa_user_sgpr_dispatch_ptr 0
		.amdhsa_user_sgpr_queue_ptr 0
		.amdhsa_user_sgpr_kernarg_segment_ptr 1
		.amdhsa_user_sgpr_dispatch_id 0
		.amdhsa_user_sgpr_kernarg_preload_length 0
		.amdhsa_user_sgpr_kernarg_preload_offset 0
		.amdhsa_user_sgpr_private_segment_size 0
		.amdhsa_uses_dynamic_stack 0
		.amdhsa_enable_private_segment 0
		.amdhsa_system_sgpr_workgroup_id_x 1
		.amdhsa_system_sgpr_workgroup_id_y 1
		.amdhsa_system_sgpr_workgroup_id_z 1
		.amdhsa_system_sgpr_workgroup_info 0
		.amdhsa_system_vgpr_workitem_id 0
		.amdhsa_next_free_vgpr 83
		.amdhsa_next_free_sgpr 100
		.amdhsa_accum_offset 84
		.amdhsa_reserve_vcc 1
		.amdhsa_float_round_mode_32 0
		.amdhsa_float_round_mode_16_64 0
		.amdhsa_float_denorm_mode_32 3
		.amdhsa_float_denorm_mode_16_64 3
		.amdhsa_dx10_clamp 1
		.amdhsa_ieee_mode 1
		.amdhsa_fp16_overflow 0
		.amdhsa_tg_split 0
		.amdhsa_exception_fp_ieee_invalid_op 0
		.amdhsa_exception_fp_denorm_src 0
		.amdhsa_exception_fp_ieee_div_zero 0
		.amdhsa_exception_fp_ieee_overflow 0
		.amdhsa_exception_fp_ieee_underflow 0
		.amdhsa_exception_fp_ieee_inexact 0
		.amdhsa_exception_int_div_zero 0
	.end_amdhsa_kernel
	.section	.text._ZN2at6native12_GLOBAL__N_112gatherMedianIN3c104HalfEjLin1EEEvNS_4cuda6detail10TensorInfoIT_T0_EENS7_IlS9_EENS7_IKS8_S9_EES9_S9_S9_b,"axG",@progbits,_ZN2at6native12_GLOBAL__N_112gatherMedianIN3c104HalfEjLin1EEEvNS_4cuda6detail10TensorInfoIT_T0_EENS7_IlS9_EENS7_IKS8_S9_EES9_S9_S9_b,comdat
.Lfunc_end131:
	.size	_ZN2at6native12_GLOBAL__N_112gatherMedianIN3c104HalfEjLin1EEEvNS_4cuda6detail10TensorInfoIT_T0_EENS7_IlS9_EENS7_IKS8_S9_EES9_S9_S9_b, .Lfunc_end131-_ZN2at6native12_GLOBAL__N_112gatherMedianIN3c104HalfEjLin1EEEvNS_4cuda6detail10TensorInfoIT_T0_EENS7_IlS9_EENS7_IKS8_S9_EES9_S9_S9_b
                                        ; -- End function
	.set _ZN2at6native12_GLOBAL__N_112gatherMedianIN3c104HalfEjLin1EEEvNS_4cuda6detail10TensorInfoIT_T0_EENS7_IlS9_EENS7_IKS8_S9_EES9_S9_S9_b.num_vgpr, 83
	.set _ZN2at6native12_GLOBAL__N_112gatherMedianIN3c104HalfEjLin1EEEvNS_4cuda6detail10TensorInfoIT_T0_EENS7_IlS9_EENS7_IKS8_S9_EES9_S9_S9_b.num_agpr, 0
	.set _ZN2at6native12_GLOBAL__N_112gatherMedianIN3c104HalfEjLin1EEEvNS_4cuda6detail10TensorInfoIT_T0_EENS7_IlS9_EENS7_IKS8_S9_EES9_S9_S9_b.numbered_sgpr, 100
	.set _ZN2at6native12_GLOBAL__N_112gatherMedianIN3c104HalfEjLin1EEEvNS_4cuda6detail10TensorInfoIT_T0_EENS7_IlS9_EENS7_IKS8_S9_EES9_S9_S9_b.num_named_barrier, 0
	.set _ZN2at6native12_GLOBAL__N_112gatherMedianIN3c104HalfEjLin1EEEvNS_4cuda6detail10TensorInfoIT_T0_EENS7_IlS9_EENS7_IKS8_S9_EES9_S9_S9_b.private_seg_size, 0
	.set _ZN2at6native12_GLOBAL__N_112gatherMedianIN3c104HalfEjLin1EEEvNS_4cuda6detail10TensorInfoIT_T0_EENS7_IlS9_EENS7_IKS8_S9_EES9_S9_S9_b.uses_vcc, 1
	.set _ZN2at6native12_GLOBAL__N_112gatherMedianIN3c104HalfEjLin1EEEvNS_4cuda6detail10TensorInfoIT_T0_EENS7_IlS9_EENS7_IKS8_S9_EES9_S9_S9_b.uses_flat_scratch, 0
	.set _ZN2at6native12_GLOBAL__N_112gatherMedianIN3c104HalfEjLin1EEEvNS_4cuda6detail10TensorInfoIT_T0_EENS7_IlS9_EENS7_IKS8_S9_EES9_S9_S9_b.has_dyn_sized_stack, 0
	.set _ZN2at6native12_GLOBAL__N_112gatherMedianIN3c104HalfEjLin1EEEvNS_4cuda6detail10TensorInfoIT_T0_EENS7_IlS9_EENS7_IKS8_S9_EES9_S9_S9_b.has_recursion, 0
	.set _ZN2at6native12_GLOBAL__N_112gatherMedianIN3c104HalfEjLin1EEEvNS_4cuda6detail10TensorInfoIT_T0_EENS7_IlS9_EENS7_IKS8_S9_EES9_S9_S9_b.has_indirect_call, 0
	.section	.AMDGPU.csdata,"",@progbits
; Kernel info:
; codeLenInByte = 12272
; TotalNumSgprs: 106
; NumVgprs: 83
; NumAgprs: 0
; TotalNumVgprs: 83
; ScratchSize: 0
; MemoryBound: 0
; FloatMode: 240
; IeeeMode: 1
; LDSByteSize: 4120 bytes/workgroup (compile time only)
; SGPRBlocks: 13
; VGPRBlocks: 10
; NumSGPRsForWavesPerEU: 106
; NumVGPRsForWavesPerEU: 83
; AccumOffset: 84
; Occupancy: 5
; WaveLimiterHint : 1
; COMPUTE_PGM_RSRC2:SCRATCH_EN: 0
; COMPUTE_PGM_RSRC2:USER_SGPR: 2
; COMPUTE_PGM_RSRC2:TRAP_HANDLER: 0
; COMPUTE_PGM_RSRC2:TGID_X_EN: 1
; COMPUTE_PGM_RSRC2:TGID_Y_EN: 1
; COMPUTE_PGM_RSRC2:TGID_Z_EN: 1
; COMPUTE_PGM_RSRC2:TIDIG_COMP_CNT: 0
; COMPUTE_PGM_RSRC3_GFX90A:ACCUM_OFFSET: 20
; COMPUTE_PGM_RSRC3_GFX90A:TG_SPLIT: 0
	.section	.text._ZN2at6native12_GLOBAL__N_112gatherMedianIN3c104HalfEmLi1EEEvNS_4cuda6detail10TensorInfoIT_T0_EENS7_IlS9_EENS7_IKS8_S9_EES9_S9_S9_b,"axG",@progbits,_ZN2at6native12_GLOBAL__N_112gatherMedianIN3c104HalfEmLi1EEEvNS_4cuda6detail10TensorInfoIT_T0_EENS7_IlS9_EENS7_IKS8_S9_EES9_S9_S9_b,comdat
	.globl	_ZN2at6native12_GLOBAL__N_112gatherMedianIN3c104HalfEmLi1EEEvNS_4cuda6detail10TensorInfoIT_T0_EENS7_IlS9_EENS7_IKS8_S9_EES9_S9_S9_b ; -- Begin function _ZN2at6native12_GLOBAL__N_112gatherMedianIN3c104HalfEmLi1EEEvNS_4cuda6detail10TensorInfoIT_T0_EENS7_IlS9_EENS7_IKS8_S9_EES9_S9_S9_b
	.p2align	8
	.type	_ZN2at6native12_GLOBAL__N_112gatherMedianIN3c104HalfEmLi1EEEvNS_4cuda6detail10TensorInfoIT_T0_EENS7_IlS9_EENS7_IKS8_S9_EES9_S9_S9_b,@function
_ZN2at6native12_GLOBAL__N_112gatherMedianIN3c104HalfEmLi1EEEvNS_4cuda6detail10TensorInfoIT_T0_EENS7_IlS9_EENS7_IKS8_S9_EES9_S9_S9_b: ; @_ZN2at6native12_GLOBAL__N_112gatherMedianIN3c104HalfEmLi1EEEvNS_4cuda6detail10TensorInfoIT_T0_EENS7_IlS9_EENS7_IKS8_S9_EES9_S9_S9_b
; %bb.0:
	s_load_dwordx2 s[8:9], s[0:1], 0x500
	s_load_dwordx4 s[56:59], s[0:1], 0x4e0
	s_add_u32 s10, s0, 0x500
	s_addc_u32 s11, s1, 0
	s_mov_b32 s5, 0
	s_waitcnt lgkmcnt(0)
	s_mul_i32 s4, s9, s4
	s_add_i32 s3, s4, s3
	s_mul_i32 s3, s3, s8
	s_add_i32 s4, s3, s2
	v_mov_b64_e32 v[2:3], s[4:5]
	v_cmp_le_u64_e32 vcc, s[58:59], v[2:3]
	s_cbranch_vccnz .LBB132_293
; %bb.1:
	s_load_dwordx2 s[68:69], s[0:1], 0x4f0
	s_load_dwordx2 s[6:7], s[0:1], 0x410
	s_mov_b32 s14, s4
	s_load_dwordx2 s[4:5], s[0:1], 0x340
	s_load_dwordx2 s[12:13], s[0:1], 0x270
                                        ; implicit-def: $vgpr69 : SGPR spill to VGPR lane
	v_mov_b32_e32 v1, 0
	v_mov_b64_e32 v[2:3], 0
	s_waitcnt lgkmcnt(0)
	s_mul_i32 s3, s7, s14
	s_mul_hi_u32 s7, s6, s14
	v_writelane_b32 v69, s12, 0
	s_add_i32 s7, s7, s3
	s_mul_i32 s6, s6, s14
	v_writelane_b32 v69, s13, 1
	s_load_dwordx2 s[12:13], s[0:1], 0x1a0
	s_waitcnt lgkmcnt(0)
	v_writelane_b32 v69, s12, 2
	s_nop 1
	v_writelane_b32 v69, s13, 3
	s_load_dwordx2 s[12:13], s[0:1], 0xd0
	s_waitcnt lgkmcnt(0)
	v_writelane_b32 v69, s12, 4
	s_nop 1
	;; [unrolled: 5-line block ×3, first 2 shown]
	v_writelane_b32 v69, s13, 7
	s_mov_b32 s12, s14
	v_writelane_b32 v69, s12, 8
	v_cmp_gt_u64_e64 s[14:15], s[56:57], v[0:1]
	s_nop 0
	v_writelane_b32 v69, s13, 9
	s_mov_b64 s[12:13], exec
	v_writelane_b32 v69, s14, 10
	s_nop 1
	v_writelane_b32 v69, s15, 11
	s_and_b64 s[14:15], s[12:13], s[14:15]
	s_mov_b64 exec, s[14:15]
	s_cbranch_execz .LBB132_5
; %bb.2:
	s_load_dword s3, s[10:11], 0xc
	v_mad_u64_u32 v[2:3], s[16:17], s68, v0, 0
	v_mov_b32_e32 v4, v3
	v_mad_u64_u32 v[4:5], s[16:17], s69, v0, v[4:5]
	s_waitcnt lgkmcnt(0)
	s_and_b32 s14, s3, 0xffff
	s_lshl_b64 s[16:17], s[6:7], 1
	s_add_u32 s16, s4, s16
	v_mov_b32_e32 v3, v4
	s_addc_u32 s17, s5, s17
	s_mul_i32 s3, s69, s14
	s_mul_hi_u32 s9, s68, s14
	v_lshl_add_u64 v[4:5], v[2:3], 1, s[16:17]
	s_add_i32 s17, s9, s3
	s_mul_i32 s16, s68, s14
	s_mov_b32 s15, 0
	s_lshl_b64 s[18:19], s[16:17], 1
	s_mov_b64 s[16:17], 0
	v_mov_b64_e32 v[2:3], 0
	v_mov_b64_e32 v[6:7], v[0:1]
.LBB132_3:                              ; =>This Inner Loop Header: Depth=1
	global_load_ushort v8, v[4:5], off
	v_lshl_add_u64 v[6:7], v[6:7], 0, s[14:15]
	v_cmp_le_u64_e32 vcc, s[56:57], v[6:7]
	s_or_b64 s[16:17], vcc, s[16:17]
	v_mov_b32_e32 v9, s15
	v_lshl_add_u64 v[4:5], v[4:5], 0, s[18:19]
	s_waitcnt vmcnt(0)
	v_cmp_u_f16_e32 vcc, v8, v8
	s_nop 1
	v_cndmask_b32_e64 v8, 0, 1, vcc
	v_lshl_add_u64 v[2:3], v[2:3], 0, v[8:9]
	s_andn2_b64 exec, exec, s[16:17]
	s_cbranch_execnz .LBB132_3
; %bb.4:
	s_or_b64 exec, exec, s[16:17]
.LBB132_5:
	s_or_b64 exec, exec, s[12:13]
	v_cmp_eq_u32_e64 s[14:15], 0, v0
	s_mov_b64 s[12:13], exec
	s_nop 0
	v_writelane_b32 v69, s14, 12
	s_nop 1
	v_writelane_b32 v69, s15, 13
	s_and_b64 s[14:15], s[12:13], s[14:15]
	s_mov_b64 exec, s[14:15]
; %bb.6:
	v_mov_b32_e32 v4, 0
	v_mov_b32_e32 v5, v4
	ds_write_b64 v4, v[4:5] offset:5136
; %bb.7:
	s_or_b64 exec, exec, s[12:13]
	s_mov_b64 s[14:15], 0
	v_cmp_ne_u64_e32 vcc, 0, v[2:3]
	s_waitcnt lgkmcnt(0)
	s_barrier
	s_and_saveexec_b64 s[12:13], vcc
	s_cbranch_execz .LBB132_12
; %bb.8:
	s_mov_b64 s[16:17], exec
.LBB132_9:                              ; =>This Inner Loop Header: Depth=1
	s_ff1_i32_b64 s3, s[16:17]
	v_readlane_b32 s18, v2, s3
	v_readlane_b32 s9, v3, s3
	s_add_u32 s14, s14, s18
	s_addc_u32 s15, s15, s9
	s_lshl_b64 s[18:19], 1, s3
	s_andn2_b64 s[16:17], s[16:17], s[18:19]
	s_cmp_lg_u64 s[16:17], 0
	s_cbranch_scc1 .LBB132_9
; %bb.10:
	v_mbcnt_lo_u32_b32 v2, exec_lo, 0
	v_mbcnt_hi_u32_b32 v2, exec_hi, v2
	v_cmp_eq_u32_e32 vcc, 0, v2
	s_and_saveexec_b64 s[16:17], vcc
	s_xor_b64 s[16:17], exec, s[16:17]
; %bb.11:
	v_mov_b32_e32 v2, 0
	v_mov_b64_e32 v[4:5], s[14:15]
	ds_add_u64 v2, v[4:5] offset:5136
.LBB132_12:
	s_or_b64 exec, exec, s[12:13]
	v_mov_b32_e32 v3, 0
	s_waitcnt lgkmcnt(0)
	s_barrier
	ds_read_b64 v[4:5], v3 offset:5136
	s_waitcnt lgkmcnt(0)
	v_readfirstlane_b32 s12, v4
	v_readfirstlane_b32 s13, v5
	s_mov_b64 s[14:15], exec
	v_readlane_b32 s16, v69, 12
	v_readlane_b32 s17, v69, 13
	s_and_b64 s[16:17], s[14:15], s[16:17]
	s_mov_b64 exec, s[16:17]
	s_cbranch_execz .LBB132_14
; %bb.13:
	v_mov_b32_e32 v4, 0
	v_mov_b32_e32 v6, s56
	v_mov_b32_e32 v7, s57
	v_mov_b32_e32 v5, v4
	ds_write_b32 v4, v4 offset:5144
	ds_write_b128 v4, v[4:7] offset:5120
.LBB132_14:
	s_or_b64 exec, exec, s[14:15]
	s_load_dword s3, s[0:1], 0x4f8
	v_cmp_lt_i64_e64 s[0:1], s[12:13], 1
	v_mbcnt_lo_u32_b32 v2, -1, 0
	v_mbcnt_hi_u32_b32 v36, -1, v2
	v_cmp_gt_u32_e32 vcc, 64, v0
	s_waitcnt lgkmcnt(0)
	s_bitcmp1_b32 s3, 0
	s_cselect_b64 s[14:15], -1, 0
	s_not_b64 s[12:13], s[12:13]
	s_or_b64 s[0:1], s[14:15], s[0:1]
	s_add_u32 s12, s56, s12
	s_addc_u32 s13, s57, s13
	s_lshr_b64 s[12:13], s[12:13], 1
	s_add_u32 s3, s12, 1
	s_addc_u32 s9, s13, 0
	s_and_b64 s[0:1], s[0:1], exec
	s_cselect_b32 s13, s9, s57
	s_cselect_b32 s12, s3, s56
	s_lshl_b64 s[0:1], s[6:7], 1
	s_add_u32 s60, s4, s0
	s_addc_u32 s61, s5, s1
	v_cmp_gt_i32_e64 s[0:1], 4, v36
	s_and_b64 s[90:91], vcc, s[0:1]
	v_cmp_gt_u32_e64 s[0:1], 2, v0
	v_mov_b64_e32 v[4:5], 0x600
	s_nop 0
	v_writelane_b32 v69, s0, 14
	s_barrier
	s_nop 0
	v_writelane_b32 v69, s1, 15
	v_cmp_gt_u64_e64 s[0:1], s[56:57], v[4:5]
	v_mov_b32_e32 v19, -1
	v_not_b32_e32 v18, v0
	v_writelane_b32 v69, s0, 16
	v_lshlrev_b32_e32 v8, 3, v0
	s_mov_b32 s55, s68
	v_writelane_b32 v69, s1, 17
	v_mad_u64_u32 v[4:5], s[0:1], s68, v0, 0
	v_mov_b32_e32 v2, v5
	v_mad_u64_u32 v[6:7], s[0:1], s69, v0, v[2:3]
	s_load_dword s0, s[10:11], 0xc
	v_lshlrev_b32_e32 v2, 2, v36
	v_and_b32_e32 v39, 0x100, v2
	v_lshrrev_b32_e32 v2, 1, v0
	v_and_b32_e32 v2, 0x1e0, v2
	s_waitcnt lgkmcnt(0)
	s_and_b32 s70, s0, 0xffff
	s_bfe_u32 s0, s0, 0xa0006
	s_cmp_gt_u32 s70, 63
	v_mov_b32_e32 v5, v6
	v_lshlrev_b64 v[6:7], v36, -1
	s_cselect_b64 s[6:7], -1, 0
	v_or_b32_e32 v40, 0xc00, v2
	v_add_u32_e32 v2, 2, v0
	v_not_b32_e32 v16, v6
	v_writelane_b32 v69, s6, 18
	s_add_u32 s1, s70, -1
	v_mov_b32_e32 v6, s57
	v_cmp_gt_u64_e32 vcc, s[56:57], v[2:3]
	v_not_b32_e32 v17, v7
	v_writelane_b32 v69, s7, 19
	s_addc_u32 s3, 0, -1
	v_cndmask_b32_e32 v7, 0, v6, vcc
	v_mov_b32_e32 v6, s56
	v_writelane_b32 v69, s1, 20
	s_add_u32 s1, s1, s56
	v_cndmask_b32_e32 v6, v2, v6, vcc
	v_writelane_b32 v69, s1, 21
	s_addc_u32 s83, s3, s57
	v_lshl_add_u64 v[6:7], v[6:7], 0, v[18:19]
	v_writelane_b32 v69, s3, 22
	s_cmp_lt_u32 s2, s8
	v_cmp_lt_u64_e64 s[2:3], 3, v[6:7]
	s_cselect_b32 s1, 12, 18
	v_and_b32_e32 v20, -4, v6
	v_writelane_b32 v69, s2, 23
	v_mov_b32_e32 v21, v7
	s_add_u32 s72, s10, s1
	v_writelane_b32 v69, s3, 24
	v_cmp_ne_u64_e64 s[2:3], v[6:7], v[20:21]
	s_addc_u32 s73, s11, 0
	s_add_i32 s1, s0, -1
	v_writelane_b32 v69, s2, 25
	s_and_b32 s1, s1, 0xffff
	v_or_b32_e32 v6, 6, v8
	v_writelane_b32 v69, s3, 26
	s_bfe_u32 s2, s70, 0x30006
	s_cmp_gt_u32 s1, 6
	s_cselect_b64 s[6:7], -1, 0
	v_writelane_b32 v69, s6, 27
	s_and_b32 s84, s0, 0x3f8
	s_cmp_lg_u32 s2, 0
	v_writelane_b32 v69, s7, 28
	v_writelane_b32 v69, s2, 29
	s_cselect_b64 s[0:1], -1, 0
	v_writelane_b32 v69, s0, 30
	s_mov_b32 s78, s69
	s_mov_b32 s79, s68
	v_writelane_b32 v69, s1, 31
	s_lshl_b64 s[0:1], s[68:69], 1
	v_writelane_b32 v69, s0, 32
	s_mov_b32 s80, s69
	s_mov_b32 s77, 0
	v_writelane_b32 v69, s1, 33
	v_mad_u64_u32 v[24:25], s[0:1], s68, v6, 0
	v_mov_b32_e32 v2, v25
	v_mad_u64_u32 v[6:7], s[0:1], s69, v6, v[2:3]
	v_mov_b32_e32 v25, v6
	v_or_b32_e32 v6, 4, v8
	v_mad_u64_u32 v[26:27], s[0:1], s68, v6, 0
	v_mov_b32_e32 v2, v27
	v_mad_u64_u32 v[6:7], s[0:1], s69, v6, v[2:3]
	v_mov_b32_e32 v27, v6
	v_or_b32_e32 v6, 2, v8
	v_writelane_b32 v69, s72, 34
	v_mad_u64_u32 v[28:29], s[0:1], s68, v6, 0
	s_nop 0
	v_writelane_b32 v69, s73, 35
	v_mov_b32_e32 v2, v29
	v_writelane_b32 v69, s55, 36
	v_mad_u64_u32 v[6:7], s[0:1], s69, v6, v[2:3]
	v_writelane_b32 v69, s78, 37
	s_mul_i32 s0, s69, s70
	s_mul_hi_u32 s1, s68, s70
	v_writelane_b32 v69, s79, 38
	v_lshlrev_b32_e32 v37, 1, v0
	s_mov_b32 s81, s68
	v_mov_b32_e32 v2, 0xc00
	s_add_i32 s1, s1, s0
	s_mul_i32 s0, s68, s70
	v_writelane_b32 v69, s80, 39
	v_cmp_eq_u32_e64 s[4:5], 0, v36
	v_add_u32_e32 v38, 0xc00, v37
	v_lshl_add_u64 v[12:13], v[4:5], 1, s[60:61]
	v_lshlrev_b32_e32 v14, 2, v0
	v_mov_b32_e32 v15, v3
	s_mov_b32 s33, 0xffff
	s_mov_b32 s71, s77
	v_lshl_add_u64 v[22:23], v[20:21], 0, v[0:1]
	s_mov_b32 s52, s69
	s_lshl_b64 s[92:93], s[68:69], 3
	v_mov_b32_e32 v29, v6
	v_lshlrev_b64 v[30:31], 3, v[4:5]
	v_lshlrev_b32_e32 v18, 3, v0
	v_lshl_or_b32 v42, v36, 3, v2
	s_lshl_b32 s85, s70, 1
	s_lshl_b64 s[74:75], s[0:1], 1
	s_mov_b32 s6, 14
	s_mov_b64 s[94:95], 0
	v_mov_b64_e32 v[32:33], s[12:13]
	s_mov_b32 s53, 0x5040100
	v_mov_b64_e32 v[52:53], s[56:57]
	s_movk_i32 s49, 0x3c00
	v_mov_b32_e32 v43, 0xffff
	v_mov_b32_e32 v44, 0x8000
	;; [unrolled: 1-line block ×5, first 2 shown]
	s_mov_b32 s7, 0
	v_mov_b32_e32 v41, 0
	v_mov_b32_e32 v47, 0
	v_writelane_b32 v69, s81, 40
                                        ; implicit-def: $sgpr96_sgpr97
                                        ; implicit-def: $sgpr58_sgpr59
                                        ; implicit-def: $sgpr98_sgpr99
                                        ; implicit-def: $sgpr64_sgpr65
                                        ; implicit-def: $sgpr66_sgpr67
                                        ; implicit-def: $sgpr62_sgpr63
	v_writelane_b32 v69, s52, 41
	s_branch .LBB132_18
.LBB132_15:                             ;   in Loop: Header=BB132_18 Depth=1
	s_or_b64 exec, exec, s[12:13]
	s_and_b64 s[10:11], s[10:11], exec
	s_andn2_b64 s[24:25], s[24:25], exec
	s_andn2_b64 s[0:1], s[0:1], exec
	s_orn2_b64 s[18:19], s[8:9], exec
.LBB132_16:                             ;   in Loop: Header=BB132_18 Depth=1
	s_or_b64 exec, exec, s[2:3]
	s_andn2_b64 s[2:3], s[62:63], exec
	s_and_b64 s[8:9], s[10:11], exec
	s_or_b64 s[62:63], s[2:3], s[8:9]
	s_andn2_b64 s[2:3], s[66:67], exec
	s_and_b64 s[8:9], s[24:25], exec
	s_or_b64 s[66:67], s[2:3], s[8:9]
	;; [unrolled: 3-line block ×3, first 2 shown]
	s_orn2_b64 s[0:1], s[18:19], exec
.LBB132_17:                             ;   in Loop: Header=BB132_18 Depth=1
	s_or_b64 exec, exec, s[16:17]
	s_and_b64 s[0:1], exec, s[0:1]
	s_or_b64 s[94:95], s[0:1], s[94:95]
	s_andn2_b64 s[0:1], s[98:99], exec
	s_and_b64 s[2:3], s[62:63], exec
	s_or_b64 s[98:99], s[0:1], s[2:3]
	s_andn2_b64 s[0:1], s[58:59], exec
	s_and_b64 s[2:3], s[66:67], exec
	;; [unrolled: 3-line block ×3, first 2 shown]
	s_or_b64 s[96:97], s[0:1], s[2:3]
	v_mov_b64_e32 v[32:33], v[8:9]
	s_andn2_b64 exec, exec, s[94:95]
	s_cbranch_execz .LBB132_289
.LBB132_18:                             ; =>This Loop Header: Depth=1
                                        ;     Child Loop BB132_23 Depth 2
                                        ;     Child Loop BB132_37 Depth 2
	;; [unrolled: 1-line block ×17, first 2 shown]
	ds_read_b128 v[4:7], v3 offset:5120
	s_waitcnt lgkmcnt(0)
	v_readfirstlane_b32 s13, v5
	v_readfirstlane_b32 s12, v4
	s_cmp_lg_u64 s[12:13], 0
	s_cbranch_scc1 .LBB132_50
; %bb.19:                               ;   in Loop: Header=BB132_18 Depth=1
	v_readlane_b32 s0, v69, 16
	v_readlane_b32 s1, v69, 17
	s_and_b64 vcc, exec, s[0:1]
	s_cbranch_vccz .LBB132_31
; %bb.20:                               ;   in Loop: Header=BB132_18 Depth=1
	s_mov_b64 s[0:1], 0x601
	v_cmp_gt_u64_e32 vcc, s[0:1], v[6:7]
	s_mov_b64 s[8:9], 0
	s_mov_b64 s[0:1], 0
	s_cbranch_vccz .LBB132_32
; %bb.21:                               ;   in Loop: Header=BB132_18 Depth=1
	global_load_ushort v6, v3, s[72:73]
	global_load_ushort v8, v[12:13], off
	v_readlane_b32 s14, v69, 32
	v_mov_b64_e32 v[4:5], s[60:61]
	v_readlane_b32 s15, v69, 33
	s_mov_b64 s[10:11], 0
	s_waitcnt vmcnt(1)
	v_readfirstlane_b32 s0, v6
	s_and_b32 s0, 0xffff, s0
	s_nop 0
	v_add_u32_e32 v7, s0, v0
	s_mul_i32 s2, s15, s0
	s_mul_hi_u32 s3, s14, s0
	s_mul_i32 s12, s14, s0
	v_mad_u64_u32 v[4:5], s[0:1], s14, v7, v[4:5]
	v_and_b32_e32 v2, 0xffff, v6
	v_mov_b32_e32 v6, v5
	v_mad_u64_u32 v[6:7], s[0:1], s15, v7, v[6:7]
	s_add_i32 s13, s3, s2
	v_mov_b32_e32 v5, v6
	v_mov_b64_e32 v[6:7], v[0:1]
	s_branch .LBB132_23
.LBB132_22:                             ;   in Loop: Header=BB132_23 Depth=2
	s_or_b64 exec, exec, s[2:3]
	v_lshl_add_u64 v[4:5], v[4:5], 0, s[12:13]
	v_mov_b32_e32 v8, v9
	s_andn2_b64 exec, exec, s[10:11]
	s_cbranch_execz .LBB132_151
.LBB132_23:                             ;   Parent Loop BB132_18 Depth=1
                                        ; =>  This Inner Loop Header: Depth=2
	v_lshl_add_u64 v[6:7], v[6:7], 0, v[2:3]
	v_cmp_gt_u64_e64 s[0:1], s[56:57], v[6:7]
	v_cmp_le_u64_e32 vcc, s[56:57], v[6:7]
	s_waitcnt lgkmcnt(0)
	v_mov_b32_e32 v10, 0
	v_mov_b32_e32 v9, 0
	s_and_saveexec_b64 s[2:3], s[0:1]
	s_cbranch_execz .LBB132_25
; %bb.24:                               ;   in Loop: Header=BB132_23 Depth=2
	global_load_ushort v9, v[4:5], off
.LBB132_25:                             ;   in Loop: Header=BB132_23 Depth=2
	s_or_b64 exec, exec, s[2:3]
	s_waitcnt vmcnt(0)
	v_cmp_lt_i16_e64 s[0:1], -1, v8
	s_nop 1
	v_cndmask_b32_e64 v11, v43, v44, s[0:1]
	v_xor_b32_sdwa v11, v11, v8 dst_sel:DWORD dst_unused:UNUSED_PAD src0_sel:DWORD src1_sel:WORD_0
	v_cmp_o_f16_e64 s[0:1], v8, v8
	s_nop 1
	v_cndmask_b32_e64 v11, v43, v11, s[0:1]
	v_and_b32_e32 v11, v11, v47
	v_cmp_eq_u32_e64 s[0:1], v11, v41
	s_cmp_lg_u64 s[0:1], 0
	s_cselect_b64 s[2:3], -1, 0
	s_and_b64 s[2:3], s[4:5], s[2:3]
	s_and_saveexec_b64 s[14:15], s[2:3]
	s_cbranch_execz .LBB132_29
; %bb.26:                               ;   in Loop: Header=BB132_23 Depth=2
	s_mov_b64 s[18:19], exec
	v_mbcnt_lo_u32_b32 v10, s18, 0
	v_mbcnt_hi_u32_b32 v10, s19, v10
	s_bcnt1_i32_b64 s20, s[0:1]
	v_cmp_eq_u32_e64 s[2:3], 0, v10
                                        ; implicit-def: $vgpr11
	s_and_saveexec_b64 s[16:17], s[2:3]
; %bb.27:                               ;   in Loop: Header=BB132_23 Depth=2
	s_bcnt1_i32_b64 s2, s[18:19]
	s_mul_i32 s2, s20, s2
	v_mov_b32_e32 v11, s2
	ds_add_rtn_u32 v11, v3, v11 offset:5144
; %bb.28:                               ;   in Loop: Header=BB132_23 Depth=2
	s_or_b64 exec, exec, s[16:17]
	s_waitcnt lgkmcnt(0)
	v_readfirstlane_b32 s2, v11
	s_nop 1
	v_mov_b32_e32 v11, s2
	v_mad_u32_u24 v10, s20, v10, v11
.LBB132_29:                             ;   in Loop: Header=BB132_23 Depth=2
	s_or_b64 exec, exec, s[14:15]
	ds_bpermute_b32 v10, v39, v10
	s_and_b64 s[2:3], exec, vcc
	s_or_b64 s[10:11], s[2:3], s[10:11]
	s_and_saveexec_b64 s[2:3], s[0:1]
	s_cbranch_execz .LBB132_22
; %bb.30:                               ;   in Loop: Header=BB132_23 Depth=2
	v_and_b32_e32 v34, s0, v16
	v_and_b32_e32 v11, s1, v17
	v_bcnt_u32_b32 v34, v34, 0
	v_bcnt_u32_b32 v11, v11, v34
	v_lshlrev_b32_e32 v11, 1, v11
	s_waitcnt lgkmcnt(0)
	v_lshl_add_u32 v10, v10, 1, v11
	ds_write_b16 v10, v8
	s_branch .LBB132_22
.LBB132_31:                             ;   in Loop: Header=BB132_18 Depth=1
	s_mov_b64 s[8:9], -1
	s_mov_b64 s[0:1], 0
.LBB132_32:                             ;   in Loop: Header=BB132_18 Depth=1
	s_and_b64 vcc, exec, s[8:9]
	s_cbranch_vccz .LBB132_48
.LBB132_33:                             ;   in Loop: Header=BB132_18 Depth=1
	s_mov_b64 s[0:1], exec
	v_readlane_b32 s2, v69, 10
	v_readlane_b32 s3, v69, 11
	s_and_b64 s[2:3], s[0:1], s[2:3]
	s_mov_b64 exec, s[2:3]
	s_cbranch_execz .LBB132_45
; %bb.34:                               ;   in Loop: Header=BB132_18 Depth=1
	global_load_ushort v2, v3, s[72:73]
	global_load_ushort v49, v[12:13], off
	v_mov_b32_e32 v8, v0
	s_waitcnt vmcnt(1)
	v_readfirstlane_b32 s8, v2
	v_add_u32_sdwa v2, v2, v0 dst_sel:DWORD dst_unused:UNUSED_PAD src0_sel:WORD_0 src1_sel:DWORD
	v_cmp_gt_u64_e32 vcc, s[56:57], v[2:3]
	s_and_saveexec_b64 s[2:3], vcc
	s_cbranch_execz .LBB132_44
; %bb.35:                               ;   in Loop: Header=BB132_18 Depth=1
	s_and_b32 s76, s8, 0xffff
	s_cmp_eq_u32 s76, 1
	v_readlane_b32 s10, v69, 23
	s_cselect_b64 s[8:9], -1, 0
	v_readlane_b32 s11, v69, 24
	s_and_b64 s[12:13], s[10:11], s[8:9]
	s_mov_b64 s[10:11], -1
	v_mov_b64_e32 v[6:7], v[0:1]
	v_mov_b64_e32 v[4:5], v[2:3]
                                        ; implicit-def: $vgpr8_vgpr9
	s_and_saveexec_b64 s[8:9], s[12:13]
	s_cbranch_execz .LBB132_39
; %bb.36:                               ;   in Loop: Header=BB132_18 Depth=1
	v_lshl_add_u64 v[8:9], v[2:3], 0, 3
	v_lshl_add_u64 v[6:7], v[2:3], 0, 2
	;; [unrolled: 1-line block ×3, first 2 shown]
	v_mov_b64_e32 v[10:11], v[8:9]
	s_waitcnt vmcnt(0)
	v_lshlrev_b32_e32 v51, 16, v49
	s_mov_b64 s[10:11], 0
	v_mov_b64_e32 v[34:35], v[20:21]
	v_mov_b32_e32 v50, v37
	v_mov_b64_e32 v[8:9], v[6:7]
	v_mov_b64_e32 v[6:7], v[4:5]
	;; [unrolled: 1-line block ×3, first 2 shown]
.LBB132_37:                             ;   Parent Loop BB132_18 Depth=1
                                        ; =>  This Inner Loop Header: Depth=2
	v_mul_lo_u32 v49, v11, s81
	v_mul_lo_u32 v62, v10, s52
	v_mad_u64_u32 v[54:55], s[12:13], v10, s81, 0
	v_mul_lo_u32 v63, v9, s79
	v_mul_lo_u32 v64, v8, s80
	v_mad_u64_u32 v[56:57], s[12:13], v8, s79, 0
	;; [unrolled: 3-line block ×4, first 2 shown]
	v_add3_u32 v55, v55, v62, v49
	v_add3_u32 v57, v57, v64, v63
	;; [unrolled: 1-line block ×4, first 2 shown]
	v_lshl_add_u64 v[56:57], v[56:57], 1, s[60:61]
	v_lshl_add_u64 v[54:55], v[54:55], 1, s[60:61]
	;; [unrolled: 1-line block ×4, first 2 shown]
	global_load_ushort v56, v[56:57], off
	s_nop 0
	global_load_ushort v49, v[54:55], off
	s_nop 0
	global_load_ushort v54, v[58:59], off
	global_load_ushort v57, v[60:61], off
	v_lshl_add_u64 v[34:35], v[34:35], 0, -4
	v_cmp_eq_u64_e32 vcc, 0, v[34:35]
	v_lshl_add_u64 v[10:11], v[10:11], 0, 4
	v_lshl_add_u64 v[8:9], v[8:9], 0, 4
	;; [unrolled: 1-line block ×4, first 2 shown]
	s_or_b64 s[10:11], vcc, s[10:11]
	s_waitcnt vmcnt(2)
	v_perm_b32 v58, v49, v56, s53
	s_waitcnt vmcnt(1)
	v_perm_b32 v55, v56, v54, s53
	s_waitcnt vmcnt(0)
	v_alignbit_b32 v54, v57, v51, 16
	ds_write_b64 v50, v[54:55]
	v_add_u32_e32 v50, 8, v50
	v_mov_b32_e32 v51, v58
	s_andn2_b64 exec, exec, s[10:11]
	s_cbranch_execnz .LBB132_37
; %bb.38:                               ;   in Loop: Header=BB132_18 Depth=1
	s_or_b64 exec, exec, s[10:11]
	v_readlane_b32 s10, v69, 25
	v_lshl_add_u64 v[4:5], v[2:3], 0, v[20:21]
	v_readlane_b32 s11, v69, 26
	v_lshl_add_u64 v[8:9], v[4:5], 0, -1
	s_orn2_b64 s[10:11], s[10:11], exec
	v_mov_b64_e32 v[6:7], v[22:23]
.LBB132_39:                             ;   in Loop: Header=BB132_18 Depth=1
	s_or_b64 exec, exec, s[8:9]
	s_and_saveexec_b64 s[8:9], s[10:11]
	s_cbranch_execz .LBB132_43
; %bb.40:                               ;   in Loop: Header=BB132_18 Depth=1
	v_mov_b64_e32 v[8:9], s[60:61]
	v_readlane_b32 s16, v69, 32
	v_readlane_b32 s17, v69, 33
	s_sub_u32 s10, 0, s76
	v_mad_u64_u32 v[8:9], s[14:15], s16, v4, v[8:9]
	v_mul_lo_u32 v2, s16, v5
	v_mul_lo_u32 v7, s17, v4
	s_mul_i32 s14, s17, s76
	s_mul_hi_u32 s15, s16, s76
	s_mov_b64 s[12:13], 0
	s_subb_u32 s11, 0, 0
	v_add3_u32 v9, v7, v9, v2
	s_add_i32 s15, s15, s14
	s_mul_i32 s14, s16, s76
.LBB132_41:                             ;   Parent Loop BB132_18 Depth=1
                                        ; =>  This Inner Loop Header: Depth=2
	s_waitcnt vmcnt(0)
	v_mov_b32_e32 v2, v49
	global_load_ushort v49, v[8:9], off
	v_mov_b64_e32 v[10:11], v[4:5]
	v_lshlrev_b32_e32 v4, 1, v6
	ds_write_b16 v4, v2
	v_lshl_add_u64 v[4:5], v[10:11], 0, s[76:77]
	v_cmp_le_u64_e32 vcc, s[56:57], v[4:5]
	v_lshl_add_u64 v[8:9], v[8:9], 0, s[14:15]
	s_or_b64 s[12:13], vcc, s[12:13]
	v_mov_b64_e32 v[6:7], v[10:11]
	s_andn2_b64 exec, exec, s[12:13]
	s_cbranch_execnz .LBB132_41
; %bb.42:                               ;   in Loop: Header=BB132_18 Depth=1
	s_or_b64 exec, exec, s[12:13]
	v_lshl_add_u64 v[8:9], s[10:11], 0, v[4:5]
.LBB132_43:                             ;   in Loop: Header=BB132_18 Depth=1
	s_or_b64 exec, exec, s[8:9]
.LBB132_44:                             ;   in Loop: Header=BB132_18 Depth=1
	s_or_b64 exec, exec, s[2:3]
	v_lshlrev_b32_e32 v2, 1, v8
	s_waitcnt vmcnt(0)
	ds_write_b16 v2, v49
.LBB132_45:                             ;   in Loop: Header=BB132_18 Depth=1
	s_or_b64 exec, exec, s[0:1]
	s_waitcnt lgkmcnt(0)
	s_barrier
	s_mov_b64 s[0:1], exec
	v_readlane_b32 s2, v69, 12
	v_readlane_b32 s3, v69, 13
	s_and_b64 s[2:3], s[0:1], s[2:3]
	s_mov_b64 exec, s[2:3]
; %bb.46:                               ;   in Loop: Header=BB132_18 Depth=1
	ds_write_b64 v3, v[52:53] offset:5120
; %bb.47:                               ;   in Loop: Header=BB132_18 Depth=1
	s_or_b64 exec, exec, s[0:1]
	s_mov_b64 s[0:1], -1
	s_waitcnt lgkmcnt(0)
	s_barrier
.LBB132_48:                             ;   in Loop: Header=BB132_18 Depth=1
	s_mov_b64 s[12:13], 0
	s_and_b64 vcc, exec, s[0:1]
	s_cbranch_vccz .LBB132_50
; %bb.49:                               ;   in Loop: Header=BB132_18 Depth=1
	ds_read_b64 v[4:5], v3 offset:5120
	s_waitcnt lgkmcnt(0)
	v_readfirstlane_b32 s12, v4
.LBB132_50:                             ;   in Loop: Header=BB132_18 Depth=1
	s_cmp_lt_i32 s12, 1
	s_mov_b64 s[0:1], -1
                                        ; implicit-def: $vgpr4_vgpr5
                                        ; implicit-def: $vgpr8_vgpr9
	s_cbranch_scc1 .LBB132_60
; %bb.51:                               ;   in Loop: Header=BB132_18 Depth=1
	s_and_b64 vcc, exec, s[0:1]
	s_cbranch_vccnz .LBB132_74
.LBB132_52:                             ;   in Loop: Header=BB132_18 Depth=1
	s_lshl_b32 s2, s7, 6
	s_and_saveexec_b64 s[0:1], s[4:5]
	s_cbranch_execz .LBB132_54
.LBB132_53:                             ;   in Loop: Header=BB132_18 Depth=1
	v_lshl_add_u32 v2, s2, 3, v40
	ds_write_b128 v2, v[4:7]
	ds_write_b128 v2, v[8:11] offset:16
.LBB132_54:                             ;   in Loop: Header=BB132_18 Depth=1
	s_or_b64 exec, exec, s[0:1]
	s_waitcnt lgkmcnt(0)
	s_barrier
	s_and_saveexec_b64 s[0:1], s[90:91]
	s_cbranch_execz .LBB132_89
; %bb.55:                               ;   in Loop: Header=BB132_18 Depth=1
	v_readlane_b32 s8, v69, 18
	v_readlane_b32 s9, v69, 19
	s_andn2_b64 vcc, exec, s[8:9]
	v_mov_b64_e32 v[4:5], 0
	s_cbranch_vccnz .LBB132_88
; %bb.56:                               ;   in Loop: Header=BB132_18 Depth=1
	v_readlane_b32 s8, v69, 27
	v_readlane_b32 s9, v69, 28
	s_andn2_b64 vcc, exec, s[8:9]
	s_cbranch_vccnz .LBB132_84
; %bb.57:                               ;   in Loop: Header=BB132_18 Depth=1
	v_lshl_add_u32 v2, s7, 9, v42
	v_mov_b64_e32 v[4:5], 0
	s_mov_b32 s3, 0
.LBB132_58:                             ;   Parent Loop BB132_18 Depth=1
                                        ; =>  This Inner Loop Header: Depth=2
	ds_read2_b64 v[6:9], v2 offset1:4
	ds_read2_b64 v[54:57], v2 offset0:8 offset1:12
	ds_read2_b64 v[58:61], v2 offset0:16 offset1:20
	;; [unrolled: 1-line block ×3, first 2 shown]
	s_add_i32 s3, s3, 8
	s_waitcnt lgkmcnt(3)
	v_lshl_add_u64 v[4:5], v[6:7], 0, v[4:5]
	v_lshl_add_u64 v[4:5], v[8:9], 0, v[4:5]
	s_waitcnt lgkmcnt(2)
	v_lshl_add_u64 v[4:5], v[54:55], 0, v[4:5]
	v_lshl_add_u64 v[4:5], v[56:57], 0, v[4:5]
	;; [unrolled: 3-line block ×3, first 2 shown]
	s_waitcnt lgkmcnt(0)
	v_lshl_add_u64 v[4:5], v[62:63], 0, v[4:5]
	v_add_u32_e32 v2, 0x100, v2
	s_cmp_eq_u32 s84, s3
	v_lshl_add_u64 v[4:5], v[64:65], 0, v[4:5]
	s_cbranch_scc0 .LBB132_58
; %bb.59:                               ;   in Loop: Header=BB132_18 Depth=1
	s_mov_b32 s3, s84
	s_branch .LBB132_85
.LBB132_60:                             ;   in Loop: Header=BB132_18 Depth=1
	global_load_ushort v2, v3, s[72:73]
	s_mov_b32 s0, s77
	s_waitcnt vmcnt(0)
	v_readfirstlane_b32 s1, v2
	s_and_b32 s10, s1, 0xffff
	s_lshl_b32 s76, s10, 2
	s_mov_b32 s1, s57
	s_cmp_lg_u64 s[0:1], 0
	s_cbranch_scc0 .LBB132_83
; %bb.61:                               ;   in Loop: Header=BB132_18 Depth=1
	v_cvt_f32_u32_e32 v2, s76
	s_sub_u32 s2, 0, s76
	s_subb_u32 s3, 0, 0
	v_fmac_f32_e32 v2, 0, v45
	v_rcp_f32_e32 v2, v2
	s_nop 0
	v_mul_f32_e32 v2, 0x5f7ffffc, v2
	v_mul_f32_e32 v4, 0x2f800000, v2
	v_trunc_f32_e32 v4, v4
	v_fmac_f32_e32 v2, 0xcf800000, v4
	v_cvt_u32_f32_e32 v4, v4
	v_cvt_u32_f32_e32 v2, v2
	v_readfirstlane_b32 s8, v4
	v_readfirstlane_b32 s0, v2
	s_mul_i32 s1, s2, s8
	s_mul_hi_u32 s11, s2, s0
	s_mul_i32 s9, s3, s0
	s_add_i32 s1, s11, s1
	s_mul_i32 s13, s2, s0
	s_add_i32 s1, s1, s9
	s_mul_hi_u32 s11, s0, s13
	s_mul_i32 s14, s0, s1
	s_mul_hi_u32 s9, s0, s1
	s_add_u32 s11, s11, s14
	s_addc_u32 s9, 0, s9
	s_mul_hi_u32 s15, s8, s13
	s_mul_i32 s13, s8, s13
	s_add_u32 s11, s11, s13
	s_mul_hi_u32 s14, s8, s1
	s_addc_u32 s9, s9, s15
	s_addc_u32 s11, s14, 0
	s_mul_i32 s1, s8, s1
	s_add_u32 s1, s9, s1
	s_addc_u32 s9, 0, s11
	s_add_u32 s11, s0, s1
	s_cselect_b64 s[0:1], -1, 0
	s_cmp_lg_u64 s[0:1], 0
	s_addc_u32 s8, s8, s9
	s_mul_i32 s0, s2, s8
	s_mul_hi_u32 s1, s2, s11
	s_add_i32 s0, s1, s0
	s_mul_i32 s3, s3, s11
	s_add_i32 s0, s0, s3
	s_mul_i32 s2, s2, s11
	s_mul_hi_u32 s3, s8, s2
	s_mul_i32 s9, s8, s2
	s_mul_i32 s14, s11, s0
	s_mul_hi_u32 s2, s11, s2
	s_mul_hi_u32 s13, s11, s0
	s_add_u32 s2, s2, s14
	s_addc_u32 s13, 0, s13
	s_add_u32 s2, s2, s9
	s_mul_hi_u32 s1, s8, s0
	s_addc_u32 s2, s13, s3
	s_addc_u32 s1, s1, 0
	s_mul_i32 s0, s8, s0
	s_add_u32 s0, s2, s0
	s_addc_u32 s2, 0, s1
	s_add_u32 s3, s11, s0
	s_cselect_b64 s[0:1], -1, 0
	s_cmp_lg_u64 s[0:1], 0
	s_addc_u32 s0, s8, s2
	s_mul_i32 s2, s56, s0
	s_mul_hi_u32 s8, s56, s3
	s_mul_hi_u32 s1, s56, s0
	s_add_u32 s2, s8, s2
	s_addc_u32 s1, 0, s1
	s_mul_hi_u32 s9, s57, s3
	s_mul_i32 s3, s57, s3
	s_add_u32 s2, s2, s3
	s_mul_hi_u32 s8, s57, s0
	s_addc_u32 s1, s1, s9
	s_addc_u32 s2, s8, 0
	s_mul_i32 s0, s57, s0
	s_add_u32 s0, s1, s0
	s_addc_u32 s1, 0, s2
	s_mul_i32 s1, s76, s1
	s_mul_hi_u32 s2, s76, s0
	s_add_i32 s2, s2, s1
	s_mul_i32 s0, s76, s0
	s_sub_u32 s3, s56, s0
	s_cselect_b64 s[0:1], -1, 0
	s_cmp_lg_u64 s[0:1], 0
	s_subb_u32 s2, s57, s2
	s_sub_u32 s8, s3, s76
	s_cselect_b64 s[0:1], -1, 0
	s_cmp_lg_u64 s[0:1], 0
	s_subb_u32 s9, s2, 0
	;; [unrolled: 4-line block ×3, first 2 shown]
	s_cmp_ge_u32 s8, s76
	s_cselect_b32 s1, -1, 0
	s_cmp_eq_u32 s9, 0
	s_cselect_b32 s1, s1, -1
	s_cmp_lg_u32 s1, 0
	s_cselect_b32 s0, s0, s9
	s_cselect_b32 s8, s11, s8
	s_cmp_ge_u32 s3, s76
	s_cselect_b32 s1, -1, 0
	s_cmp_eq_u32 s2, 0
	s_cselect_b32 s1, s1, -1
	s_cmp_lg_u32 s1, 0
	s_cselect_b32 s1, s0, s2
	s_cselect_b32 s0, s8, s3
	s_cbranch_execnz .LBB132_63
.LBB132_62:                             ;   in Loop: Header=BB132_18 Depth=1
	v_cvt_f32_u32_e32 v2, s76
	s_sub_i32 s0, 0, s76
	v_rcp_iflag_f32_e32 v2, v2
	s_nop 0
	v_mul_f32_e32 v2, 0x4f7ffffe, v2
	v_cvt_u32_f32_e32 v2, v2
	s_nop 0
	v_readfirstlane_b32 s1, v2
	s_mul_i32 s0, s0, s1
	s_mul_hi_u32 s0, s1, s0
	s_add_i32 s1, s1, s0
	s_mul_hi_u32 s0, s56, s1
	s_mul_i32 s0, s0, s76
	s_sub_i32 s0, s56, s0
	s_sub_i32 s1, s0, s76
	s_cmp_ge_u32 s0, s76
	s_cselect_b32 s0, s1, s0
	s_sub_i32 s1, s0, s76
	s_cmp_ge_u32 s0, s76
	s_cselect_b32 s0, s1, s0
	s_mov_b32 s1, s77
.LBB132_63:                             ;   in Loop: Header=BB132_18 Depth=1
	s_sub_u32 s14, s56, s0
	s_subb_u32 s15, s57, s1
	s_mov_b32 s11, s77
	v_cmp_gt_u64_e32 vcc, s[14:15], v[14:15]
	v_mov_b64_e32 v[4:5], 0
	v_mov_b64_e32 v[6:7], 0
	v_mov_b64_e32 v[8:9], 0
	v_mov_b64_e32 v[10:11], 0
	s_and_saveexec_b64 s[86:87], vcc
	s_cbranch_execz .LBB132_67
; %bb.64:                               ;   in Loop: Header=BB132_18 Depth=1
	s_mul_i32 s0, s93, s10
	s_mul_hi_u32 s1, s92, s10
	s_mov_b64 s[78:79], s[90:91]
	s_add_i32 s13, s1, s0
	s_mov_b64 s[88:89], 0
	s_mov_b64 s[72:73], s[60:61]
	;; [unrolled: 1-line block ×6, first 2 shown]
	v_mov_b64_e32 v[34:35], v[14:15]
.LBB132_65:                             ;   Parent Loop BB132_18 Depth=1
                                        ; =>  This Inner Loop Header: Depth=2
	v_lshl_add_u64 v[4:5], s[72:73], 0, v[30:31]
	v_lshl_add_u64 v[6:7], s[72:73], 0, v[28:29]
	;; [unrolled: 1-line block ×4, first 2 shown]
	global_load_ushort v2, v[4:5], off
	s_nop 0
	global_load_ushort v4, v[6:7], off
	global_load_ushort v5, v[8:9], off
	s_nop 0
	global_load_ushort v6, v[10:11], off
	s_mul_i32 s82, s92, s10
	v_lshl_add_u64 v[34:35], v[34:35], 0, s[76:77]
	v_cmp_le_u64_e32 vcc, s[14:15], v[34:35]
	s_waitcnt vmcnt(3)
	v_cmp_lt_i16_e64 s[0:1], -1, v2
	s_nop 1
	v_cndmask_b32_e64 v7, v43, v44, s[0:1]
	s_waitcnt vmcnt(2)
	v_cmp_lt_i16_e64 s[0:1], -1, v4
	s_waitcnt vmcnt(1)
	v_cmp_o_f16_e64 s[2:3], v5, v5
	s_waitcnt vmcnt(0)
	v_cmp_o_f16_e64 s[16:17], v6, v6
	v_cndmask_b32_e64 v8, v43, v44, s[0:1]
	v_cmp_lt_i16_e64 s[0:1], -1, v5
	v_xor_b32_sdwa v8, v8, v4 dst_sel:DWORD dst_unused:UNUSED_PAD src0_sel:DWORD src1_sel:WORD_0
	v_cmp_o_f16_e64 s[18:19], v2, v2
	v_cndmask_b32_e64 v9, v43, v44, s[0:1]
	v_cmp_lt_i16_e64 s[0:1], -1, v6
	s_nop 1
	v_cndmask_b32_e64 v10, v43, v44, s[0:1]
	v_cmp_o_f16_e64 s[0:1], v4, v4
	v_xor_b32_sdwa v4, v9, v5 dst_sel:DWORD dst_unused:UNUSED_PAD src0_sel:DWORD src1_sel:WORD_0
	v_xor_b32_sdwa v5, v10, v6 dst_sel:DWORD dst_unused:UNUSED_PAD src0_sel:DWORD src1_sel:WORD_0
	;; [unrolled: 1-line block ×3, first 2 shown]
	v_cndmask_b32_e64 v2, v43, v6, s[18:19]
	v_cndmask_b32_e64 v6, v43, v8, s[0:1]
	v_and_b32_e32 v7, v2, v47
	v_bfe_u32 v2, v2, s6, 2
	v_cndmask_b32_e64 v4, v43, v4, s[2:3]
	v_and_b32_e32 v8, v6, v47
	v_bfe_u32 v6, v6, s6, 2
	v_cmp_eq_u32_e64 s[0:1], v7, v41
	v_cmp_eq_u32_e64 s[20:21], 0, v2
	v_cndmask_b32_e64 v5, v43, v5, s[16:17]
	v_and_b32_e32 v9, v4, v47
	v_bfe_u32 v4, v4, s6, 2
	v_cmp_eq_u32_e64 s[2:3], v8, v41
	v_cmp_eq_u32_e64 s[22:23], 0, v6
	s_and_b64 s[20:21], s[0:1], s[20:21]
	v_and_b32_e32 v10, v5, v47
	v_bfe_u32 v5, v5, s6, 2
	v_cmp_eq_u32_e64 s[16:17], v9, v41
	v_cmp_eq_u32_e64 s[24:25], 0, v4
	;; [unrolled: 1-line block ×5, first 2 shown]
	v_cndmask_b32_e64 v2, 0, 1, s[20:21]
	s_and_b64 s[20:21], s[2:3], s[22:23]
	v_cmp_eq_u32_e64 s[18:19], v10, v41
	v_cmp_eq_u32_e64 s[26:27], 0, v5
	;; [unrolled: 1-line block ×5, first 2 shown]
	v_cndmask_b32_e64 v4, 0, 1, s[20:21]
	s_and_b64 s[20:21], s[16:17], s[24:25]
	v_cmp_eq_u32_e64 s[38:39], 1, v5
	v_cmp_eq_u32_e64 s[46:47], 2, v5
	;; [unrolled: 1-line block ×3, first 2 shown]
	v_cndmask_b32_e64 v5, 0, 1, s[20:21]
	s_and_b64 s[20:21], s[18:19], s[26:27]
	v_cmp_eq_u32_e64 s[34:35], 1, v6
	v_cmp_eq_u32_e64 s[42:43], 2, v6
	;; [unrolled: 1-line block ×3, first 2 shown]
	v_cndmask_b32_e64 v6, 0, 1, s[20:21]
	v_cmp_ne_u32_e64 s[20:21], 0, v2
	v_cmp_ne_u32_e64 s[22:23], 0, v4
	v_cmp_ne_u32_e64 s[24:25], 0, v5
	v_cmp_ne_u32_e64 s[26:27], 0, v6
	s_bcnt1_i32_b64 s20, s[20:21]
	s_bcnt1_i32_b64 s21, s[22:23]
	s_bcnt1_i32_b64 s22, s[24:25]
	s_bcnt1_i32_b64 s23, s[26:27]
	s_add_u32 s20, s20, s90
	s_addc_u32 s24, 0, s91
	s_add_u32 s20, s20, s21
	s_addc_u32 s21, s24, 0
	s_add_u32 s20, s20, s22
	s_addc_u32 s21, s21, 0
	s_add_u32 s90, s20, s23
	s_addc_u32 s91, s21, 0
	s_and_b64 s[20:21], s[0:1], s[28:29]
	v_cndmask_b32_e64 v2, 0, 1, s[20:21]
	s_and_b64 s[20:21], s[2:3], s[34:35]
	v_cndmask_b32_e64 v6, 0, 1, s[20:21]
	s_and_b64 s[20:21], s[16:17], s[36:37]
	v_cndmask_b32_e64 v7, 0, 1, s[20:21]
	s_and_b64 s[20:21], s[18:19], s[38:39]
	v_cndmask_b32_e64 v8, 0, 1, s[20:21]
	v_cmp_ne_u32_e64 s[20:21], 0, v2
	v_cmp_ne_u32_e64 s[22:23], 0, v6
	v_cmp_ne_u32_e64 s[24:25], 0, v7
	v_cmp_ne_u32_e64 s[26:27], 0, v8
	s_bcnt1_i32_b64 s20, s[20:21]
	s_bcnt1_i32_b64 s21, s[22:23]
	s_bcnt1_i32_b64 s22, s[24:25]
	s_bcnt1_i32_b64 s23, s[26:27]
	s_add_u32 s20, s20, s80
	s_addc_u32 s24, 0, s81
	s_add_u32 s20, s20, s21
	s_addc_u32 s21, s24, 0
	s_add_u32 s20, s20, s22
	s_addc_u32 s21, s21, 0
	s_add_u32 s80, s20, s23
	s_addc_u32 s81, s21, 0
	s_and_b64 s[20:21], s[0:1], s[40:41]
	v_cndmask_b32_e64 v2, 0, 1, s[20:21]
	s_and_b64 s[20:21], s[2:3], s[42:43]
	v_cndmask_b32_e64 v8, 0, 1, s[20:21]
	s_and_b64 s[20:21], s[16:17], s[44:45]
	v_cndmask_b32_e64 v9, 0, 1, s[20:21]
	s_and_b64 s[20:21], s[18:19], s[46:47]
	;; [unrolled: 24-line block ×3, first 2 shown]
	v_cndmask_b32_e64 v49, 0, 1, s[0:1]
	v_cmp_ne_u32_e64 s[0:1], 0, v2
	v_cmp_ne_u32_e64 s[2:3], 0, v10
	;; [unrolled: 1-line block ×4, first 2 shown]
	s_bcnt1_i32_b64 s0, s[0:1]
	s_bcnt1_i32_b64 s1, s[2:3]
	s_bcnt1_i32_b64 s2, s[16:17]
	s_bcnt1_i32_b64 s3, s[18:19]
	s_add_u32 s0, s0, s8
	s_addc_u32 s8, 0, s9
	s_add_u32 s0, s0, s1
	s_addc_u32 s1, s8, 0
	;; [unrolled: 2-line block ×5, first 2 shown]
	v_mov_b64_e32 v[4:5], s[90:91]
	v_mov_b64_e32 v[6:7], s[80:81]
	;; [unrolled: 1-line block ×3, first 2 shown]
	s_or_b64 s[88:89], vcc, s[88:89]
	v_mov_b64_e32 v[10:11], s[8:9]
	s_andn2_b64 exec, exec, s[88:89]
	s_cbranch_execnz .LBB132_65
; %bb.66:                               ;   in Loop: Header=BB132_18 Depth=1
	s_or_b64 exec, exec, s[88:89]
	v_readlane_b32 s72, v69, 34
	s_mov_b64 s[90:91], s[78:79]
	v_readlane_b32 s73, v69, 35
	v_readlane_b32 s55, v69, 36
	;; [unrolled: 1-line block ×7, first 2 shown]
	s_mov_b32 s53, 0x5040100
	s_movk_i32 s49, 0x3c00
.LBB132_67:                             ;   in Loop: Header=BB132_18 Depth=1
	s_or_b64 exec, exec, s[86:87]
	v_lshl_add_u64 v[34:35], s[14:15], 0, v[0:1]
	v_cmp_gt_u64_e32 vcc, s[56:57], v[34:35]
	s_and_saveexec_b64 s[2:3], vcc
	s_cbranch_execz .LBB132_73
; %bb.68:                               ;   in Loop: Header=BB132_18 Depth=1
	v_mul_lo_u32 v2, v35, s68
	v_mul_lo_u32 v49, v34, s69
	v_mad_u64_u32 v[50:51], s[0:1], v34, s68, 0
	v_add3_u32 v51, v51, v49, v2
	v_lshl_add_u64 v[50:51], v[50:51], 1, s[60:61]
	global_load_ushort v49, v[50:51], off
	s_mov_b64 s[8:9], 0
	s_branch .LBB132_70
.LBB132_69:                             ;   in Loop: Header=BB132_70 Depth=2
	s_or_b64 exec, exec, s[14:15]
	s_and_b64 s[0:1], exec, vcc
	s_waitcnt vmcnt(0)
	v_cmp_lt_i16_e32 vcc, -1, v49
	s_or_b64 s[8:9], s[0:1], s[8:9]
	s_nop 0
	v_cndmask_b32_e32 v50, v43, v44, vcc
	v_xor_b32_sdwa v50, v50, v49 dst_sel:DWORD dst_unused:UNUSED_PAD src0_sel:DWORD src1_sel:WORD_0
	v_cmp_o_f16_e32 vcc, v49, v49
	s_nop 1
	v_cndmask_b32_e32 v49, v43, v50, vcc
	v_and_b32_e32 v50, v49, v47
	v_bfe_u32 v49, v49, s6, 2
	v_cmp_eq_u32_e32 vcc, v50, v41
	v_cmp_eq_u32_e64 s[0:1], 0, v49
	s_and_b64 s[0:1], vcc, s[0:1]
	s_nop 0
	v_cndmask_b32_e64 v50, 0, 1, s[0:1]
	v_cmp_ne_u32_e64 s[0:1], 0, v50
	s_bcnt1_i32_b64 s76, s[0:1]
	v_cmp_eq_u32_e64 s[0:1], 1, v49
	s_and_b64 s[0:1], vcc, s[0:1]
	v_lshl_add_u64 v[4:5], s[76:77], 0, v[4:5]
	v_cndmask_b32_e64 v50, 0, 1, s[0:1]
	v_cmp_ne_u32_e64 s[0:1], 0, v50
	s_bcnt1_i32_b64 s76, s[0:1]
	v_cmp_eq_u32_e64 s[0:1], 2, v49
	s_and_b64 s[0:1], vcc, s[0:1]
	v_lshl_add_u64 v[6:7], s[76:77], 0, v[6:7]
	;; [unrolled: 6-line block ×3, first 2 shown]
	v_cndmask_b32_e64 v49, 0, 1, s[0:1]
	v_cmp_ne_u32_e32 vcc, 0, v49
	s_bcnt1_i32_b64 s76, vcc
	v_lshl_add_u64 v[10:11], s[76:77], 0, v[10:11]
	v_mov_b32_e32 v49, v2
	s_andn2_b64 exec, exec, s[8:9]
	s_cbranch_execz .LBB132_72
.LBB132_70:                             ;   Parent Loop BB132_18 Depth=1
                                        ; =>  This Inner Loop Header: Depth=2
	v_lshl_add_u64 v[34:35], v[34:35], 0, s[10:11]
	v_cmp_gt_u64_e64 s[0:1], s[56:57], v[34:35]
	v_cmp_le_u64_e32 vcc, s[56:57], v[34:35]
	v_mov_b32_e32 v2, 0
	s_and_saveexec_b64 s[14:15], s[0:1]
	s_cbranch_execz .LBB132_69
; %bb.71:                               ;   in Loop: Header=BB132_70 Depth=2
	v_mul_lo_u32 v2, v35, s68
	v_mul_lo_u32 v54, v34, s69
	v_mad_u64_u32 v[50:51], s[0:1], v34, s68, 0
	v_add3_u32 v51, v51, v54, v2
	v_lshl_add_u64 v[50:51], v[50:51], 1, s[60:61]
	global_load_ushort v2, v[50:51], off
	s_branch .LBB132_69
.LBB132_72:                             ;   in Loop: Header=BB132_18 Depth=1
	s_or_b64 exec, exec, s[8:9]
.LBB132_73:                             ;   in Loop: Header=BB132_18 Depth=1
	s_or_b64 exec, exec, s[2:3]
	s_branch .LBB132_52
.LBB132_74:                             ;   in Loop: Header=BB132_18 Depth=1
	global_load_ushort v2, v3, s[72:73]
	v_mov_b64_e32 v[8:9], 0
	s_waitcnt vmcnt(0)
	v_readfirstlane_b32 s0, v2
	s_and_b32 s82, 0xffff, s0
	s_lshl_b32 s76, s82, 2
	v_cvt_f32_u32_e32 v4, s76
	s_sub_i32 s0, 0, s76
	v_rcp_iflag_f32_e32 v6, v4
	v_mov_b64_e32 v[4:5], 0
	v_mul_f32_e32 v6, 0x4f7ffffe, v6
	v_cvt_u32_f32_e32 v10, v6
	v_mov_b64_e32 v[6:7], 0
	v_readfirstlane_b32 s1, v10
	s_mul_i32 s0, s0, s1
	s_mul_hi_u32 s0, s1, s0
	s_add_i32 s1, s1, s0
	s_mul_hi_u32 s0, s12, s1
	s_mul_i32 s1, s0, s76
	s_sub_i32 s1, s12, s1
	s_add_i32 s2, s0, 1
	s_sub_i32 s3, s1, s76
	s_cmp_ge_u32 s1, s76
	s_cselect_b32 s0, s2, s0
	s_cselect_b32 s1, s3, s1
	s_add_i32 s2, s0, 1
	s_cmp_ge_u32 s1, s76
	s_cselect_b32 s0, s2, s0
	s_mul_hi_u32 s9, s82, s0
	s_mul_i32 s8, s82, s0
	s_lshl_b64 s[10:11], s[8:9], 2
	v_cmp_gt_u64_e32 vcc, s[10:11], v[14:15]
	v_mov_b64_e32 v[10:11], 0
	s_and_saveexec_b64 s[14:15], vcc
	s_cbranch_execz .LBB132_78
; %bb.75:                               ;   in Loop: Header=BB132_18 Depth=1
	s_lshl_b32 s9, s82, 3
	s_mov_b64 s[30:31], 0
	v_mov_b32_e32 v49, v18
	s_mov_b64 s[72:73], 0
	s_mov_b64 s[80:81], 0
	;; [unrolled: 1-line block ×4, first 2 shown]
	v_mov_b64_e32 v[34:35], v[14:15]
.LBB132_76:                             ;   Parent Loop BB132_18 Depth=1
                                        ; =>  This Inner Loop Header: Depth=2
	ds_read_b64 v[4:5], v49
	v_lshl_add_u64 v[34:35], v[34:35], 0, s[76:77]
	v_cmp_le_u64_e32 vcc, s[10:11], v[34:35]
	v_add_u32_e32 v49, s9, v49
	s_waitcnt lgkmcnt(0)
	v_cmp_lt_i16_e64 s[0:1], -1, v4
	v_cmp_o_f16_e64 s[2:3], v5, v5
	s_nop 0
	v_cndmask_b32_e64 v6, v43, v44, s[0:1]
	v_cmp_gt_i16_sdwa s[0:1], v4, v19 src0_sel:WORD_1 src1_sel:DWORD
	v_cmp_o_f16_sdwa s[16:17], v5, v5 src0_sel:WORD_1 src1_sel:WORD_1
	v_cmp_o_f16_e64 s[18:19], v4, v4
	v_cndmask_b32_e64 v7, v43, v44, s[0:1]
	v_cmp_lt_i16_e64 s[0:1], -1, v5
	v_xor_b32_sdwa v7, v7, v4 dst_sel:DWORD dst_unused:UNUSED_PAD src0_sel:DWORD src1_sel:WORD_1
	s_nop 0
	v_cndmask_b32_e64 v8, v43, v44, s[0:1]
	v_cmp_gt_i16_sdwa s[0:1], v5, v19 src0_sel:WORD_1 src1_sel:DWORD
	v_bitop3_b32 v8, v8, v5, s33 bitop3:0x78
	s_nop 0
	v_cndmask_b32_e64 v9, v43, v44, s[0:1]
	v_xor_b32_sdwa v9, v9, v5 dst_sel:DWORD dst_unused:UNUSED_PAD src0_sel:DWORD src1_sel:WORD_1
	v_bitop3_b32 v5, v6, v4, s33 bitop3:0x78
	v_cmp_o_f16_sdwa s[0:1], v4, v4 src0_sel:WORD_1 src1_sel:WORD_1
	v_cndmask_b32_e64 v4, v43, v5, s[18:19]
	v_cndmask_b32_e64 v6, v43, v8, s[2:3]
	v_cndmask_b32_e64 v5, v43, v7, s[0:1]
	v_and_b32_e32 v8, v4, v47
	v_bfe_u32 v4, v4, s6, 2
	v_cndmask_b32_e64 v7, v43, v9, s[16:17]
	v_and_b32_e32 v9, v5, v47
	v_bfe_u32 v5, v5, s6, 2
	v_cmp_eq_u32_e64 s[20:21], v8, v41
	v_cmp_eq_u32_e64 s[2:3], 0, v4
	v_and_b32_e32 v10, v6, v47
	v_bfe_u32 v6, v6, s6, 2
	v_cmp_eq_u32_e64 s[18:19], v9, v41
	v_cmp_eq_u32_e64 s[34:35], 0, v5
	s_and_b64 s[2:3], s[20:21], s[2:3]
	v_and_b32_e32 v11, v7, v47
	v_bfe_u32 v7, v7, s6, 2
	v_cmp_eq_u32_e64 s[16:17], v10, v41
	v_cmp_eq_u32_e64 s[36:37], 0, v6
	;; [unrolled: 1-line block ×5, first 2 shown]
	v_cndmask_b32_e64 v4, 0, 1, s[2:3]
	s_and_b64 s[2:3], s[18:19], s[34:35]
	v_cmp_eq_u32_e64 s[0:1], v11, v41
	v_cmp_eq_u32_e64 s[38:39], 0, v7
	;; [unrolled: 1-line block ×5, first 2 shown]
	v_cndmask_b32_e64 v5, 0, 1, s[2:3]
	s_and_b64 s[2:3], s[16:17], s[36:37]
	v_cmp_eq_u32_e64 s[44:45], 1, v6
	v_cmp_eq_u32_e64 s[52:53], 2, v6
	;; [unrolled: 1-line block ×3, first 2 shown]
	v_cndmask_b32_e64 v6, 0, 1, s[2:3]
	s_and_b64 s[2:3], s[0:1], s[38:39]
	v_cmp_eq_u32_e64 s[46:47], 1, v7
	v_cmp_eq_u32_e64 s[54:55], 2, v7
	;; [unrolled: 1-line block ×3, first 2 shown]
	v_cndmask_b32_e64 v7, 0, 1, s[2:3]
	v_cmp_ne_u32_e64 s[2:3], 0, v4
	v_cmp_ne_u32_e64 s[34:35], 0, v5
	;; [unrolled: 1-line block ×4, first 2 shown]
	s_bcnt1_i32_b64 s2, s[2:3]
	s_bcnt1_i32_b64 s3, s[34:35]
	;; [unrolled: 1-line block ×4, first 2 shown]
	s_add_u32 s2, s2, s88
	s_addc_u32 s35, 0, s89
	s_add_u32 s2, s2, s3
	s_addc_u32 s3, s35, 0
	;; [unrolled: 2-line block ×4, first 2 shown]
	s_and_b64 s[2:3], s[20:21], s[40:41]
	v_cndmask_b32_e64 v6, 0, 1, s[2:3]
	s_and_b64 s[2:3], s[18:19], s[42:43]
	v_cndmask_b32_e64 v7, 0, 1, s[2:3]
	s_and_b64 s[2:3], s[16:17], s[44:45]
	v_cndmask_b32_e64 v8, 0, 1, s[2:3]
	s_and_b64 s[2:3], s[0:1], s[46:47]
	v_cndmask_b32_e64 v9, 0, 1, s[2:3]
	v_cmp_ne_u32_e64 s[2:3], 0, v6
	v_cmp_ne_u32_e64 s[34:35], 0, v7
	;; [unrolled: 1-line block ×4, first 2 shown]
	s_bcnt1_i32_b64 s2, s[2:3]
	s_bcnt1_i32_b64 s3, s[34:35]
	;; [unrolled: 1-line block ×4, first 2 shown]
	s_add_u32 s2, s2, s86
	s_addc_u32 s35, 0, s87
	s_add_u32 s2, s2, s3
	s_addc_u32 s3, s35, 0
	;; [unrolled: 2-line block ×4, first 2 shown]
	s_and_b64 s[2:3], s[20:21], s[48:49]
	v_cndmask_b32_e64 v8, 0, 1, s[2:3]
	s_and_b64 s[2:3], s[18:19], s[50:51]
	v_cndmask_b32_e64 v9, 0, 1, s[2:3]
	s_and_b64 s[2:3], s[16:17], s[52:53]
	v_cndmask_b32_e64 v10, 0, 1, s[2:3]
	s_and_b64 s[2:3], s[0:1], s[54:55]
	v_cndmask_b32_e64 v11, 0, 1, s[2:3]
	v_cmp_ne_u32_e64 s[2:3], 0, v8
	v_cmp_ne_u32_e64 s[34:35], 0, v9
	;; [unrolled: 1-line block ×4, first 2 shown]
	s_bcnt1_i32_b64 s2, s[2:3]
	s_bcnt1_i32_b64 s3, s[34:35]
	;; [unrolled: 1-line block ×4, first 2 shown]
	s_add_u32 s2, s2, s80
	s_addc_u32 s35, 0, s81
	s_add_u32 s2, s2, s3
	s_addc_u32 s3, s35, 0
	;; [unrolled: 2-line block ×4, first 2 shown]
	s_and_b64 s[2:3], s[20:21], s[28:29]
	v_cndmask_b32_e64 v10, 0, 1, s[2:3]
	s_and_b64 s[2:3], s[18:19], s[26:27]
	v_cndmask_b32_e64 v11, 0, 1, s[2:3]
	s_and_b64 s[2:3], s[16:17], s[24:25]
	s_and_b64 s[0:1], s[0:1], s[22:23]
	v_cndmask_b32_e64 v50, 0, 1, s[2:3]
	v_cndmask_b32_e64 v51, 0, 1, s[0:1]
	v_cmp_ne_u32_e64 s[0:1], 0, v10
	v_cmp_ne_u32_e64 s[2:3], 0, v11
	;; [unrolled: 1-line block ×4, first 2 shown]
	s_bcnt1_i32_b64 s0, s[0:1]
	s_bcnt1_i32_b64 s1, s[2:3]
	;; [unrolled: 1-line block ×4, first 2 shown]
	s_add_u32 s0, s0, s72
	s_addc_u32 s13, 0, s73
	s_add_u32 s0, s0, s1
	s_addc_u32 s1, s13, 0
	;; [unrolled: 2-line block ×4, first 2 shown]
	v_mov_b64_e32 v[4:5], s[88:89]
	v_mov_b64_e32 v[6:7], s[86:87]
	;; [unrolled: 1-line block ×3, first 2 shown]
	s_or_b64 s[30:31], vcc, s[30:31]
	v_mov_b64_e32 v[10:11], s[72:73]
	s_andn2_b64 exec, exec, s[30:31]
	s_cbranch_execnz .LBB132_76
; %bb.77:                               ;   in Loop: Header=BB132_18 Depth=1
	s_or_b64 exec, exec, s[30:31]
	v_readlane_b32 s72, v69, 34
	v_readlane_b32 s73, v69, 35
	;; [unrolled: 1-line block ×8, first 2 shown]
	s_mov_b32 s53, 0x5040100
	s_movk_i32 s49, 0x3c00
.LBB132_78:                             ;   in Loop: Header=BB132_18 Depth=1
	s_or_b64 exec, exec, s[14:15]
	s_bitset0_b32 s12, 31
	s_mov_b32 s13, s77
	v_lshl_add_u64 v[34:35], s[10:11], 0, v[0:1]
	v_and_b32_e32 v2, 0xffff, v2
	v_cmp_gt_u64_e32 vcc, s[12:13], v[34:35]
	s_and_saveexec_b64 s[10:11], vcc
	s_cbranch_execz .LBB132_82
; %bb.79:                               ;   in Loop: Header=BB132_18 Depth=1
	v_lshl_add_u32 v49, s8, 3, v37
	s_lshl_b32 s14, s82, 1
	s_mov_b64 s[8:9], 0
.LBB132_80:                             ;   Parent Loop BB132_18 Depth=1
                                        ; =>  This Inner Loop Header: Depth=2
	ds_read_u16 v50, v49
	v_lshl_add_u64 v[34:35], v[34:35], 0, v[2:3]
	v_cmp_le_u64_e32 vcc, s[12:13], v[34:35]
	v_add_u32_e32 v49, s14, v49
	s_waitcnt lgkmcnt(0)
	v_cmp_lt_i16_e64 s[0:1], -1, v50
	s_nop 1
	v_cndmask_b32_e64 v51, v43, v44, s[0:1]
	v_xor_b32_sdwa v51, v51, v50 dst_sel:DWORD dst_unused:UNUSED_PAD src0_sel:DWORD src1_sel:WORD_0
	v_cmp_o_f16_e64 s[0:1], v50, v50
	s_nop 1
	v_cndmask_b32_e64 v50, v43, v51, s[0:1]
	v_and_b32_e32 v51, v50, v47
	v_bfe_u32 v50, v50, s6, 2
	v_cmp_eq_u32_e64 s[0:1], v51, v41
	v_cmp_eq_u32_e64 s[2:3], 0, v50
	;; [unrolled: 1-line block ×3, first 2 shown]
	s_and_b64 s[2:3], s[0:1], s[2:3]
	v_cmp_eq_u32_e64 s[18:19], 2, v50
	v_cmp_eq_u32_e64 s[20:21], 3, v50
	v_cndmask_b32_e64 v50, 0, 1, s[2:3]
	s_and_b64 s[2:3], s[0:1], s[16:17]
	v_cndmask_b32_e64 v51, 0, 1, s[2:3]
	s_and_b64 s[2:3], s[0:1], s[18:19]
	s_and_b64 s[0:1], s[0:1], s[20:21]
	v_cndmask_b32_e64 v55, 0, 1, s[0:1]
	v_cmp_ne_u32_e64 s[0:1], 0, v50
	v_cndmask_b32_e64 v54, 0, 1, s[2:3]
	v_cmp_ne_u32_e64 s[2:3], 0, v51
	s_bcnt1_i32_b64 s76, s[0:1]
	v_cmp_ne_u32_e64 s[16:17], 0, v54
	v_lshl_add_u64 v[4:5], s[76:77], 0, v[4:5]
	s_bcnt1_i32_b64 s76, s[2:3]
	v_cmp_ne_u32_e64 s[18:19], 0, v55
	v_lshl_add_u64 v[6:7], s[76:77], 0, v[6:7]
	s_bcnt1_i32_b64 s76, s[16:17]
	v_lshl_add_u64 v[8:9], s[76:77], 0, v[8:9]
	s_bcnt1_i32_b64 s76, s[18:19]
	s_or_b64 s[8:9], vcc, s[8:9]
	v_lshl_add_u64 v[10:11], s[76:77], 0, v[10:11]
	s_andn2_b64 exec, exec, s[8:9]
	s_cbranch_execnz .LBB132_80
; %bb.81:                               ;   in Loop: Header=BB132_18 Depth=1
	s_or_b64 exec, exec, s[8:9]
.LBB132_82:                             ;   in Loop: Header=BB132_18 Depth=1
	s_or_b64 exec, exec, s[10:11]
	s_lshl_b32 s2, s7, 6
	s_and_saveexec_b64 s[0:1], s[4:5]
	s_cbranch_execnz .LBB132_53
	s_branch .LBB132_54
.LBB132_83:                             ;   in Loop: Header=BB132_18 Depth=1
                                        ; implicit-def: $sgpr0_sgpr1
	s_branch .LBB132_62
.LBB132_84:                             ;   in Loop: Header=BB132_18 Depth=1
	s_mov_b32 s3, 0
	v_mov_b64_e32 v[4:5], 0
.LBB132_85:                             ;   in Loop: Header=BB132_18 Depth=1
	v_readlane_b32 s8, v69, 30
	v_readlane_b32 s9, v69, 31
	s_andn2_b64 vcc, exec, s[8:9]
	s_cbranch_vccnz .LBB132_88
; %bb.86:                               ;   in Loop: Header=BB132_18 Depth=1
	s_lshl_b32 s8, s7, 9
	s_lshl_b32 s3, s3, 5
	s_add_i32 s8, s8, s3
	v_add_u32_e32 v2, s8, v42
	v_readlane_b32 s3, v69, 29
.LBB132_87:                             ;   Parent Loop BB132_18 Depth=1
                                        ; =>  This Inner Loop Header: Depth=2
	ds_read_b64 v[6:7], v2
	s_add_i32 s3, s3, -1
	v_add_u32_e32 v2, 32, v2
	s_cmp_lg_u32 s3, 0
	s_waitcnt lgkmcnt(0)
	v_lshl_add_u64 v[4:5], v[6:7], 0, v[4:5]
	s_cbranch_scc1 .LBB132_87
.LBB132_88:                             ;   in Loop: Header=BB132_18 Depth=1
	v_add_lshl_u32 v2, s2, v36, 3
	ds_write_b64 v2, v[4:5] offset:3072
.LBB132_89:                             ;   in Loop: Header=BB132_18 Depth=1
	s_or_b64 exec, exec, s[0:1]
	s_lshl_b32 s0, s2, 3
	v_mov_b32_e32 v2, s0
	s_waitcnt lgkmcnt(0)
	s_barrier
	ds_read_b128 v[8:11], v2 offset:3088
	ds_read_b128 v[4:7], v2 offset:3072
	s_lshl_b32 s54, 3, s6
	v_cmp_eq_u64_e64 s[0:1], 1, v[32:33]
	s_not_b32 s48, s54
	s_waitcnt lgkmcnt(1)
	v_readfirstlane_b32 s22, v8
	s_waitcnt lgkmcnt(0)
	v_cmp_eq_u64_e32 vcc, 1, v[4:5]
	v_readfirstlane_b32 s23, v9
	v_readfirstlane_b32 s2, v10
	v_readfirstlane_b32 s3, v11
	s_and_b64 s[10:11], vcc, s[0:1]
	s_mov_b64 s[0:1], -1
	s_mov_b64 s[18:19], -1
                                        ; implicit-def: $sgpr14_sgpr15
                                        ; implicit-def: $sgpr8_sgpr9
	s_and_saveexec_b64 s[12:13], s[10:11]
	s_cbranch_execz .LBB132_123
; %bb.90:                               ;   in Loop: Header=BB132_18 Depth=1
	ds_read_b64 v[8:9], v3 offset:5120
	s_waitcnt lgkmcnt(0)
	s_barrier
	v_readfirstlane_b32 s18, v8
	v_readfirstlane_b32 s19, v9
	s_mov_b64 s[8:9], exec
	v_readlane_b32 s14, v69, 14
	v_readlane_b32 s15, v69, 15
	s_and_b64 s[14:15], s[8:9], s[14:15]
	s_mov_b64 exec, s[14:15]
; %bb.91:                               ;   in Loop: Header=BB132_18 Depth=1
	ds_write_b16 v38, v3
; %bb.92:                               ;   in Loop: Header=BB132_18 Depth=1
	s_or_b64 exec, exec, s[8:9]
	v_and_b32_e32 v41, s48, v41
	v_or_b32_e32 v47, s54, v47
	s_mov_b64 s[8:9], -1
	s_mov_b64 s[14:15], 0
	s_cmp_eq_u64 s[18:19], 0
	s_mov_b64 s[16:17], 0
	s_mov_b64 s[20:21], -1
	s_waitcnt lgkmcnt(0)
	s_barrier
                                        ; implicit-def: $vgpr48
	s_cbranch_scc1 .LBB132_107
; %bb.93:                               ;   in Loop: Header=BB132_18 Depth=1
	v_readlane_b32 s16, v69, 20
	s_add_u32 s26, s18, s16
	v_readlane_b32 s16, v69, 22
	s_addc_u32 s17, s19, s16
	s_mov_b32 s16, s77
	s_cmp_lg_u64 s[16:17], 0
	s_cbranch_scc0 .LBB132_150
; %bb.94:                               ;   in Loop: Header=BB132_18 Depth=1
	v_cvt_f32_u32_e32 v2, s70
	s_sub_u32 s16, 0, s70
	s_subb_u32 s24, 0, 0
	v_fmac_f32_e32 v2, 0, v45
	v_rcp_f32_e32 v2, v2
	s_nop 0
	v_mul_f32_e32 v2, 0x5f7ffffc, v2
	v_mul_f32_e32 v8, 0x2f800000, v2
	v_trunc_f32_e32 v8, v8
	v_fmac_f32_e32 v2, 0xcf800000, v8
	v_cvt_u32_f32_e32 v8, v8
	v_cvt_u32_f32_e32 v2, v2
	v_readfirstlane_b32 s25, v8
	v_readfirstlane_b32 s20, v2
	s_mul_i32 s21, s16, s25
	s_mul_hi_u32 s28, s16, s20
	s_mul_i32 s27, s24, s20
	s_add_i32 s21, s28, s21
	s_mul_i32 s29, s16, s20
	s_add_i32 s21, s21, s27
	s_mul_hi_u32 s28, s20, s29
	s_mul_i32 s30, s20, s21
	s_mul_hi_u32 s27, s20, s21
	s_add_u32 s28, s28, s30
	s_addc_u32 s27, 0, s27
	s_mul_hi_u32 s31, s25, s29
	s_mul_i32 s29, s25, s29
	s_add_u32 s28, s28, s29
	s_mul_hi_u32 s30, s25, s21
	s_addc_u32 s27, s27, s31
	s_addc_u32 s28, s30, 0
	s_mul_i32 s21, s25, s21
	s_add_u32 s21, s27, s21
	s_addc_u32 s27, 0, s28
	s_add_u32 s28, s20, s21
	s_cselect_b64 s[20:21], -1, 0
	s_cmp_lg_u64 s[20:21], 0
	s_addc_u32 s25, s25, s27
	s_mul_i32 s20, s16, s25
	s_mul_hi_u32 s21, s16, s28
	s_add_i32 s20, s21, s20
	s_mul_i32 s24, s24, s28
	s_add_i32 s20, s20, s24
	s_mul_i32 s16, s16, s28
	s_mul_hi_u32 s24, s25, s16
	s_mul_i32 s27, s25, s16
	s_mul_i32 s30, s28, s20
	s_mul_hi_u32 s16, s28, s16
	s_mul_hi_u32 s29, s28, s20
	s_add_u32 s16, s16, s30
	s_addc_u32 s29, 0, s29
	s_add_u32 s16, s16, s27
	s_mul_hi_u32 s21, s25, s20
	s_addc_u32 s16, s29, s24
	s_addc_u32 s21, s21, 0
	s_mul_i32 s20, s25, s20
	s_add_u32 s16, s16, s20
	s_addc_u32 s24, 0, s21
	s_add_u32 s16, s28, s16
	s_cselect_b64 s[20:21], -1, 0
	s_cmp_lg_u64 s[20:21], 0
	s_addc_u32 s20, s25, s24
	s_mul_i32 s24, s26, s20
	s_mul_hi_u32 s25, s26, s16
	s_mul_hi_u32 s21, s26, s20
	s_add_u32 s24, s25, s24
	s_addc_u32 s21, 0, s21
	s_mul_hi_u32 s27, s17, s16
	s_mul_i32 s16, s17, s16
	s_add_u32 s16, s24, s16
	s_mul_hi_u32 s25, s17, s20
	s_addc_u32 s16, s21, s27
	s_addc_u32 s21, s25, 0
	s_mul_i32 s20, s17, s20
	s_add_u32 s16, s16, s20
	s_addc_u32 s20, 0, s21
	s_mul_i32 s20, s70, s20
	s_mul_hi_u32 s21, s70, s16
	s_add_i32 s24, s21, s20
	s_mul_i32 s16, s70, s16
	s_sub_u32 s16, s26, s16
	s_cselect_b64 s[20:21], -1, 0
	s_cmp_lg_u64 s[20:21], 0
	s_subb_u32 s24, s17, s24
	s_sub_u32 s25, s16, s70
	s_cselect_b64 s[20:21], -1, 0
	s_cmp_lg_u64 s[20:21], 0
	s_subb_u32 s27, s24, 0
	;; [unrolled: 4-line block ×3, first 2 shown]
	s_cmp_ge_u32 s25, s70
	s_cselect_b32 s21, -1, 0
	s_cmp_eq_u32 s27, 0
	s_cselect_b32 s21, s21, -1
	s_cmp_lg_u32 s21, 0
	s_cselect_b32 s20, s20, s27
	s_cselect_b32 s25, s28, s25
	s_cmp_ge_u32 s16, s70
	s_cselect_b32 s21, -1, 0
	s_cmp_eq_u32 s24, 0
	s_cselect_b32 s21, s21, -1
	s_cmp_lg_u32 s21, 0
	s_cselect_b32 s21, s20, s24
	s_cselect_b32 s20, s25, s16
	s_cbranch_execnz .LBB132_96
.LBB132_95:                             ;   in Loop: Header=BB132_18 Depth=1
	v_cvt_f32_u32_e32 v2, s70
	s_sub_i32 s16, 0, s70
	v_rcp_iflag_f32_e32 v2, v2
	s_nop 0
	v_mul_f32_e32 v2, 0x4f7ffffe, v2
	v_cvt_u32_f32_e32 v2, v2
	s_nop 0
	v_readfirstlane_b32 s20, v2
	s_mul_i32 s16, s16, s20
	s_mul_hi_u32 s16, s20, s16
	s_add_i32 s20, s20, s16
	s_mul_hi_u32 s16, s26, s20
	s_mul_i32 s16, s16, s70
	s_sub_i32 s16, s26, s16
	s_sub_i32 s20, s16, s70
	s_cmp_ge_u32 s16, s70
	s_cselect_b32 s16, s20, s16
	s_sub_i32 s20, s16, s70
	s_cmp_ge_u32 s16, s70
	s_cselect_b32 s76, s20, s16
	s_mov_b64 s[20:21], s[76:77]
.LBB132_96:                             ;   in Loop: Header=BB132_18 Depth=1
	s_sub_u32 s26, s26, s20
	s_subb_u32 s27, s17, s21
	v_cmp_gt_u64_e32 vcc, s[26:27], v[0:1]
	s_mov_b64 s[20:21], 0
	s_mov_b64 s[16:17], 0
                                        ; implicit-def: $vgpr48
	s_and_saveexec_b64 s[24:25], vcc
	s_cbranch_execz .LBB132_106
; %bb.97:                               ;   in Loop: Header=BB132_18 Depth=1
	v_mov_b32_e32 v2, v37
	v_mov_b64_e32 v[8:9], v[0:1]
                                        ; implicit-def: $sgpr28_sgpr29
	s_branch .LBB132_101
.LBB132_98:                             ;   in Loop: Header=BB132_101 Depth=2
	s_or_b64 exec, exec, s[30:31]
	s_waitcnt lgkmcnt(0)
	s_barrier
	ds_read_b32 v10, v3 offset:3072
	s_waitcnt lgkmcnt(0)
	s_barrier
	v_cmp_neq_f16_e32 vcc, 0, v10
	s_cbranch_vccnz .LBB132_104
; %bb.99:                               ;   in Loop: Header=BB132_101 Depth=2
	v_lshl_add_u64 v[8:9], v[8:9], 0, s[70:71]
	v_cmp_le_u64_e32 vcc, s[26:27], v[8:9]
	v_add_u32_e32 v2, s85, v2
	s_mov_b64 s[30:31], 0
	s_orn2_b64 s[34:35], vcc, exec
.LBB132_100:                            ;   in Loop: Header=BB132_101 Depth=2
	s_and_b64 s[34:35], exec, s[34:35]
	s_or_b64 s[16:17], s[34:35], s[16:17]
	s_andn2_b64 s[28:29], s[28:29], exec
	s_and_b64 s[30:31], s[30:31], exec
	s_or_b64 s[28:29], s[28:29], s[30:31]
	s_andn2_b64 exec, exec, s[16:17]
	s_cbranch_execz .LBB132_105
.LBB132_101:                            ;   Parent Loop BB132_18 Depth=1
                                        ; =>  This Inner Loop Header: Depth=2
	v_cmp_gt_u64_e32 vcc, s[18:19], v[8:9]
	s_and_saveexec_b64 s[30:31], vcc
	s_cbranch_execz .LBB132_98
; %bb.102:                              ;   in Loop: Header=BB132_101 Depth=2
	ds_read_u16 v10, v2
	s_waitcnt lgkmcnt(0)
	v_cmp_lt_i16_e32 vcc, -1, v10
	s_nop 1
	v_cndmask_b32_e32 v11, v43, v44, vcc
	v_xor_b32_sdwa v11, v11, v10 dst_sel:DWORD dst_unused:UNUSED_PAD src0_sel:DWORD src1_sel:WORD_0
	v_cmp_o_f16_e32 vcc, v10, v10
	s_nop 1
	v_cndmask_b32_e32 v11, v43, v11, vcc
	v_and_b32_e32 v11, v11, v47
	v_cmp_eq_u32_e32 vcc, v11, v41
	s_and_b64 exec, exec, vcc
	s_cbranch_execz .LBB132_98
; %bb.103:                              ;   in Loop: Header=BB132_101 Depth=2
	v_perm_b32 v10, v10, s49, v46
	ds_write_b32 v3, v10 offset:3072
	s_branch .LBB132_98
.LBB132_104:                            ;   in Loop: Header=BB132_101 Depth=2
	s_mov_b64 s[34:35], -1
                                        ; implicit-def: $vgpr8_vgpr9
                                        ; implicit-def: $vgpr2
	s_mov_b64 s[30:31], -1
	s_branch .LBB132_100
.LBB132_105:                            ;   in Loop: Header=BB132_18 Depth=1
	s_or_b64 exec, exec, s[16:17]
	v_lshrrev_b32_e32 v48, 16, v10
	s_and_b64 s[16:17], s[28:29], exec
.LBB132_106:                            ;   in Loop: Header=BB132_18 Depth=1
	s_or_b64 exec, exec, s[24:25]
.LBB132_107:                            ;   in Loop: Header=BB132_18 Depth=1
	s_and_b64 vcc, exec, s[20:21]
	s_cbranch_vccz .LBB132_122
; %bb.108:                              ;   in Loop: Header=BB132_18 Depth=1
	s_mov_b32 s82, s77
	s_cmp_lg_u64 s[82:83], 0
	s_cbranch_scc0 .LBB132_154
; %bb.109:                              ;   in Loop: Header=BB132_18 Depth=1
	v_cvt_f32_u32_e32 v2, s70
	s_sub_u32 s14, 0, s70
	s_subb_u32 s15, 0, 0
	v_fmac_f32_e32 v2, 0, v45
	v_rcp_f32_e32 v2, v2
	s_nop 0
	v_mul_f32_e32 v2, 0x5f7ffffc, v2
	v_mul_f32_e32 v8, 0x2f800000, v2
	v_trunc_f32_e32 v8, v8
	v_fmac_f32_e32 v2, 0xcf800000, v8
	v_cvt_u32_f32_e32 v8, v8
	v_cvt_u32_f32_e32 v2, v2
	v_readfirstlane_b32 s18, v8
	v_readfirstlane_b32 s8, v2
	s_mul_i32 s9, s14, s18
	s_mul_hi_u32 s20, s14, s8
	s_mul_i32 s19, s15, s8
	s_add_i32 s9, s20, s9
	s_mul_i32 s21, s14, s8
	s_add_i32 s9, s9, s19
	s_mul_hi_u32 s20, s8, s21
	s_mul_i32 s24, s8, s9
	s_mul_hi_u32 s19, s8, s9
	s_add_u32 s20, s20, s24
	s_addc_u32 s19, 0, s19
	s_mul_hi_u32 s25, s18, s21
	s_mul_i32 s21, s18, s21
	s_add_u32 s20, s20, s21
	s_mul_hi_u32 s24, s18, s9
	s_addc_u32 s19, s19, s25
	s_addc_u32 s20, s24, 0
	s_mul_i32 s9, s18, s9
	s_add_u32 s9, s19, s9
	s_addc_u32 s19, 0, s20
	s_add_u32 s20, s8, s9
	s_cselect_b64 s[8:9], -1, 0
	s_cmp_lg_u64 s[8:9], 0
	s_addc_u32 s18, s18, s19
	s_mul_i32 s8, s14, s18
	s_mul_hi_u32 s9, s14, s20
	s_add_i32 s8, s9, s8
	s_mul_i32 s15, s15, s20
	s_add_i32 s8, s8, s15
	s_mul_i32 s14, s14, s20
	s_mul_hi_u32 s15, s18, s14
	s_mul_i32 s19, s18, s14
	s_mul_i32 s24, s20, s8
	s_mul_hi_u32 s14, s20, s14
	s_mul_hi_u32 s21, s20, s8
	s_add_u32 s14, s14, s24
	s_addc_u32 s21, 0, s21
	s_add_u32 s14, s14, s19
	s_mul_hi_u32 s9, s18, s8
	s_addc_u32 s14, s21, s15
	s_addc_u32 s9, s9, 0
	s_mul_i32 s8, s18, s8
	s_add_u32 s8, s14, s8
	s_addc_u32 s14, 0, s9
	s_add_u32 s15, s20, s8
	s_cselect_b64 s[8:9], -1, 0
	s_cmp_lg_u64 s[8:9], 0
	s_addc_u32 s8, s18, s14
	v_readlane_b32 s20, v69, 21
	s_mul_i32 s14, s20, s8
	s_mul_hi_u32 s18, s20, s15
	s_mul_hi_u32 s9, s20, s8
	s_add_u32 s14, s18, s14
	s_addc_u32 s9, 0, s9
	s_mul_hi_u32 s19, s83, s15
	s_mul_i32 s15, s83, s15
	s_add_u32 s14, s14, s15
	s_mul_hi_u32 s18, s83, s8
	s_addc_u32 s9, s9, s19
	s_addc_u32 s14, s18, 0
	s_mul_i32 s8, s83, s8
	s_add_u32 s8, s9, s8
	s_addc_u32 s9, 0, s14
	s_mul_i32 s9, s70, s9
	s_mul_hi_u32 s14, s70, s8
	s_add_i32 s14, s14, s9
	s_mul_i32 s8, s70, s8
	s_sub_u32 s15, s20, s8
	s_cselect_b64 s[8:9], -1, 0
	s_cmp_lg_u64 s[8:9], 0
	s_subb_u32 s14, s83, s14
	s_sub_u32 s18, s15, s70
	s_cselect_b64 s[8:9], -1, 0
	s_cmp_lg_u64 s[8:9], 0
	s_subb_u32 s19, s14, 0
	;; [unrolled: 4-line block ×3, first 2 shown]
	s_cmp_ge_u32 s18, s70
	s_cselect_b32 s9, -1, 0
	s_cmp_eq_u32 s19, 0
	s_cselect_b32 s9, s9, -1
	s_cmp_lg_u32 s9, 0
	s_cselect_b32 s8, s8, s19
	s_cselect_b32 s18, s20, s18
	s_cmp_ge_u32 s15, s70
	s_cselect_b32 s9, -1, 0
	s_cmp_eq_u32 s14, 0
	s_cselect_b32 s9, s9, -1
	s_cmp_lg_u32 s9, 0
	s_cselect_b32 s9, s8, s14
	s_cselect_b32 s8, s18, s15
	s_cbranch_execnz .LBB132_111
.LBB132_110:                            ;   in Loop: Header=BB132_18 Depth=1
	v_cvt_f32_u32_e32 v2, s70
	s_sub_i32 s8, 0, s70
	v_readlane_b32 s14, v69, 21
	v_rcp_iflag_f32_e32 v2, v2
	s_nop 0
	v_mul_f32_e32 v2, 0x4f7ffffe, v2
	v_cvt_u32_f32_e32 v2, v2
	s_nop 0
	v_readfirstlane_b32 s9, v2
	s_mul_i32 s8, s8, s9
	s_mul_hi_u32 s8, s9, s8
	s_add_i32 s9, s9, s8
	s_mul_hi_u32 s8, s14, s9
	s_mul_i32 s8, s8, s70
	s_sub_i32 s8, s14, s8
	s_sub_i32 s9, s8, s70
	s_cmp_ge_u32 s8, s70
	s_cselect_b32 s8, s9, s8
	s_sub_i32 s9, s8, s70
	s_cmp_ge_u32 s8, s70
	s_cselect_b32 s76, s9, s8
	s_mov_b64 s[8:9], s[76:77]
.LBB132_111:                            ;   in Loop: Header=BB132_18 Depth=1
	v_readlane_b32 s14, v69, 21
	s_sub_u32 s14, s14, s8
	s_subb_u32 s15, s83, s9
	v_cmp_gt_u64_e32 vcc, s[14:15], v[0:1]
                                        ; implicit-def: $vgpr48
	s_and_saveexec_b64 s[8:9], vcc
	s_cbranch_execz .LBB132_121
; %bb.112:                              ;   in Loop: Header=BB132_18 Depth=1
	s_mov_b64 s[18:19], 0
	v_mov_b64_e32 v[8:9], v[12:13]
	v_mov_b64_e32 v[10:11], v[0:1]
                                        ; implicit-def: $sgpr20_sgpr21
	s_branch .LBB132_116
.LBB132_113:                            ;   in Loop: Header=BB132_116 Depth=2
	s_or_b64 exec, exec, s[24:25]
	s_waitcnt lgkmcnt(0)
	s_barrier
	ds_read_b32 v2, v3 offset:3072
	s_waitcnt lgkmcnt(0)
	s_barrier
	v_cmp_neq_f16_e32 vcc, 0, v2
	s_cbranch_vccnz .LBB132_119
; %bb.114:                              ;   in Loop: Header=BB132_116 Depth=2
	v_lshl_add_u64 v[10:11], v[10:11], 0, s[70:71]
	v_cmp_le_u64_e32 vcc, s[14:15], v[10:11]
	v_lshl_add_u64 v[8:9], v[8:9], 0, s[74:75]
	s_mov_b64 s[24:25], 0
	s_orn2_b64 s[26:27], vcc, exec
.LBB132_115:                            ;   in Loop: Header=BB132_116 Depth=2
	s_and_b64 s[26:27], exec, s[26:27]
	s_or_b64 s[18:19], s[26:27], s[18:19]
	s_andn2_b64 s[20:21], s[20:21], exec
	s_and_b64 s[24:25], s[24:25], exec
	s_or_b64 s[20:21], s[20:21], s[24:25]
	s_andn2_b64 exec, exec, s[18:19]
	s_cbranch_execz .LBB132_120
.LBB132_116:                            ;   Parent Loop BB132_18 Depth=1
                                        ; =>  This Inner Loop Header: Depth=2
	v_cmp_gt_u64_e32 vcc, s[56:57], v[10:11]
	s_and_saveexec_b64 s[24:25], vcc
	s_cbranch_execz .LBB132_113
; %bb.117:                              ;   in Loop: Header=BB132_116 Depth=2
	global_load_ushort v2, v[8:9], off
	s_waitcnt vmcnt(0)
	v_cmp_lt_i16_e32 vcc, -1, v2
	s_nop 1
	v_cndmask_b32_e32 v34, v43, v44, vcc
	v_xor_b32_sdwa v34, v34, v2 dst_sel:DWORD dst_unused:UNUSED_PAD src0_sel:DWORD src1_sel:WORD_0
	v_cmp_o_f16_e32 vcc, v2, v2
	s_nop 1
	v_cndmask_b32_e32 v34, v43, v34, vcc
	v_and_b32_e32 v34, v34, v47
	v_cmp_eq_u32_e32 vcc, v34, v41
	s_and_b64 exec, exec, vcc
	s_cbranch_execz .LBB132_113
; %bb.118:                              ;   in Loop: Header=BB132_116 Depth=2
	v_perm_b32 v2, v2, s49, v46
	ds_write_b32 v3, v2 offset:3072
	s_branch .LBB132_113
.LBB132_119:                            ;   in Loop: Header=BB132_116 Depth=2
	s_mov_b64 s[26:27], -1
                                        ; implicit-def: $vgpr10_vgpr11
                                        ; implicit-def: $vgpr8_vgpr9
	s_mov_b64 s[24:25], -1
	s_branch .LBB132_115
.LBB132_120:                            ;   in Loop: Header=BB132_18 Depth=1
	s_or_b64 exec, exec, s[18:19]
	s_andn2_b64 s[14:15], s[16:17], exec
	s_and_b64 s[16:17], s[20:21], exec
	v_lshrrev_b32_e32 v48, 16, v2
	s_or_b64 s[16:17], s[14:15], s[16:17]
.LBB132_121:                            ;   in Loop: Header=BB132_18 Depth=1
	s_or_b64 exec, exec, s[8:9]
	s_mov_b64 s[8:9], 0
	s_mov_b64 s[14:15], -1
.LBB132_122:                            ;   in Loop: Header=BB132_18 Depth=1
	s_orn2_b64 s[18:19], s[16:17], exec
.LBB132_123:                            ;   in Loop: Header=BB132_18 Depth=1
	s_or_b64 exec, exec, s[12:13]
	s_andn2_b64 s[12:13], s[66:67], exec
	s_and_b64 s[14:15], s[14:15], exec
	s_or_b64 s[66:67], s[12:13], s[14:15]
	s_andn2_b64 s[12:13], s[64:65], exec
	s_and_b64 s[8:9], s[8:9], exec
	s_andn2_b64 s[62:63], s[62:63], exec
	s_or_b64 s[64:65], s[12:13], s[8:9]
                                        ; implicit-def: $vgpr8_vgpr9
	s_and_saveexec_b64 s[16:17], s[18:19]
	s_cbranch_execz .LBB132_17
; %bb.124:                              ;   in Loop: Header=BB132_18 Depth=1
	s_xor_b64 s[8:9], s[10:11], -1
	v_mov_b32_e32 v2, 1
	s_mov_b64 s[10:11], 0
	v_mov_b64_e32 v[8:9], 1
	s_and_saveexec_b64 s[0:1], s[8:9]
	s_cbranch_execz .LBB132_133
; %bb.125:                              ;   in Loop: Header=BB132_18 Depth=1
	v_cmp_le_u64_e32 vcc, v[32:33], v[4:5]
	s_and_saveexec_b64 s[8:9], vcc
	s_xor_b64 s[8:9], exec, s[8:9]
	s_cbranch_execz .LBB132_130
; %bb.126:                              ;   in Loop: Header=BB132_18 Depth=1
	ds_read_b64 v[8:9], v3 offset:5120
	v_and_b32_e32 v41, s48, v41
	v_or_b32_e32 v47, s54, v47
	s_waitcnt lgkmcnt(0)
	v_cmp_ne_u64_e32 vcc, 0, v[8:9]
	s_cbranch_vccnz .LBB132_130
; %bb.127:                              ;   in Loop: Header=BB132_18 Depth=1
	s_mov_b64 s[10:11], exec
	v_readlane_b32 s12, v69, 12
	v_readlane_b32 s13, v69, 13
	s_and_b64 s[12:13], s[10:11], s[12:13]
	s_mov_b64 exec, s[12:13]
; %bb.128:                              ;   in Loop: Header=BB132_18 Depth=1
	ds_write_b64 v3, v[4:5] offset:5128
; %bb.129:                              ;   in Loop: Header=BB132_18 Depth=1
	s_or_b64 exec, exec, s[10:11]
	s_waitcnt lgkmcnt(0)
	s_barrier
.LBB132_130:                            ;   in Loop: Header=BB132_18 Depth=1
	s_or_saveexec_b64 s[8:9], s[8:9]
	s_mov_b64 s[10:11], 0
	v_mov_b32_e32 v2, 8
	s_xor_b64 exec, exec, s[8:9]
; %bb.131:                              ;   in Loop: Header=BB132_18 Depth=1
	v_sub_co_u32_e32 v32, vcc, v32, v4
	s_mov_b64 s[10:11], exec
	s_nop 0
	v_subb_co_u32_e32 v33, vcc, v33, v5, vcc
	v_mov_b32_e32 v2, 0
; %bb.132:                              ;   in Loop: Header=BB132_18 Depth=1
	s_or_b64 exec, exec, s[8:9]
	s_and_b64 s[10:11], s[10:11], exec
	v_mov_b64_e32 v[8:9], v[32:33]
.LBB132_133:                            ;   in Loop: Header=BB132_18 Depth=1
	s_or_b64 exec, exec, s[0:1]
	s_mov_b64 s[18:19], -1
	s_mov_b64 s[8:9], -1
                                        ; implicit-def: $sgpr0_sgpr1
                                        ; implicit-def: $sgpr24_sgpr25
	s_and_saveexec_b64 s[12:13], s[10:11]
	s_xor_b64 s[20:21], exec, s[12:13]
	s_cbranch_execz .LBB132_284
; %bb.134:                              ;   in Loop: Header=BB132_18 Depth=1
	v_cmp_eq_u64_e32 vcc, 1, v[6:7]
	v_cmp_eq_u64_e64 s[0:1], 1, v[8:9]
	s_and_b64 s[10:11], vcc, s[0:1]
                                        ; implicit-def: $sgpr24_sgpr25
                                        ; implicit-def: $sgpr0_sgpr1
	s_and_saveexec_b64 s[12:13], s[10:11]
	s_cbranch_execz .LBB132_173
; %bb.135:                              ;   in Loop: Header=BB132_18 Depth=1
	ds_read_b64 v[4:5], v3 offset:5120
	s_waitcnt lgkmcnt(0)
	s_barrier
	v_readfirstlane_b32 s14, v4
	v_readfirstlane_b32 s15, v5
	s_mov_b64 s[0:1], exec
	v_readlane_b32 s8, v69, 14
	v_readlane_b32 s9, v69, 15
	s_and_b64 s[8:9], s[0:1], s[8:9]
	s_mov_b64 exec, s[8:9]
; %bb.136:                              ;   in Loop: Header=BB132_18 Depth=1
	ds_write_b16 v38, v3
; %bb.137:                              ;   in Loop: Header=BB132_18 Depth=1
	s_or_b64 exec, exec, s[0:1]
	v_and_b32_e32 v4, s48, v41
	v_lshl_or_b32 v41, 1, s6, v4
	v_or_b32_e32 v47, s54, v47
	s_mov_b64 s[0:1], -1
	s_mov_b64 s[24:25], 0
	s_cmp_eq_u64 s[14:15], 0
	s_mov_b64 s[8:9], 0
	s_mov_b64 s[26:27], -1
	s_waitcnt lgkmcnt(0)
	s_barrier
                                        ; implicit-def: $vgpr48
	s_cbranch_scc1 .LBB132_157
; %bb.138:                              ;   in Loop: Header=BB132_18 Depth=1
	v_readlane_b32 s8, v69, 20
	s_add_u32 s30, s14, s8
	v_readlane_b32 s8, v69, 22
	s_addc_u32 s9, s15, s8
	s_mov_b32 s8, s77
	s_cmp_lg_u64 s[8:9], 0
	s_cbranch_scc0 .LBB132_201
; %bb.139:                              ;   in Loop: Header=BB132_18 Depth=1
	v_cvt_f32_u32_e32 v4, s70
	s_sub_u32 s8, 0, s70
	s_subb_u32 s28, 0, 0
	v_fmac_f32_e32 v4, 0, v45
	v_rcp_f32_e32 v4, v4
	s_nop 0
	v_mul_f32_e32 v4, 0x5f7ffffc, v4
	v_mul_f32_e32 v5, 0x2f800000, v4
	v_trunc_f32_e32 v5, v5
	v_fmac_f32_e32 v4, 0xcf800000, v5
	v_cvt_u32_f32_e32 v5, v5
	v_cvt_u32_f32_e32 v4, v4
	v_readfirstlane_b32 s29, v5
	v_readfirstlane_b32 s26, v4
	s_mul_i32 s27, s8, s29
	s_mul_hi_u32 s34, s8, s26
	s_mul_i32 s31, s28, s26
	s_add_i32 s27, s34, s27
	s_mul_i32 s35, s8, s26
	s_add_i32 s27, s27, s31
	s_mul_hi_u32 s34, s26, s35
	s_mul_i32 s36, s26, s27
	s_mul_hi_u32 s31, s26, s27
	s_add_u32 s34, s34, s36
	s_addc_u32 s31, 0, s31
	s_mul_hi_u32 s37, s29, s35
	s_mul_i32 s35, s29, s35
	s_add_u32 s34, s34, s35
	s_mul_hi_u32 s36, s29, s27
	s_addc_u32 s31, s31, s37
	s_addc_u32 s34, s36, 0
	s_mul_i32 s27, s29, s27
	s_add_u32 s27, s31, s27
	s_addc_u32 s31, 0, s34
	s_add_u32 s34, s26, s27
	s_cselect_b64 s[26:27], -1, 0
	s_cmp_lg_u64 s[26:27], 0
	s_addc_u32 s29, s29, s31
	s_mul_i32 s26, s8, s29
	s_mul_hi_u32 s27, s8, s34
	s_add_i32 s26, s27, s26
	s_mul_i32 s28, s28, s34
	s_add_i32 s26, s26, s28
	s_mul_i32 s8, s8, s34
	s_mul_hi_u32 s28, s29, s8
	s_mul_i32 s31, s29, s8
	s_mul_i32 s36, s34, s26
	s_mul_hi_u32 s8, s34, s8
	s_mul_hi_u32 s35, s34, s26
	s_add_u32 s8, s8, s36
	s_addc_u32 s35, 0, s35
	s_add_u32 s8, s8, s31
	s_mul_hi_u32 s27, s29, s26
	s_addc_u32 s8, s35, s28
	s_addc_u32 s27, s27, 0
	s_mul_i32 s26, s29, s26
	s_add_u32 s8, s8, s26
	s_addc_u32 s28, 0, s27
	s_add_u32 s8, s34, s8
	s_cselect_b64 s[26:27], -1, 0
	s_cmp_lg_u64 s[26:27], 0
	s_addc_u32 s26, s29, s28
	s_mul_i32 s28, s30, s26
	s_mul_hi_u32 s29, s30, s8
	s_mul_hi_u32 s27, s30, s26
	s_add_u32 s28, s29, s28
	s_addc_u32 s27, 0, s27
	s_mul_hi_u32 s31, s9, s8
	s_mul_i32 s8, s9, s8
	s_add_u32 s8, s28, s8
	s_mul_hi_u32 s29, s9, s26
	s_addc_u32 s8, s27, s31
	s_addc_u32 s27, s29, 0
	s_mul_i32 s26, s9, s26
	s_add_u32 s8, s8, s26
	s_addc_u32 s26, 0, s27
	s_mul_i32 s26, s70, s26
	s_mul_hi_u32 s27, s70, s8
	s_add_i32 s28, s27, s26
	s_mul_i32 s8, s70, s8
	s_sub_u32 s8, s30, s8
	s_cselect_b64 s[26:27], -1, 0
	s_cmp_lg_u64 s[26:27], 0
	s_subb_u32 s28, s9, s28
	s_sub_u32 s29, s8, s70
	s_cselect_b64 s[26:27], -1, 0
	s_cmp_lg_u64 s[26:27], 0
	s_subb_u32 s31, s28, 0
	;; [unrolled: 4-line block ×3, first 2 shown]
	s_cmp_ge_u32 s29, s70
	s_cselect_b32 s27, -1, 0
	s_cmp_eq_u32 s31, 0
	s_cselect_b32 s27, s27, -1
	s_cmp_lg_u32 s27, 0
	s_cselect_b32 s26, s26, s31
	s_cselect_b32 s29, s34, s29
	s_cmp_ge_u32 s8, s70
	s_cselect_b32 s27, -1, 0
	s_cmp_eq_u32 s28, 0
	s_cselect_b32 s27, s27, -1
	s_cmp_lg_u32 s27, 0
	s_cselect_b32 s27, s26, s28
	s_cselect_b32 s26, s29, s8
	s_cbranch_execnz .LBB132_141
.LBB132_140:                            ;   in Loop: Header=BB132_18 Depth=1
	v_cvt_f32_u32_e32 v4, s70
	s_sub_i32 s8, 0, s70
	v_rcp_iflag_f32_e32 v4, v4
	s_nop 0
	v_mul_f32_e32 v4, 0x4f7ffffe, v4
	v_cvt_u32_f32_e32 v4, v4
	s_nop 0
	v_readfirstlane_b32 s26, v4
	s_mul_i32 s8, s8, s26
	s_mul_hi_u32 s8, s26, s8
	s_add_i32 s26, s26, s8
	s_mul_hi_u32 s8, s30, s26
	s_mul_i32 s8, s8, s70
	s_sub_i32 s8, s30, s8
	s_sub_i32 s26, s8, s70
	s_cmp_ge_u32 s8, s70
	s_cselect_b32 s8, s26, s8
	s_sub_i32 s26, s8, s70
	s_cmp_ge_u32 s8, s70
	s_cselect_b32 s76, s26, s8
	s_mov_b64 s[26:27], s[76:77]
.LBB132_141:                            ;   in Loop: Header=BB132_18 Depth=1
	s_sub_u32 s30, s30, s26
	s_subb_u32 s31, s9, s27
	v_cmp_gt_u64_e32 vcc, s[30:31], v[0:1]
	s_mov_b64 s[26:27], 0
	s_mov_b64 s[8:9], 0
                                        ; implicit-def: $vgpr48
	s_and_saveexec_b64 s[28:29], vcc
	s_cbranch_execz .LBB132_156
; %bb.142:                              ;   in Loop: Header=BB132_18 Depth=1
	v_mov_b32_e32 v10, v37
	v_mov_b64_e32 v[4:5], v[0:1]
                                        ; implicit-def: $sgpr34_sgpr35
	s_branch .LBB132_146
.LBB132_143:                            ;   in Loop: Header=BB132_146 Depth=2
	s_or_b64 exec, exec, s[36:37]
	s_waitcnt lgkmcnt(0)
	s_barrier
	ds_read_b32 v11, v3 offset:3072
	s_waitcnt lgkmcnt(0)
	s_barrier
	v_cmp_neq_f16_e32 vcc, 0, v11
	s_cbranch_vccnz .LBB132_149
; %bb.144:                              ;   in Loop: Header=BB132_146 Depth=2
	v_lshl_add_u64 v[4:5], v[4:5], 0, s[70:71]
	v_cmp_le_u64_e32 vcc, s[30:31], v[4:5]
	v_add_u32_e32 v10, s85, v10
	s_mov_b64 s[36:37], 0
	s_orn2_b64 s[38:39], vcc, exec
.LBB132_145:                            ;   in Loop: Header=BB132_146 Depth=2
	s_and_b64 s[38:39], exec, s[38:39]
	s_or_b64 s[8:9], s[38:39], s[8:9]
	s_andn2_b64 s[34:35], s[34:35], exec
	s_and_b64 s[36:37], s[36:37], exec
	s_or_b64 s[34:35], s[34:35], s[36:37]
	s_andn2_b64 exec, exec, s[8:9]
	s_cbranch_execz .LBB132_155
.LBB132_146:                            ;   Parent Loop BB132_18 Depth=1
                                        ; =>  This Inner Loop Header: Depth=2
	v_cmp_gt_u64_e32 vcc, s[14:15], v[4:5]
	s_and_saveexec_b64 s[36:37], vcc
	s_cbranch_execz .LBB132_143
; %bb.147:                              ;   in Loop: Header=BB132_146 Depth=2
	ds_read_u16 v11, v10
	s_waitcnt lgkmcnt(0)
	v_cmp_lt_i16_e32 vcc, -1, v11
	s_nop 1
	v_cndmask_b32_e32 v32, v43, v44, vcc
	v_xor_b32_sdwa v32, v32, v11 dst_sel:DWORD dst_unused:UNUSED_PAD src0_sel:DWORD src1_sel:WORD_0
	v_cmp_o_f16_e32 vcc, v11, v11
	s_nop 1
	v_cndmask_b32_e32 v32, v43, v32, vcc
	v_and_b32_e32 v32, v32, v47
	v_cmp_eq_u32_e32 vcc, v32, v41
	s_and_b64 exec, exec, vcc
	s_cbranch_execz .LBB132_143
; %bb.148:                              ;   in Loop: Header=BB132_146 Depth=2
	v_perm_b32 v11, v11, s49, v46
	ds_write_b32 v3, v11 offset:3072
	s_branch .LBB132_143
.LBB132_149:                            ;   in Loop: Header=BB132_146 Depth=2
	s_mov_b64 s[38:39], -1
                                        ; implicit-def: $vgpr4_vgpr5
                                        ; implicit-def: $vgpr10
	s_mov_b64 s[36:37], -1
	s_branch .LBB132_145
.LBB132_150:                            ;   in Loop: Header=BB132_18 Depth=1
                                        ; implicit-def: $sgpr20_sgpr21
	s_branch .LBB132_95
.LBB132_151:                            ;   in Loop: Header=BB132_18 Depth=1
	s_or_b64 exec, exec, s[10:11]
	s_waitcnt lgkmcnt(0)
	s_barrier
	s_mov_b64 s[0:1], exec
	v_readlane_b32 s2, v69, 12
	v_readlane_b32 s3, v69, 13
	s_and_b64 s[2:3], s[0:1], s[2:3]
	s_mov_b64 exec, s[2:3]
	s_cbranch_execz .LBB132_153
; %bb.152:                              ;   in Loop: Header=BB132_18 Depth=1
	ds_read_b32 v4, v3 offset:5144
	s_waitcnt lgkmcnt(0)
	v_ashrrev_i32_e32 v5, 31, v4
	ds_write_b64 v3, v[4:5] offset:5120
.LBB132_153:                            ;   in Loop: Header=BB132_18 Depth=1
	s_or_b64 exec, exec, s[0:1]
	s_waitcnt lgkmcnt(0)
	s_barrier
	s_mov_b64 s[0:1], -1
	s_and_b64 vcc, exec, s[8:9]
	s_cbranch_vccnz .LBB132_33
	s_branch .LBB132_48
.LBB132_154:                            ;   in Loop: Header=BB132_18 Depth=1
                                        ; implicit-def: $sgpr8_sgpr9
	s_branch .LBB132_110
.LBB132_155:                            ;   in Loop: Header=BB132_18 Depth=1
	s_or_b64 exec, exec, s[8:9]
	v_lshrrev_b32_e32 v48, 16, v11
	s_and_b64 s[8:9], s[34:35], exec
.LBB132_156:                            ;   in Loop: Header=BB132_18 Depth=1
	s_or_b64 exec, exec, s[28:29]
.LBB132_157:                            ;   in Loop: Header=BB132_18 Depth=1
	s_and_b64 vcc, exec, s[26:27]
	s_cbranch_vccz .LBB132_172
; %bb.158:                              ;   in Loop: Header=BB132_18 Depth=1
	s_mov_b32 s82, s77
	s_cmp_lg_u64 s[82:83], 0
	s_cbranch_scc0 .LBB132_202
; %bb.159:                              ;   in Loop: Header=BB132_18 Depth=1
	v_cvt_f32_u32_e32 v4, s70
	s_sub_u32 s14, 0, s70
	s_subb_u32 s15, 0, 0
	v_fmac_f32_e32 v4, 0, v45
	v_rcp_f32_e32 v4, v4
	s_nop 0
	v_mul_f32_e32 v4, 0x5f7ffffc, v4
	v_mul_f32_e32 v5, 0x2f800000, v4
	v_trunc_f32_e32 v5, v5
	v_fmac_f32_e32 v4, 0xcf800000, v5
	v_cvt_u32_f32_e32 v5, v5
	v_cvt_u32_f32_e32 v4, v4
	v_readfirstlane_b32 s24, v5
	v_readfirstlane_b32 s0, v4
	s_mul_i32 s1, s14, s24
	s_mul_hi_u32 s26, s14, s0
	s_mul_i32 s25, s15, s0
	s_add_i32 s1, s26, s1
	s_mul_i32 s27, s14, s0
	s_add_i32 s1, s1, s25
	s_mul_hi_u32 s26, s0, s27
	s_mul_i32 s28, s0, s1
	s_mul_hi_u32 s25, s0, s1
	s_add_u32 s26, s26, s28
	s_addc_u32 s25, 0, s25
	s_mul_hi_u32 s29, s24, s27
	s_mul_i32 s27, s24, s27
	s_add_u32 s26, s26, s27
	s_mul_hi_u32 s28, s24, s1
	s_addc_u32 s25, s25, s29
	s_addc_u32 s26, s28, 0
	s_mul_i32 s1, s24, s1
	s_add_u32 s1, s25, s1
	s_addc_u32 s25, 0, s26
	s_add_u32 s26, s0, s1
	s_cselect_b64 s[0:1], -1, 0
	s_cmp_lg_u64 s[0:1], 0
	s_addc_u32 s24, s24, s25
	s_mul_i32 s0, s14, s24
	s_mul_hi_u32 s1, s14, s26
	s_add_i32 s0, s1, s0
	s_mul_i32 s15, s15, s26
	s_add_i32 s0, s0, s15
	s_mul_i32 s14, s14, s26
	s_mul_hi_u32 s15, s24, s14
	s_mul_i32 s25, s24, s14
	s_mul_i32 s28, s26, s0
	s_mul_hi_u32 s14, s26, s14
	s_mul_hi_u32 s27, s26, s0
	s_add_u32 s14, s14, s28
	s_addc_u32 s27, 0, s27
	s_add_u32 s14, s14, s25
	s_mul_hi_u32 s1, s24, s0
	s_addc_u32 s14, s27, s15
	s_addc_u32 s1, s1, 0
	s_mul_i32 s0, s24, s0
	s_add_u32 s0, s14, s0
	s_addc_u32 s14, 0, s1
	s_add_u32 s15, s26, s0
	s_cselect_b64 s[0:1], -1, 0
	s_cmp_lg_u64 s[0:1], 0
	s_addc_u32 s0, s24, s14
	v_readlane_b32 s26, v69, 21
	s_mul_i32 s14, s26, s0
	s_mul_hi_u32 s24, s26, s15
	s_mul_hi_u32 s1, s26, s0
	s_add_u32 s14, s24, s14
	s_addc_u32 s1, 0, s1
	s_mul_hi_u32 s25, s83, s15
	s_mul_i32 s15, s83, s15
	s_add_u32 s14, s14, s15
	s_mul_hi_u32 s24, s83, s0
	s_addc_u32 s1, s1, s25
	s_addc_u32 s14, s24, 0
	s_mul_i32 s0, s83, s0
	s_add_u32 s0, s1, s0
	s_addc_u32 s1, 0, s14
	s_mul_i32 s1, s70, s1
	s_mul_hi_u32 s14, s70, s0
	s_add_i32 s14, s14, s1
	s_mul_i32 s0, s70, s0
	s_sub_u32 s15, s26, s0
	s_cselect_b64 s[0:1], -1, 0
	s_cmp_lg_u64 s[0:1], 0
	s_subb_u32 s14, s83, s14
	s_sub_u32 s24, s15, s70
	s_cselect_b64 s[0:1], -1, 0
	s_cmp_lg_u64 s[0:1], 0
	s_subb_u32 s25, s14, 0
	;; [unrolled: 4-line block ×3, first 2 shown]
	s_cmp_ge_u32 s24, s70
	s_cselect_b32 s1, -1, 0
	s_cmp_eq_u32 s25, 0
	s_cselect_b32 s1, s1, -1
	s_cmp_lg_u32 s1, 0
	s_cselect_b32 s0, s0, s25
	s_cselect_b32 s24, s26, s24
	s_cmp_ge_u32 s15, s70
	s_cselect_b32 s1, -1, 0
	s_cmp_eq_u32 s14, 0
	s_cselect_b32 s1, s1, -1
	s_cmp_lg_u32 s1, 0
	s_cselect_b32 s1, s0, s14
	s_cselect_b32 s0, s24, s15
	s_cbranch_execnz .LBB132_161
.LBB132_160:                            ;   in Loop: Header=BB132_18 Depth=1
	v_cvt_f32_u32_e32 v4, s70
	s_sub_i32 s0, 0, s70
	v_readlane_b32 s14, v69, 21
	v_rcp_iflag_f32_e32 v4, v4
	s_nop 0
	v_mul_f32_e32 v4, 0x4f7ffffe, v4
	v_cvt_u32_f32_e32 v4, v4
	s_nop 0
	v_readfirstlane_b32 s1, v4
	s_mul_i32 s0, s0, s1
	s_mul_hi_u32 s0, s1, s0
	s_add_i32 s1, s1, s0
	s_mul_hi_u32 s0, s14, s1
	s_mul_i32 s0, s0, s70
	s_sub_i32 s0, s14, s0
	s_sub_i32 s1, s0, s70
	s_cmp_ge_u32 s0, s70
	s_cselect_b32 s0, s1, s0
	s_sub_i32 s1, s0, s70
	s_cmp_ge_u32 s0, s70
	s_cselect_b32 s76, s1, s0
	s_mov_b64 s[0:1], s[76:77]
.LBB132_161:                            ;   in Loop: Header=BB132_18 Depth=1
	v_readlane_b32 s14, v69, 21
	s_sub_u32 s14, s14, s0
	s_subb_u32 s15, s83, s1
	v_cmp_gt_u64_e32 vcc, s[14:15], v[0:1]
                                        ; implicit-def: $vgpr48
	s_and_saveexec_b64 s[0:1], vcc
	s_cbranch_execz .LBB132_171
; %bb.162:                              ;   in Loop: Header=BB132_18 Depth=1
	s_mov_b64 s[24:25], 0
	v_mov_b64_e32 v[4:5], v[12:13]
	v_mov_b64_e32 v[10:11], v[0:1]
                                        ; implicit-def: $sgpr26_sgpr27
	s_branch .LBB132_166
.LBB132_163:                            ;   in Loop: Header=BB132_166 Depth=2
	s_or_b64 exec, exec, s[28:29]
	s_waitcnt lgkmcnt(0)
	s_barrier
	ds_read_b32 v32, v3 offset:3072
	s_waitcnt lgkmcnt(0)
	s_barrier
	v_cmp_eq_f16_e32 vcc, 0, v32
	s_cbranch_vccz .LBB132_169
; %bb.164:                              ;   in Loop: Header=BB132_166 Depth=2
	v_lshl_add_u64 v[10:11], v[10:11], 0, s[70:71]
	v_cmp_le_u64_e32 vcc, s[14:15], v[10:11]
	v_lshl_add_u64 v[4:5], v[4:5], 0, s[74:75]
	s_mov_b64 s[28:29], 0
	s_orn2_b64 s[30:31], vcc, exec
.LBB132_165:                            ;   in Loop: Header=BB132_166 Depth=2
	s_and_b64 s[30:31], exec, s[30:31]
	s_or_b64 s[24:25], s[30:31], s[24:25]
	s_andn2_b64 s[26:27], s[26:27], exec
	s_and_b64 s[28:29], s[28:29], exec
	s_or_b64 s[26:27], s[26:27], s[28:29]
	s_andn2_b64 exec, exec, s[24:25]
	s_cbranch_execz .LBB132_170
.LBB132_166:                            ;   Parent Loop BB132_18 Depth=1
                                        ; =>  This Inner Loop Header: Depth=2
	v_cmp_gt_u64_e32 vcc, s[56:57], v[10:11]
	s_and_saveexec_b64 s[28:29], vcc
	s_cbranch_execz .LBB132_163
; %bb.167:                              ;   in Loop: Header=BB132_166 Depth=2
	global_load_ushort v32, v[4:5], off
	s_waitcnt vmcnt(0)
	v_cmp_lt_i16_e32 vcc, -1, v32
	s_nop 1
	v_cndmask_b32_e32 v33, v43, v44, vcc
	v_xor_b32_sdwa v33, v33, v32 dst_sel:DWORD dst_unused:UNUSED_PAD src0_sel:DWORD src1_sel:WORD_0
	v_cmp_o_f16_e32 vcc, v32, v32
	s_nop 1
	v_cndmask_b32_e32 v33, v43, v33, vcc
	v_and_b32_e32 v33, v33, v47
	v_cmp_eq_u32_e32 vcc, v33, v41
	s_and_b64 exec, exec, vcc
	s_cbranch_execz .LBB132_163
; %bb.168:                              ;   in Loop: Header=BB132_166 Depth=2
	v_perm_b32 v32, v32, s49, v46
	ds_write_b32 v3, v32 offset:3072
	s_branch .LBB132_163
.LBB132_169:                            ;   in Loop: Header=BB132_166 Depth=2
	s_mov_b64 s[30:31], -1
                                        ; implicit-def: $vgpr10_vgpr11
                                        ; implicit-def: $vgpr4_vgpr5
	s_mov_b64 s[28:29], -1
	s_branch .LBB132_165
.LBB132_170:                            ;   in Loop: Header=BB132_18 Depth=1
	s_or_b64 exec, exec, s[24:25]
	s_andn2_b64 s[8:9], s[8:9], exec
	s_and_b64 s[14:15], s[26:27], exec
	v_lshrrev_b32_e32 v48, 16, v32
	s_or_b64 s[8:9], s[8:9], s[14:15]
.LBB132_171:                            ;   in Loop: Header=BB132_18 Depth=1
	s_or_b64 exec, exec, s[0:1]
	s_mov_b64 s[0:1], 0
	s_mov_b64 s[24:25], -1
.LBB132_172:                            ;   in Loop: Header=BB132_18 Depth=1
	s_orn2_b64 s[8:9], s[8:9], exec
.LBB132_173:                            ;   in Loop: Header=BB132_18 Depth=1
	s_or_b64 exec, exec, s[12:13]
	s_mov_b64 s[12:13], 0
	s_and_saveexec_b64 s[26:27], s[8:9]
	s_cbranch_execz .LBB132_283
; %bb.174:                              ;   in Loop: Header=BB132_18 Depth=1
	s_xor_b64 s[12:13], s[10:11], -1
	v_mov_b32_e32 v2, 1
	s_mov_b64 s[10:11], 0
	v_mov_b64_e32 v[4:5], 1
	s_and_saveexec_b64 s[8:9], s[12:13]
	s_cbranch_execz .LBB132_184
; %bb.175:                              ;   in Loop: Header=BB132_18 Depth=1
	v_cmp_le_u64_e32 vcc, v[8:9], v[6:7]
	s_and_saveexec_b64 s[10:11], vcc
	s_xor_b64 s[10:11], exec, s[10:11]
	s_cbranch_execz .LBB132_181
; %bb.176:                              ;   in Loop: Header=BB132_18 Depth=1
	ds_read_b64 v[4:5], v3 offset:5120
	v_and_b32_e32 v2, s48, v41
	v_lshl_or_b32 v41, 1, s6, v2
	v_or_b32_e32 v47, s54, v47
	s_waitcnt lgkmcnt(0)
	v_cmp_ne_u64_e32 vcc, 0, v[4:5]
	s_cbranch_vccnz .LBB132_180
; %bb.177:                              ;   in Loop: Header=BB132_18 Depth=1
	s_mov_b64 s[12:13], exec
	v_readlane_b32 s14, v69, 12
	v_readlane_b32 s15, v69, 13
	s_and_b64 s[14:15], s[12:13], s[14:15]
	s_mov_b64 exec, s[14:15]
; %bb.178:                              ;   in Loop: Header=BB132_18 Depth=1
	ds_write_b64 v3, v[6:7] offset:5128
; %bb.179:                              ;   in Loop: Header=BB132_18 Depth=1
	s_or_b64 exec, exec, s[12:13]
	s_waitcnt lgkmcnt(0)
	s_barrier
.LBB132_180:                            ;   in Loop: Header=BB132_18 Depth=1
                                        ; implicit-def: $vgpr4_vgpr5_vgpr6_vgpr7
.LBB132_181:                            ;   in Loop: Header=BB132_18 Depth=1
	s_or_saveexec_b64 s[10:11], s[10:11]
	s_mov_b64 s[12:13], 0
	v_mov_b32_e32 v2, 8
	s_xor_b64 exec, exec, s[10:11]
; %bb.182:                              ;   in Loop: Header=BB132_18 Depth=1
	v_sub_co_u32_e32 v8, vcc, v8, v6
	s_mov_b64 s[12:13], exec
	s_nop 0
	v_subb_co_u32_e32 v9, vcc, v9, v7, vcc
	v_mov_b32_e32 v2, 0
; %bb.183:                              ;   in Loop: Header=BB132_18 Depth=1
	s_or_b64 exec, exec, s[10:11]
	s_and_b64 s[10:11], s[12:13], exec
	v_mov_b64_e32 v[4:5], v[8:9]
.LBB132_184:                            ;   in Loop: Header=BB132_18 Depth=1
	s_or_b64 exec, exec, s[8:9]
	s_mov_b64 s[8:9], -1
                                        ; implicit-def: $sgpr12_sgpr13
                                        ; implicit-def: $sgpr34_sgpr35
	s_and_saveexec_b64 s[28:29], s[10:11]
	s_cbranch_execz .LBB132_282
; %bb.185:                              ;   in Loop: Header=BB132_18 Depth=1
	s_cmp_eq_u64 s[22:23], 1
	s_cselect_b64 s[8:9], -1, 0
	v_cmp_eq_u64_e32 vcc, 1, v[4:5]
	s_and_b64 s[10:11], s[8:9], vcc
	s_mov_b64 s[8:9], -1
                                        ; implicit-def: $sgpr34_sgpr35
                                        ; implicit-def: $sgpr12_sgpr13
	s_and_saveexec_b64 s[36:37], s[10:11]
	s_cbranch_execz .LBB132_221
; %bb.186:                              ;   in Loop: Header=BB132_18 Depth=1
	ds_read_b64 v[6:7], v3 offset:5120
	s_waitcnt lgkmcnt(0)
	s_barrier
	v_readfirstlane_b32 s14, v6
	v_readfirstlane_b32 s15, v7
	s_mov_b64 s[8:9], exec
	v_readlane_b32 s12, v69, 14
	v_readlane_b32 s13, v69, 15
	s_and_b64 s[12:13], s[8:9], s[12:13]
	s_mov_b64 exec, s[12:13]
; %bb.187:                              ;   in Loop: Header=BB132_18 Depth=1
	ds_write_b16 v38, v3
; %bb.188:                              ;   in Loop: Header=BB132_18 Depth=1
	s_or_b64 exec, exec, s[8:9]
	v_and_b32_e32 v6, s48, v41
	v_lshl_or_b32 v41, 2, s6, v6
	v_or_b32_e32 v47, s54, v47
	s_mov_b64 s[12:13], -1
	s_mov_b64 s[34:35], 0
	s_cmp_eq_u64 s[14:15], 0
	s_mov_b64 s[8:9], 0
	s_mov_b64 s[30:31], -1
	s_waitcnt lgkmcnt(0)
	s_barrier
                                        ; implicit-def: $vgpr48
	s_cbranch_scc1 .LBB132_205
; %bb.189:                              ;   in Loop: Header=BB132_18 Depth=1
	v_readlane_b32 s8, v69, 20
	s_add_u32 s40, s14, s8
	v_readlane_b32 s8, v69, 22
	s_addc_u32 s9, s15, s8
	s_mov_b32 s8, s77
	s_cmp_lg_u64 s[8:9], 0
	s_cbranch_scc0 .LBB132_248
; %bb.190:                              ;   in Loop: Header=BB132_18 Depth=1
	v_cvt_f32_u32_e32 v6, s70
	s_sub_u32 s8, 0, s70
	s_subb_u32 s38, 0, 0
	v_fmac_f32_e32 v6, 0, v45
	v_rcp_f32_e32 v6, v6
	s_nop 0
	v_mul_f32_e32 v6, 0x5f7ffffc, v6
	v_mul_f32_e32 v7, 0x2f800000, v6
	v_trunc_f32_e32 v7, v7
	v_fmac_f32_e32 v6, 0xcf800000, v7
	v_cvt_u32_f32_e32 v7, v7
	v_cvt_u32_f32_e32 v6, v6
	v_readfirstlane_b32 s39, v7
	v_readfirstlane_b32 s30, v6
	s_mul_i32 s31, s8, s39
	s_mul_hi_u32 s42, s8, s30
	s_mul_i32 s41, s38, s30
	s_add_i32 s31, s42, s31
	s_mul_i32 s43, s8, s30
	s_add_i32 s31, s31, s41
	s_mul_hi_u32 s42, s30, s43
	s_mul_i32 s44, s30, s31
	s_mul_hi_u32 s41, s30, s31
	s_add_u32 s42, s42, s44
	s_addc_u32 s41, 0, s41
	s_mul_hi_u32 s45, s39, s43
	s_mul_i32 s43, s39, s43
	s_add_u32 s42, s42, s43
	s_mul_hi_u32 s44, s39, s31
	s_addc_u32 s41, s41, s45
	s_addc_u32 s42, s44, 0
	s_mul_i32 s31, s39, s31
	s_add_u32 s31, s41, s31
	s_addc_u32 s41, 0, s42
	s_add_u32 s42, s30, s31
	s_cselect_b64 s[30:31], -1, 0
	s_cmp_lg_u64 s[30:31], 0
	s_addc_u32 s39, s39, s41
	s_mul_i32 s30, s8, s39
	s_mul_hi_u32 s31, s8, s42
	s_add_i32 s30, s31, s30
	s_mul_i32 s38, s38, s42
	s_add_i32 s30, s30, s38
	s_mul_i32 s8, s8, s42
	s_mul_hi_u32 s38, s39, s8
	s_mul_i32 s41, s39, s8
	s_mul_i32 s44, s42, s30
	s_mul_hi_u32 s8, s42, s8
	s_mul_hi_u32 s43, s42, s30
	s_add_u32 s8, s8, s44
	s_addc_u32 s43, 0, s43
	s_add_u32 s8, s8, s41
	s_mul_hi_u32 s31, s39, s30
	s_addc_u32 s8, s43, s38
	s_addc_u32 s31, s31, 0
	s_mul_i32 s30, s39, s30
	s_add_u32 s8, s8, s30
	s_addc_u32 s38, 0, s31
	s_add_u32 s8, s42, s8
	s_cselect_b64 s[30:31], -1, 0
	s_cmp_lg_u64 s[30:31], 0
	s_addc_u32 s30, s39, s38
	s_mul_i32 s38, s40, s30
	s_mul_hi_u32 s39, s40, s8
	s_mul_hi_u32 s31, s40, s30
	s_add_u32 s38, s39, s38
	s_addc_u32 s31, 0, s31
	s_mul_hi_u32 s41, s9, s8
	s_mul_i32 s8, s9, s8
	s_add_u32 s8, s38, s8
	s_mul_hi_u32 s39, s9, s30
	s_addc_u32 s8, s31, s41
	s_addc_u32 s31, s39, 0
	s_mul_i32 s30, s9, s30
	s_add_u32 s8, s8, s30
	s_addc_u32 s30, 0, s31
	s_mul_i32 s30, s70, s30
	s_mul_hi_u32 s31, s70, s8
	s_add_i32 s38, s31, s30
	s_mul_i32 s8, s70, s8
	s_sub_u32 s8, s40, s8
	s_cselect_b64 s[30:31], -1, 0
	s_cmp_lg_u64 s[30:31], 0
	s_subb_u32 s38, s9, s38
	s_sub_u32 s39, s8, s70
	s_cselect_b64 s[30:31], -1, 0
	s_cmp_lg_u64 s[30:31], 0
	s_subb_u32 s41, s38, 0
	;; [unrolled: 4-line block ×3, first 2 shown]
	s_cmp_ge_u32 s39, s70
	s_cselect_b32 s31, -1, 0
	s_cmp_eq_u32 s41, 0
	s_cselect_b32 s31, s31, -1
	s_cmp_lg_u32 s31, 0
	s_cselect_b32 s30, s30, s41
	s_cselect_b32 s39, s42, s39
	s_cmp_ge_u32 s8, s70
	s_cselect_b32 s31, -1, 0
	s_cmp_eq_u32 s38, 0
	s_cselect_b32 s31, s31, -1
	s_cmp_lg_u32 s31, 0
	s_cselect_b32 s31, s30, s38
	s_cselect_b32 s30, s39, s8
	s_cbranch_execnz .LBB132_192
.LBB132_191:                            ;   in Loop: Header=BB132_18 Depth=1
	v_cvt_f32_u32_e32 v6, s70
	s_sub_i32 s8, 0, s70
	v_rcp_iflag_f32_e32 v6, v6
	s_nop 0
	v_mul_f32_e32 v6, 0x4f7ffffe, v6
	v_cvt_u32_f32_e32 v6, v6
	s_nop 0
	v_readfirstlane_b32 s30, v6
	s_mul_i32 s8, s8, s30
	s_mul_hi_u32 s8, s30, s8
	s_add_i32 s30, s30, s8
	s_mul_hi_u32 s8, s40, s30
	s_mul_i32 s8, s8, s70
	s_sub_i32 s8, s40, s8
	s_sub_i32 s30, s8, s70
	s_cmp_ge_u32 s8, s70
	s_cselect_b32 s8, s30, s8
	s_sub_i32 s30, s8, s70
	s_cmp_ge_u32 s8, s70
	s_cselect_b32 s76, s30, s8
	s_mov_b64 s[30:31], s[76:77]
.LBB132_192:                            ;   in Loop: Header=BB132_18 Depth=1
	s_sub_u32 s40, s40, s30
	s_subb_u32 s41, s9, s31
	v_cmp_gt_u64_e32 vcc, s[40:41], v[0:1]
	s_mov_b64 s[30:31], 0
	s_mov_b64 s[8:9], 0
                                        ; implicit-def: $vgpr48
	s_and_saveexec_b64 s[38:39], vcc
	s_cbranch_execz .LBB132_204
; %bb.193:                              ;   in Loop: Header=BB132_18 Depth=1
	v_mov_b32_e32 v8, v37
	v_mov_b64_e32 v[6:7], v[0:1]
                                        ; implicit-def: $sgpr42_sgpr43
	s_branch .LBB132_197
.LBB132_194:                            ;   in Loop: Header=BB132_197 Depth=2
	s_or_b64 exec, exec, s[44:45]
	s_waitcnt lgkmcnt(0)
	s_barrier
	ds_read_b32 v9, v3 offset:3072
	s_waitcnt lgkmcnt(0)
	s_barrier
	v_cmp_neq_f16_e32 vcc, 0, v9
	s_cbranch_vccnz .LBB132_200
; %bb.195:                              ;   in Loop: Header=BB132_197 Depth=2
	v_lshl_add_u64 v[6:7], v[6:7], 0, s[70:71]
	v_cmp_le_u64_e32 vcc, s[40:41], v[6:7]
	v_add_u32_e32 v8, s85, v8
	s_mov_b64 s[44:45], 0
	s_orn2_b64 s[46:47], vcc, exec
.LBB132_196:                            ;   in Loop: Header=BB132_197 Depth=2
	s_and_b64 s[46:47], exec, s[46:47]
	s_or_b64 s[8:9], s[46:47], s[8:9]
	s_andn2_b64 s[42:43], s[42:43], exec
	s_and_b64 s[44:45], s[44:45], exec
	s_or_b64 s[42:43], s[42:43], s[44:45]
	s_andn2_b64 exec, exec, s[8:9]
	s_cbranch_execz .LBB132_203
.LBB132_197:                            ;   Parent Loop BB132_18 Depth=1
                                        ; =>  This Inner Loop Header: Depth=2
	v_cmp_gt_u64_e32 vcc, s[14:15], v[6:7]
	s_and_saveexec_b64 s[44:45], vcc
	s_cbranch_execz .LBB132_194
; %bb.198:                              ;   in Loop: Header=BB132_197 Depth=2
	ds_read_u16 v9, v8
	s_waitcnt lgkmcnt(0)
	v_cmp_lt_i16_e32 vcc, -1, v9
	s_nop 1
	v_cndmask_b32_e32 v10, v43, v44, vcc
	v_xor_b32_sdwa v10, v10, v9 dst_sel:DWORD dst_unused:UNUSED_PAD src0_sel:DWORD src1_sel:WORD_0
	v_cmp_o_f16_e32 vcc, v9, v9
	s_nop 1
	v_cndmask_b32_e32 v10, v43, v10, vcc
	v_and_b32_e32 v10, v10, v47
	v_cmp_eq_u32_e32 vcc, v10, v41
	s_and_b64 exec, exec, vcc
	s_cbranch_execz .LBB132_194
; %bb.199:                              ;   in Loop: Header=BB132_197 Depth=2
	v_perm_b32 v9, v9, s49, v46
	ds_write_b32 v3, v9 offset:3072
	s_branch .LBB132_194
.LBB132_200:                            ;   in Loop: Header=BB132_197 Depth=2
	s_mov_b64 s[46:47], -1
                                        ; implicit-def: $vgpr6_vgpr7
                                        ; implicit-def: $vgpr8
	s_mov_b64 s[44:45], -1
	s_branch .LBB132_196
.LBB132_201:                            ;   in Loop: Header=BB132_18 Depth=1
                                        ; implicit-def: $sgpr26_sgpr27
	s_branch .LBB132_140
.LBB132_202:                            ;   in Loop: Header=BB132_18 Depth=1
                                        ; implicit-def: $sgpr0_sgpr1
	s_branch .LBB132_160
.LBB132_203:                            ;   in Loop: Header=BB132_18 Depth=1
	s_or_b64 exec, exec, s[8:9]
	v_lshrrev_b32_e32 v48, 16, v9
	s_and_b64 s[8:9], s[42:43], exec
.LBB132_204:                            ;   in Loop: Header=BB132_18 Depth=1
	s_or_b64 exec, exec, s[38:39]
.LBB132_205:                            ;   in Loop: Header=BB132_18 Depth=1
	s_and_b64 vcc, exec, s[30:31]
	s_cbranch_vccz .LBB132_220
; %bb.206:                              ;   in Loop: Header=BB132_18 Depth=1
	s_mov_b32 s82, s77
	s_cmp_lg_u64 s[82:83], 0
	s_cbranch_scc0 .LBB132_249
; %bb.207:                              ;   in Loop: Header=BB132_18 Depth=1
	v_cvt_f32_u32_e32 v6, s70
	s_sub_u32 s14, 0, s70
	s_subb_u32 s15, 0, 0
	v_fmac_f32_e32 v6, 0, v45
	v_rcp_f32_e32 v6, v6
	s_nop 0
	v_mul_f32_e32 v6, 0x5f7ffffc, v6
	v_mul_f32_e32 v7, 0x2f800000, v6
	v_trunc_f32_e32 v7, v7
	v_fmac_f32_e32 v6, 0xcf800000, v7
	v_cvt_u32_f32_e32 v7, v7
	v_cvt_u32_f32_e32 v6, v6
	v_readfirstlane_b32 s30, v7
	v_readfirstlane_b32 s12, v6
	s_mul_i32 s13, s14, s30
	s_mul_hi_u32 s34, s14, s12
	s_mul_i32 s31, s15, s12
	s_add_i32 s13, s34, s13
	s_mul_i32 s35, s14, s12
	s_add_i32 s13, s13, s31
	s_mul_hi_u32 s34, s12, s35
	s_mul_i32 s38, s12, s13
	s_mul_hi_u32 s31, s12, s13
	s_add_u32 s34, s34, s38
	s_addc_u32 s31, 0, s31
	s_mul_hi_u32 s39, s30, s35
	s_mul_i32 s35, s30, s35
	s_add_u32 s34, s34, s35
	s_mul_hi_u32 s38, s30, s13
	s_addc_u32 s31, s31, s39
	s_addc_u32 s34, s38, 0
	s_mul_i32 s13, s30, s13
	s_add_u32 s13, s31, s13
	s_addc_u32 s31, 0, s34
	s_add_u32 s34, s12, s13
	s_cselect_b64 s[12:13], -1, 0
	s_cmp_lg_u64 s[12:13], 0
	s_addc_u32 s30, s30, s31
	s_mul_i32 s12, s14, s30
	s_mul_hi_u32 s13, s14, s34
	s_add_i32 s12, s13, s12
	s_mul_i32 s15, s15, s34
	s_add_i32 s12, s12, s15
	s_mul_i32 s14, s14, s34
	s_mul_hi_u32 s15, s30, s14
	s_mul_i32 s31, s30, s14
	s_mul_i32 s38, s34, s12
	s_mul_hi_u32 s14, s34, s14
	s_mul_hi_u32 s35, s34, s12
	s_add_u32 s14, s14, s38
	s_addc_u32 s35, 0, s35
	s_add_u32 s14, s14, s31
	s_mul_hi_u32 s13, s30, s12
	s_addc_u32 s14, s35, s15
	s_addc_u32 s13, s13, 0
	s_mul_i32 s12, s30, s12
	s_add_u32 s12, s14, s12
	s_addc_u32 s14, 0, s13
	s_add_u32 s15, s34, s12
	s_cselect_b64 s[12:13], -1, 0
	s_cmp_lg_u64 s[12:13], 0
	s_addc_u32 s12, s30, s14
	v_readlane_b32 s34, v69, 21
	s_mul_i32 s14, s34, s12
	s_mul_hi_u32 s30, s34, s15
	s_mul_hi_u32 s13, s34, s12
	s_add_u32 s14, s30, s14
	s_addc_u32 s13, 0, s13
	s_mul_hi_u32 s31, s83, s15
	s_mul_i32 s15, s83, s15
	s_add_u32 s14, s14, s15
	s_mul_hi_u32 s30, s83, s12
	s_addc_u32 s13, s13, s31
	s_addc_u32 s14, s30, 0
	s_mul_i32 s12, s83, s12
	s_add_u32 s12, s13, s12
	s_addc_u32 s13, 0, s14
	s_mul_i32 s13, s70, s13
	s_mul_hi_u32 s14, s70, s12
	s_add_i32 s14, s14, s13
	s_mul_i32 s12, s70, s12
	s_sub_u32 s15, s34, s12
	s_cselect_b64 s[12:13], -1, 0
	s_cmp_lg_u64 s[12:13], 0
	s_subb_u32 s14, s83, s14
	s_sub_u32 s30, s15, s70
	s_cselect_b64 s[12:13], -1, 0
	s_cmp_lg_u64 s[12:13], 0
	s_subb_u32 s31, s14, 0
	;; [unrolled: 4-line block ×3, first 2 shown]
	s_cmp_ge_u32 s30, s70
	s_cselect_b32 s13, -1, 0
	s_cmp_eq_u32 s31, 0
	s_cselect_b32 s13, s13, -1
	s_cmp_lg_u32 s13, 0
	s_cselect_b32 s12, s12, s31
	s_cselect_b32 s30, s34, s30
	s_cmp_ge_u32 s15, s70
	s_cselect_b32 s13, -1, 0
	s_cmp_eq_u32 s14, 0
	s_cselect_b32 s13, s13, -1
	s_cmp_lg_u32 s13, 0
	s_cselect_b32 s13, s12, s14
	s_cselect_b32 s12, s30, s15
	s_cbranch_execnz .LBB132_209
.LBB132_208:                            ;   in Loop: Header=BB132_18 Depth=1
	v_cvt_f32_u32_e32 v6, s70
	s_sub_i32 s12, 0, s70
	v_readlane_b32 s14, v69, 21
	v_rcp_iflag_f32_e32 v6, v6
	s_nop 0
	v_mul_f32_e32 v6, 0x4f7ffffe, v6
	v_cvt_u32_f32_e32 v6, v6
	s_nop 0
	v_readfirstlane_b32 s13, v6
	s_mul_i32 s12, s12, s13
	s_mul_hi_u32 s12, s13, s12
	s_add_i32 s13, s13, s12
	s_mul_hi_u32 s12, s14, s13
	s_mul_i32 s12, s12, s70
	s_sub_i32 s12, s14, s12
	s_sub_i32 s13, s12, s70
	s_cmp_ge_u32 s12, s70
	s_cselect_b32 s12, s13, s12
	s_sub_i32 s13, s12, s70
	s_cmp_ge_u32 s12, s70
	s_cselect_b32 s76, s13, s12
	s_mov_b64 s[12:13], s[76:77]
.LBB132_209:                            ;   in Loop: Header=BB132_18 Depth=1
	v_readlane_b32 s14, v69, 21
	s_sub_u32 s14, s14, s12
	s_subb_u32 s15, s83, s13
	v_cmp_gt_u64_e32 vcc, s[14:15], v[0:1]
                                        ; implicit-def: $vgpr48
	s_and_saveexec_b64 s[12:13], vcc
	s_cbranch_execz .LBB132_219
; %bb.210:                              ;   in Loop: Header=BB132_18 Depth=1
	s_mov_b64 s[30:31], 0
	v_mov_b64_e32 v[6:7], v[12:13]
	v_mov_b64_e32 v[8:9], v[0:1]
                                        ; implicit-def: $sgpr34_sgpr35
	s_branch .LBB132_214
.LBB132_211:                            ;   in Loop: Header=BB132_214 Depth=2
	s_or_b64 exec, exec, s[38:39]
	s_waitcnt lgkmcnt(0)
	s_barrier
	ds_read_b32 v10, v3 offset:3072
	s_waitcnt lgkmcnt(0)
	s_barrier
	v_cmp_eq_f16_e32 vcc, 0, v10
	s_cbranch_vccz .LBB132_217
; %bb.212:                              ;   in Loop: Header=BB132_214 Depth=2
	v_lshl_add_u64 v[8:9], v[8:9], 0, s[70:71]
	v_cmp_le_u64_e32 vcc, s[14:15], v[8:9]
	v_lshl_add_u64 v[6:7], v[6:7], 0, s[74:75]
	s_mov_b64 s[38:39], 0
	s_orn2_b64 s[40:41], vcc, exec
.LBB132_213:                            ;   in Loop: Header=BB132_214 Depth=2
	s_and_b64 s[40:41], exec, s[40:41]
	s_or_b64 s[30:31], s[40:41], s[30:31]
	s_andn2_b64 s[34:35], s[34:35], exec
	s_and_b64 s[38:39], s[38:39], exec
	s_or_b64 s[34:35], s[34:35], s[38:39]
	s_andn2_b64 exec, exec, s[30:31]
	s_cbranch_execz .LBB132_218
.LBB132_214:                            ;   Parent Loop BB132_18 Depth=1
                                        ; =>  This Inner Loop Header: Depth=2
	v_cmp_gt_u64_e32 vcc, s[56:57], v[8:9]
	s_and_saveexec_b64 s[38:39], vcc
	s_cbranch_execz .LBB132_211
; %bb.215:                              ;   in Loop: Header=BB132_214 Depth=2
	global_load_ushort v10, v[6:7], off
	s_waitcnt vmcnt(0)
	v_cmp_lt_i16_e32 vcc, -1, v10
	s_nop 1
	v_cndmask_b32_e32 v11, v43, v44, vcc
	v_xor_b32_sdwa v11, v11, v10 dst_sel:DWORD dst_unused:UNUSED_PAD src0_sel:DWORD src1_sel:WORD_0
	v_cmp_o_f16_e32 vcc, v10, v10
	s_nop 1
	v_cndmask_b32_e32 v11, v43, v11, vcc
	v_and_b32_e32 v11, v11, v47
	v_cmp_eq_u32_e32 vcc, v11, v41
	s_and_b64 exec, exec, vcc
	s_cbranch_execz .LBB132_211
; %bb.216:                              ;   in Loop: Header=BB132_214 Depth=2
	v_perm_b32 v10, v10, s49, v46
	ds_write_b32 v3, v10 offset:3072
	s_branch .LBB132_211
.LBB132_217:                            ;   in Loop: Header=BB132_214 Depth=2
	s_mov_b64 s[40:41], -1
                                        ; implicit-def: $vgpr8_vgpr9
                                        ; implicit-def: $vgpr6_vgpr7
	s_mov_b64 s[38:39], -1
	s_branch .LBB132_213
.LBB132_218:                            ;   in Loop: Header=BB132_18 Depth=1
	s_or_b64 exec, exec, s[30:31]
	s_andn2_b64 s[8:9], s[8:9], exec
	s_and_b64 s[14:15], s[34:35], exec
	v_lshrrev_b32_e32 v48, 16, v10
	s_or_b64 s[8:9], s[8:9], s[14:15]
.LBB132_219:                            ;   in Loop: Header=BB132_18 Depth=1
	s_or_b64 exec, exec, s[12:13]
	s_mov_b64 s[12:13], 0
	s_mov_b64 s[34:35], -1
.LBB132_220:                            ;   in Loop: Header=BB132_18 Depth=1
	s_orn2_b64 s[8:9], s[8:9], exec
.LBB132_221:                            ;   in Loop: Header=BB132_18 Depth=1
	s_or_b64 exec, exec, s[36:37]
	s_mov_b64 s[14:15], 0
	s_and_saveexec_b64 s[36:37], s[8:9]
	s_cbranch_execz .LBB132_281
; %bb.222:                              ;   in Loop: Header=BB132_18 Depth=1
	s_xor_b64 s[10:11], s[10:11], -1
	v_mov_b32_e32 v2, 1
	s_mov_b64 s[30:31], 0
	v_mov_b64_e32 v[6:7], 1
	s_and_saveexec_b64 s[8:9], s[10:11]
	s_cbranch_execz .LBB132_231
; %bb.223:                              ;   in Loop: Header=BB132_18 Depth=1
	v_cmp_ge_u64_e32 vcc, s[22:23], v[4:5]
	s_and_saveexec_b64 s[10:11], vcc
	s_xor_b64 s[10:11], exec, s[10:11]
	s_cbranch_execz .LBB132_228
; %bb.224:                              ;   in Loop: Header=BB132_18 Depth=1
	ds_read_b64 v[6:7], v3 offset:5120
	v_and_b32_e32 v2, s48, v41
	v_lshl_or_b32 v41, 2, s6, v2
	v_or_b32_e32 v47, s54, v47
	s_waitcnt lgkmcnt(0)
	v_cmp_ne_u64_e32 vcc, 0, v[6:7]
	s_cbranch_vccnz .LBB132_228
; %bb.225:                              ;   in Loop: Header=BB132_18 Depth=1
	s_mov_b64 s[14:15], exec
	v_readlane_b32 s30, v69, 12
	v_readlane_b32 s31, v69, 13
	s_and_b64 s[30:31], s[14:15], s[30:31]
	s_mov_b64 exec, s[30:31]
; %bb.226:                              ;   in Loop: Header=BB132_18 Depth=1
	v_mov_b64_e32 v[6:7], s[22:23]
	ds_write_b64 v3, v[6:7] offset:5128
; %bb.227:                              ;   in Loop: Header=BB132_18 Depth=1
	s_or_b64 exec, exec, s[14:15]
	s_waitcnt lgkmcnt(0)
	s_barrier
.LBB132_228:                            ;   in Loop: Header=BB132_18 Depth=1
	s_or_saveexec_b64 s[10:11], s[10:11]
	s_mov_b64 s[14:15], 0
	v_mov_b32_e32 v2, 8
	s_xor_b64 exec, exec, s[10:11]
; %bb.229:                              ;   in Loop: Header=BB132_18 Depth=1
	v_mov_b32_e32 v2, s23
	v_subrev_co_u32_e32 v4, vcc, s22, v4
	s_mov_b64 s[14:15], exec
	s_nop 0
	v_subb_co_u32_e32 v5, vcc, v5, v2, vcc
	v_mov_b32_e32 v2, 0
; %bb.230:                              ;   in Loop: Header=BB132_18 Depth=1
	s_or_b64 exec, exec, s[10:11]
	s_and_b64 s[30:31], s[14:15], exec
	v_mov_b64_e32 v[6:7], v[4:5]
.LBB132_231:                            ;   in Loop: Header=BB132_18 Depth=1
	s_or_b64 exec, exec, s[8:9]
	s_mov_b64 s[22:23], -1
                                        ; implicit-def: $sgpr14_sgpr15
                                        ; implicit-def: $sgpr8_sgpr9
	s_and_saveexec_b64 s[10:11], s[30:31]
	s_cbranch_execz .LBB132_280
; %bb.232:                              ;   in Loop: Header=BB132_18 Depth=1
	s_cmp_eq_u64 s[2:3], 1
	s_cselect_b64 s[8:9], -1, 0
	v_cmp_eq_u64_e32 vcc, 1, v[6:7]
	s_and_b64 s[22:23], s[8:9], vcc
	s_mov_b64 s[40:41], -1
                                        ; implicit-def: $sgpr14_sgpr15
                                        ; implicit-def: $sgpr8_sgpr9
	s_and_saveexec_b64 s[38:39], s[22:23]
	s_cbranch_execz .LBB132_268
; %bb.233:                              ;   in Loop: Header=BB132_18 Depth=1
	ds_read_b64 v[4:5], v3 offset:5120
	s_waitcnt lgkmcnt(0)
	s_barrier
	v_readfirstlane_b32 s40, v4
	v_readfirstlane_b32 s41, v5
	s_mov_b64 s[8:9], exec
	v_readlane_b32 s14, v69, 14
	v_readlane_b32 s15, v69, 15
	s_and_b64 s[14:15], s[8:9], s[14:15]
	s_mov_b64 exec, s[14:15]
; %bb.234:                              ;   in Loop: Header=BB132_18 Depth=1
	ds_write_b16 v38, v3
; %bb.235:                              ;   in Loop: Header=BB132_18 Depth=1
	s_or_b64 exec, exec, s[8:9]
	v_or_b32_e32 v41, s54, v41
	v_or_b32_e32 v47, s54, v47
	s_mov_b64 s[8:9], -1
	s_mov_b64 s[14:15], 0
	s_cmp_eq_u64 s[40:41], 0
	s_mov_b64 s[30:31], 0
	s_mov_b64 s[42:43], -1
	s_waitcnt lgkmcnt(0)
	s_barrier
                                        ; implicit-def: $vgpr48
	s_cbranch_scc1 .LBB132_252
; %bb.236:                              ;   in Loop: Header=BB132_18 Depth=1
	v_readlane_b32 s30, v69, 20
	s_add_u32 s46, s40, s30
	v_readlane_b32 s30, v69, 22
	s_addc_u32 s31, s41, s30
	s_mov_b32 s30, s77
	s_movk_i32 s82, 0x3c00
	s_cmp_lg_u64 s[30:31], 0
	s_cbranch_scc0 .LBB132_287
; %bb.237:                              ;   in Loop: Header=BB132_18 Depth=1
	v_cvt_f32_u32_e32 v4, s70
	s_sub_u32 s30, 0, s70
	s_subb_u32 s44, 0, 0
	v_fmac_f32_e32 v4, 0, v45
	v_rcp_f32_e32 v4, v4
	s_nop 0
	v_mul_f32_e32 v4, 0x5f7ffffc, v4
	v_mul_f32_e32 v5, 0x2f800000, v4
	v_trunc_f32_e32 v5, v5
	v_fmac_f32_e32 v4, 0xcf800000, v5
	v_cvt_u32_f32_e32 v5, v5
	v_cvt_u32_f32_e32 v4, v4
	v_readfirstlane_b32 s45, v5
	v_readfirstlane_b32 s42, v4
	s_mul_i32 s43, s30, s45
	s_mul_hi_u32 s48, s30, s42
	s_mul_i32 s47, s44, s42
	s_add_i32 s43, s48, s43
	s_mul_i32 s49, s30, s42
	s_add_i32 s43, s43, s47
	s_mul_hi_u32 s48, s42, s49
	s_mul_i32 s50, s42, s43
	s_mul_hi_u32 s47, s42, s43
	s_add_u32 s48, s48, s50
	s_addc_u32 s47, 0, s47
	s_mul_hi_u32 s51, s45, s49
	s_mul_i32 s49, s45, s49
	s_add_u32 s48, s48, s49
	s_mul_hi_u32 s50, s45, s43
	s_addc_u32 s47, s47, s51
	s_addc_u32 s48, s50, 0
	s_mul_i32 s43, s45, s43
	s_add_u32 s43, s47, s43
	s_addc_u32 s47, 0, s48
	s_add_u32 s48, s42, s43
	s_cselect_b64 s[42:43], -1, 0
	s_cmp_lg_u64 s[42:43], 0
	s_addc_u32 s45, s45, s47
	s_mul_i32 s42, s30, s45
	s_mul_hi_u32 s43, s30, s48
	s_add_i32 s42, s43, s42
	s_mul_i32 s44, s44, s48
	s_add_i32 s42, s42, s44
	s_mul_i32 s30, s30, s48
	s_mul_hi_u32 s44, s45, s30
	s_mul_i32 s47, s45, s30
	s_mul_i32 s50, s48, s42
	s_mul_hi_u32 s30, s48, s30
	s_mul_hi_u32 s49, s48, s42
	s_add_u32 s30, s30, s50
	s_addc_u32 s49, 0, s49
	s_add_u32 s30, s30, s47
	s_mul_hi_u32 s43, s45, s42
	s_addc_u32 s30, s49, s44
	s_addc_u32 s43, s43, 0
	s_mul_i32 s42, s45, s42
	s_add_u32 s30, s30, s42
	s_addc_u32 s44, 0, s43
	s_add_u32 s30, s48, s30
	s_cselect_b64 s[42:43], -1, 0
	s_cmp_lg_u64 s[42:43], 0
	s_addc_u32 s42, s45, s44
	s_mul_i32 s44, s46, s42
	s_mul_hi_u32 s45, s46, s30
	s_mul_hi_u32 s43, s46, s42
	s_add_u32 s44, s45, s44
	s_addc_u32 s43, 0, s43
	s_mul_hi_u32 s47, s31, s30
	s_mul_i32 s30, s31, s30
	s_add_u32 s30, s44, s30
	s_mul_hi_u32 s45, s31, s42
	s_addc_u32 s30, s43, s47
	s_addc_u32 s43, s45, 0
	s_mul_i32 s42, s31, s42
	s_add_u32 s30, s30, s42
	s_addc_u32 s42, 0, s43
	s_mul_i32 s42, s70, s42
	s_mul_hi_u32 s43, s70, s30
	s_add_i32 s44, s43, s42
	s_mul_i32 s30, s70, s30
	s_sub_u32 s30, s46, s30
	s_cselect_b64 s[42:43], -1, 0
	s_cmp_lg_u64 s[42:43], 0
	s_subb_u32 s44, s31, s44
	s_sub_u32 s45, s30, s70
	s_cselect_b64 s[42:43], -1, 0
	s_cmp_lg_u64 s[42:43], 0
	s_subb_u32 s47, s44, 0
	;; [unrolled: 4-line block ×3, first 2 shown]
	s_cmp_ge_u32 s45, s70
	s_cselect_b32 s43, -1, 0
	s_cmp_eq_u32 s47, 0
	s_cselect_b32 s43, s43, -1
	s_cmp_lg_u32 s43, 0
	s_cselect_b32 s42, s42, s47
	s_cselect_b32 s45, s48, s45
	s_cmp_ge_u32 s30, s70
	s_cselect_b32 s43, -1, 0
	s_cmp_eq_u32 s44, 0
	s_cselect_b32 s43, s43, -1
	s_cmp_lg_u32 s43, 0
	s_cselect_b32 s43, s42, s44
	s_cselect_b32 s42, s45, s30
	s_cbranch_execnz .LBB132_239
.LBB132_238:                            ;   in Loop: Header=BB132_18 Depth=1
	v_cvt_f32_u32_e32 v4, s70
	s_sub_i32 s30, 0, s70
	v_rcp_iflag_f32_e32 v4, v4
	s_nop 0
	v_mul_f32_e32 v4, 0x4f7ffffe, v4
	v_cvt_u32_f32_e32 v4, v4
	s_nop 0
	v_readfirstlane_b32 s42, v4
	s_mul_i32 s30, s30, s42
	s_mul_hi_u32 s30, s42, s30
	s_add_i32 s42, s42, s30
	s_mul_hi_u32 s30, s46, s42
	s_mul_i32 s30, s30, s70
	s_sub_i32 s30, s46, s30
	s_sub_i32 s42, s30, s70
	s_cmp_ge_u32 s30, s70
	s_cselect_b32 s30, s42, s30
	s_sub_i32 s42, s30, s70
	s_cmp_ge_u32 s30, s70
	s_cselect_b32 s76, s42, s30
	s_mov_b64 s[42:43], s[76:77]
.LBB132_239:                            ;   in Loop: Header=BB132_18 Depth=1
	s_sub_u32 s46, s46, s42
	s_subb_u32 s47, s31, s43
	v_cmp_gt_u64_e32 vcc, s[46:47], v[0:1]
	s_mov_b64 s[42:43], 0
	s_mov_b64 s[30:31], 0
                                        ; implicit-def: $vgpr48
	s_and_saveexec_b64 s[44:45], vcc
	s_cbranch_execz .LBB132_251
; %bb.240:                              ;   in Loop: Header=BB132_18 Depth=1
	v_mov_b32_e32 v8, v37
	v_mov_b64_e32 v[4:5], v[0:1]
                                        ; implicit-def: $sgpr48_sgpr49
	s_branch .LBB132_244
.LBB132_241:                            ;   in Loop: Header=BB132_244 Depth=2
	s_or_b64 exec, exec, s[50:51]
	s_waitcnt lgkmcnt(0)
	s_barrier
	ds_read_b32 v9, v3 offset:3072
	s_waitcnt lgkmcnt(0)
	s_barrier
	v_cmp_neq_f16_e32 vcc, 0, v9
	s_cbranch_vccnz .LBB132_247
; %bb.242:                              ;   in Loop: Header=BB132_244 Depth=2
	v_lshl_add_u64 v[4:5], v[4:5], 0, s[70:71]
	v_cmp_le_u64_e32 vcc, s[46:47], v[4:5]
	v_add_u32_e32 v8, s85, v8
	s_mov_b64 s[50:51], 0
	s_orn2_b64 s[52:53], vcc, exec
.LBB132_243:                            ;   in Loop: Header=BB132_244 Depth=2
	s_and_b64 s[52:53], exec, s[52:53]
	s_or_b64 s[30:31], s[52:53], s[30:31]
	s_andn2_b64 s[48:49], s[48:49], exec
	s_and_b64 s[50:51], s[50:51], exec
	s_or_b64 s[48:49], s[48:49], s[50:51]
	s_andn2_b64 exec, exec, s[30:31]
	s_cbranch_execz .LBB132_250
.LBB132_244:                            ;   Parent Loop BB132_18 Depth=1
                                        ; =>  This Inner Loop Header: Depth=2
	v_cmp_gt_u64_e32 vcc, s[40:41], v[4:5]
	s_and_saveexec_b64 s[50:51], vcc
	s_cbranch_execz .LBB132_241
; %bb.245:                              ;   in Loop: Header=BB132_244 Depth=2
	ds_read_u16 v9, v8
	s_waitcnt lgkmcnt(0)
	v_cmp_lt_i16_e32 vcc, -1, v9
	s_nop 1
	v_cndmask_b32_e32 v10, v43, v44, vcc
	v_xor_b32_sdwa v10, v10, v9 dst_sel:DWORD dst_unused:UNUSED_PAD src0_sel:DWORD src1_sel:WORD_0
	v_cmp_o_f16_e32 vcc, v9, v9
	s_nop 1
	v_cndmask_b32_e32 v10, v43, v10, vcc
	v_and_b32_e32 v10, v10, v47
	v_cmp_eq_u32_e32 vcc, v10, v41
	s_and_b64 exec, exec, vcc
	s_cbranch_execz .LBB132_241
; %bb.246:                              ;   in Loop: Header=BB132_244 Depth=2
	v_perm_b32 v9, v9, s82, v46
	ds_write_b32 v3, v9 offset:3072
	s_branch .LBB132_241
.LBB132_247:                            ;   in Loop: Header=BB132_244 Depth=2
	s_mov_b64 s[52:53], -1
                                        ; implicit-def: $vgpr4_vgpr5
                                        ; implicit-def: $vgpr8
	s_mov_b64 s[50:51], -1
	s_branch .LBB132_243
.LBB132_248:                            ;   in Loop: Header=BB132_18 Depth=1
                                        ; implicit-def: $sgpr30_sgpr31
	s_branch .LBB132_191
.LBB132_249:                            ;   in Loop: Header=BB132_18 Depth=1
                                        ; implicit-def: $sgpr12_sgpr13
	s_branch .LBB132_208
.LBB132_250:                            ;   in Loop: Header=BB132_18 Depth=1
	s_or_b64 exec, exec, s[30:31]
	v_lshrrev_b32_e32 v48, 16, v9
	s_and_b64 s[30:31], s[48:49], exec
	v_readlane_b32 s52, v69, 41
	s_mov_b32 s53, 0x5040100
.LBB132_251:                            ;   in Loop: Header=BB132_18 Depth=1
	s_or_b64 exec, exec, s[44:45]
	s_movk_i32 s49, 0x3c00
.LBB132_252:                            ;   in Loop: Header=BB132_18 Depth=1
	s_and_b64 vcc, exec, s[42:43]
	s_cbranch_vccz .LBB132_267
; %bb.253:                              ;   in Loop: Header=BB132_18 Depth=1
	s_mov_b32 s82, s77
	s_cmp_lg_u64 s[82:83], 0
	s_cbranch_scc0 .LBB132_288
; %bb.254:                              ;   in Loop: Header=BB132_18 Depth=1
	v_cvt_f32_u32_e32 v4, s70
	s_sub_u32 s14, 0, s70
	s_subb_u32 s15, 0, 0
	v_fmac_f32_e32 v4, 0, v45
	v_rcp_f32_e32 v4, v4
	s_nop 0
	v_mul_f32_e32 v4, 0x5f7ffffc, v4
	v_mul_f32_e32 v5, 0x2f800000, v4
	v_trunc_f32_e32 v5, v5
	v_fmac_f32_e32 v4, 0xcf800000, v5
	v_cvt_u32_f32_e32 v5, v5
	v_cvt_u32_f32_e32 v4, v4
	v_readfirstlane_b32 s40, v5
	v_readfirstlane_b32 s8, v4
	s_mul_i32 s9, s14, s40
	s_mul_hi_u32 s42, s14, s8
	s_mul_i32 s41, s15, s8
	s_add_i32 s9, s42, s9
	s_mul_i32 s43, s14, s8
	s_add_i32 s9, s9, s41
	s_mul_hi_u32 s42, s8, s43
	s_mul_i32 s44, s8, s9
	s_mul_hi_u32 s41, s8, s9
	s_add_u32 s42, s42, s44
	s_addc_u32 s41, 0, s41
	s_mul_hi_u32 s45, s40, s43
	s_mul_i32 s43, s40, s43
	s_add_u32 s42, s42, s43
	s_mul_hi_u32 s44, s40, s9
	s_addc_u32 s41, s41, s45
	s_addc_u32 s42, s44, 0
	s_mul_i32 s9, s40, s9
	s_add_u32 s9, s41, s9
	s_addc_u32 s41, 0, s42
	s_add_u32 s42, s8, s9
	s_cselect_b64 s[8:9], -1, 0
	s_cmp_lg_u64 s[8:9], 0
	s_addc_u32 s40, s40, s41
	s_mul_i32 s8, s14, s40
	s_mul_hi_u32 s9, s14, s42
	s_add_i32 s8, s9, s8
	s_mul_i32 s15, s15, s42
	s_add_i32 s8, s8, s15
	s_mul_i32 s14, s14, s42
	s_mul_hi_u32 s15, s40, s14
	s_mul_i32 s41, s40, s14
	s_mul_i32 s44, s42, s8
	s_mul_hi_u32 s14, s42, s14
	s_mul_hi_u32 s43, s42, s8
	s_add_u32 s14, s14, s44
	s_addc_u32 s43, 0, s43
	s_add_u32 s14, s14, s41
	s_mul_hi_u32 s9, s40, s8
	s_addc_u32 s14, s43, s15
	s_addc_u32 s9, s9, 0
	s_mul_i32 s8, s40, s8
	s_add_u32 s8, s14, s8
	s_addc_u32 s14, 0, s9
	s_add_u32 s15, s42, s8
	s_cselect_b64 s[8:9], -1, 0
	s_cmp_lg_u64 s[8:9], 0
	s_addc_u32 s8, s40, s14
	v_readlane_b32 s42, v69, 21
	s_mul_i32 s14, s42, s8
	s_mul_hi_u32 s40, s42, s15
	s_mul_hi_u32 s9, s42, s8
	s_add_u32 s14, s40, s14
	s_addc_u32 s9, 0, s9
	s_mul_hi_u32 s41, s83, s15
	s_mul_i32 s15, s83, s15
	s_add_u32 s14, s14, s15
	s_mul_hi_u32 s40, s83, s8
	s_addc_u32 s9, s9, s41
	s_addc_u32 s14, s40, 0
	s_mul_i32 s8, s83, s8
	s_add_u32 s8, s9, s8
	s_addc_u32 s9, 0, s14
	s_mul_i32 s9, s70, s9
	s_mul_hi_u32 s14, s70, s8
	s_add_i32 s14, s14, s9
	s_mul_i32 s8, s70, s8
	s_sub_u32 s15, s42, s8
	s_cselect_b64 s[8:9], -1, 0
	s_cmp_lg_u64 s[8:9], 0
	s_subb_u32 s14, s83, s14
	s_sub_u32 s40, s15, s70
	s_cselect_b64 s[8:9], -1, 0
	s_cmp_lg_u64 s[8:9], 0
	s_subb_u32 s41, s14, 0
	;; [unrolled: 4-line block ×3, first 2 shown]
	s_cmp_ge_u32 s40, s70
	s_cselect_b32 s9, -1, 0
	s_cmp_eq_u32 s41, 0
	s_cselect_b32 s9, s9, -1
	s_cmp_lg_u32 s9, 0
	s_cselect_b32 s8, s8, s41
	s_cselect_b32 s40, s42, s40
	s_cmp_ge_u32 s15, s70
	s_cselect_b32 s9, -1, 0
	s_cmp_eq_u32 s14, 0
	s_cselect_b32 s9, s9, -1
	s_cmp_lg_u32 s9, 0
	s_cselect_b32 s9, s8, s14
	s_cselect_b32 s8, s40, s15
	s_cbranch_execnz .LBB132_256
.LBB132_255:                            ;   in Loop: Header=BB132_18 Depth=1
	v_cvt_f32_u32_e32 v4, s70
	s_sub_i32 s8, 0, s70
	v_readlane_b32 s14, v69, 21
	v_rcp_iflag_f32_e32 v4, v4
	s_nop 0
	v_mul_f32_e32 v4, 0x4f7ffffe, v4
	v_cvt_u32_f32_e32 v4, v4
	s_nop 0
	v_readfirstlane_b32 s9, v4
	s_mul_i32 s8, s8, s9
	s_mul_hi_u32 s8, s9, s8
	s_add_i32 s9, s9, s8
	s_mul_hi_u32 s8, s14, s9
	s_mul_i32 s8, s8, s70
	s_sub_i32 s8, s14, s8
	s_sub_i32 s9, s8, s70
	s_cmp_ge_u32 s8, s70
	s_cselect_b32 s8, s9, s8
	s_sub_i32 s9, s8, s70
	s_cmp_ge_u32 s8, s70
	s_cselect_b32 s76, s9, s8
	s_mov_b64 s[8:9], s[76:77]
.LBB132_256:                            ;   in Loop: Header=BB132_18 Depth=1
	v_readlane_b32 s14, v69, 21
	s_sub_u32 s14, s14, s8
	s_subb_u32 s15, s83, s9
	v_cmp_gt_u64_e32 vcc, s[14:15], v[0:1]
                                        ; implicit-def: $vgpr48
	s_and_saveexec_b64 s[8:9], vcc
	s_cbranch_execz .LBB132_266
; %bb.257:                              ;   in Loop: Header=BB132_18 Depth=1
	s_mov_b64 s[40:41], 0
	v_mov_b64_e32 v[4:5], v[12:13]
	v_mov_b64_e32 v[8:9], v[0:1]
                                        ; implicit-def: $sgpr42_sgpr43
	s_branch .LBB132_261
.LBB132_258:                            ;   in Loop: Header=BB132_261 Depth=2
	s_or_b64 exec, exec, s[44:45]
	s_waitcnt lgkmcnt(0)
	s_barrier
	ds_read_b32 v10, v3 offset:3072
	s_waitcnt lgkmcnt(0)
	s_barrier
	v_cmp_eq_f16_e32 vcc, 0, v10
	s_cbranch_vccz .LBB132_264
; %bb.259:                              ;   in Loop: Header=BB132_261 Depth=2
	v_lshl_add_u64 v[8:9], v[8:9], 0, s[70:71]
	v_cmp_le_u64_e32 vcc, s[14:15], v[8:9]
	v_lshl_add_u64 v[4:5], v[4:5], 0, s[74:75]
	s_mov_b64 s[44:45], 0
	s_orn2_b64 s[46:47], vcc, exec
.LBB132_260:                            ;   in Loop: Header=BB132_261 Depth=2
	s_and_b64 s[46:47], exec, s[46:47]
	s_or_b64 s[40:41], s[46:47], s[40:41]
	s_andn2_b64 s[42:43], s[42:43], exec
	s_and_b64 s[44:45], s[44:45], exec
	s_or_b64 s[42:43], s[42:43], s[44:45]
	s_andn2_b64 exec, exec, s[40:41]
	s_cbranch_execz .LBB132_265
.LBB132_261:                            ;   Parent Loop BB132_18 Depth=1
                                        ; =>  This Inner Loop Header: Depth=2
	v_cmp_gt_u64_e32 vcc, s[56:57], v[8:9]
	s_and_saveexec_b64 s[44:45], vcc
	s_cbranch_execz .LBB132_258
; %bb.262:                              ;   in Loop: Header=BB132_261 Depth=2
	global_load_ushort v10, v[4:5], off
	s_waitcnt vmcnt(0)
	v_cmp_lt_i16_e32 vcc, -1, v10
	s_nop 1
	v_cndmask_b32_e32 v11, v43, v44, vcc
	v_xor_b32_sdwa v11, v11, v10 dst_sel:DWORD dst_unused:UNUSED_PAD src0_sel:DWORD src1_sel:WORD_0
	v_cmp_o_f16_e32 vcc, v10, v10
	s_nop 1
	v_cndmask_b32_e32 v11, v43, v11, vcc
	v_and_b32_e32 v11, v11, v47
	v_cmp_eq_u32_e32 vcc, v11, v41
	s_and_b64 exec, exec, vcc
	s_cbranch_execz .LBB132_258
; %bb.263:                              ;   in Loop: Header=BB132_261 Depth=2
	v_perm_b32 v10, v10, s49, v46
	ds_write_b32 v3, v10 offset:3072
	s_branch .LBB132_258
.LBB132_264:                            ;   in Loop: Header=BB132_261 Depth=2
	s_mov_b64 s[46:47], -1
                                        ; implicit-def: $vgpr8_vgpr9
                                        ; implicit-def: $vgpr4_vgpr5
	s_mov_b64 s[44:45], -1
	s_branch .LBB132_260
.LBB132_265:                            ;   in Loop: Header=BB132_18 Depth=1
	s_or_b64 exec, exec, s[40:41]
	s_andn2_b64 s[14:15], s[30:31], exec
	s_and_b64 s[30:31], s[42:43], exec
	v_lshrrev_b32_e32 v48, 16, v10
	s_or_b64 s[30:31], s[14:15], s[30:31]
.LBB132_266:                            ;   in Loop: Header=BB132_18 Depth=1
	s_or_b64 exec, exec, s[8:9]
	s_mov_b64 s[8:9], 0
	s_mov_b64 s[14:15], -1
.LBB132_267:                            ;   in Loop: Header=BB132_18 Depth=1
	s_orn2_b64 s[40:41], s[30:31], exec
.LBB132_268:                            ;   in Loop: Header=BB132_18 Depth=1
	s_or_b64 exec, exec, s[38:39]
	s_mov_b64 s[38:39], 0
	s_and_saveexec_b64 s[30:31], s[40:41]
	s_cbranch_execz .LBB132_279
; %bb.269:                              ;   in Loop: Header=BB132_18 Depth=1
	s_xor_b64 s[38:39], s[22:23], -1
	v_mov_b64_e32 v[4:5], 1
	v_mov_b32_e32 v2, 1
	s_and_saveexec_b64 s[22:23], s[38:39]
	s_cbranch_execz .LBB132_278
; %bb.270:                              ;   in Loop: Header=BB132_18 Depth=1
	v_cmp_ge_u64_e32 vcc, s[2:3], v[6:7]
	s_and_saveexec_b64 s[38:39], vcc
	s_xor_b64 s[38:39], exec, s[38:39]
	s_cbranch_execz .LBB132_275
; %bb.271:                              ;   in Loop: Header=BB132_18 Depth=1
	ds_read_b64 v[4:5], v3 offset:5120
	v_or_b32_e32 v41, s54, v41
	v_or_b32_e32 v47, s54, v47
	s_waitcnt lgkmcnt(0)
	v_cmp_ne_u64_e32 vcc, 0, v[4:5]
	s_cbranch_vccnz .LBB132_275
; %bb.272:                              ;   in Loop: Header=BB132_18 Depth=1
	s_mov_b64 s[40:41], exec
	v_readlane_b32 s42, v69, 12
	v_readlane_b32 s43, v69, 13
	s_and_b64 s[42:43], s[40:41], s[42:43]
	s_mov_b64 exec, s[42:43]
; %bb.273:                              ;   in Loop: Header=BB132_18 Depth=1
	v_mov_b64_e32 v[4:5], s[2:3]
	ds_write_b64 v3, v[4:5] offset:5128
; %bb.274:                              ;   in Loop: Header=BB132_18 Depth=1
	s_or_b64 exec, exec, s[40:41]
	s_waitcnt lgkmcnt(0)
	s_barrier
.LBB132_275:                            ;   in Loop: Header=BB132_18 Depth=1
	s_andn2_saveexec_b64 s[38:39], s[38:39]
; %bb.276:                              ;   in Loop: Header=BB132_18 Depth=1
	v_mov_b32_e32 v2, s3
	v_subrev_co_u32_e32 v6, vcc, s2, v6
	s_nop 1
	v_subb_co_u32_e32 v7, vcc, v7, v2, vcc
; %bb.277:                              ;   in Loop: Header=BB132_18 Depth=1
	s_or_b64 exec, exec, s[38:39]
	v_mov_b32_e32 v2, 8
	v_mov_b64_e32 v[4:5], v[6:7]
.LBB132_278:                            ;   in Loop: Header=BB132_18 Depth=1
	s_or_b64 exec, exec, s[22:23]
	s_mov_b64 s[38:39], exec
	v_mov_b64_e32 v[6:7], v[4:5]
.LBB132_279:                            ;   in Loop: Header=BB132_18 Depth=1
	s_or_b64 exec, exec, s[30:31]
	s_orn2_b64 s[22:23], s[38:39], exec
.LBB132_280:                            ;   in Loop: Header=BB132_18 Depth=1
	s_or_b64 exec, exec, s[10:11]
	s_andn2_b64 s[2:3], s[34:35], exec
	s_and_b64 s[10:11], s[14:15], exec
	s_or_b64 s[34:35], s[2:3], s[10:11]
	s_andn2_b64 s[2:3], s[12:13], exec
	s_and_b64 s[8:9], s[8:9], exec
	s_or_b64 s[12:13], s[2:3], s[8:9]
	s_and_b64 s[14:15], s[22:23], exec
	v_mov_b64_e32 v[4:5], v[6:7]
.LBB132_281:                            ;   in Loop: Header=BB132_18 Depth=1
	s_or_b64 exec, exec, s[36:37]
	s_orn2_b64 s[8:9], s[14:15], exec
.LBB132_282:                            ;   in Loop: Header=BB132_18 Depth=1
	s_or_b64 exec, exec, s[28:29]
	s_andn2_b64 s[2:3], s[24:25], exec
	s_and_b64 s[10:11], s[34:35], exec
	s_or_b64 s[24:25], s[2:3], s[10:11]
	s_andn2_b64 s[0:1], s[0:1], exec
	s_and_b64 s[2:3], s[12:13], exec
	s_or_b64 s[0:1], s[0:1], s[2:3]
	s_and_b64 s[12:13], s[8:9], exec
	v_mov_b64_e32 v[8:9], v[4:5]
.LBB132_283:                            ;   in Loop: Header=BB132_18 Depth=1
	s_or_b64 exec, exec, s[26:27]
	s_orn2_b64 s[8:9], s[12:13], exec
.LBB132_284:                            ;   in Loop: Header=BB132_18 Depth=1
	s_or_b64 exec, exec, s[20:21]
	s_mov_b64 s[10:11], 0
	s_and_saveexec_b64 s[2:3], s[8:9]
	s_xor_b64 s[2:3], exec, s[2:3]
	s_cbranch_execz .LBB132_16
; %bb.285:                              ;   in Loop: Header=BB132_18 Depth=1
	v_and_b32_e32 v2, 7, v2
	v_cmp_eq_u32_e32 vcc, 0, v2
	s_mov_b64 s[8:9], -1
	s_mov_b64 s[10:11], -1
	s_and_saveexec_b64 s[12:13], vcc
	s_cbranch_execz .LBB132_15
; %bb.286:                              ;   in Loop: Header=BB132_18 Depth=1
	s_xor_b32 s7, s7, 1
	s_add_i32 s14, s6, -2
	s_cmp_eq_u32 s6, 0
	s_cselect_b64 s[8:9], -1, 0
	s_xor_b64 s[10:11], exec, -1
	s_orn2_b64 s[8:9], s[8:9], exec
	s_mov_b32 s6, s14
	s_branch .LBB132_15
.LBB132_287:                            ;   in Loop: Header=BB132_18 Depth=1
                                        ; implicit-def: $sgpr42_sgpr43
	s_branch .LBB132_238
.LBB132_288:                            ;   in Loop: Header=BB132_18 Depth=1
                                        ; implicit-def: $sgpr8_sgpr9
	s_branch .LBB132_255
.LBB132_289:
	s_or_b64 exec, exec, s[94:95]
	s_xor_b64 s[4:5], s[58:59], -1
	s_xor_b64 s[2:3], s[96:97], -1
	s_xor_b64 s[6:7], s[98:99], -1
	s_mov_b64 s[0:1], 0
	s_and_saveexec_b64 s[8:9], s[2:3]
	s_xor_b64 s[2:3], exec, s[8:9]
	s_cbranch_execnz .LBB132_294
; %bb.290:
	s_andn2_saveexec_b64 s[2:3], s[2:3]
	s_cbranch_execnz .LBB132_307
.LBB132_291:
	s_or_b64 exec, exec, s[2:3]
	s_and_saveexec_b64 s[2:3], s[0:1]
.LBB132_292:
	; divergent unreachable
.LBB132_293:
	s_endpgm
.LBB132_294:
	s_and_saveexec_b64 s[0:1], s[4:5]
	s_xor_b64 s[4:5], exec, s[0:1]
	s_cbranch_execz .LBB132_305
; %bb.295:
	s_and_saveexec_b64 s[0:1], s[6:7]
	s_xor_b64 s[0:1], exec, s[0:1]
; %bb.296:
	v_and_b32_e32 v2, 0x8000, v41
	v_mov_b32_e32 v3, 0x8000
	v_mov_b32_e32 v4, 0xffff
	v_cmp_eq_u32_e32 vcc, 0, v2
	s_nop 1
	v_cndmask_b32_e32 v2, v3, v4, vcc
	v_xor_b32_e32 v48, v2, v41
; %bb.297:
	s_or_b64 exec, exec, s[0:1]
	v_readlane_b32 s0, v69, 8
	v_readlane_b32 s8, v69, 4
	;; [unrolled: 1-line block ×3, first 2 shown]
	s_mov_b32 s6, s0
	v_readlane_b32 s9, v69, 5
	s_mul_i32 s0, s9, s0
	s_mul_hi_u32 s1, s8, s6
	s_add_i32 s1, s1, s0
	s_mul_i32 s0, s8, s6
	s_lshl_b64 s[0:1], s[0:1], 1
	v_readlane_b32 s6, v69, 6
	v_readlane_b32 s7, v69, 7
	s_add_u32 s0, s6, s0
	s_addc_u32 s1, s7, s1
	v_mov_b32_e32 v2, 0
	global_store_short v2, v48, s[0:1]
	s_mov_b64 s[6:7], exec
	v_readlane_b32 s0, v69, 10
	v_readlane_b32 s1, v69, 11
	s_and_b64 s[0:1], s[6:7], s[0:1]
	s_mov_b64 exec, s[0:1]
	s_cbranch_execz .LBB132_304
; %bb.298:
	v_cmp_u_f16_e32 vcc, v48, v48
	s_mov_b64 s[8:9], 0
	s_xor_b64 s[12:13], vcc, -1
                                        ; implicit-def: $sgpr10_sgpr11
                                        ; implicit-def: $sgpr16_sgpr17
                                        ; implicit-def: $sgpr14_sgpr15
	s_branch .LBB132_300
.LBB132_299:                            ;   in Loop: Header=BB132_300 Depth=1
	s_or_b64 exec, exec, s[0:1]
	s_and_b64 s[0:1], exec, s[16:17]
	s_or_b64 s[8:9], s[0:1], s[8:9]
	s_andn2_b64 s[0:1], s[10:11], exec
	s_and_b64 s[10:11], s[14:15], exec
	s_or_b64 s[10:11], s[0:1], s[10:11]
	s_andn2_b64 exec, exec, s[8:9]
	s_cbranch_execz .LBB132_302
.LBB132_300:                            ; =>This Inner Loop Header: Depth=1
	global_load_ushort v4, v[12:13], off
	v_mov_b64_e32 v[2:3], v[0:1]
	s_or_b64 s[14:15], s[14:15], exec
	s_or_b64 s[16:17], s[16:17], exec
                                        ; implicit-def: $vgpr0_vgpr1
	s_waitcnt vmcnt(0)
	v_cmp_o_f16_e64 s[0:1], v4, v4
	v_cmp_neq_f16_e32 vcc, v4, v48
	s_or_b64 s[0:1], s[12:13], s[0:1]
	s_and_b64 s[18:19], vcc, s[0:1]
	s_and_saveexec_b64 s[0:1], s[18:19]
	s_cbranch_execz .LBB132_299
; %bb.301:                              ;   in Loop: Header=BB132_300 Depth=1
	v_lshl_add_u64 v[0:1], v[2:3], 0, s[70:71]
	v_cmp_le_u64_e32 vcc, s[56:57], v[0:1]
	s_andn2_b64 s[16:17], s[16:17], exec
	s_and_b64 s[18:19], vcc, exec
	v_lshl_add_u64 v[12:13], v[12:13], 0, s[74:75]
	s_andn2_b64 s[14:15], s[14:15], exec
	s_or_b64 s[16:17], s[16:17], s[18:19]
	s_branch .LBB132_299
.LBB132_302:
	s_or_b64 exec, exec, s[8:9]
	s_and_saveexec_b64 s[0:1], s[10:11]
	s_xor_b64 s[0:1], exec, s[0:1]
	s_cbranch_execz .LBB132_304
; %bb.303:
	v_readlane_b32 s0, v69, 8
	v_readlane_b32 s10, v69, 0
	;; [unrolled: 1-line block ×3, first 2 shown]
	s_mov_b32 s8, s0
	v_readlane_b32 s11, v69, 1
	s_mul_i32 s0, s11, s0
	s_mul_hi_u32 s1, s10, s8
	s_add_i32 s1, s1, s0
	s_mul_i32 s0, s10, s8
	s_lshl_b64 s[0:1], s[0:1], 3
	v_readlane_b32 s8, v69, 2
	v_readlane_b32 s9, v69, 3
	s_add_u32 s0, s8, s0
	s_addc_u32 s1, s9, s1
	v_mov_b32_e32 v0, 0
	global_store_dwordx2 v0, v[2:3], s[0:1]
.LBB132_304:
	s_or_b64 exec, exec, s[6:7]
.LBB132_305:
	s_or_saveexec_b64 s[0:1], s[4:5]
	s_mov_b64 s[4:5], 0
	s_xor_b64 exec, exec, s[0:1]
	s_cbranch_execnz .LBB132_308
.LBB132_306:
	s_or_b64 exec, exec, s[0:1]
	s_and_b64 s[0:1], s[4:5], exec
	s_andn2_saveexec_b64 s[2:3], s[2:3]
	s_cbranch_execz .LBB132_291
.LBB132_307:
	s_or_b64 s[0:1], s[0:1], exec
	s_trap 2
	s_or_b64 exec, exec, s[2:3]
	s_and_saveexec_b64 s[2:3], s[0:1]
	s_cbranch_execnz .LBB132_292
	s_branch .LBB132_293
.LBB132_308:
	s_mov_b64 s[4:5], exec
	s_trap 2
	s_branch .LBB132_306
	.section	.rodata,"a",@progbits
	.p2align	6, 0x0
	.amdhsa_kernel _ZN2at6native12_GLOBAL__N_112gatherMedianIN3c104HalfEmLi1EEEvNS_4cuda6detail10TensorInfoIT_T0_EENS7_IlS9_EENS7_IKS8_S9_EES9_S9_S9_b
		.amdhsa_group_segment_fixed_size 5152
		.amdhsa_private_segment_fixed_size 0
		.amdhsa_kernarg_size 1536
		.amdhsa_user_sgpr_count 2
		.amdhsa_user_sgpr_dispatch_ptr 0
		.amdhsa_user_sgpr_queue_ptr 0
		.amdhsa_user_sgpr_kernarg_segment_ptr 1
		.amdhsa_user_sgpr_dispatch_id 0
		.amdhsa_user_sgpr_kernarg_preload_length 0
		.amdhsa_user_sgpr_kernarg_preload_offset 0
		.amdhsa_user_sgpr_private_segment_size 0
		.amdhsa_uses_dynamic_stack 0
		.amdhsa_enable_private_segment 0
		.amdhsa_system_sgpr_workgroup_id_x 1
		.amdhsa_system_sgpr_workgroup_id_y 1
		.amdhsa_system_sgpr_workgroup_id_z 1
		.amdhsa_system_sgpr_workgroup_info 0
		.amdhsa_system_vgpr_workitem_id 0
		.amdhsa_next_free_vgpr 70
		.amdhsa_next_free_sgpr 100
		.amdhsa_accum_offset 72
		.amdhsa_reserve_vcc 1
		.amdhsa_float_round_mode_32 0
		.amdhsa_float_round_mode_16_64 0
		.amdhsa_float_denorm_mode_32 3
		.amdhsa_float_denorm_mode_16_64 3
		.amdhsa_dx10_clamp 1
		.amdhsa_ieee_mode 1
		.amdhsa_fp16_overflow 0
		.amdhsa_tg_split 0
		.amdhsa_exception_fp_ieee_invalid_op 0
		.amdhsa_exception_fp_denorm_src 0
		.amdhsa_exception_fp_ieee_div_zero 0
		.amdhsa_exception_fp_ieee_overflow 0
		.amdhsa_exception_fp_ieee_underflow 0
		.amdhsa_exception_fp_ieee_inexact 0
		.amdhsa_exception_int_div_zero 0
	.end_amdhsa_kernel
	.section	.text._ZN2at6native12_GLOBAL__N_112gatherMedianIN3c104HalfEmLi1EEEvNS_4cuda6detail10TensorInfoIT_T0_EENS7_IlS9_EENS7_IKS8_S9_EES9_S9_S9_b,"axG",@progbits,_ZN2at6native12_GLOBAL__N_112gatherMedianIN3c104HalfEmLi1EEEvNS_4cuda6detail10TensorInfoIT_T0_EENS7_IlS9_EENS7_IKS8_S9_EES9_S9_S9_b,comdat
.Lfunc_end132:
	.size	_ZN2at6native12_GLOBAL__N_112gatherMedianIN3c104HalfEmLi1EEEvNS_4cuda6detail10TensorInfoIT_T0_EENS7_IlS9_EENS7_IKS8_S9_EES9_S9_S9_b, .Lfunc_end132-_ZN2at6native12_GLOBAL__N_112gatherMedianIN3c104HalfEmLi1EEEvNS_4cuda6detail10TensorInfoIT_T0_EENS7_IlS9_EENS7_IKS8_S9_EES9_S9_S9_b
                                        ; -- End function
	.set _ZN2at6native12_GLOBAL__N_112gatherMedianIN3c104HalfEmLi1EEEvNS_4cuda6detail10TensorInfoIT_T0_EENS7_IlS9_EENS7_IKS8_S9_EES9_S9_S9_b.num_vgpr, 70
	.set _ZN2at6native12_GLOBAL__N_112gatherMedianIN3c104HalfEmLi1EEEvNS_4cuda6detail10TensorInfoIT_T0_EENS7_IlS9_EENS7_IKS8_S9_EES9_S9_S9_b.num_agpr, 0
	.set _ZN2at6native12_GLOBAL__N_112gatherMedianIN3c104HalfEmLi1EEEvNS_4cuda6detail10TensorInfoIT_T0_EENS7_IlS9_EENS7_IKS8_S9_EES9_S9_S9_b.numbered_sgpr, 100
	.set _ZN2at6native12_GLOBAL__N_112gatherMedianIN3c104HalfEmLi1EEEvNS_4cuda6detail10TensorInfoIT_T0_EENS7_IlS9_EENS7_IKS8_S9_EES9_S9_S9_b.num_named_barrier, 0
	.set _ZN2at6native12_GLOBAL__N_112gatherMedianIN3c104HalfEmLi1EEEvNS_4cuda6detail10TensorInfoIT_T0_EENS7_IlS9_EENS7_IKS8_S9_EES9_S9_S9_b.private_seg_size, 0
	.set _ZN2at6native12_GLOBAL__N_112gatherMedianIN3c104HalfEmLi1EEEvNS_4cuda6detail10TensorInfoIT_T0_EENS7_IlS9_EENS7_IKS8_S9_EES9_S9_S9_b.uses_vcc, 1
	.set _ZN2at6native12_GLOBAL__N_112gatherMedianIN3c104HalfEmLi1EEEvNS_4cuda6detail10TensorInfoIT_T0_EENS7_IlS9_EENS7_IKS8_S9_EES9_S9_S9_b.uses_flat_scratch, 0
	.set _ZN2at6native12_GLOBAL__N_112gatherMedianIN3c104HalfEmLi1EEEvNS_4cuda6detail10TensorInfoIT_T0_EENS7_IlS9_EENS7_IKS8_S9_EES9_S9_S9_b.has_dyn_sized_stack, 0
	.set _ZN2at6native12_GLOBAL__N_112gatherMedianIN3c104HalfEmLi1EEEvNS_4cuda6detail10TensorInfoIT_T0_EENS7_IlS9_EENS7_IKS8_S9_EES9_S9_S9_b.has_recursion, 0
	.set _ZN2at6native12_GLOBAL__N_112gatherMedianIN3c104HalfEmLi1EEEvNS_4cuda6detail10TensorInfoIT_T0_EENS7_IlS9_EENS7_IKS8_S9_EES9_S9_S9_b.has_indirect_call, 0
	.section	.AMDGPU.csdata,"",@progbits
; Kernel info:
; codeLenInByte = 16264
; TotalNumSgprs: 106
; NumVgprs: 70
; NumAgprs: 0
; TotalNumVgprs: 70
; ScratchSize: 0
; MemoryBound: 0
; FloatMode: 240
; IeeeMode: 1
; LDSByteSize: 5152 bytes/workgroup (compile time only)
; SGPRBlocks: 13
; VGPRBlocks: 8
; NumSGPRsForWavesPerEU: 106
; NumVGPRsForWavesPerEU: 70
; AccumOffset: 72
; Occupancy: 7
; WaveLimiterHint : 1
; COMPUTE_PGM_RSRC2:SCRATCH_EN: 0
; COMPUTE_PGM_RSRC2:USER_SGPR: 2
; COMPUTE_PGM_RSRC2:TRAP_HANDLER: 0
; COMPUTE_PGM_RSRC2:TGID_X_EN: 1
; COMPUTE_PGM_RSRC2:TGID_Y_EN: 1
; COMPUTE_PGM_RSRC2:TGID_Z_EN: 1
; COMPUTE_PGM_RSRC2:TIDIG_COMP_CNT: 0
; COMPUTE_PGM_RSRC3_GFX90A:ACCUM_OFFSET: 17
; COMPUTE_PGM_RSRC3_GFX90A:TG_SPLIT: 0
	.section	.text._ZN2at6native12_GLOBAL__N_112gatherMedianIN3c104HalfEmLi2EEEvNS_4cuda6detail10TensorInfoIT_T0_EENS7_IlS9_EENS7_IKS8_S9_EES9_S9_S9_b,"axG",@progbits,_ZN2at6native12_GLOBAL__N_112gatherMedianIN3c104HalfEmLi2EEEvNS_4cuda6detail10TensorInfoIT_T0_EENS7_IlS9_EENS7_IKS8_S9_EES9_S9_S9_b,comdat
	.globl	_ZN2at6native12_GLOBAL__N_112gatherMedianIN3c104HalfEmLi2EEEvNS_4cuda6detail10TensorInfoIT_T0_EENS7_IlS9_EENS7_IKS8_S9_EES9_S9_S9_b ; -- Begin function _ZN2at6native12_GLOBAL__N_112gatherMedianIN3c104HalfEmLi2EEEvNS_4cuda6detail10TensorInfoIT_T0_EENS7_IlS9_EENS7_IKS8_S9_EES9_S9_S9_b
	.p2align	8
	.type	_ZN2at6native12_GLOBAL__N_112gatherMedianIN3c104HalfEmLi2EEEvNS_4cuda6detail10TensorInfoIT_T0_EENS7_IlS9_EENS7_IKS8_S9_EES9_S9_S9_b,@function
_ZN2at6native12_GLOBAL__N_112gatherMedianIN3c104HalfEmLi2EEEvNS_4cuda6detail10TensorInfoIT_T0_EENS7_IlS9_EENS7_IKS8_S9_EES9_S9_S9_b: ; @_ZN2at6native12_GLOBAL__N_112gatherMedianIN3c104HalfEmLi2EEEvNS_4cuda6detail10TensorInfoIT_T0_EENS7_IlS9_EENS7_IKS8_S9_EES9_S9_S9_b
; %bb.0:
	s_load_dwordx2 s[10:11], s[0:1], 0x500
	s_load_dwordx4 s[56:59], s[0:1], 0x4e0
	s_add_u32 s12, s0, 0x500
	s_addc_u32 s13, s1, 0
	s_mov_b32 s19, 0
	s_waitcnt lgkmcnt(0)
	s_mul_i32 s4, s11, s4
	s_add_i32 s3, s4, s3
	s_mul_i32 s3, s3, s10
	s_add_i32 s18, s3, s2
	v_mov_b64_e32 v[2:3], s[18:19]
	v_cmp_le_u64_e32 vcc, s[58:59], v[2:3]
	s_cbranch_vccnz .LBB133_303
; %bb.1:
	s_load_dwordx2 s[20:21], s[0:1], 0x10
	s_load_dwordx2 s[72:73], s[0:1], 0x4f0
	;; [unrolled: 1-line block ×4, first 2 shown]
                                        ; implicit-def: $vgpr61 : SGPR spill to VGPR lane
	s_waitcnt lgkmcnt(0)
	v_mov_b64_e32 v[2:3], s[20:21]
	v_cmp_lt_u64_e32 vcc, s[18:19], v[2:3]
	s_and_b64 vcc, exec, vcc
	v_writelane_b32 v61, s4, 0
	s_nop 1
	v_writelane_b32 v61, s5, 1
	s_mov_b64 s[4:5], 0
	v_writelane_b32 v61, s4, 2
	s_nop 1
	v_writelane_b32 v61, s5, 3
	s_mov_b64 s[4:5], 0
	s_cbranch_vccnz .LBB133_3
; %bb.2:
	v_cvt_f32_u32_e32 v1, s20
	s_sub_i32 s3, 0, s20
	v_rcp_iflag_f32_e32 v1, v1
	s_nop 0
	v_mul_f32_e32 v1, 0x4f7ffffe, v1
	v_cvt_u32_f32_e32 v1, v1
	s_nop 0
	v_readfirstlane_b32 s4, v1
	s_mul_i32 s3, s3, s4
	s_mul_hi_u32 s3, s4, s3
	s_add_i32 s4, s4, s3
	s_mul_hi_u32 s3, s18, s4
	s_mul_i32 s5, s3, s20
	s_sub_i32 s5, s18, s5
	s_add_i32 s4, s3, 1
	s_sub_i32 s6, s5, s20
	s_cmp_ge_u32 s5, s20
	s_cselect_b32 s3, s4, s3
	s_cselect_b32 s5, s6, s5
	s_add_i32 s4, s3, 1
	s_cmp_ge_u32 s5, s20
	s_cselect_b32 s4, s4, s3
.LBB133_3:
	v_writelane_b32 v61, s4, 4
	s_nop 1
	v_writelane_b32 v61, s5, 5
	s_load_dwordx2 s[14:15], s[0:1], 0x340
	s_load_dwordx2 s[4:5], s[0:1], 0x1b0
	s_waitcnt lgkmcnt(0)
	v_mov_b64_e32 v[2:3], s[4:5]
	v_cmp_lt_u64_e32 vcc, s[18:19], v[2:3]
	s_cbranch_vccnz .LBB133_5
; %bb.4:
	s_load_dwordx2 s[16:17], s[0:1], 0x1b0
	s_waitcnt lgkmcnt(0)
	v_cvt_f32_u32_e32 v1, s16
	s_sub_i32 s3, 0, s16
	v_rcp_iflag_f32_e32 v1, v1
	s_nop 0
	v_mul_f32_e32 v1, 0x4f7ffffe, v1
	v_cvt_u32_f32_e32 v1, v1
	s_nop 0
	v_readfirstlane_b32 s4, v1
	s_mul_i32 s3, s3, s4
	s_mul_hi_u32 s3, s4, s3
	s_add_i32 s4, s4, s3
	s_mul_hi_u32 s3, s18, s4
	s_mul_i32 s5, s3, s16
	s_sub_i32 s5, s18, s5
	s_add_i32 s4, s3, 1
	s_sub_i32 s6, s5, s16
	s_cmp_ge_u32 s5, s16
	s_cselect_b32 s3, s4, s3
	s_cselect_b32 s5, s6, s5
	s_add_i32 s4, s3, 1
	s_cmp_ge_u32 s5, s16
	s_cselect_b32 s4, s4, s3
	v_writelane_b32 v61, s4, 2
	s_nop 1
	v_writelane_b32 v61, s5, 3
.LBB133_5:
	s_load_dwordx4 s[4:7], s[0:1], 0x410
	v_mov_b64_e32 v[2:3], s[8:9]
	v_cmp_lt_u64_e32 vcc, s[18:19], v[2:3]
	v_writelane_b32 v61, s20, 6
	s_mov_b64 s[16:17], 0
	s_nop 0
	v_writelane_b32 v61, s21, 7
	s_cbranch_vccnz .LBB133_7
; %bb.6:
	v_cvt_f32_u32_e32 v1, s8
	s_sub_i32 s3, 0, s8
	v_rcp_iflag_f32_e32 v1, v1
	s_nop 0
	v_mul_f32_e32 v1, 0x4f7ffffe, v1
	v_cvt_u32_f32_e32 v1, v1
	s_nop 0
	v_readfirstlane_b32 s11, v1
	s_mul_i32 s3, s3, s11
	s_mul_hi_u32 s3, s11, s3
	s_add_i32 s11, s11, s3
	s_mul_hi_u32 s3, s18, s11
	s_mul_i32 s16, s3, s8
	s_sub_i32 s16, s18, s16
	s_add_i32 s11, s3, 1
	s_sub_i32 s17, s16, s8
	s_cmp_ge_u32 s16, s8
	s_cselect_b32 s3, s11, s3
	s_cselect_b32 s16, s17, s16
	s_add_i32 s11, s3, 1
	s_cmp_ge_u32 s16, s8
	s_cselect_b32 s16, s11, s3
.LBB133_7:
	s_load_dwordx2 s[20:21], s[0:1], 0x1a0
	s_mul_i32 s3, s16, s9
	s_mul_hi_u32 s9, s16, s8
	s_add_i32 s9, s9, s3
	s_mul_i32 s3, s16, s8
	s_waitcnt lgkmcnt(0)
	v_writelane_b32 v61, s20, 8
	s_mov_b32 s8, s18
	s_sub_u32 s3, s18, s3
	v_writelane_b32 v61, s21, 9
	s_load_dwordx2 s[20:21], s[0:1], 0x0
	s_mul_i32 s7, s3, s7
	v_mov_b32_e32 v1, 0
	v_mov_b64_e32 v[2:3], 0
	s_waitcnt lgkmcnt(0)
	v_writelane_b32 v61, s20, 10
	s_nop 1
	v_writelane_b32 v61, s21, 11
	v_writelane_b32 v61, s8, 12
	s_nop 1
	v_writelane_b32 v61, s9, 13
	s_subb_u32 s8, 0, s9
	s_mul_hi_u32 s9, s3, s6
	s_mul_i32 s8, s8, s6
	s_mul_i32 s6, s3, s6
	;; [unrolled: 1-line block ×3, first 2 shown]
	s_mul_hi_u32 s5, s16, s4
	s_add_i32 s7, s9, s7
	s_add_i32 s5, s5, s3
	s_mul_i32 s4, s16, s4
	s_add_i32 s7, s7, s8
	s_lshl_b64 s[4:5], s[4:5], 1
	s_add_u32 s3, s14, s4
	s_addc_u32 s8, s15, s5
	s_lshl_b64 s[4:5], s[6:7], 1
	s_add_u32 s80, s3, s4
	s_addc_u32 s81, s8, s5
	v_cmp_gt_u64_e64 s[6:7], s[56:57], v[0:1]
	s_mov_b64 s[4:5], exec
	s_nop 0
	v_writelane_b32 v61, s6, 14
	s_nop 1
	v_writelane_b32 v61, s7, 15
	s_and_b64 s[6:7], s[4:5], s[6:7]
	s_mov_b64 exec, s[6:7]
	s_cbranch_execz .LBB133_11
; %bb.8:
	s_load_dword s3, s[12:13], 0xc
	s_mov_b32 s7, 0
	s_mov_b64 s[8:9], 0
	v_mov_b64_e32 v[2:3], 0
	v_mov_b64_e32 v[4:5], v[0:1]
	s_waitcnt lgkmcnt(0)
	s_and_b32 s6, s3, 0xffff
.LBB133_9:                              ; =>This Inner Loop Header: Depth=1
	v_mul_lo_u32 v8, v5, s72
	v_mul_lo_u32 v9, v4, s73
	v_mad_u64_u32 v[6:7], s[14:15], v4, s72, 0
	v_add3_u32 v7, v7, v9, v8
	v_lshl_add_u64 v[6:7], v[6:7], 1, s[80:81]
	global_load_ushort v6, v[6:7], off
	v_lshl_add_u64 v[4:5], v[4:5], 0, s[6:7]
	v_cmp_le_u64_e32 vcc, s[56:57], v[4:5]
	s_or_b64 s[8:9], vcc, s[8:9]
	v_mov_b32_e32 v7, s7
	s_waitcnt vmcnt(0)
	v_cmp_u_f16_e32 vcc, v6, v6
	s_nop 1
	v_cndmask_b32_e64 v6, 0, 1, vcc
	v_lshl_add_u64 v[2:3], v[2:3], 0, v[6:7]
	s_andn2_b64 exec, exec, s[8:9]
	s_cbranch_execnz .LBB133_9
; %bb.10:
	s_or_b64 exec, exec, s[8:9]
.LBB133_11:
	s_or_b64 exec, exec, s[4:5]
	s_load_dwordx4 s[4:7], s[0:1], 0x270
	s_waitcnt lgkmcnt(0)
	v_writelane_b32 v61, s4, 18
	s_nop 1
	v_writelane_b32 v61, s5, 19
	v_writelane_b32 v61, s6, 20
	;; [unrolled: 1-line block ×3, first 2 shown]
	s_load_dwordx4 s[4:7], s[0:1], 0xd0
	s_waitcnt lgkmcnt(0)
	v_writelane_b32 v61, s4, 22
	s_nop 1
	v_writelane_b32 v61, s5, 23
	v_writelane_b32 v61, s6, 24
	;; [unrolled: 1-line block ×3, first 2 shown]
	v_cmp_eq_u32_e64 s[6:7], 0, v0
	s_mov_b64 s[4:5], exec
	s_nop 0
	v_writelane_b32 v61, s6, 16
	s_nop 1
	v_writelane_b32 v61, s7, 17
	s_and_b64 s[6:7], s[4:5], s[6:7]
	s_mov_b64 exec, s[6:7]
; %bb.12:
	v_mov_b32_e32 v4, 0
	v_mov_b32_e32 v5, v4
	ds_write_b64 v4, v[4:5] offset:5136
; %bb.13:
	s_or_b64 exec, exec, s[4:5]
	s_mov_b64 s[6:7], 0
	v_cmp_ne_u64_e32 vcc, 0, v[2:3]
	s_waitcnt lgkmcnt(0)
	s_barrier
	s_and_saveexec_b64 s[4:5], vcc
	s_cbranch_execz .LBB133_18
; %bb.14:
	s_mov_b64 s[8:9], exec
.LBB133_15:                             ; =>This Inner Loop Header: Depth=1
	s_ff1_i32_b64 s3, s[8:9]
	v_readlane_b32 s14, v2, s3
	v_readlane_b32 s11, v3, s3
	s_add_u32 s6, s6, s14
	s_addc_u32 s7, s7, s11
	s_lshl_b64 s[14:15], 1, s3
	s_andn2_b64 s[8:9], s[8:9], s[14:15]
	s_cmp_lg_u64 s[8:9], 0
	s_cbranch_scc1 .LBB133_15
; %bb.16:
	v_mbcnt_lo_u32_b32 v2, exec_lo, 0
	v_mbcnt_hi_u32_b32 v2, exec_hi, v2
	v_cmp_eq_u32_e32 vcc, 0, v2
	s_and_saveexec_b64 s[8:9], vcc
	s_xor_b64 s[8:9], exec, s[8:9]
; %bb.17:
	v_mov_b32_e32 v2, 0
	v_mov_b64_e32 v[4:5], s[6:7]
	ds_add_u64 v2, v[4:5] offset:5136
.LBB133_18:
	s_or_b64 exec, exec, s[4:5]
	v_mov_b32_e32 v3, 0
	s_waitcnt lgkmcnt(0)
	s_barrier
	ds_read_b64 v[4:5], v3 offset:5136
	s_waitcnt lgkmcnt(0)
	v_readfirstlane_b32 s4, v4
	v_readfirstlane_b32 s5, v5
	s_mov_b64 s[6:7], exec
	v_readlane_b32 s8, v61, 16
	v_readlane_b32 s9, v61, 17
	s_and_b64 s[8:9], s[6:7], s[8:9]
	s_mov_b64 exec, s[8:9]
	s_cbranch_execz .LBB133_20
; %bb.19:
	v_mov_b32_e32 v4, 0
	v_mov_b32_e32 v6, s56
	v_mov_b32_e32 v7, s57
	v_mov_b32_e32 v5, v4
	ds_write_b32 v4, v4 offset:5144
	ds_write_b128 v4, v[4:7] offset:5120
.LBB133_20:
	s_or_b64 exec, exec, s[6:7]
	s_load_dword s3, s[0:1], 0x4f8
	v_cmp_lt_i64_e64 s[0:1], s[4:5], 1
	v_mbcnt_lo_u32_b32 v2, -1, 0
	v_mbcnt_hi_u32_b32 v28, -1, v2
	v_cmp_gt_u32_e32 vcc, 64, v0
	s_waitcnt lgkmcnt(0)
	s_bitcmp1_b32 s3, 0
	s_cselect_b64 s[6:7], -1, 0
	s_not_b64 s[4:5], s[4:5]
	s_or_b64 s[0:1], s[6:7], s[0:1]
	s_add_u32 s4, s56, s4
	s_addc_u32 s5, s57, s5
	s_lshr_b64 s[4:5], s[4:5], 1
	s_add_u32 s3, s4, 1
	s_addc_u32 s4, s5, 0
	s_and_b64 s[0:1], s[0:1], exec
	v_cmp_gt_i32_e64 s[0:1], 4, v28
	s_cselect_b32 s9, s4, s57
	s_cselect_b32 s8, s3, s56
	s_and_b64 s[98:99], vcc, s[0:1]
	v_cmp_gt_u32_e64 s[0:1], 2, v0
	v_mov_b64_e32 v[4:5], 0x600
	s_nop 0
	v_writelane_b32 v61, s0, 26
	s_barrier
	s_nop 0
	v_writelane_b32 v61, s1, 27
	v_cmp_gt_u64_e64 s[0:1], s[56:57], v[4:5]
	v_mov_b32_e32 v19, -1
	v_not_b32_e32 v18, v0
	v_writelane_b32 v61, s0, 28
	s_mov_b32 s87, 0
	v_lshlrev_b32_e32 v29, 1, v0
	v_writelane_b32 v61, s1, 29
	v_mad_u64_u32 v[4:5], s[0:1], s72, v0, 0
	v_mov_b32_e32 v2, v5
	v_mad_u64_u32 v[6:7], s[0:1], s73, v0, v[2:3]
	s_load_dword s0, s[12:13], 0xc
	v_lshlrev_b32_e32 v2, 2, v28
	v_and_b32_e32 v31, 0x100, v2
	v_lshrrev_b32_e32 v2, 1, v0
	v_mov_b32_e32 v5, v6
	s_waitcnt lgkmcnt(0)
	s_and_b32 s84, s0, 0xffff
	s_bfe_u32 s0, s0, 0xa0006
	v_and_b32_e32 v2, 0x1e0, v2
	v_lshl_add_u64 v[12:13], v[4:5], 1, s[80:81]
	v_lshlrev_b64 v[4:5], v28, -1
	s_cmp_gt_u32 s84, 63
	v_or_b32_e32 v32, 0xc00, v2
	v_add_u32_e32 v2, 2, v0
	v_not_b32_e32 v16, v4
	s_cselect_b64 s[6:7], -1, 0
	s_add_u32 s3, s84, -1
	v_mov_b32_e32 v4, s57
	v_cmp_gt_u64_e32 vcc, s[56:57], v[2:3]
	v_not_b32_e32 v17, v5
	v_writelane_b32 v61, s6, 30
	s_addc_u32 s1, 0, -1
	v_cndmask_b32_e32 v5, 0, v4, vcc
	v_mov_b32_e32 v4, s56
	v_writelane_b32 v61, s7, 31
	s_add_u32 s31, s3, s56
	v_cndmask_b32_e32 v4, v2, v4, vcc
	v_writelane_b32 v61, s3, 32
	s_addc_u32 s93, s1, s57
	v_lshl_add_u64 v[4:5], v[4:5], 0, v[18:19]
	v_writelane_b32 v61, s1, 33
	s_cmp_lt_u32 s2, s10
	v_cmp_lt_u64_e64 s[2:3], 3, v[4:5]
	s_cselect_b32 s1, 12, 18
	v_and_b32_e32 v20, -4, v4
	v_writelane_b32 v61, s2, 34
	v_mov_b32_e32 v21, v5
	s_add_u32 s76, s12, s1
	v_writelane_b32 v61, s3, 35
	v_cmp_ne_u64_e64 s[2:3], v[4:5], v[20:21]
	s_addc_u32 s77, s13, 0
	s_add_i32 s1, s0, -1
	v_writelane_b32 v61, s2, 36
	s_and_b32 s1, s1, 0xffff
	s_mov_b32 s92, s73
	v_writelane_b32 v61, s3, 37
	s_bfe_u32 s2, s84, 0x30006
	s_cmp_gt_u32 s1, 6
	s_cselect_b64 s[6:7], -1, 0
	v_writelane_b32 v61, s6, 38
	v_mov_b32_e32 v2, 0xc00
	v_cmp_eq_u32_e64 s[4:5], 0, v28
	v_writelane_b32 v61, s7, 39
	s_and_b32 s7, s0, 0x3f8
	s_cmp_lg_u32 s2, 0
	v_writelane_b32 v61, s2, 40
	s_cselect_b64 s[0:1], -1, 0
	v_writelane_b32 v61, s0, 41
	v_add_u32_e32 v30, 0xc00, v29
	v_lshlrev_b32_e32 v14, 2, v0
	v_writelane_b32 v61, s1, 42
	v_writelane_b32 v61, s76, 43
	v_mov_b32_e32 v15, v3
	s_mov_b32 s33, 0xffff
	v_writelane_b32 v61, s77, 44
	s_mov_b32 s85, s87
	v_lshl_add_u64 v[22:23], v[20:21], 0, v[0:1]
	s_mov_b32 s68, s72
	s_mov_b32 s30, s72
	;; [unrolled: 1-line block ×5, first 2 shown]
	v_lshlrev_b32_e32 v33, 3, v0
	v_lshl_or_b32 v34, v28, 3, v2
	s_lshl_b32 s69, s84, 1
	s_mov_b32 s90, 14
	s_mov_b64 s[74:75], 0
	v_mov_b64_e32 v[24:25], s[8:9]
	s_mov_b32 s96, 0x5040100
	v_mov_b64_e32 v[44:45], s[56:57]
	s_movk_i32 s6, 0x3c00
	v_mov_b32_e32 v35, 0xffff
	v_mov_b32_e32 v36, 0x8000
	;; [unrolled: 1-line block ×5, first 2 shown]
	s_mov_b32 s88, 0
	v_mov_b32_e32 v18, 0
	v_mov_b32_e32 v39, 0
	v_writelane_b32 v61, s92, 45
	s_mov_b32 s89, s73
                                        ; implicit-def: $sgpr60_sgpr61
                                        ; implicit-def: $sgpr82_sgpr83
                                        ; implicit-def: $sgpr62_sgpr63
                                        ; implicit-def: $sgpr12_sgpr13
                                        ; implicit-def: $sgpr10_sgpr11
                                        ; implicit-def: $sgpr70_sgpr71
	v_writelane_b32 v61, s94, 46
	s_branch .LBB133_24
.LBB133_21:                             ;   in Loop: Header=BB133_24 Depth=1
	s_or_b64 exec, exec, s[18:19]
	s_and_b64 s[14:15], s[14:15], exec
	s_andn2_b64 s[24:25], s[24:25], exec
	s_andn2_b64 s[0:1], s[0:1], exec
	s_orn2_b64 s[18:19], s[8:9], exec
.LBB133_22:                             ;   in Loop: Header=BB133_24 Depth=1
	s_or_b64 exec, exec, s[2:3]
	s_andn2_b64 s[2:3], s[70:71], exec
	s_and_b64 s[8:9], s[14:15], exec
	s_or_b64 s[70:71], s[2:3], s[8:9]
	s_andn2_b64 s[2:3], s[10:11], exec
	s_and_b64 s[8:9], s[24:25], exec
	s_or_b64 s[10:11], s[2:3], s[8:9]
	;; [unrolled: 3-line block ×3, first 2 shown]
	s_orn2_b64 s[0:1], s[18:19], exec
.LBB133_23:                             ;   in Loop: Header=BB133_24 Depth=1
	s_or_b64 exec, exec, s[16:17]
	s_and_b64 s[0:1], exec, s[0:1]
	s_or_b64 s[74:75], s[0:1], s[74:75]
	s_andn2_b64 s[0:1], s[62:63], exec
	s_and_b64 s[2:3], s[70:71], exec
	s_or_b64 s[62:63], s[0:1], s[2:3]
	s_andn2_b64 s[0:1], s[82:83], exec
	s_and_b64 s[2:3], s[10:11], exec
	;; [unrolled: 3-line block ×3, first 2 shown]
	s_or_b64 s[60:61], s[0:1], s[2:3]
	v_mov_b64_e32 v[24:25], v[8:9]
	s_andn2_b64 exec, exec, s[74:75]
	s_cbranch_execz .LBB133_299
.LBB133_24:                             ; =>This Loop Header: Depth=1
                                        ;     Child Loop BB133_29 Depth 2
                                        ;     Child Loop BB133_43 Depth 2
	;; [unrolled: 1-line block ×17, first 2 shown]
	ds_read_b128 v[4:7], v3 offset:5120
	s_waitcnt lgkmcnt(0)
	v_readfirstlane_b32 s65, v5
	v_readfirstlane_b32 s64, v4
	s_cmp_lg_u64 s[64:65], 0
	s_cbranch_scc1 .LBB133_56
; %bb.25:                               ;   in Loop: Header=BB133_24 Depth=1
	v_readlane_b32 s0, v61, 28
	v_readlane_b32 s1, v61, 29
	s_and_b64 vcc, exec, s[0:1]
	s_cbranch_vccz .LBB133_37
; %bb.26:                               ;   in Loop: Header=BB133_24 Depth=1
	s_mov_b64 s[0:1], 0x601
	v_cmp_gt_u64_e32 vcc, s[0:1], v[6:7]
	s_mov_b64 s[8:9], 0
	s_mov_b64 s[0:1], 0
	s_cbranch_vccz .LBB133_38
; %bb.27:                               ;   in Loop: Header=BB133_24 Depth=1
	global_load_ushort v2, v3, s[76:77]
	global_load_ushort v6, v[12:13], off
	s_mov_b64 s[14:15], 0
	v_mov_b64_e32 v[4:5], v[0:1]
	s_waitcnt vmcnt(1)
	v_and_b32_e32 v2, 0xffff, v2
	s_branch .LBB133_29
.LBB133_28:                             ;   in Loop: Header=BB133_29 Depth=2
	s_or_b64 exec, exec, s[2:3]
	v_mov_b32_e32 v6, v7
	s_andn2_b64 exec, exec, s[14:15]
	s_cbranch_execz .LBB133_117
.LBB133_29:                             ;   Parent Loop BB133_24 Depth=1
                                        ; =>  This Inner Loop Header: Depth=2
	v_lshl_add_u64 v[4:5], v[4:5], 0, v[2:3]
	v_cmp_gt_u64_e64 s[0:1], s[56:57], v[4:5]
	v_cmp_le_u64_e32 vcc, s[56:57], v[4:5]
	s_waitcnt lgkmcnt(0)
	v_mov_b32_e32 v8, 0
	v_mov_b32_e32 v7, 0
	s_and_saveexec_b64 s[2:3], s[0:1]
	s_cbranch_execz .LBB133_31
; %bb.30:                               ;   in Loop: Header=BB133_29 Depth=2
	v_mul_lo_u32 v7, v5, s72
	v_mul_lo_u32 v9, v4, s73
	v_mad_u64_u32 v[10:11], s[0:1], v4, s72, 0
	v_add3_u32 v11, v11, v9, v7
	v_lshl_add_u64 v[10:11], v[10:11], 1, s[80:81]
	global_load_ushort v7, v[10:11], off
.LBB133_31:                             ;   in Loop: Header=BB133_29 Depth=2
	s_or_b64 exec, exec, s[2:3]
	s_waitcnt vmcnt(0)
	v_cmp_lt_i16_e64 s[0:1], -1, v6
	s_nop 1
	v_cndmask_b32_e64 v9, v35, v36, s[0:1]
	v_xor_b32_sdwa v9, v9, v6 dst_sel:DWORD dst_unused:UNUSED_PAD src0_sel:DWORD src1_sel:WORD_0
	v_cmp_o_f16_e64 s[0:1], v6, v6
	s_nop 1
	v_cndmask_b32_e64 v9, v35, v9, s[0:1]
	v_and_b32_e32 v9, v9, v39
	v_cmp_eq_u32_e64 s[0:1], v9, v18
	s_cmp_lg_u64 s[0:1], 0
	s_cselect_b64 s[2:3], -1, 0
	s_and_b64 s[2:3], s[4:5], s[2:3]
	s_and_saveexec_b64 s[16:17], s[2:3]
	s_cbranch_execz .LBB133_35
; %bb.32:                               ;   in Loop: Header=BB133_29 Depth=2
	s_mov_b64 s[20:21], exec
	v_mbcnt_lo_u32_b32 v8, s20, 0
	v_mbcnt_hi_u32_b32 v8, s21, v8
	s_bcnt1_i32_b64 s22, s[0:1]
	v_cmp_eq_u32_e64 s[2:3], 0, v8
                                        ; implicit-def: $vgpr9
	s_and_saveexec_b64 s[18:19], s[2:3]
; %bb.33:                               ;   in Loop: Header=BB133_29 Depth=2
	s_bcnt1_i32_b64 s2, s[20:21]
	s_mul_i32 s2, s22, s2
	v_mov_b32_e32 v9, s2
	ds_add_rtn_u32 v9, v3, v9 offset:5144
; %bb.34:                               ;   in Loop: Header=BB133_29 Depth=2
	s_or_b64 exec, exec, s[18:19]
	s_waitcnt lgkmcnt(0)
	v_readfirstlane_b32 s2, v9
	s_nop 1
	v_mov_b32_e32 v9, s2
	v_mad_u32_u24 v8, s22, v8, v9
.LBB133_35:                             ;   in Loop: Header=BB133_29 Depth=2
	s_or_b64 exec, exec, s[16:17]
	ds_bpermute_b32 v8, v31, v8
	s_and_b64 s[2:3], exec, vcc
	s_or_b64 s[14:15], s[2:3], s[14:15]
	s_and_saveexec_b64 s[2:3], s[0:1]
	s_cbranch_execz .LBB133_28
; %bb.36:                               ;   in Loop: Header=BB133_29 Depth=2
	v_and_b32_e32 v10, s0, v16
	v_and_b32_e32 v9, s1, v17
	v_bcnt_u32_b32 v10, v10, 0
	v_bcnt_u32_b32 v9, v9, v10
	v_lshlrev_b32_e32 v9, 1, v9
	s_waitcnt lgkmcnt(0)
	v_lshl_add_u32 v8, v8, 1, v9
	ds_write_b16 v8, v6
	s_branch .LBB133_28
.LBB133_37:                             ;   in Loop: Header=BB133_24 Depth=1
	s_mov_b64 s[8:9], -1
	s_mov_b64 s[0:1], 0
.LBB133_38:                             ;   in Loop: Header=BB133_24 Depth=1
	s_and_b64 vcc, exec, s[8:9]
	s_cbranch_vccz .LBB133_54
.LBB133_39:                             ;   in Loop: Header=BB133_24 Depth=1
	s_mov_b64 s[0:1], exec
	v_readlane_b32 s2, v61, 14
	v_readlane_b32 s3, v61, 15
	s_and_b64 s[2:3], s[0:1], s[2:3]
	s_mov_b64 exec, s[2:3]
	s_cbranch_execz .LBB133_51
; %bb.40:                               ;   in Loop: Header=BB133_24 Depth=1
	global_load_ushort v2, v3, s[76:77]
	global_load_ushort v41, v[12:13], off
	v_mov_b32_e32 v4, v0
	s_waitcnt vmcnt(1)
	v_readfirstlane_b32 s8, v2
	v_add_u32_sdwa v2, v2, v0 dst_sel:DWORD dst_unused:UNUSED_PAD src0_sel:WORD_0 src1_sel:DWORD
	v_cmp_gt_u64_e32 vcc, s[56:57], v[2:3]
	s_and_saveexec_b64 s[2:3], vcc
	s_cbranch_execz .LBB133_50
; %bb.41:                               ;   in Loop: Header=BB133_24 Depth=1
	s_and_b32 s86, s8, 0xffff
	s_cmp_eq_u32 s86, 1
	v_readlane_b32 s14, v61, 34
	s_cselect_b64 s[8:9], -1, 0
	v_readlane_b32 s15, v61, 35
	s_and_b64 s[16:17], s[14:15], s[8:9]
	s_mov_b64 s[14:15], -1
	v_mov_b64_e32 v[8:9], v[0:1]
	v_mov_b64_e32 v[6:7], v[2:3]
                                        ; implicit-def: $vgpr4_vgpr5
	s_and_saveexec_b64 s[8:9], s[16:17]
	s_cbranch_execz .LBB133_45
; %bb.42:                               ;   in Loop: Header=BB133_24 Depth=1
	v_lshl_add_u64 v[8:9], v[2:3], 0, 3
	v_lshl_add_u64 v[6:7], v[2:3], 0, 2
	;; [unrolled: 1-line block ×3, first 2 shown]
	v_mov_b64_e32 v[10:11], v[8:9]
	s_waitcnt vmcnt(0)
	v_lshlrev_b32_e32 v43, 16, v41
	s_mov_b64 s[14:15], 0
	v_mov_b64_e32 v[26:27], v[20:21]
	v_mov_b32_e32 v42, v29
	v_mov_b64_e32 v[8:9], v[6:7]
	v_mov_b64_e32 v[6:7], v[4:5]
	;; [unrolled: 1-line block ×3, first 2 shown]
.LBB133_43:                             ;   Parent Loop BB133_24 Depth=1
                                        ; =>  This Inner Loop Header: Depth=2
	v_mul_lo_u32 v41, v11, s91
	v_mul_lo_u32 v54, v10, s95
	v_mad_u64_u32 v[46:47], s[16:17], v10, s91, 0
	v_mul_lo_u32 v55, v9, s30
	v_mul_lo_u32 v56, v8, s94
	v_mad_u64_u32 v[48:49], s[16:17], v8, s30, 0
	;; [unrolled: 3-line block ×4, first 2 shown]
	v_add3_u32 v47, v47, v54, v41
	v_add3_u32 v49, v49, v56, v55
	;; [unrolled: 1-line block ×4, first 2 shown]
	v_lshl_add_u64 v[48:49], v[48:49], 1, s[80:81]
	v_lshl_add_u64 v[46:47], v[46:47], 1, s[80:81]
	;; [unrolled: 1-line block ×4, first 2 shown]
	global_load_ushort v48, v[48:49], off
	s_nop 0
	global_load_ushort v41, v[46:47], off
	s_nop 0
	global_load_ushort v46, v[50:51], off
	global_load_ushort v49, v[52:53], off
	v_lshl_add_u64 v[26:27], v[26:27], 0, -4
	v_cmp_eq_u64_e32 vcc, 0, v[26:27]
	v_lshl_add_u64 v[10:11], v[10:11], 0, 4
	v_lshl_add_u64 v[8:9], v[8:9], 0, 4
	;; [unrolled: 1-line block ×4, first 2 shown]
	s_or_b64 s[14:15], vcc, s[14:15]
	s_waitcnt vmcnt(2)
	v_perm_b32 v50, v41, v48, s96
	s_waitcnt vmcnt(1)
	v_perm_b32 v47, v48, v46, s96
	s_waitcnt vmcnt(0)
	v_alignbit_b32 v46, v49, v43, 16
	ds_write_b64 v42, v[46:47]
	v_add_u32_e32 v42, 8, v42
	v_mov_b32_e32 v43, v50
	s_andn2_b64 exec, exec, s[14:15]
	s_cbranch_execnz .LBB133_43
; %bb.44:                               ;   in Loop: Header=BB133_24 Depth=1
	s_or_b64 exec, exec, s[14:15]
	v_readlane_b32 s14, v61, 36
	v_lshl_add_u64 v[6:7], v[2:3], 0, v[20:21]
	v_readlane_b32 s15, v61, 37
	v_lshl_add_u64 v[4:5], v[6:7], 0, -1
	s_orn2_b64 s[14:15], s[14:15], exec
	v_mov_b64_e32 v[8:9], v[22:23]
.LBB133_45:                             ;   in Loop: Header=BB133_24 Depth=1
	s_or_b64 exec, exec, s[8:9]
	s_and_saveexec_b64 s[8:9], s[14:15]
	s_cbranch_execz .LBB133_49
; %bb.46:                               ;   in Loop: Header=BB133_24 Depth=1
	s_sub_u32 s14, 0, s86
	s_mov_b64 s[16:17], 0
	s_subb_u32 s15, 0, 0
.LBB133_47:                             ;   Parent Loop BB133_24 Depth=1
                                        ; =>  This Inner Loop Header: Depth=2
	v_mov_b64_e32 v[4:5], v[6:7]
	v_mul_lo_u32 v9, v5, s72
	v_mul_lo_u32 v10, v4, s73
	v_mad_u64_u32 v[6:7], s[18:19], v4, s72, 0
	v_add3_u32 v7, v7, v10, v9
	v_lshl_add_u64 v[6:7], v[6:7], 1, s[80:81]
	s_waitcnt vmcnt(0)
	v_mov_b32_e32 v2, v41
	global_load_ushort v41, v[6:7], off
	v_lshlrev_b32_e32 v6, 1, v8
	ds_write_b16 v6, v2
	v_lshl_add_u64 v[6:7], v[4:5], 0, s[86:87]
	v_cmp_le_u64_e32 vcc, s[56:57], v[6:7]
	s_or_b64 s[16:17], vcc, s[16:17]
	v_mov_b64_e32 v[8:9], v[4:5]
	s_andn2_b64 exec, exec, s[16:17]
	s_cbranch_execnz .LBB133_47
; %bb.48:                               ;   in Loop: Header=BB133_24 Depth=1
	s_or_b64 exec, exec, s[16:17]
	v_lshl_add_u64 v[4:5], s[14:15], 0, v[6:7]
.LBB133_49:                             ;   in Loop: Header=BB133_24 Depth=1
	s_or_b64 exec, exec, s[8:9]
.LBB133_50:                             ;   in Loop: Header=BB133_24 Depth=1
	s_or_b64 exec, exec, s[2:3]
	v_lshlrev_b32_e32 v2, 1, v4
	s_waitcnt vmcnt(0)
	ds_write_b16 v2, v41
.LBB133_51:                             ;   in Loop: Header=BB133_24 Depth=1
	s_or_b64 exec, exec, s[0:1]
	s_waitcnt lgkmcnt(0)
	s_barrier
	s_mov_b64 s[0:1], exec
	v_readlane_b32 s2, v61, 16
	v_readlane_b32 s3, v61, 17
	s_and_b64 s[2:3], s[0:1], s[2:3]
	s_mov_b64 exec, s[2:3]
; %bb.52:                               ;   in Loop: Header=BB133_24 Depth=1
	ds_write_b64 v3, v[44:45] offset:5120
; %bb.53:                               ;   in Loop: Header=BB133_24 Depth=1
	s_or_b64 exec, exec, s[0:1]
	s_mov_b64 s[0:1], -1
	s_waitcnt lgkmcnt(0)
	s_barrier
.LBB133_54:                             ;   in Loop: Header=BB133_24 Depth=1
	s_mov_b64 s[64:65], 0
	s_and_b64 vcc, exec, s[0:1]
	s_cbranch_vccz .LBB133_56
; %bb.55:                               ;   in Loop: Header=BB133_24 Depth=1
	ds_read_b64 v[4:5], v3 offset:5120
	s_waitcnt lgkmcnt(0)
	v_readfirstlane_b32 s64, v4
.LBB133_56:                             ;   in Loop: Header=BB133_24 Depth=1
	s_cmp_lt_i32 s64, 1
	s_mov_b64 s[0:1], -1
                                        ; implicit-def: $vgpr4_vgpr5
                                        ; implicit-def: $vgpr8_vgpr9
	s_cbranch_scc1 .LBB133_66
; %bb.57:                               ;   in Loop: Header=BB133_24 Depth=1
	s_and_b64 vcc, exec, s[0:1]
	s_cbranch_vccnz .LBB133_80
.LBB133_58:                             ;   in Loop: Header=BB133_24 Depth=1
	s_lshl_b32 s2, s88, 6
	s_and_saveexec_b64 s[0:1], s[4:5]
	s_cbranch_execz .LBB133_60
.LBB133_59:                             ;   in Loop: Header=BB133_24 Depth=1
	v_lshl_add_u32 v2, s2, 3, v32
	ds_write_b128 v2, v[4:7]
	ds_write_b128 v2, v[8:11] offset:16
.LBB133_60:                             ;   in Loop: Header=BB133_24 Depth=1
	s_or_b64 exec, exec, s[0:1]
	s_waitcnt lgkmcnt(0)
	s_barrier
	s_and_saveexec_b64 s[0:1], s[98:99]
	s_cbranch_execz .LBB133_95
; %bb.61:                               ;   in Loop: Header=BB133_24 Depth=1
	v_readlane_b32 s8, v61, 30
	v_readlane_b32 s9, v61, 31
	s_andn2_b64 vcc, exec, s[8:9]
	v_mov_b64_e32 v[4:5], 0
	s_cbranch_vccnz .LBB133_94
; %bb.62:                               ;   in Loop: Header=BB133_24 Depth=1
	v_readlane_b32 s8, v61, 38
	v_readlane_b32 s9, v61, 39
	s_andn2_b64 vcc, exec, s[8:9]
	s_cbranch_vccnz .LBB133_90
; %bb.63:                               ;   in Loop: Header=BB133_24 Depth=1
	v_lshl_add_u32 v2, s88, 9, v34
	v_mov_b64_e32 v[4:5], 0
	s_mov_b32 s3, 0
.LBB133_64:                             ;   Parent Loop BB133_24 Depth=1
                                        ; =>  This Inner Loop Header: Depth=2
	ds_read2_b64 v[6:9], v2 offset1:4
	ds_read2_b64 v[46:49], v2 offset0:8 offset1:12
	ds_read2_b64 v[50:53], v2 offset0:16 offset1:20
	;; [unrolled: 1-line block ×3, first 2 shown]
	s_add_i32 s3, s3, 8
	s_waitcnt lgkmcnt(3)
	v_lshl_add_u64 v[4:5], v[6:7], 0, v[4:5]
	v_lshl_add_u64 v[4:5], v[8:9], 0, v[4:5]
	s_waitcnt lgkmcnt(2)
	v_lshl_add_u64 v[4:5], v[46:47], 0, v[4:5]
	v_lshl_add_u64 v[4:5], v[48:49], 0, v[4:5]
	;; [unrolled: 3-line block ×3, first 2 shown]
	s_waitcnt lgkmcnt(0)
	v_lshl_add_u64 v[4:5], v[54:55], 0, v[4:5]
	v_add_u32_e32 v2, 0x100, v2
	s_cmp_eq_u32 s7, s3
	v_lshl_add_u64 v[4:5], v[56:57], 0, v[4:5]
	s_cbranch_scc0 .LBB133_64
; %bb.65:                               ;   in Loop: Header=BB133_24 Depth=1
	s_mov_b32 s3, s7
	s_branch .LBB133_91
.LBB133_66:                             ;   in Loop: Header=BB133_24 Depth=1
	global_load_ushort v2, v3, s[76:77]
	s_mov_b32 s0, s87
	s_waitcnt vmcnt(0)
	v_readfirstlane_b32 s1, v2
	s_and_b32 s1, 0xffff, s1
	s_lshl_b32 s86, s1, 2
	s_mov_b32 s1, s57
	s_cmp_lg_u64 s[0:1], 0
	s_cbranch_scc0 .LBB133_89
; %bb.67:                               ;   in Loop: Header=BB133_24 Depth=1
	v_cvt_f32_u32_e32 v4, s86
	s_sub_u32 s2, 0, s86
	s_subb_u32 s3, 0, 0
	v_fmac_f32_e32 v4, 0, v37
	v_rcp_f32_e32 v4, v4
	s_nop 0
	v_mul_f32_e32 v4, 0x5f7ffffc, v4
	v_mul_f32_e32 v5, 0x2f800000, v4
	v_trunc_f32_e32 v5, v5
	v_fmac_f32_e32 v4, 0xcf800000, v5
	v_cvt_u32_f32_e32 v5, v5
	v_cvt_u32_f32_e32 v4, v4
	v_readfirstlane_b32 s8, v5
	v_readfirstlane_b32 s0, v4
	s_mul_i32 s1, s2, s8
	s_mul_hi_u32 s14, s2, s0
	s_mul_i32 s9, s3, s0
	s_add_i32 s1, s14, s1
	s_mul_i32 s15, s2, s0
	s_add_i32 s1, s1, s9
	s_mul_hi_u32 s14, s0, s15
	s_mul_i32 s16, s0, s1
	s_mul_hi_u32 s9, s0, s1
	s_add_u32 s14, s14, s16
	s_addc_u32 s9, 0, s9
	s_mul_hi_u32 s17, s8, s15
	s_mul_i32 s15, s8, s15
	s_add_u32 s14, s14, s15
	s_mul_hi_u32 s16, s8, s1
	s_addc_u32 s9, s9, s17
	s_addc_u32 s14, s16, 0
	s_mul_i32 s1, s8, s1
	s_add_u32 s1, s9, s1
	s_addc_u32 s9, 0, s14
	s_add_u32 s14, s0, s1
	s_cselect_b64 s[0:1], -1, 0
	s_cmp_lg_u64 s[0:1], 0
	s_addc_u32 s8, s8, s9
	s_mul_i32 s0, s2, s8
	s_mul_hi_u32 s1, s2, s14
	s_add_i32 s0, s1, s0
	s_mul_i32 s3, s3, s14
	s_add_i32 s0, s0, s3
	s_mul_i32 s2, s2, s14
	s_mul_hi_u32 s3, s8, s2
	s_mul_i32 s9, s8, s2
	s_mul_i32 s16, s14, s0
	s_mul_hi_u32 s2, s14, s2
	s_mul_hi_u32 s15, s14, s0
	s_add_u32 s2, s2, s16
	s_addc_u32 s15, 0, s15
	s_add_u32 s2, s2, s9
	s_mul_hi_u32 s1, s8, s0
	s_addc_u32 s2, s15, s3
	s_addc_u32 s1, s1, 0
	s_mul_i32 s0, s8, s0
	s_add_u32 s0, s2, s0
	s_addc_u32 s2, 0, s1
	s_add_u32 s3, s14, s0
	s_cselect_b64 s[0:1], -1, 0
	s_cmp_lg_u64 s[0:1], 0
	s_addc_u32 s0, s8, s2
	s_mul_i32 s2, s56, s0
	s_mul_hi_u32 s8, s56, s3
	s_mul_hi_u32 s1, s56, s0
	s_add_u32 s2, s8, s2
	s_addc_u32 s1, 0, s1
	s_mul_hi_u32 s9, s57, s3
	s_mul_i32 s3, s57, s3
	s_add_u32 s2, s2, s3
	s_mul_hi_u32 s8, s57, s0
	s_addc_u32 s1, s1, s9
	s_addc_u32 s2, s8, 0
	s_mul_i32 s0, s57, s0
	s_add_u32 s0, s1, s0
	s_addc_u32 s1, 0, s2
	s_mul_i32 s1, s86, s1
	s_mul_hi_u32 s2, s86, s0
	s_add_i32 s2, s2, s1
	s_mul_i32 s0, s86, s0
	s_sub_u32 s3, s56, s0
	s_cselect_b64 s[0:1], -1, 0
	s_cmp_lg_u64 s[0:1], 0
	s_subb_u32 s2, s57, s2
	s_sub_u32 s8, s3, s86
	s_cselect_b64 s[0:1], -1, 0
	s_cmp_lg_u64 s[0:1], 0
	s_subb_u32 s9, s2, 0
	s_sub_u32 s14, s8, s86
	s_cselect_b64 s[0:1], -1, 0
	s_cmp_lg_u64 s[0:1], 0
	s_subb_u32 s0, s9, 0
	s_cmp_ge_u32 s8, s86
	s_cselect_b32 s1, -1, 0
	s_cmp_eq_u32 s9, 0
	s_cselect_b32 s1, s1, -1
	s_cmp_lg_u32 s1, 0
	s_cselect_b32 s0, s0, s9
	s_cselect_b32 s8, s14, s8
	s_cmp_ge_u32 s3, s86
	s_cselect_b32 s1, -1, 0
	s_cmp_eq_u32 s2, 0
	s_cselect_b32 s1, s1, -1
	s_cmp_lg_u32 s1, 0
	s_cselect_b32 s1, s0, s2
	s_cselect_b32 s0, s8, s3
	s_cbranch_execnz .LBB133_69
.LBB133_68:                             ;   in Loop: Header=BB133_24 Depth=1
	v_cvt_f32_u32_e32 v4, s86
	s_sub_i32 s0, 0, s86
	v_rcp_iflag_f32_e32 v4, v4
	s_nop 0
	v_mul_f32_e32 v4, 0x4f7ffffe, v4
	v_cvt_u32_f32_e32 v4, v4
	s_nop 0
	v_readfirstlane_b32 s1, v4
	s_mul_i32 s0, s0, s1
	s_mul_hi_u32 s0, s1, s0
	s_add_i32 s1, s1, s0
	s_mul_hi_u32 s0, s56, s1
	s_mul_i32 s0, s0, s86
	s_sub_i32 s0, s56, s0
	s_sub_i32 s1, s0, s86
	s_cmp_ge_u32 s0, s86
	s_cselect_b32 s0, s1, s0
	s_sub_i32 s1, s0, s86
	s_cmp_ge_u32 s0, s86
	s_cselect_b32 s0, s1, s0
	s_mov_b32 s1, s87
.LBB133_69:                             ;   in Loop: Header=BB133_24 Depth=1
	s_sub_u32 s54, s56, s0
	s_subb_u32 s55, s57, s1
	v_cmp_gt_u64_e32 vcc, s[54:55], v[14:15]
	v_mov_b64_e32 v[4:5], 0
	v_mov_b64_e32 v[6:7], 0
	;; [unrolled: 1-line block ×4, first 2 shown]
	s_and_saveexec_b64 s[66:67], vcc
	s_cbranch_execz .LBB133_73
; %bb.70:                               ;   in Loop: Header=BB133_24 Depth=1
	s_mov_b64 s[78:79], 0
	s_mov_b64 s[58:59], 0
	;; [unrolled: 1-line block ×5, first 2 shown]
	v_mov_b64_e32 v[26:27], v[14:15]
.LBB133_71:                             ;   Parent Loop BB133_24 Depth=1
                                        ; =>  This Inner Loop Header: Depth=2
	v_mul_lo_u32 v6, v27, s72
	v_mul_lo_u32 v7, v26, s73
	v_mad_u64_u32 v[4:5], s[0:1], v26, s72, 0
	v_add3_u32 v5, v5, v7, v6
	s_lshl_b64 s[0:1], s[72:73], 1
	v_lshl_add_u64 v[4:5], v[4:5], 1, s[80:81]
	global_load_ushort v6, v[4:5], off
	v_lshl_add_u64 v[4:5], v[4:5], 0, s[0:1]
	global_load_ushort v7, v[4:5], off
	v_lshl_add_u64 v[4:5], v[4:5], 0, s[0:1]
	global_load_ushort v8, v[4:5], off
	v_lshl_add_u64 v[4:5], v[4:5], 0, s[0:1]
	global_load_ushort v4, v[4:5], off
	v_lshl_add_u64 v[26:27], v[26:27], 0, s[86:87]
	v_cmp_le_u64_e32 vcc, s[54:55], v[26:27]
	s_waitcnt vmcnt(3)
	v_cmp_lt_i16_e64 s[0:1], -1, v6
	s_nop 1
	v_cndmask_b32_e64 v5, v35, v36, s[0:1]
	s_waitcnt vmcnt(2)
	v_cmp_lt_i16_e64 s[0:1], -1, v7
	v_xor_b32_sdwa v5, v5, v6 dst_sel:DWORD dst_unused:UNUSED_PAD src0_sel:DWORD src1_sel:WORD_0
	s_waitcnt vmcnt(0)
	v_cmp_o_f16_e64 s[16:17], v4, v4
	v_cndmask_b32_e64 v9, v35, v36, s[0:1]
	v_cmp_o_f16_e64 s[0:1], v6, v6
	v_xor_b32_sdwa v6, v9, v7 dst_sel:DWORD dst_unused:UNUSED_PAD src0_sel:DWORD src1_sel:WORD_0
	s_nop 0
	v_cndmask_b32_e64 v5, v35, v5, s[0:1]
	v_cmp_lt_i16_e64 s[0:1], -1, v8
	v_and_b32_e32 v10, v5, v39
	v_bfe_u32 v5, v5, s90, 2
	v_cndmask_b32_e64 v9, v35, v36, s[0:1]
	v_cmp_o_f16_e64 s[0:1], v7, v7
	v_xor_b32_sdwa v7, v9, v8 dst_sel:DWORD dst_unused:UNUSED_PAD src0_sel:DWORD src1_sel:WORD_0
	v_cmp_eq_u32_e64 s[2:3], 0, v5
	v_cndmask_b32_e64 v6, v35, v6, s[0:1]
	v_cmp_lt_i16_e64 s[0:1], -1, v4
	v_cmp_eq_u32_e64 s[34:35], 1, v5
	v_cmp_eq_u32_e64 s[36:37], 2, v5
	v_cndmask_b32_e64 v9, v35, v36, s[0:1]
	v_cmp_o_f16_e64 s[0:1], v8, v8
	v_xor_b32_sdwa v8, v9, v4 dst_sel:DWORD dst_unused:UNUSED_PAD src0_sel:DWORD src1_sel:WORD_0
	v_and_b32_e32 v9, v6, v39
	v_cndmask_b32_e64 v7, v35, v7, s[0:1]
	v_cmp_eq_u32_e64 s[0:1], v10, v18
	v_bfe_u32 v6, v6, s90, 2
	v_cmp_eq_u32_e64 s[18:19], 3, v5
	v_cndmask_b32_e64 v4, v35, v8, s[16:17]
	v_and_b32_e32 v5, v7, v39
	v_bfe_u32 v7, v7, s90, 2
	s_and_b64 s[2:3], s[0:1], s[2:3]
	v_cmp_eq_u32_e64 s[16:17], v9, v18
	v_cmp_eq_u32_e64 s[26:27], 0, v6
	;; [unrolled: 1-line block ×5, first 2 shown]
	v_cndmask_b32_e64 v6, 0, 1, s[2:3]
	v_cmp_eq_u32_e64 s[22:23], v5, v18
	v_and_b32_e32 v5, v4, v39
	v_bfe_u32 v4, v4, s90, 2
	v_cmp_eq_u32_e64 s[2:3], 0, v7
	s_and_b64 s[8:9], s[16:17], s[26:27]
	v_cmp_eq_u32_e64 s[26:27], v5, v18
	v_cmp_eq_u32_e64 s[48:49], 0, v4
	s_and_b64 s[2:3], s[22:23], s[2:3]
	v_cmp_ne_u32_e64 s[46:47], 0, v6
	v_cndmask_b32_e64 v6, 0, 1, s[8:9]
	v_cmp_eq_u32_e64 s[50:51], 1, v4
	v_cmp_eq_u32_e64 s[52:53], 2, v4
	v_cmp_eq_u32_e64 s[28:29], 3, v4
	v_cndmask_b32_e64 v4, 0, 1, s[2:3]
	s_and_b64 s[8:9], s[26:27], s[48:49]
	v_cmp_ne_u32_e64 s[2:3], 0, v4
	v_cndmask_b32_e64 v4, 0, 1, s[8:9]
	s_bcnt1_i32_b64 s65, s[46:47]
	v_cmp_ne_u32_e64 s[46:47], 0, v6
	s_bcnt1_i32_b64 s8, s[2:3]
	v_cmp_ne_u32_e64 s[2:3], 0, v4
	s_bcnt1_i32_b64 s46, s[46:47]
	s_bcnt1_i32_b64 s2, s[2:3]
	s_add_u32 s3, s65, s96
	s_addc_u32 s9, 0, s97
	s_add_u32 s3, s3, s46
	s_addc_u32 s9, s9, 0
	;; [unrolled: 2-line block ×4, first 2 shown]
	s_and_b64 s[2:3], s[0:1], s[34:35]
	v_cmp_eq_u32_e64 s[42:43], 1, v7
	v_cndmask_b32_e64 v6, 0, 1, s[2:3]
	s_and_b64 s[2:3], s[16:17], s[38:39]
	v_cmp_eq_u32_e64 s[44:45], 2, v7
	v_cmp_eq_u32_e64 s[24:25], 3, v7
	v_cndmask_b32_e64 v7, 0, 1, s[2:3]
	s_and_b64 s[2:3], s[22:23], s[42:43]
	v_cndmask_b32_e64 v8, 0, 1, s[2:3]
	s_and_b64 s[2:3], s[26:27], s[50:51]
	v_cndmask_b32_e64 v9, 0, 1, s[2:3]
	v_cmp_ne_u32_e64 s[2:3], 0, v6
	v_cmp_ne_u32_e64 s[34:35], 0, v7
	;; [unrolled: 1-line block ×4, first 2 shown]
	s_bcnt1_i32_b64 s2, s[2:3]
	s_bcnt1_i32_b64 s3, s[34:35]
	;; [unrolled: 1-line block ×4, first 2 shown]
	s_add_u32 s2, s2, s14
	s_addc_u32 s14, 0, s15
	s_add_u32 s2, s2, s3
	s_addc_u32 s3, s14, 0
	;; [unrolled: 2-line block ×4, first 2 shown]
	s_and_b64 s[2:3], s[0:1], s[36:37]
	v_cndmask_b32_e64 v8, 0, 1, s[2:3]
	s_and_b64 s[2:3], s[16:17], s[40:41]
	v_cndmask_b32_e64 v9, 0, 1, s[2:3]
	;; [unrolled: 2-line block ×4, first 2 shown]
	v_cmp_ne_u32_e64 s[2:3], 0, v8
	v_cmp_ne_u32_e64 s[34:35], 0, v9
	;; [unrolled: 1-line block ×4, first 2 shown]
	s_bcnt1_i32_b64 s2, s[2:3]
	s_bcnt1_i32_b64 s3, s[34:35]
	;; [unrolled: 1-line block ×4, first 2 shown]
	s_add_u32 s2, s2, s76
	s_addc_u32 s34, 0, s77
	s_add_u32 s2, s2, s3
	s_addc_u32 s3, s34, 0
	;; [unrolled: 2-line block ×4, first 2 shown]
	s_and_b64 s[0:1], s[0:1], s[18:19]
	v_cndmask_b32_e64 v10, 0, 1, s[0:1]
	s_and_b64 s[0:1], s[16:17], s[20:21]
	v_cndmask_b32_e64 v11, 0, 1, s[0:1]
	;; [unrolled: 2-line block ×4, first 2 shown]
	v_cmp_ne_u32_e64 s[0:1], 0, v10
	v_cmp_ne_u32_e64 s[2:3], 0, v11
	;; [unrolled: 1-line block ×4, first 2 shown]
	s_bcnt1_i32_b64 s0, s[0:1]
	s_bcnt1_i32_b64 s1, s[2:3]
	;; [unrolled: 1-line block ×4, first 2 shown]
	s_add_u32 s0, s0, s58
	s_addc_u32 s8, 0, s59
	s_add_u32 s0, s0, s1
	s_addc_u32 s1, s8, 0
	;; [unrolled: 2-line block ×4, first 2 shown]
	v_mov_b64_e32 v[4:5], s[96:97]
	v_mov_b64_e32 v[6:7], s[14:15]
	v_mov_b64_e32 v[8:9], s[76:77]
	s_or_b64 s[78:79], vcc, s[78:79]
	v_mov_b64_e32 v[10:11], s[58:59]
	s_andn2_b64 exec, exec, s[78:79]
	s_cbranch_execnz .LBB133_71
; %bb.72:                               ;   in Loop: Header=BB133_24 Depth=1
	s_or_b64 exec, exec, s[78:79]
	v_readlane_b32 s76, v61, 43
	v_readlane_b32 s77, v61, 44
	;; [unrolled: 1-line block ×3, first 2 shown]
	s_mov_b32 s95, s89
	s_mov_b32 s96, 0x5040100
.LBB133_73:                             ;   in Loop: Header=BB133_24 Depth=1
	s_or_b64 exec, exec, s[66:67]
	v_lshl_add_u64 v[26:27], s[54:55], 0, v[0:1]
	v_and_b32_e32 v2, 0xffff, v2
	v_cmp_gt_u64_e32 vcc, s[56:57], v[26:27]
	s_and_saveexec_b64 s[2:3], vcc
	s_cbranch_execz .LBB133_79
; %bb.74:                               ;   in Loop: Header=BB133_24 Depth=1
	v_mul_lo_u32 v41, v27, s72
	v_mul_lo_u32 v46, v26, s73
	v_mad_u64_u32 v[42:43], s[0:1], v26, s72, 0
	v_add3_u32 v43, v43, v46, v41
	v_lshl_add_u64 v[42:43], v[42:43], 1, s[80:81]
	global_load_ushort v42, v[42:43], off
	s_mov_b64 s[8:9], 0
	s_branch .LBB133_76
.LBB133_75:                             ;   in Loop: Header=BB133_76 Depth=2
	s_or_b64 exec, exec, s[14:15]
	s_and_b64 s[0:1], exec, vcc
	s_waitcnt vmcnt(0)
	v_cmp_lt_i16_e32 vcc, -1, v42
	s_or_b64 s[8:9], s[0:1], s[8:9]
	s_nop 0
	v_cndmask_b32_e32 v43, v35, v36, vcc
	v_xor_b32_sdwa v43, v43, v42 dst_sel:DWORD dst_unused:UNUSED_PAD src0_sel:DWORD src1_sel:WORD_0
	v_cmp_o_f16_e32 vcc, v42, v42
	s_nop 1
	v_cndmask_b32_e32 v42, v35, v43, vcc
	v_and_b32_e32 v43, v42, v39
	v_bfe_u32 v42, v42, s90, 2
	v_cmp_eq_u32_e32 vcc, v43, v18
	v_cmp_eq_u32_e64 s[0:1], 0, v42
	s_and_b64 s[0:1], vcc, s[0:1]
	s_nop 0
	v_cndmask_b32_e64 v43, 0, 1, s[0:1]
	v_cmp_ne_u32_e64 s[0:1], 0, v43
	s_bcnt1_i32_b64 s86, s[0:1]
	v_cmp_eq_u32_e64 s[0:1], 1, v42
	s_and_b64 s[0:1], vcc, s[0:1]
	v_lshl_add_u64 v[4:5], s[86:87], 0, v[4:5]
	v_cndmask_b32_e64 v43, 0, 1, s[0:1]
	v_cmp_ne_u32_e64 s[0:1], 0, v43
	s_bcnt1_i32_b64 s86, s[0:1]
	v_cmp_eq_u32_e64 s[0:1], 2, v42
	s_and_b64 s[0:1], vcc, s[0:1]
	v_lshl_add_u64 v[6:7], s[86:87], 0, v[6:7]
	;; [unrolled: 6-line block ×3, first 2 shown]
	v_cndmask_b32_e64 v42, 0, 1, s[0:1]
	v_cmp_ne_u32_e32 vcc, 0, v42
	s_bcnt1_i32_b64 s86, vcc
	v_lshl_add_u64 v[10:11], s[86:87], 0, v[10:11]
	v_mov_b32_e32 v42, v41
	s_andn2_b64 exec, exec, s[8:9]
	s_cbranch_execz .LBB133_78
.LBB133_76:                             ;   Parent Loop BB133_24 Depth=1
                                        ; =>  This Inner Loop Header: Depth=2
	v_lshl_add_u64 v[26:27], v[26:27], 0, v[2:3]
	v_cmp_gt_u64_e64 s[0:1], s[56:57], v[26:27]
	v_cmp_le_u64_e32 vcc, s[56:57], v[26:27]
	v_mov_b32_e32 v41, 0
	s_and_saveexec_b64 s[14:15], s[0:1]
	s_cbranch_execz .LBB133_75
; %bb.77:                               ;   in Loop: Header=BB133_76 Depth=2
	v_mul_lo_u32 v41, v27, s72
	v_mul_lo_u32 v43, v26, s73
	v_mad_u64_u32 v[46:47], s[0:1], v26, s72, 0
	v_add3_u32 v47, v47, v43, v41
	v_lshl_add_u64 v[46:47], v[46:47], 1, s[80:81]
	global_load_ushort v41, v[46:47], off
	s_branch .LBB133_75
.LBB133_78:                             ;   in Loop: Header=BB133_24 Depth=1
	s_or_b64 exec, exec, s[8:9]
.LBB133_79:                             ;   in Loop: Header=BB133_24 Depth=1
	s_or_b64 exec, exec, s[2:3]
	s_branch .LBB133_58
.LBB133_80:                             ;   in Loop: Header=BB133_24 Depth=1
	global_load_ushort v2, v3, s[76:77]
	v_mov_b64_e32 v[8:9], 0
	s_waitcnt vmcnt(0)
	v_readfirstlane_b32 s0, v2
	s_and_b32 s65, 0xffff, s0
	s_lshl_b32 s86, s65, 2
	v_cvt_f32_u32_e32 v4, s86
	s_sub_i32 s0, 0, s86
	v_rcp_iflag_f32_e32 v6, v4
	v_mov_b64_e32 v[4:5], 0
	v_mul_f32_e32 v6, 0x4f7ffffe, v6
	v_cvt_u32_f32_e32 v10, v6
	v_mov_b64_e32 v[6:7], 0
	v_readfirstlane_b32 s1, v10
	s_mul_i32 s0, s0, s1
	s_mul_hi_u32 s0, s1, s0
	s_add_i32 s1, s1, s0
	s_mul_hi_u32 s0, s64, s1
	s_mul_i32 s1, s0, s86
	s_sub_i32 s1, s64, s1
	s_add_i32 s2, s0, 1
	s_sub_i32 s3, s1, s86
	s_cmp_ge_u32 s1, s86
	s_cselect_b32 s0, s2, s0
	s_cselect_b32 s1, s3, s1
	s_add_i32 s2, s0, 1
	s_cmp_ge_u32 s1, s86
	s_cselect_b32 s0, s2, s0
	s_mul_hi_u32 s67, s65, s0
	s_mul_i32 s66, s65, s0
	s_lshl_b64 s[78:79], s[66:67], 2
	v_cmp_gt_u64_e32 vcc, s[78:79], v[14:15]
	v_mov_b64_e32 v[10:11], 0
	s_and_saveexec_b64 s[14:15], vcc
	s_cbranch_execz .LBB133_84
; %bb.81:                               ;   in Loop: Header=BB133_24 Depth=1
	s_mov_b64 s[94:95], s[98:99]
	s_lshl_b32 s67, s65, 3
	s_mov_b64 s[58:59], 0
	v_mov_b32_e32 v41, v33
	s_mov_b64 s[76:77], 0
	s_mov_b64 s[96:97], 0
	s_mov_b64 s[98:99], 0
	s_mov_b64 s[8:9], 0
	v_mov_b64_e32 v[26:27], v[14:15]
.LBB133_82:                             ;   Parent Loop BB133_24 Depth=1
                                        ; =>  This Inner Loop Header: Depth=2
	ds_read_b64 v[4:5], v41
	v_lshl_add_u64 v[26:27], v[26:27], 0, s[86:87]
	v_cmp_le_u64_e32 vcc, s[78:79], v[26:27]
	v_add_u32_e32 v41, s67, v41
	s_waitcnt lgkmcnt(0)
	v_cmp_lt_i16_e64 s[0:1], -1, v4
	v_cmp_o_f16_e64 s[2:3], v5, v5
	s_nop 0
	v_cndmask_b32_e64 v6, v35, v36, s[0:1]
	v_cmp_gt_i16_sdwa s[0:1], v4, v19 src0_sel:WORD_1 src1_sel:DWORD
	v_cmp_o_f16_sdwa s[16:17], v5, v5 src0_sel:WORD_1 src1_sel:WORD_1
	v_cmp_o_f16_e64 s[18:19], v4, v4
	v_cndmask_b32_e64 v7, v35, v36, s[0:1]
	v_cmp_lt_i16_e64 s[0:1], -1, v5
	v_xor_b32_sdwa v7, v7, v4 dst_sel:DWORD dst_unused:UNUSED_PAD src0_sel:DWORD src1_sel:WORD_1
	s_nop 0
	v_cndmask_b32_e64 v8, v35, v36, s[0:1]
	v_cmp_gt_i16_sdwa s[0:1], v5, v19 src0_sel:WORD_1 src1_sel:DWORD
	v_bitop3_b32 v8, v8, v5, s33 bitop3:0x78
	s_nop 0
	v_cndmask_b32_e64 v9, v35, v36, s[0:1]
	v_xor_b32_sdwa v9, v9, v5 dst_sel:DWORD dst_unused:UNUSED_PAD src0_sel:DWORD src1_sel:WORD_1
	v_bitop3_b32 v5, v6, v4, s33 bitop3:0x78
	v_cmp_o_f16_sdwa s[0:1], v4, v4 src0_sel:WORD_1 src1_sel:WORD_1
	v_cndmask_b32_e64 v4, v35, v5, s[18:19]
	v_cndmask_b32_e64 v6, v35, v8, s[2:3]
	v_cndmask_b32_e64 v5, v35, v7, s[0:1]
	v_and_b32_e32 v8, v4, v39
	v_bfe_u32 v4, v4, s90, 2
	v_cndmask_b32_e64 v7, v35, v9, s[16:17]
	v_and_b32_e32 v9, v5, v39
	v_bfe_u32 v5, v5, s90, 2
	v_cmp_eq_u32_e64 s[20:21], v8, v18
	v_cmp_eq_u32_e64 s[2:3], 0, v4
	v_and_b32_e32 v10, v6, v39
	v_bfe_u32 v6, v6, s90, 2
	v_cmp_eq_u32_e64 s[18:19], v9, v18
	v_cmp_eq_u32_e64 s[34:35], 0, v5
	s_and_b64 s[2:3], s[20:21], s[2:3]
	v_and_b32_e32 v11, v7, v39
	v_bfe_u32 v7, v7, s90, 2
	v_cmp_eq_u32_e64 s[16:17], v10, v18
	v_cmp_eq_u32_e64 s[36:37], 0, v6
	;; [unrolled: 1-line block ×5, first 2 shown]
	v_cndmask_b32_e64 v4, 0, 1, s[2:3]
	s_and_b64 s[2:3], s[18:19], s[34:35]
	v_cmp_eq_u32_e64 s[0:1], v11, v18
	v_cmp_eq_u32_e64 s[38:39], 0, v7
	;; [unrolled: 1-line block ×5, first 2 shown]
	v_cndmask_b32_e64 v5, 0, 1, s[2:3]
	s_and_b64 s[2:3], s[16:17], s[36:37]
	v_cmp_eq_u32_e64 s[44:45], 1, v6
	v_cmp_eq_u32_e64 s[52:53], 2, v6
	;; [unrolled: 1-line block ×3, first 2 shown]
	v_cndmask_b32_e64 v6, 0, 1, s[2:3]
	s_and_b64 s[2:3], s[0:1], s[38:39]
	v_cmp_eq_u32_e64 s[46:47], 1, v7
	v_cmp_eq_u32_e64 s[54:55], 2, v7
	;; [unrolled: 1-line block ×3, first 2 shown]
	v_cndmask_b32_e64 v7, 0, 1, s[2:3]
	v_cmp_ne_u32_e64 s[2:3], 0, v4
	v_cmp_ne_u32_e64 s[34:35], 0, v5
	;; [unrolled: 1-line block ×4, first 2 shown]
	s_bcnt1_i32_b64 s2, s[2:3]
	s_bcnt1_i32_b64 s3, s[34:35]
	s_bcnt1_i32_b64 s34, s[36:37]
	s_bcnt1_i32_b64 s35, s[38:39]
	s_add_u32 s2, s2, s8
	s_addc_u32 s8, 0, s9
	s_add_u32 s2, s2, s3
	s_addc_u32 s3, s8, 0
	;; [unrolled: 2-line block ×4, first 2 shown]
	s_and_b64 s[2:3], s[20:21], s[40:41]
	v_cndmask_b32_e64 v6, 0, 1, s[2:3]
	s_and_b64 s[2:3], s[18:19], s[42:43]
	v_cndmask_b32_e64 v7, 0, 1, s[2:3]
	;; [unrolled: 2-line block ×4, first 2 shown]
	v_cmp_ne_u32_e64 s[2:3], 0, v6
	v_cmp_ne_u32_e64 s[34:35], 0, v7
	;; [unrolled: 1-line block ×4, first 2 shown]
	s_bcnt1_i32_b64 s2, s[2:3]
	s_bcnt1_i32_b64 s3, s[34:35]
	;; [unrolled: 1-line block ×4, first 2 shown]
	s_add_u32 s2, s2, s98
	s_addc_u32 s36, 0, s99
	s_add_u32 s2, s2, s3
	s_addc_u32 s3, s36, 0
	;; [unrolled: 2-line block ×4, first 2 shown]
	s_and_b64 s[2:3], s[20:21], s[48:49]
	v_cndmask_b32_e64 v8, 0, 1, s[2:3]
	s_and_b64 s[2:3], s[18:19], s[50:51]
	v_cndmask_b32_e64 v9, 0, 1, s[2:3]
	s_and_b64 s[2:3], s[16:17], s[52:53]
	v_cndmask_b32_e64 v10, 0, 1, s[2:3]
	s_and_b64 s[2:3], s[0:1], s[54:55]
	v_cndmask_b32_e64 v11, 0, 1, s[2:3]
	v_cmp_ne_u32_e64 s[2:3], 0, v8
	v_cmp_ne_u32_e64 s[34:35], 0, v9
	v_cmp_ne_u32_e64 s[36:37], 0, v10
	v_cmp_ne_u32_e64 s[38:39], 0, v11
	s_bcnt1_i32_b64 s2, s[2:3]
	s_bcnt1_i32_b64 s3, s[34:35]
	s_bcnt1_i32_b64 s34, s[36:37]
	s_bcnt1_i32_b64 s35, s[38:39]
	s_add_u32 s2, s2, s96
	s_addc_u32 s36, 0, s97
	s_add_u32 s2, s2, s3
	s_addc_u32 s3, s36, 0
	s_add_u32 s2, s2, s34
	s_addc_u32 s3, s3, 0
	s_add_u32 s96, s2, s35
	s_addc_u32 s97, s3, 0
	s_and_b64 s[2:3], s[20:21], s[28:29]
	v_cndmask_b32_e64 v10, 0, 1, s[2:3]
	s_and_b64 s[2:3], s[18:19], s[26:27]
	v_cndmask_b32_e64 v11, 0, 1, s[2:3]
	s_and_b64 s[2:3], s[16:17], s[24:25]
	s_and_b64 s[0:1], s[0:1], s[22:23]
	v_cndmask_b32_e64 v42, 0, 1, s[2:3]
	v_cndmask_b32_e64 v43, 0, 1, s[0:1]
	v_cmp_ne_u32_e64 s[0:1], 0, v10
	v_cmp_ne_u32_e64 s[2:3], 0, v11
	;; [unrolled: 1-line block ×4, first 2 shown]
	s_bcnt1_i32_b64 s0, s[0:1]
	s_bcnt1_i32_b64 s1, s[2:3]
	;; [unrolled: 1-line block ×4, first 2 shown]
	s_add_u32 s0, s0, s76
	s_addc_u32 s16, 0, s77
	s_add_u32 s0, s0, s1
	s_addc_u32 s1, s16, 0
	s_add_u32 s0, s0, s2
	s_addc_u32 s1, s1, 0
	s_add_u32 s76, s0, s3
	s_addc_u32 s77, s1, 0
	v_mov_b64_e32 v[4:5], s[8:9]
	v_mov_b64_e32 v[6:7], s[98:99]
	;; [unrolled: 1-line block ×3, first 2 shown]
	s_or_b64 s[58:59], vcc, s[58:59]
	v_mov_b64_e32 v[10:11], s[76:77]
	s_andn2_b64 exec, exec, s[58:59]
	s_cbranch_execnz .LBB133_82
; %bb.83:                               ;   in Loop: Header=BB133_24 Depth=1
	s_or_b64 exec, exec, s[58:59]
	v_readlane_b32 s76, v61, 43
	s_mov_b64 s[98:99], s[94:95]
	v_readlane_b32 s77, v61, 44
	v_readlane_b32 s94, v61, 46
	s_mov_b32 s95, s89
	s_mov_b32 s96, 0x5040100
.LBB133_84:                             ;   in Loop: Header=BB133_24 Depth=1
	s_or_b64 exec, exec, s[14:15]
	s_and_b32 s8, s64, 0x7fffffff
	s_mov_b32 s9, s87
	v_lshl_add_u64 v[26:27], s[78:79], 0, v[0:1]
	v_and_b32_e32 v2, 0xffff, v2
	v_cmp_gt_u64_e32 vcc, s[8:9], v[26:27]
	s_and_saveexec_b64 s[14:15], vcc
	s_cbranch_execz .LBB133_88
; %bb.85:                               ;   in Loop: Header=BB133_24 Depth=1
	v_lshl_add_u32 v41, s66, 3, v29
	s_lshl_b32 s24, s65, 1
	s_mov_b64 s[22:23], 0
.LBB133_86:                             ;   Parent Loop BB133_24 Depth=1
                                        ; =>  This Inner Loop Header: Depth=2
	ds_read_u16 v42, v41
	v_lshl_add_u64 v[26:27], v[26:27], 0, v[2:3]
	v_cmp_le_u64_e32 vcc, s[8:9], v[26:27]
	v_add_u32_e32 v41, s24, v41
	s_waitcnt lgkmcnt(0)
	v_cmp_lt_i16_e64 s[0:1], -1, v42
	s_nop 1
	v_cndmask_b32_e64 v43, v35, v36, s[0:1]
	v_xor_b32_sdwa v43, v43, v42 dst_sel:DWORD dst_unused:UNUSED_PAD src0_sel:DWORD src1_sel:WORD_0
	v_cmp_o_f16_e64 s[0:1], v42, v42
	s_nop 1
	v_cndmask_b32_e64 v42, v35, v43, s[0:1]
	v_and_b32_e32 v43, v42, v39
	v_bfe_u32 v42, v42, s90, 2
	v_cmp_eq_u32_e64 s[0:1], v43, v18
	v_cmp_eq_u32_e64 s[2:3], 0, v42
	;; [unrolled: 1-line block ×3, first 2 shown]
	s_and_b64 s[2:3], s[0:1], s[2:3]
	v_cmp_eq_u32_e64 s[18:19], 2, v42
	v_cmp_eq_u32_e64 s[20:21], 3, v42
	v_cndmask_b32_e64 v42, 0, 1, s[2:3]
	s_and_b64 s[2:3], s[0:1], s[16:17]
	v_cndmask_b32_e64 v43, 0, 1, s[2:3]
	s_and_b64 s[2:3], s[0:1], s[18:19]
	s_and_b64 s[0:1], s[0:1], s[20:21]
	v_cndmask_b32_e64 v47, 0, 1, s[0:1]
	v_cmp_ne_u32_e64 s[0:1], 0, v42
	v_cndmask_b32_e64 v46, 0, 1, s[2:3]
	v_cmp_ne_u32_e64 s[2:3], 0, v43
	s_bcnt1_i32_b64 s86, s[0:1]
	v_cmp_ne_u32_e64 s[16:17], 0, v46
	v_lshl_add_u64 v[4:5], s[86:87], 0, v[4:5]
	s_bcnt1_i32_b64 s86, s[2:3]
	v_cmp_ne_u32_e64 s[18:19], 0, v47
	v_lshl_add_u64 v[6:7], s[86:87], 0, v[6:7]
	s_bcnt1_i32_b64 s86, s[16:17]
	v_lshl_add_u64 v[8:9], s[86:87], 0, v[8:9]
	s_bcnt1_i32_b64 s86, s[18:19]
	s_or_b64 s[22:23], vcc, s[22:23]
	v_lshl_add_u64 v[10:11], s[86:87], 0, v[10:11]
	s_andn2_b64 exec, exec, s[22:23]
	s_cbranch_execnz .LBB133_86
; %bb.87:                               ;   in Loop: Header=BB133_24 Depth=1
	s_or_b64 exec, exec, s[22:23]
.LBB133_88:                             ;   in Loop: Header=BB133_24 Depth=1
	s_or_b64 exec, exec, s[14:15]
	s_lshl_b32 s2, s88, 6
	s_and_saveexec_b64 s[0:1], s[4:5]
	s_cbranch_execnz .LBB133_59
	s_branch .LBB133_60
.LBB133_89:                             ;   in Loop: Header=BB133_24 Depth=1
                                        ; implicit-def: $sgpr0_sgpr1
	s_branch .LBB133_68
.LBB133_90:                             ;   in Loop: Header=BB133_24 Depth=1
	s_mov_b32 s3, 0
	v_mov_b64_e32 v[4:5], 0
.LBB133_91:                             ;   in Loop: Header=BB133_24 Depth=1
	v_readlane_b32 s8, v61, 41
	v_readlane_b32 s9, v61, 42
	s_andn2_b64 vcc, exec, s[8:9]
	s_cbranch_vccnz .LBB133_94
; %bb.92:                               ;   in Loop: Header=BB133_24 Depth=1
	s_lshl_b32 s8, s88, 9
	s_lshl_b32 s3, s3, 5
	s_add_i32 s8, s8, s3
	v_add_u32_e32 v2, s8, v34
	v_readlane_b32 s3, v61, 40
.LBB133_93:                             ;   Parent Loop BB133_24 Depth=1
                                        ; =>  This Inner Loop Header: Depth=2
	ds_read_b64 v[6:7], v2
	s_add_i32 s3, s3, -1
	v_add_u32_e32 v2, 32, v2
	s_cmp_lg_u32 s3, 0
	s_waitcnt lgkmcnt(0)
	v_lshl_add_u64 v[4:5], v[6:7], 0, v[4:5]
	s_cbranch_scc1 .LBB133_93
.LBB133_94:                             ;   in Loop: Header=BB133_24 Depth=1
	v_add_lshl_u32 v2, s2, v28, 3
	ds_write_b64 v2, v[4:5] offset:3072
.LBB133_95:                             ;   in Loop: Header=BB133_24 Depth=1
	s_or_b64 exec, exec, s[0:1]
	s_lshl_b32 s0, s2, 3
	v_mov_b32_e32 v2, s0
	s_waitcnt lgkmcnt(0)
	s_barrier
	ds_read_b128 v[8:11], v2 offset:3088
	ds_read_b128 v[4:7], v2 offset:3072
	s_lshl_b32 s66, 3, s90
	v_cmp_eq_u64_e64 s[0:1], 1, v[24:25]
	s_not_b32 s54, s66
	s_waitcnt lgkmcnt(1)
	v_readfirstlane_b32 s22, v8
	s_waitcnt lgkmcnt(0)
	v_cmp_eq_u64_e32 vcc, 1, v[4:5]
	v_readfirstlane_b32 s23, v9
	v_readfirstlane_b32 s2, v10
	;; [unrolled: 1-line block ×3, first 2 shown]
	s_and_b64 s[18:19], vcc, s[0:1]
	s_mov_b64 s[0:1], -1
	s_mov_b64 s[20:21], -1
                                        ; implicit-def: $sgpr14_sgpr15
                                        ; implicit-def: $sgpr8_sgpr9
	s_and_saveexec_b64 s[16:17], s[18:19]
	s_cbranch_execz .LBB133_135
; %bb.96:                               ;   in Loop: Header=BB133_24 Depth=1
	ds_read_b64 v[8:9], v3 offset:5120
	s_waitcnt lgkmcnt(0)
	s_barrier
	v_readfirstlane_b32 s24, v8
	v_readfirstlane_b32 s25, v9
	s_mov_b64 s[8:9], exec
	v_readlane_b32 s14, v61, 26
	v_readlane_b32 s15, v61, 27
	s_and_b64 s[14:15], s[8:9], s[14:15]
	s_mov_b64 exec, s[14:15]
; %bb.97:                               ;   in Loop: Header=BB133_24 Depth=1
	ds_write_b16 v30, v3
; %bb.98:                               ;   in Loop: Header=BB133_24 Depth=1
	s_or_b64 exec, exec, s[8:9]
	v_and_b32_e32 v18, s54, v18
	v_or_b32_e32 v39, s66, v39
	s_mov_b64 s[8:9], -1
	s_mov_b64 s[14:15], 0
	s_cmp_eq_u64 s[24:25], 0
	s_mov_b64 s[20:21], 0
	s_mov_b64 s[26:27], -1
	s_waitcnt lgkmcnt(0)
	s_barrier
                                        ; implicit-def: $vgpr40
	s_cbranch_scc1 .LBB133_113
; %bb.99:                               ;   in Loop: Header=BB133_24 Depth=1
	v_readlane_b32 s20, v61, 32
	s_add_u32 s34, s24, s20
	v_readlane_b32 s20, v61, 33
	s_addc_u32 s21, s25, s20
	s_mov_b32 s20, s87
	s_cmp_lg_u64 s[20:21], 0
	s_cbranch_scc0 .LBB133_116
; %bb.100:                              ;   in Loop: Header=BB133_24 Depth=1
	v_cvt_f32_u32_e32 v2, s84
	s_sub_u32 s20, 0, s84
	s_subb_u32 s28, 0, 0
	v_fmac_f32_e32 v2, 0, v37
	v_rcp_f32_e32 v2, v2
	s_nop 0
	v_mul_f32_e32 v2, 0x5f7ffffc, v2
	v_mul_f32_e32 v8, 0x2f800000, v2
	v_trunc_f32_e32 v8, v8
	v_fmac_f32_e32 v2, 0xcf800000, v8
	v_cvt_u32_f32_e32 v8, v8
	v_cvt_u32_f32_e32 v2, v2
	v_readfirstlane_b32 s29, v8
	v_readfirstlane_b32 s26, v2
	s_mul_i32 s27, s20, s29
	s_mul_hi_u32 s36, s20, s26
	s_mul_i32 s35, s28, s26
	s_add_i32 s27, s36, s27
	s_mul_i32 s37, s20, s26
	s_add_i32 s27, s27, s35
	s_mul_hi_u32 s36, s26, s37
	s_mul_i32 s38, s26, s27
	s_mul_hi_u32 s35, s26, s27
	s_add_u32 s36, s36, s38
	s_addc_u32 s35, 0, s35
	s_mul_hi_u32 s39, s29, s37
	s_mul_i32 s37, s29, s37
	s_add_u32 s36, s36, s37
	s_mul_hi_u32 s38, s29, s27
	s_addc_u32 s35, s35, s39
	s_addc_u32 s36, s38, 0
	s_mul_i32 s27, s29, s27
	s_add_u32 s27, s35, s27
	s_addc_u32 s35, 0, s36
	s_add_u32 s36, s26, s27
	s_cselect_b64 s[26:27], -1, 0
	s_cmp_lg_u64 s[26:27], 0
	s_addc_u32 s29, s29, s35
	s_mul_i32 s26, s20, s29
	s_mul_hi_u32 s27, s20, s36
	s_add_i32 s26, s27, s26
	s_mul_i32 s28, s28, s36
	s_add_i32 s26, s26, s28
	s_mul_i32 s20, s20, s36
	s_mul_hi_u32 s28, s29, s20
	s_mul_i32 s35, s29, s20
	s_mul_i32 s38, s36, s26
	s_mul_hi_u32 s20, s36, s20
	s_mul_hi_u32 s37, s36, s26
	s_add_u32 s20, s20, s38
	s_addc_u32 s37, 0, s37
	s_add_u32 s20, s20, s35
	s_mul_hi_u32 s27, s29, s26
	s_addc_u32 s20, s37, s28
	s_addc_u32 s27, s27, 0
	s_mul_i32 s26, s29, s26
	s_add_u32 s20, s20, s26
	s_addc_u32 s28, 0, s27
	s_add_u32 s20, s36, s20
	s_cselect_b64 s[26:27], -1, 0
	s_cmp_lg_u64 s[26:27], 0
	s_addc_u32 s26, s29, s28
	s_mul_i32 s28, s34, s26
	s_mul_hi_u32 s29, s34, s20
	s_mul_hi_u32 s27, s34, s26
	s_add_u32 s28, s29, s28
	s_addc_u32 s27, 0, s27
	s_mul_hi_u32 s35, s21, s20
	s_mul_i32 s20, s21, s20
	s_add_u32 s20, s28, s20
	s_mul_hi_u32 s29, s21, s26
	s_addc_u32 s20, s27, s35
	s_addc_u32 s27, s29, 0
	s_mul_i32 s26, s21, s26
	s_add_u32 s20, s20, s26
	s_addc_u32 s26, 0, s27
	s_mul_i32 s26, s84, s26
	s_mul_hi_u32 s27, s84, s20
	s_add_i32 s28, s27, s26
	s_mul_i32 s20, s84, s20
	s_sub_u32 s20, s34, s20
	s_cselect_b64 s[26:27], -1, 0
	s_cmp_lg_u64 s[26:27], 0
	s_subb_u32 s28, s21, s28
	s_sub_u32 s29, s20, s84
	s_cselect_b64 s[26:27], -1, 0
	s_cmp_lg_u64 s[26:27], 0
	s_subb_u32 s35, s28, 0
	;; [unrolled: 4-line block ×3, first 2 shown]
	s_cmp_ge_u32 s29, s84
	s_cselect_b32 s27, -1, 0
	s_cmp_eq_u32 s35, 0
	s_cselect_b32 s27, s27, -1
	s_cmp_lg_u32 s27, 0
	s_cselect_b32 s26, s26, s35
	s_cselect_b32 s29, s36, s29
	s_cmp_ge_u32 s20, s84
	s_cselect_b32 s27, -1, 0
	s_cmp_eq_u32 s28, 0
	s_cselect_b32 s27, s27, -1
	s_cmp_lg_u32 s27, 0
	s_cselect_b32 s27, s26, s28
	s_cselect_b32 s26, s29, s20
	s_cbranch_execnz .LBB133_102
.LBB133_101:                            ;   in Loop: Header=BB133_24 Depth=1
	v_cvt_f32_u32_e32 v2, s84
	s_sub_i32 s20, 0, s84
	v_rcp_iflag_f32_e32 v2, v2
	s_nop 0
	v_mul_f32_e32 v2, 0x4f7ffffe, v2
	v_cvt_u32_f32_e32 v2, v2
	s_nop 0
	v_readfirstlane_b32 s26, v2
	s_mul_i32 s20, s20, s26
	s_mul_hi_u32 s20, s26, s20
	s_add_i32 s26, s26, s20
	s_mul_hi_u32 s20, s34, s26
	s_mul_i32 s20, s20, s84
	s_sub_i32 s20, s34, s20
	s_sub_i32 s26, s20, s84
	s_cmp_ge_u32 s20, s84
	s_cselect_b32 s20, s26, s20
	s_sub_i32 s26, s20, s84
	s_cmp_ge_u32 s20, s84
	s_cselect_b32 s86, s26, s20
	s_mov_b64 s[26:27], s[86:87]
.LBB133_102:                            ;   in Loop: Header=BB133_24 Depth=1
	s_sub_u32 s34, s34, s26
	s_subb_u32 s35, s21, s27
	v_cmp_gt_u64_e32 vcc, s[34:35], v[0:1]
	s_mov_b64 s[26:27], 0
	s_mov_b64 s[20:21], 0
                                        ; implicit-def: $vgpr40
	s_and_saveexec_b64 s[28:29], vcc
	s_cbranch_execz .LBB133_112
; %bb.103:                              ;   in Loop: Header=BB133_24 Depth=1
	v_mov_b32_e32 v2, v29
	v_mov_b64_e32 v[8:9], v[0:1]
                                        ; implicit-def: $sgpr36_sgpr37
	s_branch .LBB133_107
.LBB133_104:                            ;   in Loop: Header=BB133_107 Depth=2
	s_or_b64 exec, exec, s[38:39]
	s_waitcnt lgkmcnt(0)
	s_barrier
	ds_read_b32 v10, v3 offset:3072
	s_waitcnt lgkmcnt(0)
	s_barrier
	v_cmp_neq_f16_e32 vcc, 0, v10
	s_cbranch_vccnz .LBB133_110
; %bb.105:                              ;   in Loop: Header=BB133_107 Depth=2
	v_lshl_add_u64 v[8:9], v[8:9], 0, s[84:85]
	v_cmp_le_u64_e32 vcc, s[34:35], v[8:9]
	v_add_u32_e32 v2, s69, v2
	s_mov_b64 s[38:39], 0
	s_orn2_b64 s[40:41], vcc, exec
.LBB133_106:                            ;   in Loop: Header=BB133_107 Depth=2
	s_and_b64 s[40:41], exec, s[40:41]
	s_or_b64 s[20:21], s[40:41], s[20:21]
	s_andn2_b64 s[36:37], s[36:37], exec
	s_and_b64 s[38:39], s[38:39], exec
	s_or_b64 s[36:37], s[36:37], s[38:39]
	s_andn2_b64 exec, exec, s[20:21]
	s_cbranch_execz .LBB133_111
.LBB133_107:                            ;   Parent Loop BB133_24 Depth=1
                                        ; =>  This Inner Loop Header: Depth=2
	v_cmp_gt_u64_e32 vcc, s[24:25], v[8:9]
	s_and_saveexec_b64 s[38:39], vcc
	s_cbranch_execz .LBB133_104
; %bb.108:                              ;   in Loop: Header=BB133_107 Depth=2
	ds_read_u16 v10, v2
	s_waitcnt lgkmcnt(0)
	v_cmp_lt_i16_e32 vcc, -1, v10
	s_nop 1
	v_cndmask_b32_e32 v11, v35, v36, vcc
	v_xor_b32_sdwa v11, v11, v10 dst_sel:DWORD dst_unused:UNUSED_PAD src0_sel:DWORD src1_sel:WORD_0
	v_cmp_o_f16_e32 vcc, v10, v10
	s_nop 1
	v_cndmask_b32_e32 v11, v35, v11, vcc
	v_and_b32_e32 v11, v11, v39
	v_cmp_eq_u32_e32 vcc, v11, v18
	s_and_b64 exec, exec, vcc
	s_cbranch_execz .LBB133_104
; %bb.109:                              ;   in Loop: Header=BB133_107 Depth=2
	v_perm_b32 v10, v10, s6, v38
	ds_write_b32 v3, v10 offset:3072
	s_branch .LBB133_104
.LBB133_110:                            ;   in Loop: Header=BB133_107 Depth=2
	s_mov_b64 s[40:41], -1
                                        ; implicit-def: $vgpr8_vgpr9
                                        ; implicit-def: $vgpr2
	s_mov_b64 s[38:39], -1
	s_branch .LBB133_106
.LBB133_111:                            ;   in Loop: Header=BB133_24 Depth=1
	s_or_b64 exec, exec, s[20:21]
	v_lshrrev_b32_e32 v40, 16, v10
	s_and_b64 s[20:21], s[36:37], exec
.LBB133_112:                            ;   in Loop: Header=BB133_24 Depth=1
	s_or_b64 exec, exec, s[28:29]
.LBB133_113:                            ;   in Loop: Header=BB133_24 Depth=1
	s_and_b64 vcc, exec, s[26:27]
	s_cbranch_vccz .LBB133_134
; %bb.114:                              ;   in Loop: Header=BB133_24 Depth=1
	s_mov_b32 s92, s87
	s_cmp_lg_u64 s[92:93], 0
	s_cbranch_scc0 .LBB133_120
; %bb.115:                              ;   in Loop: Header=BB133_24 Depth=1
	v_cvt_f32_u32_e32 v2, s84
	s_sub_u32 s14, 0, s84
	s_subb_u32 s15, 0, 0
	v_fmac_f32_e32 v2, 0, v37
	v_rcp_f32_e32 v2, v2
	s_nop 0
	v_mul_f32_e32 v2, 0x5f7ffffc, v2
	v_mul_f32_e32 v8, 0x2f800000, v2
	v_trunc_f32_e32 v8, v8
	v_fmac_f32_e32 v2, 0xcf800000, v8
	v_cvt_u32_f32_e32 v8, v8
	v_cvt_u32_f32_e32 v2, v2
	v_readfirstlane_b32 s24, v8
	v_readfirstlane_b32 s8, v2
	s_mul_i32 s9, s14, s24
	s_mul_hi_u32 s26, s14, s8
	s_mul_i32 s25, s15, s8
	s_add_i32 s9, s26, s9
	s_mul_i32 s27, s14, s8
	s_add_i32 s9, s9, s25
	s_mul_hi_u32 s26, s8, s27
	s_mul_i32 s28, s8, s9
	s_mul_hi_u32 s25, s8, s9
	s_add_u32 s26, s26, s28
	s_addc_u32 s25, 0, s25
	s_mul_hi_u32 s29, s24, s27
	s_mul_i32 s27, s24, s27
	s_add_u32 s26, s26, s27
	s_mul_hi_u32 s28, s24, s9
	s_addc_u32 s25, s25, s29
	s_addc_u32 s26, s28, 0
	s_mul_i32 s9, s24, s9
	s_add_u32 s9, s25, s9
	s_addc_u32 s25, 0, s26
	s_add_u32 s26, s8, s9
	s_cselect_b64 s[8:9], -1, 0
	s_cmp_lg_u64 s[8:9], 0
	s_addc_u32 s24, s24, s25
	s_mul_i32 s8, s14, s24
	s_mul_hi_u32 s9, s14, s26
	s_add_i32 s8, s9, s8
	s_mul_i32 s15, s15, s26
	s_add_i32 s8, s8, s15
	s_mul_i32 s14, s14, s26
	s_mul_hi_u32 s15, s24, s14
	s_mul_i32 s25, s24, s14
	s_mul_i32 s28, s26, s8
	s_mul_hi_u32 s14, s26, s14
	s_mul_hi_u32 s27, s26, s8
	s_add_u32 s14, s14, s28
	s_addc_u32 s27, 0, s27
	s_add_u32 s14, s14, s25
	s_mul_hi_u32 s9, s24, s8
	s_addc_u32 s14, s27, s15
	s_addc_u32 s9, s9, 0
	s_mul_i32 s8, s24, s8
	s_add_u32 s8, s14, s8
	s_addc_u32 s14, 0, s9
	s_add_u32 s15, s26, s8
	s_cselect_b64 s[8:9], -1, 0
	s_cmp_lg_u64 s[8:9], 0
	s_addc_u32 s8, s24, s14
	s_mul_i32 s14, s31, s8
	s_mul_hi_u32 s24, s31, s15
	s_mul_hi_u32 s9, s31, s8
	s_add_u32 s14, s24, s14
	s_addc_u32 s9, 0, s9
	s_mul_hi_u32 s25, s93, s15
	s_mul_i32 s15, s93, s15
	s_add_u32 s14, s14, s15
	s_mul_hi_u32 s24, s93, s8
	s_addc_u32 s9, s9, s25
	s_addc_u32 s14, s24, 0
	s_mul_i32 s8, s93, s8
	s_add_u32 s8, s9, s8
	s_addc_u32 s9, 0, s14
	s_mul_i32 s9, s84, s9
	s_mul_hi_u32 s14, s84, s8
	s_add_i32 s14, s14, s9
	s_mul_i32 s8, s84, s8
	s_sub_u32 s15, s31, s8
	s_cselect_b64 s[8:9], -1, 0
	s_cmp_lg_u64 s[8:9], 0
	s_subb_u32 s14, s93, s14
	s_sub_u32 s24, s15, s84
	s_cselect_b64 s[8:9], -1, 0
	s_cmp_lg_u64 s[8:9], 0
	s_subb_u32 s25, s14, 0
	;; [unrolled: 4-line block ×3, first 2 shown]
	s_cmp_ge_u32 s24, s84
	s_cselect_b32 s9, -1, 0
	s_cmp_eq_u32 s25, 0
	s_cselect_b32 s9, s9, -1
	s_cmp_lg_u32 s9, 0
	s_cselect_b32 s8, s8, s25
	s_cselect_b32 s24, s26, s24
	s_cmp_ge_u32 s15, s84
	s_cselect_b32 s9, -1, 0
	s_cmp_eq_u32 s14, 0
	s_cselect_b32 s9, s9, -1
	s_cmp_lg_u32 s9, 0
	s_cselect_b32 s9, s8, s14
	s_cselect_b32 s8, s24, s15
	s_mov_b64 s[14:15], 0
	s_branch .LBB133_121
.LBB133_116:                            ;   in Loop: Header=BB133_24 Depth=1
                                        ; implicit-def: $sgpr26_sgpr27
	s_branch .LBB133_101
.LBB133_117:                            ;   in Loop: Header=BB133_24 Depth=1
	s_or_b64 exec, exec, s[14:15]
	s_waitcnt lgkmcnt(0)
	s_barrier
	s_mov_b64 s[0:1], exec
	v_readlane_b32 s2, v61, 16
	v_readlane_b32 s3, v61, 17
	s_and_b64 s[2:3], s[0:1], s[2:3]
	s_mov_b64 exec, s[2:3]
	s_cbranch_execz .LBB133_119
; %bb.118:                              ;   in Loop: Header=BB133_24 Depth=1
	ds_read_b32 v4, v3 offset:5144
	s_waitcnt lgkmcnt(0)
	v_ashrrev_i32_e32 v5, 31, v4
	ds_write_b64 v3, v[4:5] offset:5120
.LBB133_119:                            ;   in Loop: Header=BB133_24 Depth=1
	s_or_b64 exec, exec, s[0:1]
	s_waitcnt lgkmcnt(0)
	s_barrier
	s_mov_b64 s[0:1], -1
	s_and_b64 vcc, exec, s[8:9]
	s_cbranch_vccnz .LBB133_39
	s_branch .LBB133_54
.LBB133_120:                            ;   in Loop: Header=BB133_24 Depth=1
	s_mov_b64 s[14:15], -1
                                        ; implicit-def: $sgpr8_sgpr9
.LBB133_121:                            ;   in Loop: Header=BB133_24 Depth=1
	s_andn2_b64 vcc, exec, s[14:15]
	v_readlane_b32 s92, v61, 45
	s_cbranch_vccnz .LBB133_123
; %bb.122:                              ;   in Loop: Header=BB133_24 Depth=1
	v_cvt_f32_u32_e32 v2, s84
	s_sub_i32 s8, 0, s84
	v_rcp_iflag_f32_e32 v2, v2
	s_nop 0
	v_mul_f32_e32 v2, 0x4f7ffffe, v2
	v_cvt_u32_f32_e32 v2, v2
	s_nop 0
	v_readfirstlane_b32 s9, v2
	s_mul_i32 s8, s8, s9
	s_mul_hi_u32 s8, s9, s8
	s_add_i32 s9, s9, s8
	s_mul_hi_u32 s8, s31, s9
	s_mul_i32 s8, s8, s84
	s_sub_i32 s8, s31, s8
	s_sub_i32 s9, s8, s84
	s_cmp_ge_u32 s8, s84
	s_cselect_b32 s8, s9, s8
	s_sub_i32 s9, s8, s84
	s_cmp_ge_u32 s8, s84
	s_cselect_b32 s86, s9, s8
	s_mov_b64 s[8:9], s[86:87]
.LBB133_123:                            ;   in Loop: Header=BB133_24 Depth=1
	s_sub_u32 s14, s31, s8
	s_subb_u32 s15, s93, s9
	v_cmp_gt_u64_e32 vcc, s[14:15], v[0:1]
                                        ; implicit-def: $vgpr40
	s_and_saveexec_b64 s[8:9], vcc
	s_cbranch_execz .LBB133_133
; %bb.124:                              ;   in Loop: Header=BB133_24 Depth=1
	s_mov_b64 s[24:25], 0
	v_mov_b64_e32 v[8:9], v[0:1]
                                        ; implicit-def: $sgpr26_sgpr27
	s_branch .LBB133_128
.LBB133_125:                            ;   in Loop: Header=BB133_128 Depth=2
	s_or_b64 exec, exec, s[28:29]
	s_waitcnt lgkmcnt(0)
	s_barrier
	ds_read_b32 v2, v3 offset:3072
	s_waitcnt lgkmcnt(0)
	s_barrier
	v_cmp_neq_f16_e32 vcc, 0, v2
	s_cbranch_vccnz .LBB133_131
; %bb.126:                              ;   in Loop: Header=BB133_128 Depth=2
	v_lshl_add_u64 v[8:9], v[8:9], 0, s[84:85]
	v_cmp_le_u64_e32 vcc, s[14:15], v[8:9]
	s_mov_b64 s[28:29], 0
	s_orn2_b64 s[34:35], vcc, exec
.LBB133_127:                            ;   in Loop: Header=BB133_128 Depth=2
	s_and_b64 s[34:35], exec, s[34:35]
	s_or_b64 s[24:25], s[34:35], s[24:25]
	s_andn2_b64 s[26:27], s[26:27], exec
	s_and_b64 s[28:29], s[28:29], exec
	s_or_b64 s[26:27], s[26:27], s[28:29]
	s_andn2_b64 exec, exec, s[24:25]
	s_cbranch_execz .LBB133_132
.LBB133_128:                            ;   Parent Loop BB133_24 Depth=1
                                        ; =>  This Inner Loop Header: Depth=2
	v_cmp_gt_u64_e32 vcc, s[56:57], v[8:9]
	s_and_saveexec_b64 s[28:29], vcc
	s_cbranch_execz .LBB133_125
; %bb.129:                              ;   in Loop: Header=BB133_128 Depth=2
	v_mul_lo_u32 v2, v9, s72
	v_mul_lo_u32 v26, v8, s73
	v_mad_u64_u32 v[10:11], s[34:35], v8, s72, 0
	v_add3_u32 v11, v11, v26, v2
	v_lshl_add_u64 v[10:11], v[10:11], 1, s[80:81]
	global_load_ushort v2, v[10:11], off
	s_waitcnt vmcnt(0)
	v_cmp_lt_i16_e32 vcc, -1, v2
	s_nop 1
	v_cndmask_b32_e32 v10, v35, v36, vcc
	v_xor_b32_sdwa v10, v10, v2 dst_sel:DWORD dst_unused:UNUSED_PAD src0_sel:DWORD src1_sel:WORD_0
	v_cmp_o_f16_e32 vcc, v2, v2
	s_nop 1
	v_cndmask_b32_e32 v10, v35, v10, vcc
	v_and_b32_e32 v10, v10, v39
	v_cmp_eq_u32_e32 vcc, v10, v18
	s_and_b64 exec, exec, vcc
	s_cbranch_execz .LBB133_125
; %bb.130:                              ;   in Loop: Header=BB133_128 Depth=2
	v_perm_b32 v2, v2, s6, v38
	ds_write_b32 v3, v2 offset:3072
	s_branch .LBB133_125
.LBB133_131:                            ;   in Loop: Header=BB133_128 Depth=2
	s_mov_b64 s[34:35], -1
                                        ; implicit-def: $vgpr8_vgpr9
	s_mov_b64 s[28:29], -1
	s_branch .LBB133_127
.LBB133_132:                            ;   in Loop: Header=BB133_24 Depth=1
	s_or_b64 exec, exec, s[24:25]
	s_andn2_b64 s[14:15], s[20:21], exec
	s_and_b64 s[20:21], s[26:27], exec
	v_lshrrev_b32_e32 v40, 16, v2
	s_or_b64 s[20:21], s[14:15], s[20:21]
.LBB133_133:                            ;   in Loop: Header=BB133_24 Depth=1
	s_or_b64 exec, exec, s[8:9]
	s_mov_b64 s[8:9], 0
	s_mov_b64 s[14:15], -1
.LBB133_134:                            ;   in Loop: Header=BB133_24 Depth=1
	s_orn2_b64 s[20:21], s[20:21], exec
.LBB133_135:                            ;   in Loop: Header=BB133_24 Depth=1
	s_or_b64 exec, exec, s[16:17]
	s_andn2_b64 s[10:11], s[10:11], exec
	s_and_b64 s[14:15], s[14:15], exec
	s_andn2_b64 s[12:13], s[12:13], exec
	s_and_b64 s[8:9], s[8:9], exec
	s_andn2_b64 s[70:71], s[70:71], exec
	s_or_b64 s[10:11], s[10:11], s[14:15]
	s_or_b64 s[12:13], s[12:13], s[8:9]
                                        ; implicit-def: $vgpr8_vgpr9
	s_and_saveexec_b64 s[16:17], s[20:21]
	s_cbranch_execz .LBB133_23
; %bb.136:                              ;   in Loop: Header=BB133_24 Depth=1
	s_xor_b64 s[8:9], s[18:19], -1
	v_mov_b32_e32 v2, 1
	s_mov_b64 s[14:15], 0
	v_mov_b64_e32 v[8:9], 1
	s_and_saveexec_b64 s[0:1], s[8:9]
	s_cbranch_execz .LBB133_145
; %bb.137:                              ;   in Loop: Header=BB133_24 Depth=1
	v_cmp_le_u64_e32 vcc, v[24:25], v[4:5]
	s_and_saveexec_b64 s[8:9], vcc
	s_xor_b64 s[8:9], exec, s[8:9]
	s_cbranch_execz .LBB133_142
; %bb.138:                              ;   in Loop: Header=BB133_24 Depth=1
	ds_read_b64 v[8:9], v3 offset:5120
	v_and_b32_e32 v18, s54, v18
	v_or_b32_e32 v39, s66, v39
	s_waitcnt lgkmcnt(0)
	v_cmp_ne_u64_e32 vcc, 0, v[8:9]
	s_cbranch_vccnz .LBB133_142
; %bb.139:                              ;   in Loop: Header=BB133_24 Depth=1
	s_mov_b64 s[14:15], exec
	v_readlane_b32 s18, v61, 16
	v_readlane_b32 s19, v61, 17
	s_and_b64 s[18:19], s[14:15], s[18:19]
	s_mov_b64 exec, s[18:19]
; %bb.140:                              ;   in Loop: Header=BB133_24 Depth=1
	ds_write_b64 v3, v[4:5] offset:5128
; %bb.141:                              ;   in Loop: Header=BB133_24 Depth=1
	s_or_b64 exec, exec, s[14:15]
	s_waitcnt lgkmcnt(0)
	s_barrier
.LBB133_142:                            ;   in Loop: Header=BB133_24 Depth=1
	s_or_saveexec_b64 s[8:9], s[8:9]
	s_mov_b64 s[14:15], 0
	v_mov_b32_e32 v2, 8
	s_xor_b64 exec, exec, s[8:9]
; %bb.143:                              ;   in Loop: Header=BB133_24 Depth=1
	v_sub_co_u32_e32 v24, vcc, v24, v4
	s_mov_b64 s[14:15], exec
	s_nop 0
	v_subb_co_u32_e32 v25, vcc, v25, v5, vcc
	v_mov_b32_e32 v2, 0
; %bb.144:                              ;   in Loop: Header=BB133_24 Depth=1
	s_or_b64 exec, exec, s[8:9]
	s_and_b64 s[14:15], s[14:15], exec
	v_mov_b64_e32 v[8:9], v[24:25]
.LBB133_145:                            ;   in Loop: Header=BB133_24 Depth=1
	s_or_b64 exec, exec, s[0:1]
	s_mov_b64 s[18:19], -1
	s_mov_b64 s[8:9], -1
                                        ; implicit-def: $sgpr0_sgpr1
                                        ; implicit-def: $sgpr24_sgpr25
	s_and_saveexec_b64 s[20:21], s[14:15]
	s_xor_b64 s[20:21], exec, s[20:21]
	s_cbranch_execz .LBB133_296
; %bb.146:                              ;   in Loop: Header=BB133_24 Depth=1
	v_cmp_eq_u64_e32 vcc, 1, v[6:7]
	v_cmp_eq_u64_e64 s[0:1], 1, v[8:9]
	s_and_b64 s[28:29], vcc, s[0:1]
                                        ; implicit-def: $sgpr24_sgpr25
                                        ; implicit-def: $sgpr0_sgpr1
	s_and_saveexec_b64 s[26:27], s[28:29]
	s_cbranch_execz .LBB133_183
; %bb.147:                              ;   in Loop: Header=BB133_24 Depth=1
	ds_read_b64 v[4:5], v3 offset:5120
	s_waitcnt lgkmcnt(0)
	s_barrier
	v_readfirstlane_b32 s14, v4
	v_readfirstlane_b32 s15, v5
	s_mov_b64 s[0:1], exec
	v_readlane_b32 s8, v61, 26
	v_readlane_b32 s9, v61, 27
	s_and_b64 s[8:9], s[0:1], s[8:9]
	s_mov_b64 exec, s[8:9]
; %bb.148:                              ;   in Loop: Header=BB133_24 Depth=1
	ds_write_b16 v30, v3
; %bb.149:                              ;   in Loop: Header=BB133_24 Depth=1
	s_or_b64 exec, exec, s[0:1]
	v_and_b32_e32 v4, s54, v18
	v_lshl_or_b32 v18, 1, s90, v4
	v_or_b32_e32 v39, s66, v39
	s_mov_b64 s[0:1], -1
	s_mov_b64 s[24:25], 0
	s_cmp_eq_u64 s[14:15], 0
	s_mov_b64 s[8:9], 0
	s_mov_b64 s[34:35], -1
	s_waitcnt lgkmcnt(0)
	s_barrier
                                        ; implicit-def: $vgpr40
	s_cbranch_scc1 .LBB133_164
; %bb.150:                              ;   in Loop: Header=BB133_24 Depth=1
	v_readlane_b32 s8, v61, 32
	s_add_u32 s38, s14, s8
	v_readlane_b32 s8, v61, 33
	s_addc_u32 s9, s15, s8
	s_mov_b32 s8, s87
	s_cmp_lg_u64 s[8:9], 0
	s_cbranch_scc0 .LBB133_167
; %bb.151:                              ;   in Loop: Header=BB133_24 Depth=1
	v_cvt_f32_u32_e32 v4, s84
	s_sub_u32 s8, 0, s84
	s_subb_u32 s36, 0, 0
	v_fmac_f32_e32 v4, 0, v37
	v_rcp_f32_e32 v4, v4
	s_nop 0
	v_mul_f32_e32 v4, 0x5f7ffffc, v4
	v_mul_f32_e32 v5, 0x2f800000, v4
	v_trunc_f32_e32 v5, v5
	v_fmac_f32_e32 v4, 0xcf800000, v5
	v_cvt_u32_f32_e32 v5, v5
	v_cvt_u32_f32_e32 v4, v4
	v_readfirstlane_b32 s37, v5
	v_readfirstlane_b32 s34, v4
	s_mul_i32 s35, s8, s37
	s_mul_hi_u32 s40, s8, s34
	s_mul_i32 s39, s36, s34
	s_add_i32 s35, s40, s35
	s_mul_i32 s41, s8, s34
	s_add_i32 s35, s35, s39
	s_mul_hi_u32 s40, s34, s41
	s_mul_i32 s42, s34, s35
	s_mul_hi_u32 s39, s34, s35
	s_add_u32 s40, s40, s42
	s_addc_u32 s39, 0, s39
	s_mul_hi_u32 s43, s37, s41
	s_mul_i32 s41, s37, s41
	s_add_u32 s40, s40, s41
	s_mul_hi_u32 s42, s37, s35
	s_addc_u32 s39, s39, s43
	s_addc_u32 s40, s42, 0
	s_mul_i32 s35, s37, s35
	s_add_u32 s35, s39, s35
	s_addc_u32 s39, 0, s40
	s_add_u32 s40, s34, s35
	s_cselect_b64 s[34:35], -1, 0
	s_cmp_lg_u64 s[34:35], 0
	s_addc_u32 s37, s37, s39
	s_mul_i32 s34, s8, s37
	s_mul_hi_u32 s35, s8, s40
	s_add_i32 s34, s35, s34
	s_mul_i32 s36, s36, s40
	s_add_i32 s34, s34, s36
	s_mul_i32 s8, s8, s40
	s_mul_hi_u32 s36, s37, s8
	s_mul_i32 s39, s37, s8
	s_mul_i32 s42, s40, s34
	s_mul_hi_u32 s8, s40, s8
	s_mul_hi_u32 s41, s40, s34
	s_add_u32 s8, s8, s42
	s_addc_u32 s41, 0, s41
	s_add_u32 s8, s8, s39
	s_mul_hi_u32 s35, s37, s34
	s_addc_u32 s8, s41, s36
	s_addc_u32 s35, s35, 0
	s_mul_i32 s34, s37, s34
	s_add_u32 s8, s8, s34
	s_addc_u32 s36, 0, s35
	s_add_u32 s8, s40, s8
	s_cselect_b64 s[34:35], -1, 0
	s_cmp_lg_u64 s[34:35], 0
	s_addc_u32 s34, s37, s36
	s_mul_i32 s36, s38, s34
	s_mul_hi_u32 s37, s38, s8
	s_mul_hi_u32 s35, s38, s34
	s_add_u32 s36, s37, s36
	s_addc_u32 s35, 0, s35
	s_mul_hi_u32 s39, s9, s8
	s_mul_i32 s8, s9, s8
	s_add_u32 s8, s36, s8
	s_mul_hi_u32 s37, s9, s34
	s_addc_u32 s8, s35, s39
	s_addc_u32 s35, s37, 0
	s_mul_i32 s34, s9, s34
	s_add_u32 s8, s8, s34
	s_addc_u32 s34, 0, s35
	s_mul_i32 s34, s84, s34
	s_mul_hi_u32 s35, s84, s8
	s_add_i32 s36, s35, s34
	s_mul_i32 s8, s84, s8
	s_sub_u32 s8, s38, s8
	s_cselect_b64 s[34:35], -1, 0
	s_cmp_lg_u64 s[34:35], 0
	s_subb_u32 s36, s9, s36
	s_sub_u32 s37, s8, s84
	s_cselect_b64 s[34:35], -1, 0
	s_cmp_lg_u64 s[34:35], 0
	s_subb_u32 s39, s36, 0
	;; [unrolled: 4-line block ×3, first 2 shown]
	s_cmp_ge_u32 s37, s84
	s_cselect_b32 s35, -1, 0
	s_cmp_eq_u32 s39, 0
	s_cselect_b32 s35, s35, -1
	s_cmp_lg_u32 s35, 0
	s_cselect_b32 s34, s34, s39
	s_cselect_b32 s37, s40, s37
	s_cmp_ge_u32 s8, s84
	s_cselect_b32 s35, -1, 0
	s_cmp_eq_u32 s36, 0
	s_cselect_b32 s35, s35, -1
	s_cmp_lg_u32 s35, 0
	s_cselect_b32 s35, s34, s36
	s_cselect_b32 s34, s37, s8
	s_cbranch_execnz .LBB133_153
.LBB133_152:                            ;   in Loop: Header=BB133_24 Depth=1
	v_cvt_f32_u32_e32 v4, s84
	s_sub_i32 s8, 0, s84
	v_rcp_iflag_f32_e32 v4, v4
	s_nop 0
	v_mul_f32_e32 v4, 0x4f7ffffe, v4
	v_cvt_u32_f32_e32 v4, v4
	s_nop 0
	v_readfirstlane_b32 s34, v4
	s_mul_i32 s8, s8, s34
	s_mul_hi_u32 s8, s34, s8
	s_add_i32 s34, s34, s8
	s_mul_hi_u32 s8, s38, s34
	s_mul_i32 s8, s8, s84
	s_sub_i32 s8, s38, s8
	s_sub_i32 s34, s8, s84
	s_cmp_ge_u32 s8, s84
	s_cselect_b32 s8, s34, s8
	s_sub_i32 s34, s8, s84
	s_cmp_ge_u32 s8, s84
	s_cselect_b32 s86, s34, s8
	s_mov_b64 s[34:35], s[86:87]
.LBB133_153:                            ;   in Loop: Header=BB133_24 Depth=1
	s_sub_u32 s38, s38, s34
	s_subb_u32 s39, s9, s35
	v_cmp_gt_u64_e32 vcc, s[38:39], v[0:1]
	s_mov_b64 s[34:35], 0
	s_mov_b64 s[8:9], 0
                                        ; implicit-def: $vgpr40
	s_and_saveexec_b64 s[36:37], vcc
	s_cbranch_execz .LBB133_163
; %bb.154:                              ;   in Loop: Header=BB133_24 Depth=1
	v_mov_b32_e32 v10, v29
	v_mov_b64_e32 v[4:5], v[0:1]
                                        ; implicit-def: $sgpr40_sgpr41
	s_branch .LBB133_158
.LBB133_155:                            ;   in Loop: Header=BB133_158 Depth=2
	s_or_b64 exec, exec, s[42:43]
	s_waitcnt lgkmcnt(0)
	s_barrier
	ds_read_b32 v11, v3 offset:3072
	s_waitcnt lgkmcnt(0)
	s_barrier
	v_cmp_neq_f16_e32 vcc, 0, v11
	s_cbranch_vccnz .LBB133_161
; %bb.156:                              ;   in Loop: Header=BB133_158 Depth=2
	v_lshl_add_u64 v[4:5], v[4:5], 0, s[84:85]
	v_cmp_le_u64_e32 vcc, s[38:39], v[4:5]
	v_add_u32_e32 v10, s69, v10
	s_mov_b64 s[42:43], 0
	s_orn2_b64 s[44:45], vcc, exec
.LBB133_157:                            ;   in Loop: Header=BB133_158 Depth=2
	s_and_b64 s[44:45], exec, s[44:45]
	s_or_b64 s[8:9], s[44:45], s[8:9]
	s_andn2_b64 s[40:41], s[40:41], exec
	s_and_b64 s[42:43], s[42:43], exec
	s_or_b64 s[40:41], s[40:41], s[42:43]
	s_andn2_b64 exec, exec, s[8:9]
	s_cbranch_execz .LBB133_162
.LBB133_158:                            ;   Parent Loop BB133_24 Depth=1
                                        ; =>  This Inner Loop Header: Depth=2
	v_cmp_gt_u64_e32 vcc, s[14:15], v[4:5]
	s_and_saveexec_b64 s[42:43], vcc
	s_cbranch_execz .LBB133_155
; %bb.159:                              ;   in Loop: Header=BB133_158 Depth=2
	ds_read_u16 v11, v10
	s_waitcnt lgkmcnt(0)
	v_cmp_lt_i16_e32 vcc, -1, v11
	s_nop 1
	v_cndmask_b32_e32 v24, v35, v36, vcc
	v_xor_b32_sdwa v24, v24, v11 dst_sel:DWORD dst_unused:UNUSED_PAD src0_sel:DWORD src1_sel:WORD_0
	v_cmp_o_f16_e32 vcc, v11, v11
	s_nop 1
	v_cndmask_b32_e32 v24, v35, v24, vcc
	v_and_b32_e32 v24, v24, v39
	v_cmp_eq_u32_e32 vcc, v24, v18
	s_and_b64 exec, exec, vcc
	s_cbranch_execz .LBB133_155
; %bb.160:                              ;   in Loop: Header=BB133_158 Depth=2
	v_perm_b32 v11, v11, s6, v38
	ds_write_b32 v3, v11 offset:3072
	s_branch .LBB133_155
.LBB133_161:                            ;   in Loop: Header=BB133_158 Depth=2
	s_mov_b64 s[44:45], -1
                                        ; implicit-def: $vgpr4_vgpr5
                                        ; implicit-def: $vgpr10
	s_mov_b64 s[42:43], -1
	s_branch .LBB133_157
.LBB133_162:                            ;   in Loop: Header=BB133_24 Depth=1
	s_or_b64 exec, exec, s[8:9]
	v_lshrrev_b32_e32 v40, 16, v11
	s_and_b64 s[8:9], s[40:41], exec
.LBB133_163:                            ;   in Loop: Header=BB133_24 Depth=1
	s_or_b64 exec, exec, s[36:37]
.LBB133_164:                            ;   in Loop: Header=BB133_24 Depth=1
	s_and_b64 vcc, exec, s[34:35]
	s_cbranch_vccz .LBB133_182
; %bb.165:                              ;   in Loop: Header=BB133_24 Depth=1
	s_mov_b32 s92, s87
	s_cmp_lg_u64 s[92:93], 0
	s_cbranch_scc0 .LBB133_168
; %bb.166:                              ;   in Loop: Header=BB133_24 Depth=1
	v_cvt_f32_u32_e32 v4, s84
	s_sub_u32 s14, 0, s84
	s_subb_u32 s15, 0, 0
	v_fmac_f32_e32 v4, 0, v37
	v_rcp_f32_e32 v4, v4
	s_nop 0
	v_mul_f32_e32 v4, 0x5f7ffffc, v4
	v_mul_f32_e32 v5, 0x2f800000, v4
	v_trunc_f32_e32 v5, v5
	v_fmac_f32_e32 v4, 0xcf800000, v5
	v_cvt_u32_f32_e32 v5, v5
	v_cvt_u32_f32_e32 v4, v4
	v_readfirstlane_b32 s24, v5
	v_readfirstlane_b32 s0, v4
	s_mul_i32 s1, s14, s24
	s_mul_hi_u32 s34, s14, s0
	s_mul_i32 s25, s15, s0
	s_add_i32 s1, s34, s1
	s_mul_i32 s35, s14, s0
	s_add_i32 s1, s1, s25
	s_mul_hi_u32 s34, s0, s35
	s_mul_i32 s36, s0, s1
	s_mul_hi_u32 s25, s0, s1
	s_add_u32 s34, s34, s36
	s_addc_u32 s25, 0, s25
	s_mul_hi_u32 s37, s24, s35
	s_mul_i32 s35, s24, s35
	s_add_u32 s34, s34, s35
	s_mul_hi_u32 s36, s24, s1
	s_addc_u32 s25, s25, s37
	s_addc_u32 s34, s36, 0
	s_mul_i32 s1, s24, s1
	s_add_u32 s1, s25, s1
	s_addc_u32 s25, 0, s34
	s_add_u32 s34, s0, s1
	s_cselect_b64 s[0:1], -1, 0
	s_cmp_lg_u64 s[0:1], 0
	s_addc_u32 s24, s24, s25
	s_mul_i32 s0, s14, s24
	s_mul_hi_u32 s1, s14, s34
	s_add_i32 s0, s1, s0
	s_mul_i32 s15, s15, s34
	s_add_i32 s0, s0, s15
	s_mul_i32 s14, s14, s34
	s_mul_hi_u32 s15, s24, s14
	s_mul_i32 s25, s24, s14
	s_mul_i32 s36, s34, s0
	s_mul_hi_u32 s14, s34, s14
	s_mul_hi_u32 s35, s34, s0
	s_add_u32 s14, s14, s36
	s_addc_u32 s35, 0, s35
	s_add_u32 s14, s14, s25
	s_mul_hi_u32 s1, s24, s0
	s_addc_u32 s14, s35, s15
	s_addc_u32 s1, s1, 0
	s_mul_i32 s0, s24, s0
	s_add_u32 s0, s14, s0
	s_addc_u32 s14, 0, s1
	s_add_u32 s15, s34, s0
	s_cselect_b64 s[0:1], -1, 0
	s_cmp_lg_u64 s[0:1], 0
	s_addc_u32 s0, s24, s14
	s_mul_i32 s14, s31, s0
	s_mul_hi_u32 s24, s31, s15
	s_mul_hi_u32 s1, s31, s0
	s_add_u32 s14, s24, s14
	s_addc_u32 s1, 0, s1
	s_mul_hi_u32 s25, s93, s15
	s_mul_i32 s15, s93, s15
	s_add_u32 s14, s14, s15
	s_mul_hi_u32 s24, s93, s0
	s_addc_u32 s1, s1, s25
	s_addc_u32 s14, s24, 0
	s_mul_i32 s0, s93, s0
	s_add_u32 s0, s1, s0
	s_addc_u32 s1, 0, s14
	s_mul_i32 s1, s84, s1
	s_mul_hi_u32 s14, s84, s0
	s_add_i32 s14, s14, s1
	s_mul_i32 s0, s84, s0
	s_sub_u32 s15, s31, s0
	s_cselect_b64 s[0:1], -1, 0
	s_cmp_lg_u64 s[0:1], 0
	s_subb_u32 s14, s93, s14
	s_sub_u32 s24, s15, s84
	s_cselect_b64 s[0:1], -1, 0
	s_cmp_lg_u64 s[0:1], 0
	s_subb_u32 s25, s14, 0
	;; [unrolled: 4-line block ×3, first 2 shown]
	s_cmp_ge_u32 s24, s84
	s_cselect_b32 s1, -1, 0
	s_cmp_eq_u32 s25, 0
	s_cselect_b32 s1, s1, -1
	s_cmp_lg_u32 s1, 0
	s_cselect_b32 s0, s0, s25
	s_cselect_b32 s24, s34, s24
	s_cmp_ge_u32 s15, s84
	s_cselect_b32 s1, -1, 0
	s_cmp_eq_u32 s14, 0
	s_cselect_b32 s1, s1, -1
	s_cmp_lg_u32 s1, 0
	s_cselect_b32 s1, s0, s14
	s_cselect_b32 s0, s24, s15
	s_mov_b64 s[14:15], 0
	s_branch .LBB133_169
.LBB133_167:                            ;   in Loop: Header=BB133_24 Depth=1
                                        ; implicit-def: $sgpr34_sgpr35
	s_branch .LBB133_152
.LBB133_168:                            ;   in Loop: Header=BB133_24 Depth=1
	s_mov_b64 s[14:15], -1
                                        ; implicit-def: $sgpr0_sgpr1
.LBB133_169:                            ;   in Loop: Header=BB133_24 Depth=1
	s_andn2_b64 vcc, exec, s[14:15]
	v_readlane_b32 s92, v61, 45
	s_cbranch_vccnz .LBB133_171
; %bb.170:                              ;   in Loop: Header=BB133_24 Depth=1
	v_cvt_f32_u32_e32 v4, s84
	s_sub_i32 s0, 0, s84
	v_rcp_iflag_f32_e32 v4, v4
	s_nop 0
	v_mul_f32_e32 v4, 0x4f7ffffe, v4
	v_cvt_u32_f32_e32 v4, v4
	s_nop 0
	v_readfirstlane_b32 s1, v4
	s_mul_i32 s0, s0, s1
	s_mul_hi_u32 s0, s1, s0
	s_add_i32 s1, s1, s0
	s_mul_hi_u32 s0, s31, s1
	s_mul_i32 s0, s0, s84
	s_sub_i32 s0, s31, s0
	s_sub_i32 s1, s0, s84
	s_cmp_ge_u32 s0, s84
	s_cselect_b32 s0, s1, s0
	s_sub_i32 s1, s0, s84
	s_cmp_ge_u32 s0, s84
	s_cselect_b32 s86, s1, s0
	s_mov_b64 s[0:1], s[86:87]
.LBB133_171:                            ;   in Loop: Header=BB133_24 Depth=1
	s_sub_u32 s14, s31, s0
	s_subb_u32 s15, s93, s1
	v_cmp_gt_u64_e32 vcc, s[14:15], v[0:1]
                                        ; implicit-def: $vgpr40
	s_and_saveexec_b64 s[0:1], vcc
	s_cbranch_execz .LBB133_181
; %bb.172:                              ;   in Loop: Header=BB133_24 Depth=1
	s_mov_b64 s[24:25], 0
	v_mov_b64_e32 v[4:5], v[0:1]
                                        ; implicit-def: $sgpr34_sgpr35
	s_branch .LBB133_176
.LBB133_173:                            ;   in Loop: Header=BB133_176 Depth=2
	s_or_b64 exec, exec, s[36:37]
	s_waitcnt lgkmcnt(0)
	s_barrier
	ds_read_b32 v10, v3 offset:3072
	s_waitcnt lgkmcnt(0)
	s_barrier
	v_cmp_eq_f16_e32 vcc, 0, v10
	s_cbranch_vccz .LBB133_179
; %bb.174:                              ;   in Loop: Header=BB133_176 Depth=2
	v_lshl_add_u64 v[4:5], v[4:5], 0, s[84:85]
	v_cmp_le_u64_e32 vcc, s[14:15], v[4:5]
	s_mov_b64 s[36:37], 0
	s_orn2_b64 s[38:39], vcc, exec
.LBB133_175:                            ;   in Loop: Header=BB133_176 Depth=2
	s_and_b64 s[38:39], exec, s[38:39]
	s_or_b64 s[24:25], s[38:39], s[24:25]
	s_andn2_b64 s[34:35], s[34:35], exec
	s_and_b64 s[36:37], s[36:37], exec
	s_or_b64 s[34:35], s[34:35], s[36:37]
	s_andn2_b64 exec, exec, s[24:25]
	s_cbranch_execz .LBB133_180
.LBB133_176:                            ;   Parent Loop BB133_24 Depth=1
                                        ; =>  This Inner Loop Header: Depth=2
	v_cmp_gt_u64_e32 vcc, s[56:57], v[4:5]
	s_and_saveexec_b64 s[36:37], vcc
	s_cbranch_execz .LBB133_173
; %bb.177:                              ;   in Loop: Header=BB133_176 Depth=2
	v_mul_lo_u32 v24, v5, s72
	v_mul_lo_u32 v25, v4, s73
	v_mad_u64_u32 v[10:11], s[38:39], v4, s72, 0
	v_add3_u32 v11, v11, v25, v24
	v_lshl_add_u64 v[10:11], v[10:11], 1, s[80:81]
	global_load_ushort v10, v[10:11], off
	s_waitcnt vmcnt(0)
	v_cmp_lt_i16_e32 vcc, -1, v10
	s_nop 1
	v_cndmask_b32_e32 v11, v35, v36, vcc
	v_xor_b32_sdwa v11, v11, v10 dst_sel:DWORD dst_unused:UNUSED_PAD src0_sel:DWORD src1_sel:WORD_0
	v_cmp_o_f16_e32 vcc, v10, v10
	s_nop 1
	v_cndmask_b32_e32 v11, v35, v11, vcc
	v_and_b32_e32 v11, v11, v39
	v_cmp_eq_u32_e32 vcc, v11, v18
	s_and_b64 exec, exec, vcc
	s_cbranch_execz .LBB133_173
; %bb.178:                              ;   in Loop: Header=BB133_176 Depth=2
	v_perm_b32 v10, v10, s6, v38
	ds_write_b32 v3, v10 offset:3072
	s_branch .LBB133_173
.LBB133_179:                            ;   in Loop: Header=BB133_176 Depth=2
	s_mov_b64 s[38:39], -1
                                        ; implicit-def: $vgpr4_vgpr5
	s_mov_b64 s[36:37], -1
	s_branch .LBB133_175
.LBB133_180:                            ;   in Loop: Header=BB133_24 Depth=1
	s_or_b64 exec, exec, s[24:25]
	s_andn2_b64 s[8:9], s[8:9], exec
	s_and_b64 s[14:15], s[34:35], exec
	v_lshrrev_b32_e32 v40, 16, v10
	s_or_b64 s[8:9], s[8:9], s[14:15]
.LBB133_181:                            ;   in Loop: Header=BB133_24 Depth=1
	s_or_b64 exec, exec, s[0:1]
	s_mov_b64 s[0:1], 0
	s_mov_b64 s[24:25], -1
.LBB133_182:                            ;   in Loop: Header=BB133_24 Depth=1
	s_orn2_b64 s[8:9], s[8:9], exec
.LBB133_183:                            ;   in Loop: Header=BB133_24 Depth=1
	s_or_b64 exec, exec, s[26:27]
	s_mov_b64 s[14:15], 0
	s_and_saveexec_b64 s[26:27], s[8:9]
	s_cbranch_execz .LBB133_295
; %bb.184:                              ;   in Loop: Header=BB133_24 Depth=1
	s_xor_b64 s[28:29], s[28:29], -1
	v_mov_b32_e32 v2, 1
	v_mov_b64_e32 v[4:5], 1
	s_and_saveexec_b64 s[8:9], s[28:29]
	s_cbranch_execz .LBB133_194
; %bb.185:                              ;   in Loop: Header=BB133_24 Depth=1
	v_cmp_le_u64_e32 vcc, v[8:9], v[6:7]
	s_and_saveexec_b64 s[14:15], vcc
	s_xor_b64 s[14:15], exec, s[14:15]
	s_cbranch_execz .LBB133_191
; %bb.186:                              ;   in Loop: Header=BB133_24 Depth=1
	ds_read_b64 v[4:5], v3 offset:5120
	v_and_b32_e32 v2, s54, v18
	v_lshl_or_b32 v18, 1, s90, v2
	v_or_b32_e32 v39, s66, v39
	s_waitcnt lgkmcnt(0)
	v_cmp_ne_u64_e32 vcc, 0, v[4:5]
	s_cbranch_vccnz .LBB133_190
; %bb.187:                              ;   in Loop: Header=BB133_24 Depth=1
	s_mov_b64 s[28:29], exec
	v_readlane_b32 s34, v61, 16
	v_readlane_b32 s35, v61, 17
	s_and_b64 s[34:35], s[28:29], s[34:35]
	s_mov_b64 exec, s[34:35]
; %bb.188:                              ;   in Loop: Header=BB133_24 Depth=1
	ds_write_b64 v3, v[6:7] offset:5128
; %bb.189:                              ;   in Loop: Header=BB133_24 Depth=1
	s_or_b64 exec, exec, s[28:29]
	s_waitcnt lgkmcnt(0)
	s_barrier
.LBB133_190:                            ;   in Loop: Header=BB133_24 Depth=1
                                        ; implicit-def: $vgpr4_vgpr5_vgpr6_vgpr7
.LBB133_191:                            ;   in Loop: Header=BB133_24 Depth=1
	s_or_saveexec_b64 s[14:15], s[14:15]
	s_mov_b64 s[28:29], 0
	v_mov_b32_e32 v2, 8
	s_xor_b64 exec, exec, s[14:15]
; %bb.192:                              ;   in Loop: Header=BB133_24 Depth=1
	v_sub_co_u32_e32 v8, vcc, v8, v6
	s_mov_b64 s[28:29], exec
	s_nop 0
	v_subb_co_u32_e32 v9, vcc, v9, v7, vcc
	v_mov_b32_e32 v2, 0
; %bb.193:                              ;   in Loop: Header=BB133_24 Depth=1
	s_or_b64 exec, exec, s[14:15]
	s_and_b64 s[14:15], s[28:29], exec
	v_mov_b64_e32 v[4:5], v[8:9]
.LBB133_194:                            ;   in Loop: Header=BB133_24 Depth=1
	s_or_b64 exec, exec, s[8:9]
	s_mov_b64 s[8:9], -1
                                        ; implicit-def: $sgpr34_sgpr35
                                        ; implicit-def: $sgpr36_sgpr37
	s_and_saveexec_b64 s[28:29], s[14:15]
	s_cbranch_execz .LBB133_294
; %bb.195:                              ;   in Loop: Header=BB133_24 Depth=1
	s_cmp_eq_u64 s[22:23], 1
	s_cselect_b64 s[8:9], -1, 0
	v_cmp_eq_u64_e32 vcc, 1, v[4:5]
	s_and_b64 s[40:41], s[8:9], vcc
	s_mov_b64 s[8:9], -1
                                        ; implicit-def: $sgpr36_sgpr37
                                        ; implicit-def: $sgpr34_sgpr35
	s_and_saveexec_b64 s[38:39], s[40:41]
	s_cbranch_execz .LBB133_232
; %bb.196:                              ;   in Loop: Header=BB133_24 Depth=1
	ds_read_b64 v[6:7], v3 offset:5120
	s_waitcnt lgkmcnt(0)
	s_barrier
	v_readfirstlane_b32 s14, v6
	v_readfirstlane_b32 s15, v7
	s_mov_b64 s[8:9], exec
	v_readlane_b32 s34, v61, 26
	v_readlane_b32 s35, v61, 27
	s_and_b64 s[34:35], s[8:9], s[34:35]
	s_mov_b64 exec, s[34:35]
; %bb.197:                              ;   in Loop: Header=BB133_24 Depth=1
	ds_write_b16 v30, v3
; %bb.198:                              ;   in Loop: Header=BB133_24 Depth=1
	s_or_b64 exec, exec, s[8:9]
	v_and_b32_e32 v6, s54, v18
	v_lshl_or_b32 v18, 2, s90, v6
	v_or_b32_e32 v39, s66, v39
	s_mov_b64 s[34:35], -1
	s_mov_b64 s[36:37], 0
	s_cmp_eq_u64 s[14:15], 0
	s_mov_b64 s[8:9], 0
	s_mov_b64 s[42:43], -1
	s_waitcnt lgkmcnt(0)
	s_barrier
                                        ; implicit-def: $vgpr40
	s_cbranch_scc1 .LBB133_213
; %bb.199:                              ;   in Loop: Header=BB133_24 Depth=1
	v_readlane_b32 s8, v61, 32
	s_add_u32 s46, s14, s8
	v_readlane_b32 s8, v61, 33
	s_addc_u32 s9, s15, s8
	s_mov_b32 s8, s87
	s_cmp_lg_u64 s[8:9], 0
	s_cbranch_scc0 .LBB133_216
; %bb.200:                              ;   in Loop: Header=BB133_24 Depth=1
	v_cvt_f32_u32_e32 v6, s84
	s_sub_u32 s8, 0, s84
	s_subb_u32 s44, 0, 0
	v_fmac_f32_e32 v6, 0, v37
	v_rcp_f32_e32 v6, v6
	s_nop 0
	v_mul_f32_e32 v6, 0x5f7ffffc, v6
	v_mul_f32_e32 v7, 0x2f800000, v6
	v_trunc_f32_e32 v7, v7
	v_fmac_f32_e32 v6, 0xcf800000, v7
	v_cvt_u32_f32_e32 v7, v7
	v_cvt_u32_f32_e32 v6, v6
	v_readfirstlane_b32 s45, v7
	v_readfirstlane_b32 s42, v6
	s_mul_i32 s43, s8, s45
	s_mul_hi_u32 s48, s8, s42
	s_mul_i32 s47, s44, s42
	s_add_i32 s43, s48, s43
	s_mul_i32 s49, s8, s42
	s_add_i32 s43, s43, s47
	s_mul_hi_u32 s48, s42, s49
	s_mul_i32 s50, s42, s43
	s_mul_hi_u32 s47, s42, s43
	s_add_u32 s48, s48, s50
	s_addc_u32 s47, 0, s47
	s_mul_hi_u32 s51, s45, s49
	s_mul_i32 s49, s45, s49
	s_add_u32 s48, s48, s49
	s_mul_hi_u32 s50, s45, s43
	s_addc_u32 s47, s47, s51
	s_addc_u32 s48, s50, 0
	s_mul_i32 s43, s45, s43
	s_add_u32 s43, s47, s43
	s_addc_u32 s47, 0, s48
	s_add_u32 s48, s42, s43
	s_cselect_b64 s[42:43], -1, 0
	s_cmp_lg_u64 s[42:43], 0
	s_addc_u32 s45, s45, s47
	s_mul_i32 s42, s8, s45
	s_mul_hi_u32 s43, s8, s48
	s_add_i32 s42, s43, s42
	s_mul_i32 s44, s44, s48
	s_add_i32 s42, s42, s44
	s_mul_i32 s8, s8, s48
	s_mul_hi_u32 s44, s45, s8
	s_mul_i32 s47, s45, s8
	s_mul_i32 s50, s48, s42
	s_mul_hi_u32 s8, s48, s8
	s_mul_hi_u32 s49, s48, s42
	s_add_u32 s8, s8, s50
	s_addc_u32 s49, 0, s49
	s_add_u32 s8, s8, s47
	s_mul_hi_u32 s43, s45, s42
	s_addc_u32 s8, s49, s44
	s_addc_u32 s43, s43, 0
	s_mul_i32 s42, s45, s42
	s_add_u32 s8, s8, s42
	s_addc_u32 s44, 0, s43
	s_add_u32 s8, s48, s8
	s_cselect_b64 s[42:43], -1, 0
	s_cmp_lg_u64 s[42:43], 0
	s_addc_u32 s42, s45, s44
	s_mul_i32 s44, s46, s42
	s_mul_hi_u32 s45, s46, s8
	s_mul_hi_u32 s43, s46, s42
	s_add_u32 s44, s45, s44
	s_addc_u32 s43, 0, s43
	s_mul_hi_u32 s47, s9, s8
	s_mul_i32 s8, s9, s8
	s_add_u32 s8, s44, s8
	s_mul_hi_u32 s45, s9, s42
	s_addc_u32 s8, s43, s47
	s_addc_u32 s43, s45, 0
	s_mul_i32 s42, s9, s42
	s_add_u32 s8, s8, s42
	s_addc_u32 s42, 0, s43
	s_mul_i32 s42, s84, s42
	s_mul_hi_u32 s43, s84, s8
	s_add_i32 s44, s43, s42
	s_mul_i32 s8, s84, s8
	s_sub_u32 s8, s46, s8
	s_cselect_b64 s[42:43], -1, 0
	s_cmp_lg_u64 s[42:43], 0
	s_subb_u32 s44, s9, s44
	s_sub_u32 s45, s8, s84
	s_cselect_b64 s[42:43], -1, 0
	s_cmp_lg_u64 s[42:43], 0
	s_subb_u32 s47, s44, 0
	;; [unrolled: 4-line block ×3, first 2 shown]
	s_cmp_ge_u32 s45, s84
	s_cselect_b32 s43, -1, 0
	s_cmp_eq_u32 s47, 0
	s_cselect_b32 s43, s43, -1
	s_cmp_lg_u32 s43, 0
	s_cselect_b32 s42, s42, s47
	s_cselect_b32 s45, s48, s45
	s_cmp_ge_u32 s8, s84
	s_cselect_b32 s43, -1, 0
	s_cmp_eq_u32 s44, 0
	s_cselect_b32 s43, s43, -1
	s_cmp_lg_u32 s43, 0
	s_cselect_b32 s43, s42, s44
	s_cselect_b32 s42, s45, s8
	s_cbranch_execnz .LBB133_202
.LBB133_201:                            ;   in Loop: Header=BB133_24 Depth=1
	v_cvt_f32_u32_e32 v6, s84
	s_sub_i32 s8, 0, s84
	v_rcp_iflag_f32_e32 v6, v6
	s_nop 0
	v_mul_f32_e32 v6, 0x4f7ffffe, v6
	v_cvt_u32_f32_e32 v6, v6
	s_nop 0
	v_readfirstlane_b32 s42, v6
	s_mul_i32 s8, s8, s42
	s_mul_hi_u32 s8, s42, s8
	s_add_i32 s42, s42, s8
	s_mul_hi_u32 s8, s46, s42
	s_mul_i32 s8, s8, s84
	s_sub_i32 s8, s46, s8
	s_sub_i32 s42, s8, s84
	s_cmp_ge_u32 s8, s84
	s_cselect_b32 s8, s42, s8
	s_sub_i32 s42, s8, s84
	s_cmp_ge_u32 s8, s84
	s_cselect_b32 s86, s42, s8
	s_mov_b64 s[42:43], s[86:87]
.LBB133_202:                            ;   in Loop: Header=BB133_24 Depth=1
	s_sub_u32 s46, s46, s42
	s_subb_u32 s47, s9, s43
	v_cmp_gt_u64_e32 vcc, s[46:47], v[0:1]
	s_mov_b64 s[42:43], 0
	s_mov_b64 s[8:9], 0
                                        ; implicit-def: $vgpr40
	s_and_saveexec_b64 s[44:45], vcc
	s_cbranch_execz .LBB133_212
; %bb.203:                              ;   in Loop: Header=BB133_24 Depth=1
	v_mov_b32_e32 v8, v29
	v_mov_b64_e32 v[6:7], v[0:1]
                                        ; implicit-def: $sgpr48_sgpr49
	s_branch .LBB133_207
.LBB133_204:                            ;   in Loop: Header=BB133_207 Depth=2
	s_or_b64 exec, exec, s[50:51]
	s_waitcnt lgkmcnt(0)
	s_barrier
	ds_read_b32 v9, v3 offset:3072
	s_waitcnt lgkmcnt(0)
	s_barrier
	v_cmp_neq_f16_e32 vcc, 0, v9
	s_cbranch_vccnz .LBB133_210
; %bb.205:                              ;   in Loop: Header=BB133_207 Depth=2
	v_lshl_add_u64 v[6:7], v[6:7], 0, s[84:85]
	v_cmp_le_u64_e32 vcc, s[46:47], v[6:7]
	v_add_u32_e32 v8, s69, v8
	s_mov_b64 s[50:51], 0
	s_orn2_b64 s[52:53], vcc, exec
.LBB133_206:                            ;   in Loop: Header=BB133_207 Depth=2
	s_and_b64 s[52:53], exec, s[52:53]
	s_or_b64 s[8:9], s[52:53], s[8:9]
	s_andn2_b64 s[48:49], s[48:49], exec
	s_and_b64 s[50:51], s[50:51], exec
	s_or_b64 s[48:49], s[48:49], s[50:51]
	s_andn2_b64 exec, exec, s[8:9]
	s_cbranch_execz .LBB133_211
.LBB133_207:                            ;   Parent Loop BB133_24 Depth=1
                                        ; =>  This Inner Loop Header: Depth=2
	v_cmp_gt_u64_e32 vcc, s[14:15], v[6:7]
	s_and_saveexec_b64 s[50:51], vcc
	s_cbranch_execz .LBB133_204
; %bb.208:                              ;   in Loop: Header=BB133_207 Depth=2
	ds_read_u16 v9, v8
	s_waitcnt lgkmcnt(0)
	v_cmp_lt_i16_e32 vcc, -1, v9
	s_nop 1
	v_cndmask_b32_e32 v10, v35, v36, vcc
	v_xor_b32_sdwa v10, v10, v9 dst_sel:DWORD dst_unused:UNUSED_PAD src0_sel:DWORD src1_sel:WORD_0
	v_cmp_o_f16_e32 vcc, v9, v9
	s_nop 1
	v_cndmask_b32_e32 v10, v35, v10, vcc
	v_and_b32_e32 v10, v10, v39
	v_cmp_eq_u32_e32 vcc, v10, v18
	s_and_b64 exec, exec, vcc
	s_cbranch_execz .LBB133_204
; %bb.209:                              ;   in Loop: Header=BB133_207 Depth=2
	v_perm_b32 v9, v9, s6, v38
	ds_write_b32 v3, v9 offset:3072
	s_branch .LBB133_204
.LBB133_210:                            ;   in Loop: Header=BB133_207 Depth=2
	s_mov_b64 s[52:53], -1
                                        ; implicit-def: $vgpr6_vgpr7
                                        ; implicit-def: $vgpr8
	s_mov_b64 s[50:51], -1
	s_branch .LBB133_206
.LBB133_211:                            ;   in Loop: Header=BB133_24 Depth=1
	s_or_b64 exec, exec, s[8:9]
	v_lshrrev_b32_e32 v40, 16, v9
	s_and_b64 s[8:9], s[48:49], exec
.LBB133_212:                            ;   in Loop: Header=BB133_24 Depth=1
	s_or_b64 exec, exec, s[44:45]
.LBB133_213:                            ;   in Loop: Header=BB133_24 Depth=1
	s_and_b64 vcc, exec, s[42:43]
	s_cbranch_vccz .LBB133_231
; %bb.214:                              ;   in Loop: Header=BB133_24 Depth=1
	s_mov_b32 s92, s87
	s_cmp_lg_u64 s[92:93], 0
	s_cbranch_scc0 .LBB133_217
; %bb.215:                              ;   in Loop: Header=BB133_24 Depth=1
	v_cvt_f32_u32_e32 v6, s84
	s_sub_u32 s34, 0, s84
	s_subb_u32 s35, 0, 0
	v_fmac_f32_e32 v6, 0, v37
	v_rcp_f32_e32 v6, v6
	s_nop 0
	v_mul_f32_e32 v6, 0x5f7ffffc, v6
	v_mul_f32_e32 v7, 0x2f800000, v6
	v_trunc_f32_e32 v7, v7
	v_fmac_f32_e32 v6, 0xcf800000, v7
	v_cvt_u32_f32_e32 v7, v7
	v_cvt_u32_f32_e32 v6, v6
	v_readfirstlane_b32 s36, v7
	v_readfirstlane_b32 s14, v6
	s_mul_i32 s15, s34, s36
	s_mul_hi_u32 s42, s34, s14
	s_mul_i32 s37, s35, s14
	s_add_i32 s15, s42, s15
	s_mul_i32 s43, s34, s14
	s_add_i32 s15, s15, s37
	s_mul_hi_u32 s42, s14, s43
	s_mul_i32 s44, s14, s15
	s_mul_hi_u32 s37, s14, s15
	s_add_u32 s42, s42, s44
	s_addc_u32 s37, 0, s37
	s_mul_hi_u32 s45, s36, s43
	s_mul_i32 s43, s36, s43
	s_add_u32 s42, s42, s43
	s_mul_hi_u32 s44, s36, s15
	s_addc_u32 s37, s37, s45
	s_addc_u32 s42, s44, 0
	s_mul_i32 s15, s36, s15
	s_add_u32 s15, s37, s15
	s_addc_u32 s37, 0, s42
	s_add_u32 s42, s14, s15
	s_cselect_b64 s[14:15], -1, 0
	s_cmp_lg_u64 s[14:15], 0
	s_addc_u32 s36, s36, s37
	s_mul_i32 s14, s34, s36
	s_mul_hi_u32 s15, s34, s42
	s_add_i32 s14, s15, s14
	s_mul_i32 s35, s35, s42
	s_add_i32 s14, s14, s35
	s_mul_i32 s34, s34, s42
	s_mul_hi_u32 s35, s36, s34
	s_mul_i32 s37, s36, s34
	s_mul_i32 s44, s42, s14
	s_mul_hi_u32 s34, s42, s34
	s_mul_hi_u32 s43, s42, s14
	s_add_u32 s34, s34, s44
	s_addc_u32 s43, 0, s43
	s_add_u32 s34, s34, s37
	s_mul_hi_u32 s15, s36, s14
	s_addc_u32 s34, s43, s35
	s_addc_u32 s15, s15, 0
	s_mul_i32 s14, s36, s14
	s_add_u32 s14, s34, s14
	s_addc_u32 s34, 0, s15
	s_add_u32 s35, s42, s14
	s_cselect_b64 s[14:15], -1, 0
	s_cmp_lg_u64 s[14:15], 0
	s_addc_u32 s14, s36, s34
	s_mul_i32 s34, s31, s14
	s_mul_hi_u32 s36, s31, s35
	s_mul_hi_u32 s15, s31, s14
	s_add_u32 s34, s36, s34
	s_addc_u32 s15, 0, s15
	s_mul_hi_u32 s37, s93, s35
	s_mul_i32 s35, s93, s35
	s_add_u32 s34, s34, s35
	s_mul_hi_u32 s36, s93, s14
	s_addc_u32 s15, s15, s37
	s_addc_u32 s34, s36, 0
	s_mul_i32 s14, s93, s14
	s_add_u32 s14, s15, s14
	s_addc_u32 s15, 0, s34
	s_mul_i32 s15, s84, s15
	s_mul_hi_u32 s34, s84, s14
	s_add_i32 s34, s34, s15
	s_mul_i32 s14, s84, s14
	s_sub_u32 s35, s31, s14
	s_cselect_b64 s[14:15], -1, 0
	s_cmp_lg_u64 s[14:15], 0
	s_subb_u32 s34, s93, s34
	s_sub_u32 s36, s35, s84
	s_cselect_b64 s[14:15], -1, 0
	s_cmp_lg_u64 s[14:15], 0
	s_subb_u32 s37, s34, 0
	;; [unrolled: 4-line block ×3, first 2 shown]
	s_cmp_ge_u32 s36, s84
	s_cselect_b32 s15, -1, 0
	s_cmp_eq_u32 s37, 0
	s_cselect_b32 s15, s15, -1
	s_cmp_lg_u32 s15, 0
	s_cselect_b32 s14, s14, s37
	s_cselect_b32 s36, s42, s36
	s_cmp_ge_u32 s35, s84
	s_cselect_b32 s15, -1, 0
	s_cmp_eq_u32 s34, 0
	s_cselect_b32 s15, s15, -1
	s_cmp_lg_u32 s15, 0
	s_cselect_b32 s15, s14, s34
	s_cselect_b32 s14, s36, s35
	s_mov_b64 s[34:35], 0
	s_branch .LBB133_218
.LBB133_216:                            ;   in Loop: Header=BB133_24 Depth=1
                                        ; implicit-def: $sgpr42_sgpr43
	s_branch .LBB133_201
.LBB133_217:                            ;   in Loop: Header=BB133_24 Depth=1
	s_mov_b64 s[34:35], -1
                                        ; implicit-def: $sgpr14_sgpr15
.LBB133_218:                            ;   in Loop: Header=BB133_24 Depth=1
	s_andn2_b64 vcc, exec, s[34:35]
	v_readlane_b32 s92, v61, 45
	s_cbranch_vccnz .LBB133_220
; %bb.219:                              ;   in Loop: Header=BB133_24 Depth=1
	v_cvt_f32_u32_e32 v6, s84
	s_sub_i32 s14, 0, s84
	v_rcp_iflag_f32_e32 v6, v6
	s_nop 0
	v_mul_f32_e32 v6, 0x4f7ffffe, v6
	v_cvt_u32_f32_e32 v6, v6
	s_nop 0
	v_readfirstlane_b32 s15, v6
	s_mul_i32 s14, s14, s15
	s_mul_hi_u32 s14, s15, s14
	s_add_i32 s15, s15, s14
	s_mul_hi_u32 s14, s31, s15
	s_mul_i32 s14, s14, s84
	s_sub_i32 s14, s31, s14
	s_sub_i32 s15, s14, s84
	s_cmp_ge_u32 s14, s84
	s_cselect_b32 s14, s15, s14
	s_sub_i32 s15, s14, s84
	s_cmp_ge_u32 s14, s84
	s_cselect_b32 s86, s15, s14
	s_mov_b64 s[14:15], s[86:87]
.LBB133_220:                            ;   in Loop: Header=BB133_24 Depth=1
	s_sub_u32 s34, s31, s14
	s_subb_u32 s35, s93, s15
	v_cmp_gt_u64_e32 vcc, s[34:35], v[0:1]
                                        ; implicit-def: $vgpr40
	s_and_saveexec_b64 s[14:15], vcc
	s_cbranch_execz .LBB133_230
; %bb.221:                              ;   in Loop: Header=BB133_24 Depth=1
	s_mov_b64 s[36:37], 0
	v_mov_b64_e32 v[6:7], v[0:1]
                                        ; implicit-def: $sgpr42_sgpr43
	s_branch .LBB133_225
.LBB133_222:                            ;   in Loop: Header=BB133_225 Depth=2
	s_or_b64 exec, exec, s[44:45]
	s_waitcnt lgkmcnt(0)
	s_barrier
	ds_read_b32 v8, v3 offset:3072
	s_waitcnt lgkmcnt(0)
	s_barrier
	v_cmp_eq_f16_e32 vcc, 0, v8
	s_cbranch_vccz .LBB133_228
; %bb.223:                              ;   in Loop: Header=BB133_225 Depth=2
	v_lshl_add_u64 v[6:7], v[6:7], 0, s[84:85]
	v_cmp_le_u64_e32 vcc, s[34:35], v[6:7]
	s_mov_b64 s[44:45], 0
	s_orn2_b64 s[46:47], vcc, exec
.LBB133_224:                            ;   in Loop: Header=BB133_225 Depth=2
	s_and_b64 s[46:47], exec, s[46:47]
	s_or_b64 s[36:37], s[46:47], s[36:37]
	s_andn2_b64 s[42:43], s[42:43], exec
	s_and_b64 s[44:45], s[44:45], exec
	s_or_b64 s[42:43], s[42:43], s[44:45]
	s_andn2_b64 exec, exec, s[36:37]
	s_cbranch_execz .LBB133_229
.LBB133_225:                            ;   Parent Loop BB133_24 Depth=1
                                        ; =>  This Inner Loop Header: Depth=2
	v_cmp_gt_u64_e32 vcc, s[56:57], v[6:7]
	s_and_saveexec_b64 s[44:45], vcc
	s_cbranch_execz .LBB133_222
; %bb.226:                              ;   in Loop: Header=BB133_225 Depth=2
	v_mul_lo_u32 v10, v7, s72
	v_mul_lo_u32 v11, v6, s73
	v_mad_u64_u32 v[8:9], s[46:47], v6, s72, 0
	v_add3_u32 v9, v9, v11, v10
	v_lshl_add_u64 v[8:9], v[8:9], 1, s[80:81]
	global_load_ushort v8, v[8:9], off
	s_waitcnt vmcnt(0)
	v_cmp_lt_i16_e32 vcc, -1, v8
	s_nop 1
	v_cndmask_b32_e32 v9, v35, v36, vcc
	v_xor_b32_sdwa v9, v9, v8 dst_sel:DWORD dst_unused:UNUSED_PAD src0_sel:DWORD src1_sel:WORD_0
	v_cmp_o_f16_e32 vcc, v8, v8
	s_nop 1
	v_cndmask_b32_e32 v9, v35, v9, vcc
	v_and_b32_e32 v9, v9, v39
	v_cmp_eq_u32_e32 vcc, v9, v18
	s_and_b64 exec, exec, vcc
	s_cbranch_execz .LBB133_222
; %bb.227:                              ;   in Loop: Header=BB133_225 Depth=2
	v_perm_b32 v8, v8, s6, v38
	ds_write_b32 v3, v8 offset:3072
	s_branch .LBB133_222
.LBB133_228:                            ;   in Loop: Header=BB133_225 Depth=2
	s_mov_b64 s[46:47], -1
                                        ; implicit-def: $vgpr6_vgpr7
	s_mov_b64 s[44:45], -1
	s_branch .LBB133_224
.LBB133_229:                            ;   in Loop: Header=BB133_24 Depth=1
	s_or_b64 exec, exec, s[36:37]
	s_andn2_b64 s[8:9], s[8:9], exec
	s_and_b64 s[34:35], s[42:43], exec
	v_lshrrev_b32_e32 v40, 16, v8
	s_or_b64 s[8:9], s[8:9], s[34:35]
.LBB133_230:                            ;   in Loop: Header=BB133_24 Depth=1
	s_or_b64 exec, exec, s[14:15]
	s_mov_b64 s[34:35], 0
	s_mov_b64 s[36:37], -1
.LBB133_231:                            ;   in Loop: Header=BB133_24 Depth=1
	s_orn2_b64 s[8:9], s[8:9], exec
.LBB133_232:                            ;   in Loop: Header=BB133_24 Depth=1
	s_or_b64 exec, exec, s[38:39]
	s_mov_b64 s[14:15], 0
	s_and_saveexec_b64 s[38:39], s[8:9]
	s_cbranch_execz .LBB133_293
; %bb.233:                              ;   in Loop: Header=BB133_24 Depth=1
	s_xor_b64 s[40:41], s[40:41], -1
	v_mov_b32_e32 v2, 1
	v_mov_b64_e32 v[6:7], 1
	s_and_saveexec_b64 s[8:9], s[40:41]
	s_cbranch_execz .LBB133_242
; %bb.234:                              ;   in Loop: Header=BB133_24 Depth=1
	v_cmp_ge_u64_e32 vcc, s[22:23], v[4:5]
	s_and_saveexec_b64 s[14:15], vcc
	s_xor_b64 s[14:15], exec, s[14:15]
	s_cbranch_execz .LBB133_239
; %bb.235:                              ;   in Loop: Header=BB133_24 Depth=1
	ds_read_b64 v[6:7], v3 offset:5120
	v_and_b32_e32 v2, s54, v18
	v_lshl_or_b32 v18, 2, s90, v2
	v_or_b32_e32 v39, s66, v39
	s_waitcnt lgkmcnt(0)
	v_cmp_ne_u64_e32 vcc, 0, v[6:7]
	s_cbranch_vccnz .LBB133_239
; %bb.236:                              ;   in Loop: Header=BB133_24 Depth=1
	s_mov_b64 s[40:41], exec
	v_readlane_b32 s42, v61, 16
	v_readlane_b32 s43, v61, 17
	s_and_b64 s[42:43], s[40:41], s[42:43]
	s_mov_b64 exec, s[42:43]
; %bb.237:                              ;   in Loop: Header=BB133_24 Depth=1
	v_mov_b64_e32 v[6:7], s[22:23]
	ds_write_b64 v3, v[6:7] offset:5128
; %bb.238:                              ;   in Loop: Header=BB133_24 Depth=1
	s_or_b64 exec, exec, s[40:41]
	s_waitcnt lgkmcnt(0)
	s_barrier
.LBB133_239:                            ;   in Loop: Header=BB133_24 Depth=1
	s_or_saveexec_b64 s[14:15], s[14:15]
	s_mov_b64 s[40:41], 0
	v_mov_b32_e32 v2, 8
	s_xor_b64 exec, exec, s[14:15]
; %bb.240:                              ;   in Loop: Header=BB133_24 Depth=1
	v_mov_b32_e32 v2, s23
	v_subrev_co_u32_e32 v4, vcc, s22, v4
	s_mov_b64 s[40:41], exec
	s_nop 0
	v_subb_co_u32_e32 v5, vcc, v5, v2, vcc
	v_mov_b32_e32 v2, 0
; %bb.241:                              ;   in Loop: Header=BB133_24 Depth=1
	s_or_b64 exec, exec, s[14:15]
	s_and_b64 s[14:15], s[40:41], exec
	v_mov_b64_e32 v[6:7], v[4:5]
.LBB133_242:                            ;   in Loop: Header=BB133_24 Depth=1
	s_or_b64 exec, exec, s[8:9]
	s_mov_b64 s[8:9], -1
                                        ; implicit-def: $sgpr46_sgpr47
                                        ; implicit-def: $sgpr44_sgpr45
	s_and_saveexec_b64 s[22:23], s[14:15]
	s_cbranch_execz .LBB133_292
; %bb.243:                              ;   in Loop: Header=BB133_24 Depth=1
	s_cmp_eq_u64 s[2:3], 1
	s_cselect_b64 s[8:9], -1, 0
	v_cmp_eq_u64_e32 vcc, 1, v[6:7]
	s_and_b64 s[40:41], s[8:9], vcc
	s_mov_b64 s[14:15], -1
                                        ; implicit-def: $sgpr46_sgpr47
                                        ; implicit-def: $sgpr44_sgpr45
	s_and_saveexec_b64 s[42:43], s[40:41]
	s_cbranch_execz .LBB133_280
; %bb.244:                              ;   in Loop: Header=BB133_24 Depth=1
	ds_read_b64 v[4:5], v3 offset:5120
	s_waitcnt lgkmcnt(0)
	s_barrier
	v_readfirstlane_b32 s14, v4
	v_readfirstlane_b32 s15, v5
	s_mov_b64 s[8:9], exec
	v_readlane_b32 s44, v61, 26
	v_readlane_b32 s45, v61, 27
	s_and_b64 s[44:45], s[8:9], s[44:45]
	s_mov_b64 exec, s[44:45]
; %bb.245:                              ;   in Loop: Header=BB133_24 Depth=1
	ds_write_b16 v30, v3
; %bb.246:                              ;   in Loop: Header=BB133_24 Depth=1
	s_or_b64 exec, exec, s[8:9]
	v_or_b32_e32 v18, s66, v18
	v_or_b32_e32 v39, s66, v39
	s_mov_b64 s[44:45], -1
	s_mov_b64 s[46:47], 0
	s_cmp_eq_u64 s[14:15], 0
	s_mov_b64 s[8:9], 0
	s_mov_b64 s[48:49], -1
	s_waitcnt lgkmcnt(0)
	s_barrier
                                        ; implicit-def: $vgpr40
	s_cbranch_scc1 .LBB133_261
; %bb.247:                              ;   in Loop: Header=BB133_24 Depth=1
	v_readlane_b32 s8, v61, 32
	s_add_u32 s52, s14, s8
	v_readlane_b32 s8, v61, 33
	s_addc_u32 s9, s15, s8
	s_mov_b32 s8, s87
	s_cmp_lg_u64 s[8:9], 0
	s_cbranch_scc0 .LBB133_264
; %bb.248:                              ;   in Loop: Header=BB133_24 Depth=1
	v_cvt_f32_u32_e32 v4, s84
	s_sub_u32 s8, 0, s84
	s_subb_u32 s50, 0, 0
	v_fmac_f32_e32 v4, 0, v37
	v_rcp_f32_e32 v4, v4
	s_nop 0
	v_mul_f32_e32 v4, 0x5f7ffffc, v4
	v_mul_f32_e32 v5, 0x2f800000, v4
	v_trunc_f32_e32 v5, v5
	v_fmac_f32_e32 v4, 0xcf800000, v5
	v_cvt_u32_f32_e32 v5, v5
	v_cvt_u32_f32_e32 v4, v4
	v_readfirstlane_b32 s51, v5
	v_readfirstlane_b32 s48, v4
	s_mul_i32 s49, s8, s51
	s_mul_hi_u32 s54, s8, s48
	s_mul_i32 s53, s50, s48
	s_add_i32 s49, s54, s49
	s_mul_i32 s55, s8, s48
	s_add_i32 s49, s49, s53
	s_mul_hi_u32 s54, s48, s55
	s_mul_i32 s58, s48, s49
	s_mul_hi_u32 s53, s48, s49
	s_add_u32 s54, s54, s58
	s_addc_u32 s53, 0, s53
	s_mul_hi_u32 s59, s51, s55
	s_mul_i32 s55, s51, s55
	s_add_u32 s54, s54, s55
	s_mul_hi_u32 s58, s51, s49
	s_addc_u32 s53, s53, s59
	s_addc_u32 s54, s58, 0
	s_mul_i32 s49, s51, s49
	s_add_u32 s49, s53, s49
	s_addc_u32 s53, 0, s54
	s_add_u32 s54, s48, s49
	s_cselect_b64 s[48:49], -1, 0
	s_cmp_lg_u64 s[48:49], 0
	s_addc_u32 s51, s51, s53
	s_mul_i32 s48, s8, s51
	s_mul_hi_u32 s49, s8, s54
	s_add_i32 s48, s49, s48
	s_mul_i32 s50, s50, s54
	s_add_i32 s48, s48, s50
	s_mul_i32 s8, s8, s54
	s_mul_hi_u32 s50, s51, s8
	s_mul_i32 s53, s51, s8
	s_mul_i32 s58, s54, s48
	s_mul_hi_u32 s8, s54, s8
	s_mul_hi_u32 s55, s54, s48
	s_add_u32 s8, s8, s58
	s_addc_u32 s55, 0, s55
	s_add_u32 s8, s8, s53
	s_mul_hi_u32 s49, s51, s48
	s_addc_u32 s8, s55, s50
	s_addc_u32 s49, s49, 0
	s_mul_i32 s48, s51, s48
	s_add_u32 s8, s8, s48
	s_addc_u32 s50, 0, s49
	s_add_u32 s8, s54, s8
	s_cselect_b64 s[48:49], -1, 0
	s_cmp_lg_u64 s[48:49], 0
	s_addc_u32 s48, s51, s50
	s_mul_i32 s50, s52, s48
	s_mul_hi_u32 s51, s52, s8
	s_mul_hi_u32 s49, s52, s48
	s_add_u32 s50, s51, s50
	s_addc_u32 s49, 0, s49
	s_mul_hi_u32 s53, s9, s8
	s_mul_i32 s8, s9, s8
	s_add_u32 s8, s50, s8
	s_mul_hi_u32 s51, s9, s48
	s_addc_u32 s8, s49, s53
	s_addc_u32 s49, s51, 0
	s_mul_i32 s48, s9, s48
	s_add_u32 s8, s8, s48
	s_addc_u32 s48, 0, s49
	s_mul_i32 s48, s84, s48
	s_mul_hi_u32 s49, s84, s8
	s_add_i32 s50, s49, s48
	s_mul_i32 s8, s84, s8
	s_sub_u32 s8, s52, s8
	s_cselect_b64 s[48:49], -1, 0
	s_cmp_lg_u64 s[48:49], 0
	s_subb_u32 s50, s9, s50
	s_sub_u32 s51, s8, s84
	s_cselect_b64 s[48:49], -1, 0
	s_cmp_lg_u64 s[48:49], 0
	s_subb_u32 s53, s50, 0
	;; [unrolled: 4-line block ×3, first 2 shown]
	s_cmp_ge_u32 s51, s84
	s_cselect_b32 s49, -1, 0
	s_cmp_eq_u32 s53, 0
	s_cselect_b32 s49, s49, -1
	s_cmp_lg_u32 s49, 0
	s_cselect_b32 s48, s48, s53
	s_cselect_b32 s51, s54, s51
	s_cmp_ge_u32 s8, s84
	s_cselect_b32 s49, -1, 0
	s_cmp_eq_u32 s50, 0
	s_cselect_b32 s49, s49, -1
	s_cmp_lg_u32 s49, 0
	s_cselect_b32 s49, s48, s50
	s_cselect_b32 s48, s51, s8
	s_cbranch_execnz .LBB133_250
.LBB133_249:                            ;   in Loop: Header=BB133_24 Depth=1
	v_cvt_f32_u32_e32 v4, s84
	s_sub_i32 s8, 0, s84
	v_rcp_iflag_f32_e32 v4, v4
	s_nop 0
	v_mul_f32_e32 v4, 0x4f7ffffe, v4
	v_cvt_u32_f32_e32 v4, v4
	s_nop 0
	v_readfirstlane_b32 s48, v4
	s_mul_i32 s8, s8, s48
	s_mul_hi_u32 s8, s48, s8
	s_add_i32 s48, s48, s8
	s_mul_hi_u32 s8, s52, s48
	s_mul_i32 s8, s8, s84
	s_sub_i32 s8, s52, s8
	s_sub_i32 s48, s8, s84
	s_cmp_ge_u32 s8, s84
	s_cselect_b32 s8, s48, s8
	s_sub_i32 s48, s8, s84
	s_cmp_ge_u32 s8, s84
	s_cselect_b32 s86, s48, s8
	s_mov_b64 s[48:49], s[86:87]
.LBB133_250:                            ;   in Loop: Header=BB133_24 Depth=1
	s_sub_u32 s52, s52, s48
	s_subb_u32 s53, s9, s49
	v_cmp_gt_u64_e32 vcc, s[52:53], v[0:1]
	s_mov_b64 s[48:49], 0
	s_mov_b64 s[8:9], 0
                                        ; implicit-def: $vgpr40
	s_and_saveexec_b64 s[50:51], vcc
	s_cbranch_execz .LBB133_260
; %bb.251:                              ;   in Loop: Header=BB133_24 Depth=1
	v_mov_b32_e32 v8, v29
	v_mov_b64_e32 v[4:5], v[0:1]
                                        ; implicit-def: $sgpr54_sgpr55
	s_branch .LBB133_255
.LBB133_252:                            ;   in Loop: Header=BB133_255 Depth=2
	s_or_b64 exec, exec, s[58:59]
	s_waitcnt lgkmcnt(0)
	s_barrier
	ds_read_b32 v9, v3 offset:3072
	s_waitcnt lgkmcnt(0)
	s_barrier
	v_cmp_neq_f16_e32 vcc, 0, v9
	s_cbranch_vccnz .LBB133_258
; %bb.253:                              ;   in Loop: Header=BB133_255 Depth=2
	v_lshl_add_u64 v[4:5], v[4:5], 0, s[84:85]
	v_cmp_le_u64_e32 vcc, s[52:53], v[4:5]
	v_add_u32_e32 v8, s69, v8
	s_mov_b64 s[58:59], 0
	s_orn2_b64 s[64:65], vcc, exec
.LBB133_254:                            ;   in Loop: Header=BB133_255 Depth=2
	s_and_b64 s[64:65], exec, s[64:65]
	s_or_b64 s[8:9], s[64:65], s[8:9]
	s_andn2_b64 s[54:55], s[54:55], exec
	s_and_b64 s[58:59], s[58:59], exec
	s_or_b64 s[54:55], s[54:55], s[58:59]
	s_andn2_b64 exec, exec, s[8:9]
	s_cbranch_execz .LBB133_259
.LBB133_255:                            ;   Parent Loop BB133_24 Depth=1
                                        ; =>  This Inner Loop Header: Depth=2
	v_cmp_gt_u64_e32 vcc, s[14:15], v[4:5]
	s_and_saveexec_b64 s[58:59], vcc
	s_cbranch_execz .LBB133_252
; %bb.256:                              ;   in Loop: Header=BB133_255 Depth=2
	ds_read_u16 v9, v8
	s_waitcnt lgkmcnt(0)
	v_cmp_lt_i16_e32 vcc, -1, v9
	s_nop 1
	v_cndmask_b32_e32 v10, v35, v36, vcc
	v_xor_b32_sdwa v10, v10, v9 dst_sel:DWORD dst_unused:UNUSED_PAD src0_sel:DWORD src1_sel:WORD_0
	v_cmp_o_f16_e32 vcc, v9, v9
	s_nop 1
	v_cndmask_b32_e32 v10, v35, v10, vcc
	v_and_b32_e32 v10, v10, v39
	v_cmp_eq_u32_e32 vcc, v10, v18
	s_and_b64 exec, exec, vcc
	s_cbranch_execz .LBB133_252
; %bb.257:                              ;   in Loop: Header=BB133_255 Depth=2
	v_perm_b32 v9, v9, s6, v38
	ds_write_b32 v3, v9 offset:3072
	s_branch .LBB133_252
.LBB133_258:                            ;   in Loop: Header=BB133_255 Depth=2
	s_mov_b64 s[64:65], -1
                                        ; implicit-def: $vgpr4_vgpr5
                                        ; implicit-def: $vgpr8
	s_mov_b64 s[58:59], -1
	s_branch .LBB133_254
.LBB133_259:                            ;   in Loop: Header=BB133_24 Depth=1
	s_or_b64 exec, exec, s[8:9]
	v_lshrrev_b32_e32 v40, 16, v9
	s_and_b64 s[8:9], s[54:55], exec
.LBB133_260:                            ;   in Loop: Header=BB133_24 Depth=1
	s_or_b64 exec, exec, s[50:51]
.LBB133_261:                            ;   in Loop: Header=BB133_24 Depth=1
	s_and_b64 vcc, exec, s[48:49]
	s_cbranch_vccz .LBB133_279
; %bb.262:                              ;   in Loop: Header=BB133_24 Depth=1
	s_mov_b32 s92, s87
	s_cmp_lg_u64 s[92:93], 0
	s_cbranch_scc0 .LBB133_265
; %bb.263:                              ;   in Loop: Header=BB133_24 Depth=1
	v_cvt_f32_u32_e32 v4, s84
	s_sub_u32 s44, 0, s84
	s_subb_u32 s45, 0, 0
	v_fmac_f32_e32 v4, 0, v37
	v_rcp_f32_e32 v4, v4
	s_nop 0
	v_mul_f32_e32 v4, 0x5f7ffffc, v4
	v_mul_f32_e32 v5, 0x2f800000, v4
	v_trunc_f32_e32 v5, v5
	v_fmac_f32_e32 v4, 0xcf800000, v5
	v_cvt_u32_f32_e32 v5, v5
	v_cvt_u32_f32_e32 v4, v4
	v_readfirstlane_b32 s46, v5
	v_readfirstlane_b32 s14, v4
	s_mul_i32 s15, s44, s46
	s_mul_hi_u32 s48, s44, s14
	s_mul_i32 s47, s45, s14
	s_add_i32 s15, s48, s15
	s_mul_i32 s49, s44, s14
	s_add_i32 s15, s15, s47
	s_mul_hi_u32 s48, s14, s49
	s_mul_i32 s50, s14, s15
	s_mul_hi_u32 s47, s14, s15
	s_add_u32 s48, s48, s50
	s_addc_u32 s47, 0, s47
	s_mul_hi_u32 s51, s46, s49
	s_mul_i32 s49, s46, s49
	s_add_u32 s48, s48, s49
	s_mul_hi_u32 s50, s46, s15
	s_addc_u32 s47, s47, s51
	s_addc_u32 s48, s50, 0
	s_mul_i32 s15, s46, s15
	s_add_u32 s15, s47, s15
	s_addc_u32 s47, 0, s48
	s_add_u32 s48, s14, s15
	s_cselect_b64 s[14:15], -1, 0
	s_cmp_lg_u64 s[14:15], 0
	s_addc_u32 s46, s46, s47
	s_mul_i32 s14, s44, s46
	s_mul_hi_u32 s15, s44, s48
	s_add_i32 s14, s15, s14
	s_mul_i32 s45, s45, s48
	s_add_i32 s14, s14, s45
	s_mul_i32 s44, s44, s48
	s_mul_hi_u32 s45, s46, s44
	s_mul_i32 s47, s46, s44
	s_mul_i32 s50, s48, s14
	s_mul_hi_u32 s44, s48, s44
	s_mul_hi_u32 s49, s48, s14
	s_add_u32 s44, s44, s50
	s_addc_u32 s49, 0, s49
	s_add_u32 s44, s44, s47
	s_mul_hi_u32 s15, s46, s14
	s_addc_u32 s44, s49, s45
	s_addc_u32 s15, s15, 0
	s_mul_i32 s14, s46, s14
	s_add_u32 s14, s44, s14
	s_addc_u32 s44, 0, s15
	s_add_u32 s45, s48, s14
	s_cselect_b64 s[14:15], -1, 0
	s_cmp_lg_u64 s[14:15], 0
	s_addc_u32 s14, s46, s44
	s_mul_i32 s44, s31, s14
	s_mul_hi_u32 s46, s31, s45
	s_mul_hi_u32 s15, s31, s14
	s_add_u32 s44, s46, s44
	s_addc_u32 s15, 0, s15
	s_mul_hi_u32 s47, s93, s45
	s_mul_i32 s45, s93, s45
	s_add_u32 s44, s44, s45
	s_mul_hi_u32 s46, s93, s14
	s_addc_u32 s15, s15, s47
	s_addc_u32 s44, s46, 0
	s_mul_i32 s14, s93, s14
	s_add_u32 s14, s15, s14
	s_addc_u32 s15, 0, s44
	s_mul_i32 s15, s84, s15
	s_mul_hi_u32 s44, s84, s14
	s_add_i32 s44, s44, s15
	s_mul_i32 s14, s84, s14
	s_sub_u32 s45, s31, s14
	s_cselect_b64 s[14:15], -1, 0
	s_cmp_lg_u64 s[14:15], 0
	s_subb_u32 s44, s93, s44
	s_sub_u32 s46, s45, s84
	s_cselect_b64 s[14:15], -1, 0
	s_cmp_lg_u64 s[14:15], 0
	s_subb_u32 s47, s44, 0
	s_sub_u32 s48, s46, s84
	s_cselect_b64 s[14:15], -1, 0
	s_cmp_lg_u64 s[14:15], 0
	s_subb_u32 s14, s47, 0
	s_cmp_ge_u32 s46, s84
	s_cselect_b32 s15, -1, 0
	s_cmp_eq_u32 s47, 0
	s_cselect_b32 s15, s15, -1
	s_cmp_lg_u32 s15, 0
	s_cselect_b32 s14, s14, s47
	s_cselect_b32 s46, s48, s46
	s_cmp_ge_u32 s45, s84
	s_cselect_b32 s15, -1, 0
	s_cmp_eq_u32 s44, 0
	s_cselect_b32 s15, s15, -1
	s_cmp_lg_u32 s15, 0
	s_cselect_b32 s15, s14, s44
	s_cselect_b32 s14, s46, s45
	s_mov_b64 s[44:45], 0
	s_branch .LBB133_266
.LBB133_264:                            ;   in Loop: Header=BB133_24 Depth=1
                                        ; implicit-def: $sgpr48_sgpr49
	s_branch .LBB133_249
.LBB133_265:                            ;   in Loop: Header=BB133_24 Depth=1
	s_mov_b64 s[44:45], -1
                                        ; implicit-def: $sgpr14_sgpr15
.LBB133_266:                            ;   in Loop: Header=BB133_24 Depth=1
	s_andn2_b64 vcc, exec, s[44:45]
	v_readlane_b32 s92, v61, 45
	s_cbranch_vccnz .LBB133_268
; %bb.267:                              ;   in Loop: Header=BB133_24 Depth=1
	v_cvt_f32_u32_e32 v4, s84
	s_sub_i32 s14, 0, s84
	v_rcp_iflag_f32_e32 v4, v4
	s_nop 0
	v_mul_f32_e32 v4, 0x4f7ffffe, v4
	v_cvt_u32_f32_e32 v4, v4
	s_nop 0
	v_readfirstlane_b32 s15, v4
	s_mul_i32 s14, s14, s15
	s_mul_hi_u32 s14, s15, s14
	s_add_i32 s15, s15, s14
	s_mul_hi_u32 s14, s31, s15
	s_mul_i32 s14, s14, s84
	s_sub_i32 s14, s31, s14
	s_sub_i32 s15, s14, s84
	s_cmp_ge_u32 s14, s84
	s_cselect_b32 s14, s15, s14
	s_sub_i32 s15, s14, s84
	s_cmp_ge_u32 s14, s84
	s_cselect_b32 s86, s15, s14
	s_mov_b64 s[14:15], s[86:87]
.LBB133_268:                            ;   in Loop: Header=BB133_24 Depth=1
	s_sub_u32 s44, s31, s14
	s_subb_u32 s45, s93, s15
	v_cmp_gt_u64_e32 vcc, s[44:45], v[0:1]
                                        ; implicit-def: $vgpr40
	s_and_saveexec_b64 s[14:15], vcc
	s_cbranch_execz .LBB133_278
; %bb.269:                              ;   in Loop: Header=BB133_24 Depth=1
	s_mov_b64 s[46:47], 0
	v_mov_b64_e32 v[4:5], v[0:1]
                                        ; implicit-def: $sgpr48_sgpr49
	s_branch .LBB133_273
.LBB133_270:                            ;   in Loop: Header=BB133_273 Depth=2
	s_or_b64 exec, exec, s[50:51]
	s_waitcnt lgkmcnt(0)
	s_barrier
	ds_read_b32 v8, v3 offset:3072
	s_waitcnt lgkmcnt(0)
	s_barrier
	v_cmp_eq_f16_e32 vcc, 0, v8
	s_cbranch_vccz .LBB133_276
; %bb.271:                              ;   in Loop: Header=BB133_273 Depth=2
	v_lshl_add_u64 v[4:5], v[4:5], 0, s[84:85]
	v_cmp_le_u64_e32 vcc, s[44:45], v[4:5]
	s_mov_b64 s[50:51], 0
	s_orn2_b64 s[52:53], vcc, exec
.LBB133_272:                            ;   in Loop: Header=BB133_273 Depth=2
	s_and_b64 s[52:53], exec, s[52:53]
	s_or_b64 s[46:47], s[52:53], s[46:47]
	s_andn2_b64 s[48:49], s[48:49], exec
	s_and_b64 s[50:51], s[50:51], exec
	s_or_b64 s[48:49], s[48:49], s[50:51]
	s_andn2_b64 exec, exec, s[46:47]
	s_cbranch_execz .LBB133_277
.LBB133_273:                            ;   Parent Loop BB133_24 Depth=1
                                        ; =>  This Inner Loop Header: Depth=2
	v_cmp_gt_u64_e32 vcc, s[56:57], v[4:5]
	s_and_saveexec_b64 s[50:51], vcc
	s_cbranch_execz .LBB133_270
; %bb.274:                              ;   in Loop: Header=BB133_273 Depth=2
	v_mul_lo_u32 v10, v5, s72
	v_mul_lo_u32 v11, v4, s73
	v_mad_u64_u32 v[8:9], s[52:53], v4, s72, 0
	v_add3_u32 v9, v9, v11, v10
	v_lshl_add_u64 v[8:9], v[8:9], 1, s[80:81]
	global_load_ushort v8, v[8:9], off
	s_waitcnt vmcnt(0)
	v_cmp_lt_i16_e32 vcc, -1, v8
	s_nop 1
	v_cndmask_b32_e32 v9, v35, v36, vcc
	v_xor_b32_sdwa v9, v9, v8 dst_sel:DWORD dst_unused:UNUSED_PAD src0_sel:DWORD src1_sel:WORD_0
	v_cmp_o_f16_e32 vcc, v8, v8
	s_nop 1
	v_cndmask_b32_e32 v9, v35, v9, vcc
	v_and_b32_e32 v9, v9, v39
	v_cmp_eq_u32_e32 vcc, v9, v18
	s_and_b64 exec, exec, vcc
	s_cbranch_execz .LBB133_270
; %bb.275:                              ;   in Loop: Header=BB133_273 Depth=2
	v_perm_b32 v8, v8, s6, v38
	ds_write_b32 v3, v8 offset:3072
	s_branch .LBB133_270
.LBB133_276:                            ;   in Loop: Header=BB133_273 Depth=2
	s_mov_b64 s[52:53], -1
                                        ; implicit-def: $vgpr4_vgpr5
	s_mov_b64 s[50:51], -1
	s_branch .LBB133_272
.LBB133_277:                            ;   in Loop: Header=BB133_24 Depth=1
	s_or_b64 exec, exec, s[46:47]
	s_andn2_b64 s[8:9], s[8:9], exec
	s_and_b64 s[44:45], s[48:49], exec
	v_lshrrev_b32_e32 v40, 16, v8
	s_or_b64 s[8:9], s[8:9], s[44:45]
.LBB133_278:                            ;   in Loop: Header=BB133_24 Depth=1
	s_or_b64 exec, exec, s[14:15]
	s_mov_b64 s[44:45], 0
	s_mov_b64 s[46:47], -1
.LBB133_279:                            ;   in Loop: Header=BB133_24 Depth=1
	s_orn2_b64 s[14:15], s[8:9], exec
.LBB133_280:                            ;   in Loop: Header=BB133_24 Depth=1
	s_or_b64 exec, exec, s[42:43]
	s_mov_b64 s[42:43], 0
	s_and_saveexec_b64 s[8:9], s[14:15]
	s_cbranch_execz .LBB133_291
; %bb.281:                              ;   in Loop: Header=BB133_24 Depth=1
	s_xor_b64 s[40:41], s[40:41], -1
	v_mov_b64_e32 v[4:5], 1
	v_mov_b32_e32 v2, 1
	s_and_saveexec_b64 s[14:15], s[40:41]
	s_cbranch_execz .LBB133_290
; %bb.282:                              ;   in Loop: Header=BB133_24 Depth=1
	v_cmp_ge_u64_e32 vcc, s[2:3], v[6:7]
	s_and_saveexec_b64 s[40:41], vcc
	s_xor_b64 s[40:41], exec, s[40:41]
	s_cbranch_execz .LBB133_287
; %bb.283:                              ;   in Loop: Header=BB133_24 Depth=1
	ds_read_b64 v[4:5], v3 offset:5120
	v_or_b32_e32 v18, s66, v18
	v_or_b32_e32 v39, s66, v39
	s_waitcnt lgkmcnt(0)
	v_cmp_ne_u64_e32 vcc, 0, v[4:5]
	s_cbranch_vccnz .LBB133_287
; %bb.284:                              ;   in Loop: Header=BB133_24 Depth=1
	s_mov_b64 s[42:43], exec
	v_readlane_b32 s48, v61, 16
	v_readlane_b32 s49, v61, 17
	s_and_b64 s[48:49], s[42:43], s[48:49]
	s_mov_b64 exec, s[48:49]
; %bb.285:                              ;   in Loop: Header=BB133_24 Depth=1
	v_mov_b64_e32 v[4:5], s[2:3]
	ds_write_b64 v3, v[4:5] offset:5128
; %bb.286:                              ;   in Loop: Header=BB133_24 Depth=1
	s_or_b64 exec, exec, s[42:43]
	s_waitcnt lgkmcnt(0)
	s_barrier
.LBB133_287:                            ;   in Loop: Header=BB133_24 Depth=1
	s_andn2_saveexec_b64 s[40:41], s[40:41]
; %bb.288:                              ;   in Loop: Header=BB133_24 Depth=1
	v_mov_b32_e32 v2, s3
	v_subrev_co_u32_e32 v6, vcc, s2, v6
	s_nop 1
	v_subb_co_u32_e32 v7, vcc, v7, v2, vcc
; %bb.289:                              ;   in Loop: Header=BB133_24 Depth=1
	s_or_b64 exec, exec, s[40:41]
	v_mov_b32_e32 v2, 8
	v_mov_b64_e32 v[4:5], v[6:7]
.LBB133_290:                            ;   in Loop: Header=BB133_24 Depth=1
	s_or_b64 exec, exec, s[14:15]
	s_mov_b64 s[42:43], exec
	v_mov_b64_e32 v[6:7], v[4:5]
.LBB133_291:                            ;   in Loop: Header=BB133_24 Depth=1
	s_or_b64 exec, exec, s[8:9]
	s_orn2_b64 s[8:9], s[42:43], exec
.LBB133_292:                            ;   in Loop: Header=BB133_24 Depth=1
	s_or_b64 exec, exec, s[22:23]
	s_andn2_b64 s[2:3], s[36:37], exec
	s_and_b64 s[14:15], s[46:47], exec
	s_or_b64 s[36:37], s[2:3], s[14:15]
	s_andn2_b64 s[2:3], s[34:35], exec
	s_and_b64 s[14:15], s[44:45], exec
	s_or_b64 s[34:35], s[2:3], s[14:15]
	s_and_b64 s[14:15], s[8:9], exec
	v_mov_b64_e32 v[4:5], v[6:7]
.LBB133_293:                            ;   in Loop: Header=BB133_24 Depth=1
	s_or_b64 exec, exec, s[38:39]
	s_orn2_b64 s[8:9], s[14:15], exec
.LBB133_294:                            ;   in Loop: Header=BB133_24 Depth=1
	s_or_b64 exec, exec, s[28:29]
	s_andn2_b64 s[2:3], s[24:25], exec
	s_and_b64 s[14:15], s[36:37], exec
	s_or_b64 s[24:25], s[2:3], s[14:15]
	s_andn2_b64 s[0:1], s[0:1], exec
	s_and_b64 s[2:3], s[34:35], exec
	s_or_b64 s[0:1], s[0:1], s[2:3]
	s_and_b64 s[14:15], s[8:9], exec
	v_mov_b64_e32 v[8:9], v[4:5]
.LBB133_295:                            ;   in Loop: Header=BB133_24 Depth=1
	s_or_b64 exec, exec, s[26:27]
	s_orn2_b64 s[8:9], s[14:15], exec
.LBB133_296:                            ;   in Loop: Header=BB133_24 Depth=1
	s_or_b64 exec, exec, s[20:21]
	s_mov_b64 s[14:15], 0
	s_and_saveexec_b64 s[2:3], s[8:9]
	s_xor_b64 s[2:3], exec, s[2:3]
	s_cbranch_execz .LBB133_22
; %bb.297:                              ;   in Loop: Header=BB133_24 Depth=1
	v_and_b32_e32 v2, 7, v2
	v_cmp_eq_u32_e32 vcc, 0, v2
	s_mov_b64 s[8:9], -1
	s_mov_b64 s[14:15], -1
	s_and_saveexec_b64 s[18:19], vcc
	s_cbranch_execz .LBB133_21
; %bb.298:                              ;   in Loop: Header=BB133_24 Depth=1
	s_xor_b32 s88, s88, 1
	s_add_i32 s20, s90, -2
	s_cmp_eq_u32 s90, 0
	s_cselect_b64 s[8:9], -1, 0
	s_xor_b64 s[14:15], exec, -1
	s_orn2_b64 s[8:9], s[8:9], exec
	s_mov_b32 s90, s20
	s_branch .LBB133_21
.LBB133_299:
	s_or_b64 exec, exec, s[74:75]
	s_xor_b64 s[4:5], s[82:83], -1
	s_xor_b64 s[2:3], s[60:61], -1
	;; [unrolled: 1-line block ×3, first 2 shown]
	s_mov_b64 s[0:1], 0
	s_and_saveexec_b64 s[8:9], s[2:3]
	s_xor_b64 s[2:3], exec, s[8:9]
	s_cbranch_execnz .LBB133_304
; %bb.300:
	s_andn2_saveexec_b64 s[2:3], s[2:3]
	s_cbranch_execnz .LBB133_317
.LBB133_301:
	s_or_b64 exec, exec, s[2:3]
	s_and_saveexec_b64 s[2:3], s[0:1]
.LBB133_302:
	; divergent unreachable
.LBB133_303:
	s_endpgm
.LBB133_304:
	s_and_saveexec_b64 s[0:1], s[4:5]
	s_xor_b64 s[4:5], exec, s[0:1]
	s_cbranch_execz .LBB133_315
; %bb.305:
	s_and_saveexec_b64 s[0:1], s[6:7]
	s_xor_b64 s[0:1], exec, s[0:1]
; %bb.306:
	v_and_b32_e32 v2, 0x8000, v18
	v_mov_b32_e32 v3, 0x8000
	v_mov_b32_e32 v4, 0xffff
	v_cmp_eq_u32_e32 vcc, 0, v2
	s_nop 1
	v_cndmask_b32_e32 v2, v3, v4, vcc
	v_xor_b32_e32 v40, v2, v18
; %bb.307:
	s_or_b64 exec, exec, s[0:1]
	v_readlane_b32 s6, v61, 6
	v_readlane_b32 s0, v61, 4
	v_readlane_b32 s7, v61, 7
	v_readlane_b32 s1, v61, 5
	s_mov_b32 s8, s0
	s_mul_i32 s0, s0, s7
	s_mul_hi_u32 s1, s8, s6
	s_add_i32 s1, s1, s0
	s_mul_i32 s0, s8, s6
	v_readlane_b32 s6, v61, 12
	v_readlane_b32 s12, v61, 22
	;; [unrolled: 1-line block ×3, first 2 shown]
	s_sub_u32 s0, s6, s0
	v_readlane_b32 s14, v61, 24
	v_readlane_b32 s15, v61, 25
	s_subb_u32 s1, 0, s1
	s_mul_i32 s6, s0, s15
	s_mul_hi_u32 s7, s0, s14
	v_readlane_b32 s13, v61, 23
	s_add_i32 s6, s7, s6
	s_mul_i32 s1, s1, s14
	s_add_i32 s1, s6, s1
	s_mul_i32 s6, s8, s13
	s_mul_hi_u32 s7, s8, s12
	s_add_i32 s7, s7, s6
	s_mul_i32 s6, s8, s12
	s_lshl_b64 s[6:7], s[6:7], 1
	v_readlane_b32 s8, v61, 10
	s_mul_i32 s0, s0, s14
	v_readlane_b32 s9, v61, 11
	s_add_u32 s6, s8, s6
	s_addc_u32 s7, s9, s7
	s_lshl_b64 s[0:1], s[0:1], 1
	s_add_u32 s0, s6, s0
	s_addc_u32 s1, s7, s1
	v_mov_b32_e32 v2, 0
	global_store_short v2, v40, s[0:1]
	s_mov_b64 s[6:7], exec
	v_readlane_b32 s0, v61, 14
	v_readlane_b32 s1, v61, 15
	s_and_b64 s[0:1], s[6:7], s[0:1]
	s_mov_b64 exec, s[0:1]
	s_cbranch_execz .LBB133_314
; %bb.308:
	v_cmp_u_f16_e32 vcc, v40, v40
	s_mov_b64 s[8:9], 0
	s_xor_b64 s[12:13], vcc, -1
                                        ; implicit-def: $sgpr10_sgpr11
                                        ; implicit-def: $sgpr16_sgpr17
                                        ; implicit-def: $sgpr14_sgpr15
	s_branch .LBB133_310
.LBB133_309:                            ;   in Loop: Header=BB133_310 Depth=1
	s_or_b64 exec, exec, s[0:1]
	s_and_b64 s[0:1], exec, s[16:17]
	s_or_b64 s[8:9], s[0:1], s[8:9]
	s_andn2_b64 s[0:1], s[10:11], exec
	s_and_b64 s[10:11], s[14:15], exec
	s_or_b64 s[10:11], s[0:1], s[10:11]
	s_andn2_b64 exec, exec, s[8:9]
	s_cbranch_execz .LBB133_312
.LBB133_310:                            ; =>This Inner Loop Header: Depth=1
	v_mov_b64_e32 v[2:3], v[0:1]
	v_mul_lo_u32 v4, v3, s72
	v_mul_lo_u32 v5, v2, s73
	v_mad_u64_u32 v[0:1], s[0:1], v2, s72, 0
	v_add3_u32 v1, v1, v5, v4
	v_lshl_add_u64 v[0:1], v[0:1], 1, s[80:81]
	global_load_ushort v0, v[0:1], off
	s_or_b64 s[14:15], s[14:15], exec
	s_or_b64 s[16:17], s[16:17], exec
	s_waitcnt vmcnt(0)
	v_cmp_o_f16_e64 s[0:1], v0, v0
	v_cmp_neq_f16_e32 vcc, v0, v40
	s_or_b64 s[0:1], s[12:13], s[0:1]
	s_and_b64 s[18:19], vcc, s[0:1]
                                        ; implicit-def: $vgpr0_vgpr1
	s_and_saveexec_b64 s[0:1], s[18:19]
	s_cbranch_execz .LBB133_309
; %bb.311:                              ;   in Loop: Header=BB133_310 Depth=1
	v_lshl_add_u64 v[0:1], v[2:3], 0, s[84:85]
	v_cmp_le_u64_e32 vcc, s[56:57], v[0:1]
	s_andn2_b64 s[16:17], s[16:17], exec
	s_and_b64 s[18:19], vcc, exec
	s_andn2_b64 s[14:15], s[14:15], exec
	s_or_b64 s[16:17], s[16:17], s[18:19]
	s_branch .LBB133_309
.LBB133_312:
	s_or_b64 exec, exec, s[8:9]
	s_and_saveexec_b64 s[0:1], s[10:11]
	s_xor_b64 s[0:1], exec, s[0:1]
	s_cbranch_execz .LBB133_314
; %bb.313:
	v_readlane_b32 s8, v61, 0
	v_readlane_b32 s0, v61, 2
	;; [unrolled: 1-line block ×4, first 2 shown]
	s_mov_b32 s10, s0
	s_mul_i32 s0, s0, s9
	s_mul_hi_u32 s1, s10, s8
	s_add_i32 s1, s1, s0
	s_mul_i32 s0, s10, s8
	v_readlane_b32 s8, v61, 12
	v_readlane_b32 s12, v61, 18
	;; [unrolled: 1-line block ×3, first 2 shown]
	s_sub_u32 s0, s8, s0
	v_readlane_b32 s14, v61, 20
	v_readlane_b32 s15, v61, 21
	s_subb_u32 s1, 0, s1
	s_mul_i32 s8, s0, s15
	s_mul_hi_u32 s9, s0, s14
	v_readlane_b32 s13, v61, 19
	s_add_i32 s8, s9, s8
	s_mul_i32 s1, s1, s14
	s_add_i32 s1, s8, s1
	s_mul_i32 s8, s10, s13
	s_mul_hi_u32 s9, s10, s12
	s_add_i32 s9, s9, s8
	s_mul_i32 s8, s10, s12
	s_lshl_b64 s[8:9], s[8:9], 3
	v_readlane_b32 s10, v61, 8
	s_mul_i32 s0, s0, s14
	v_readlane_b32 s11, v61, 9
	s_add_u32 s8, s10, s8
	s_addc_u32 s9, s11, s9
	s_lshl_b64 s[0:1], s[0:1], 3
	s_add_u32 s0, s8, s0
	s_addc_u32 s1, s9, s1
	v_mov_b32_e32 v0, 0
	global_store_dwordx2 v0, v[2:3], s[0:1]
.LBB133_314:
	s_or_b64 exec, exec, s[6:7]
.LBB133_315:
	s_or_saveexec_b64 s[0:1], s[4:5]
	s_mov_b64 s[4:5], 0
	s_xor_b64 exec, exec, s[0:1]
	s_cbranch_execnz .LBB133_318
.LBB133_316:
	s_or_b64 exec, exec, s[0:1]
	s_and_b64 s[0:1], s[4:5], exec
	s_andn2_saveexec_b64 s[2:3], s[2:3]
	s_cbranch_execz .LBB133_301
.LBB133_317:
	s_or_b64 s[0:1], s[0:1], exec
	s_trap 2
	s_or_b64 exec, exec, s[2:3]
	s_and_saveexec_b64 s[2:3], s[0:1]
	s_cbranch_execnz .LBB133_302
	s_branch .LBB133_303
.LBB133_318:
	s_mov_b64 s[4:5], exec
	s_trap 2
	s_branch .LBB133_316
	.section	.rodata,"a",@progbits
	.p2align	6, 0x0
	.amdhsa_kernel _ZN2at6native12_GLOBAL__N_112gatherMedianIN3c104HalfEmLi2EEEvNS_4cuda6detail10TensorInfoIT_T0_EENS7_IlS9_EENS7_IKS8_S9_EES9_S9_S9_b
		.amdhsa_group_segment_fixed_size 5152
		.amdhsa_private_segment_fixed_size 0
		.amdhsa_kernarg_size 1536
		.amdhsa_user_sgpr_count 2
		.amdhsa_user_sgpr_dispatch_ptr 0
		.amdhsa_user_sgpr_queue_ptr 0
		.amdhsa_user_sgpr_kernarg_segment_ptr 1
		.amdhsa_user_sgpr_dispatch_id 0
		.amdhsa_user_sgpr_kernarg_preload_length 0
		.amdhsa_user_sgpr_kernarg_preload_offset 0
		.amdhsa_user_sgpr_private_segment_size 0
		.amdhsa_uses_dynamic_stack 0
		.amdhsa_enable_private_segment 0
		.amdhsa_system_sgpr_workgroup_id_x 1
		.amdhsa_system_sgpr_workgroup_id_y 1
		.amdhsa_system_sgpr_workgroup_id_z 1
		.amdhsa_system_sgpr_workgroup_info 0
		.amdhsa_system_vgpr_workitem_id 0
		.amdhsa_next_free_vgpr 62
		.amdhsa_next_free_sgpr 100
		.amdhsa_accum_offset 64
		.amdhsa_reserve_vcc 1
		.amdhsa_float_round_mode_32 0
		.amdhsa_float_round_mode_16_64 0
		.amdhsa_float_denorm_mode_32 3
		.amdhsa_float_denorm_mode_16_64 3
		.amdhsa_dx10_clamp 1
		.amdhsa_ieee_mode 1
		.amdhsa_fp16_overflow 0
		.amdhsa_tg_split 0
		.amdhsa_exception_fp_ieee_invalid_op 0
		.amdhsa_exception_fp_denorm_src 0
		.amdhsa_exception_fp_ieee_div_zero 0
		.amdhsa_exception_fp_ieee_overflow 0
		.amdhsa_exception_fp_ieee_underflow 0
		.amdhsa_exception_fp_ieee_inexact 0
		.amdhsa_exception_int_div_zero 0
	.end_amdhsa_kernel
	.section	.text._ZN2at6native12_GLOBAL__N_112gatherMedianIN3c104HalfEmLi2EEEvNS_4cuda6detail10TensorInfoIT_T0_EENS7_IlS9_EENS7_IKS8_S9_EES9_S9_S9_b,"axG",@progbits,_ZN2at6native12_GLOBAL__N_112gatherMedianIN3c104HalfEmLi2EEEvNS_4cuda6detail10TensorInfoIT_T0_EENS7_IlS9_EENS7_IKS8_S9_EES9_S9_S9_b,comdat
.Lfunc_end133:
	.size	_ZN2at6native12_GLOBAL__N_112gatherMedianIN3c104HalfEmLi2EEEvNS_4cuda6detail10TensorInfoIT_T0_EENS7_IlS9_EENS7_IKS8_S9_EES9_S9_S9_b, .Lfunc_end133-_ZN2at6native12_GLOBAL__N_112gatherMedianIN3c104HalfEmLi2EEEvNS_4cuda6detail10TensorInfoIT_T0_EENS7_IlS9_EENS7_IKS8_S9_EES9_S9_S9_b
                                        ; -- End function
	.set _ZN2at6native12_GLOBAL__N_112gatherMedianIN3c104HalfEmLi2EEEvNS_4cuda6detail10TensorInfoIT_T0_EENS7_IlS9_EENS7_IKS8_S9_EES9_S9_S9_b.num_vgpr, 62
	.set _ZN2at6native12_GLOBAL__N_112gatherMedianIN3c104HalfEmLi2EEEvNS_4cuda6detail10TensorInfoIT_T0_EENS7_IlS9_EENS7_IKS8_S9_EES9_S9_S9_b.num_agpr, 0
	.set _ZN2at6native12_GLOBAL__N_112gatherMedianIN3c104HalfEmLi2EEEvNS_4cuda6detail10TensorInfoIT_T0_EENS7_IlS9_EENS7_IKS8_S9_EES9_S9_S9_b.numbered_sgpr, 100
	.set _ZN2at6native12_GLOBAL__N_112gatherMedianIN3c104HalfEmLi2EEEvNS_4cuda6detail10TensorInfoIT_T0_EENS7_IlS9_EENS7_IKS8_S9_EES9_S9_S9_b.num_named_barrier, 0
	.set _ZN2at6native12_GLOBAL__N_112gatherMedianIN3c104HalfEmLi2EEEvNS_4cuda6detail10TensorInfoIT_T0_EENS7_IlS9_EENS7_IKS8_S9_EES9_S9_S9_b.private_seg_size, 0
	.set _ZN2at6native12_GLOBAL__N_112gatherMedianIN3c104HalfEmLi2EEEvNS_4cuda6detail10TensorInfoIT_T0_EENS7_IlS9_EENS7_IKS8_S9_EES9_S9_S9_b.uses_vcc, 1
	.set _ZN2at6native12_GLOBAL__N_112gatherMedianIN3c104HalfEmLi2EEEvNS_4cuda6detail10TensorInfoIT_T0_EENS7_IlS9_EENS7_IKS8_S9_EES9_S9_S9_b.uses_flat_scratch, 0
	.set _ZN2at6native12_GLOBAL__N_112gatherMedianIN3c104HalfEmLi2EEEvNS_4cuda6detail10TensorInfoIT_T0_EENS7_IlS9_EENS7_IKS8_S9_EES9_S9_S9_b.has_dyn_sized_stack, 0
	.set _ZN2at6native12_GLOBAL__N_112gatherMedianIN3c104HalfEmLi2EEEvNS_4cuda6detail10TensorInfoIT_T0_EENS7_IlS9_EENS7_IKS8_S9_EES9_S9_S9_b.has_recursion, 0
	.set _ZN2at6native12_GLOBAL__N_112gatherMedianIN3c104HalfEmLi2EEEvNS_4cuda6detail10TensorInfoIT_T0_EENS7_IlS9_EENS7_IKS8_S9_EES9_S9_S9_b.has_indirect_call, 0
	.section	.AMDGPU.csdata,"",@progbits
; Kernel info:
; codeLenInByte = 16776
; TotalNumSgprs: 106
; NumVgprs: 62
; NumAgprs: 0
; TotalNumVgprs: 62
; ScratchSize: 0
; MemoryBound: 0
; FloatMode: 240
; IeeeMode: 1
; LDSByteSize: 5152 bytes/workgroup (compile time only)
; SGPRBlocks: 13
; VGPRBlocks: 7
; NumSGPRsForWavesPerEU: 106
; NumVGPRsForWavesPerEU: 62
; AccumOffset: 64
; Occupancy: 7
; WaveLimiterHint : 1
; COMPUTE_PGM_RSRC2:SCRATCH_EN: 0
; COMPUTE_PGM_RSRC2:USER_SGPR: 2
; COMPUTE_PGM_RSRC2:TRAP_HANDLER: 0
; COMPUTE_PGM_RSRC2:TGID_X_EN: 1
; COMPUTE_PGM_RSRC2:TGID_Y_EN: 1
; COMPUTE_PGM_RSRC2:TGID_Z_EN: 1
; COMPUTE_PGM_RSRC2:TIDIG_COMP_CNT: 0
; COMPUTE_PGM_RSRC3_GFX90A:ACCUM_OFFSET: 15
; COMPUTE_PGM_RSRC3_GFX90A:TG_SPLIT: 0
	.section	.text._ZN2at6native12_GLOBAL__N_112gatherMedianIN3c104HalfEmLi3EEEvNS_4cuda6detail10TensorInfoIT_T0_EENS7_IlS9_EENS7_IKS8_S9_EES9_S9_S9_b,"axG",@progbits,_ZN2at6native12_GLOBAL__N_112gatherMedianIN3c104HalfEmLi3EEEvNS_4cuda6detail10TensorInfoIT_T0_EENS7_IlS9_EENS7_IKS8_S9_EES9_S9_S9_b,comdat
	.globl	_ZN2at6native12_GLOBAL__N_112gatherMedianIN3c104HalfEmLi3EEEvNS_4cuda6detail10TensorInfoIT_T0_EENS7_IlS9_EENS7_IKS8_S9_EES9_S9_S9_b ; -- Begin function _ZN2at6native12_GLOBAL__N_112gatherMedianIN3c104HalfEmLi3EEEvNS_4cuda6detail10TensorInfoIT_T0_EENS7_IlS9_EENS7_IKS8_S9_EES9_S9_S9_b
	.p2align	8
	.type	_ZN2at6native12_GLOBAL__N_112gatherMedianIN3c104HalfEmLi3EEEvNS_4cuda6detail10TensorInfoIT_T0_EENS7_IlS9_EENS7_IKS8_S9_EES9_S9_S9_b,@function
_ZN2at6native12_GLOBAL__N_112gatherMedianIN3c104HalfEmLi3EEEvNS_4cuda6detail10TensorInfoIT_T0_EENS7_IlS9_EENS7_IKS8_S9_EES9_S9_S9_b: ; @_ZN2at6native12_GLOBAL__N_112gatherMedianIN3c104HalfEmLi3EEEvNS_4cuda6detail10TensorInfoIT_T0_EENS7_IlS9_EENS7_IKS8_S9_EES9_S9_S9_b
; %bb.0:
	s_load_dwordx2 s[12:13], s[0:1], 0x500
	s_load_dwordx4 s[56:59], s[0:1], 0x4e0
	s_add_u32 s16, s0, 0x500
	s_addc_u32 s17, s1, 0
	s_mov_b32 s25, 0
	s_waitcnt lgkmcnt(0)
	s_mul_i32 s4, s13, s4
	s_add_i32 s3, s4, s3
	s_mul_i32 s3, s3, s12
	s_add_i32 s24, s3, s2
	v_mov_b64_e32 v[2:3], s[24:25]
	v_cmp_le_u64_e32 vcc, s[58:59], v[2:3]
	s_cbranch_vccnz .LBB134_305
; %bb.1:
	s_load_dwordx4 s[8:11], s[0:1], 0x10
	s_mov_b64 s[18:19], 0
	s_mov_b64 s[14:15], 0
	s_waitcnt lgkmcnt(0)
	v_mov_b64_e32 v[2:3], s[10:11]
	v_cmp_lt_u64_e32 vcc, s[24:25], v[2:3]
	s_cbranch_vccnz .LBB134_3
; %bb.2:
	v_cvt_f32_u32_e32 v1, s10
	s_sub_i32 s3, 0, s10
	s_mov_b32 s15, 0
	v_rcp_iflag_f32_e32 v1, v1
	s_nop 0
	v_mul_f32_e32 v1, 0x4f7ffffe, v1
	v_cvt_u32_f32_e32 v1, v1
	s_nop 0
	v_readfirstlane_b32 s4, v1
	s_mul_i32 s3, s3, s4
	s_mul_hi_u32 s3, s4, s3
	s_add_i32 s4, s4, s3
	s_mul_hi_u32 s3, s24, s4
	s_mul_i32 s5, s3, s10
	s_sub_i32 s5, s24, s5
	s_add_i32 s4, s3, 1
	s_sub_i32 s6, s5, s10
	s_cmp_ge_u32 s5, s10
	s_cselect_b32 s3, s4, s3
	s_cselect_b32 s5, s6, s5
	s_add_i32 s4, s3, 1
	s_cmp_ge_u32 s5, s10
	s_cselect_b32 s14, s4, s3
.LBB134_3:
	s_load_dwordx4 s[20:23], s[0:1], 0x1b0
                                        ; implicit-def: $vgpr61 : SGPR spill to VGPR lane
	v_mov_b64_e32 v[2:3], s[8:9]
	v_cmp_lt_u64_e32 vcc, s[14:15], v[2:3]
	s_and_b64 vcc, exec, vcc
	s_waitcnt lgkmcnt(0)
	v_writelane_b32 v61, s20, 0
	s_nop 1
	v_writelane_b32 v61, s21, 1
	v_writelane_b32 v61, s22, 2
	;; [unrolled: 1-line block ×3, first 2 shown]
	s_cbranch_vccnz .LBB134_5
; %bb.4:
	v_cvt_f32_u32_e32 v1, s8
	s_sub_i32 s3, 0, s8
	s_load_dwordx4 s[20:23], s[0:1], 0x1b0
	v_rcp_iflag_f32_e32 v1, v1
	s_nop 0
	v_mul_f32_e32 v1, 0x4f7ffffe, v1
	v_cvt_u32_f32_e32 v1, v1
	s_nop 0
	v_readfirstlane_b32 s4, v1
	s_mul_i32 s3, s3, s4
	s_mul_hi_u32 s3, s4, s3
	s_add_i32 s4, s4, s3
	s_mul_hi_u32 s3, s14, s4
	s_mul_i32 s5, s3, s8
	s_sub_i32 s5, s14, s5
	s_add_i32 s4, s3, 1
	s_sub_i32 s6, s5, s8
	s_cmp_ge_u32 s5, s8
	s_cselect_b32 s3, s4, s3
	s_cselect_b32 s5, s6, s5
	s_add_i32 s4, s3, 1
	s_cmp_ge_u32 s5, s8
	s_cselect_b32 s18, s4, s3
.LBB134_5:
	v_writelane_b32 v61, s18, 4
	s_waitcnt lgkmcnt(0)
	v_mov_b64_e32 v[2:3], s[22:23]
	v_cmp_lt_u64_e32 vcc, s[24:25], v[2:3]
	v_writelane_b32 v61, s19, 5
	v_writelane_b32 v61, s14, 6
	s_mov_b64 s[4:5], 0
	s_and_b64 vcc, exec, vcc
	v_writelane_b32 v61, s15, 7
	v_writelane_b32 v61, s8, 8
	s_mov_b64 s[6:7], 0
	s_nop 0
	v_writelane_b32 v61, s9, 9
	v_writelane_b32 v61, s10, 10
	;; [unrolled: 1-line block ×4, first 2 shown]
	s_nop 1
	v_writelane_b32 v61, s5, 13
	s_cbranch_vccnz .LBB134_7
; %bb.6:
	v_cvt_f32_u32_e32 v1, s22
	s_sub_i32 s3, 0, s22
	s_mov_b32 s7, 0
	v_rcp_iflag_f32_e32 v1, v1
	s_nop 0
	v_mul_f32_e32 v1, 0x4f7ffffe, v1
	v_cvt_u32_f32_e32 v1, v1
	s_nop 0
	v_readfirstlane_b32 s4, v1
	s_mul_i32 s3, s3, s4
	s_mul_hi_u32 s3, s4, s3
	s_add_i32 s4, s4, s3
	s_mul_hi_u32 s3, s24, s4
	s_mul_i32 s5, s3, s22
	s_sub_i32 s5, s24, s5
	s_add_i32 s4, s3, 1
	s_sub_i32 s6, s5, s22
	s_cmp_ge_u32 s5, s22
	s_cselect_b32 s3, s4, s3
	s_cselect_b32 s5, s6, s5
	s_add_i32 s4, s3, 1
	s_cmp_ge_u32 s5, s22
	s_cselect_b32 s6, s4, s3
.LBB134_7:
	s_mov_b64 s[18:19], s[6:7]
	s_load_dwordx2 s[14:15], s[0:1], 0x420
	s_load_dwordx4 s[4:7], s[0:1], 0x410
	s_load_dwordx4 s[8:11], s[0:1], 0x350
	s_load_dwordx2 s[82:83], s[0:1], 0x4f0
	v_mov_b64_e32 v[2:3], s[20:21]
	v_writelane_b32 v61, s18, 14
	s_nop 1
	v_cmp_lt_u64_e32 vcc, s[18:19], v[2:3]
	v_writelane_b32 v61, s19, 15
	s_cbranch_vccnz .LBB134_9
; %bb.8:
	s_load_dwordx4 s[20:23], s[0:1], 0x1b0
	s_waitcnt lgkmcnt(0)
	v_readlane_b32 s22, v61, 14
	v_readlane_b32 s23, v61, 15
	v_cvt_f32_u32_e32 v1, s20
	s_sub_i32 s3, 0, s20
	v_rcp_iflag_f32_e32 v1, v1
	s_nop 0
	v_mul_f32_e32 v1, 0x4f7ffffe, v1
	v_cvt_u32_f32_e32 v1, v1
	s_nop 0
	v_readfirstlane_b32 s13, v1
	s_mul_i32 s3, s3, s13
	s_mul_hi_u32 s3, s13, s3
	s_add_i32 s13, s13, s3
	s_mul_hi_u32 s3, s22, s13
	s_mul_i32 s18, s3, s20
	s_sub_i32 s18, s22, s18
	s_add_i32 s13, s3, 1
	s_sub_i32 s19, s18, s20
	s_cmp_ge_u32 s18, s20
	s_cselect_b32 s3, s13, s3
	s_cselect_b32 s18, s19, s18
	s_add_i32 s13, s3, 1
	s_cmp_ge_u32 s18, s20
	s_cselect_b32 s18, s13, s3
	v_writelane_b32 v61, s18, 12
	s_nop 1
	v_writelane_b32 v61, s19, 13
.LBB134_9:
	s_load_dwordx2 s[18:19], s[0:1], 0x340
	s_waitcnt lgkmcnt(0)
	v_mov_b64_e32 v[2:3], s[10:11]
	v_cmp_lt_u64_e32 vcc, s[24:25], v[2:3]
	s_mov_b64 s[20:21], 0
	s_mov_b64 s[22:23], 0
	s_cbranch_vccnz .LBB134_11
; %bb.10:
	v_cvt_f32_u32_e32 v1, s10
	s_sub_i32 s3, 0, s10
	s_mov_b32 s23, 0
	v_rcp_iflag_f32_e32 v1, v1
	s_nop 0
	v_mul_f32_e32 v1, 0x4f7ffffe, v1
	v_cvt_u32_f32_e32 v1, v1
	s_nop 0
	v_readfirstlane_b32 s13, v1
	s_mul_i32 s3, s3, s13
	s_mul_hi_u32 s3, s13, s3
	s_add_i32 s13, s13, s3
	s_mul_hi_u32 s3, s24, s13
	s_mul_i32 s21, s3, s10
	s_sub_i32 s21, s24, s21
	s_add_i32 s13, s3, 1
	s_sub_i32 s22, s21, s10
	s_cmp_ge_u32 s21, s10
	s_cselect_b32 s3, s13, s3
	s_cselect_b32 s21, s22, s21
	s_add_i32 s13, s3, 1
	s_cmp_ge_u32 s21, s10
	s_cselect_b32 s22, s13, s3
.LBB134_11:
	s_load_dwordx2 s[26:27], s[0:1], 0x280
	s_load_dwordx4 s[28:31], s[0:1], 0x270
	v_mov_b64_e32 v[2:3], s[8:9]
	v_cmp_lt_u64_e32 vcc, s[22:23], v[2:3]
	s_and_b64 vcc, exec, vcc
	s_waitcnt lgkmcnt(0)
	v_writelane_b32 v61, s26, 16
	s_nop 1
	v_writelane_b32 v61, s27, 17
	v_writelane_b32 v61, s28, 18
	s_load_dwordx2 s[26:27], s[0:1], 0xe0
	s_nop 0
	v_writelane_b32 v61, s29, 19
	v_writelane_b32 v61, s30, 20
	;; [unrolled: 1-line block ×3, first 2 shown]
	s_load_dwordx4 s[28:31], s[0:1], 0xd0
	s_waitcnt lgkmcnt(0)
	v_writelane_b32 v61, s26, 22
	s_nop 1
	v_writelane_b32 v61, s27, 23
	v_writelane_b32 v61, s28, 24
	s_nop 1
	v_writelane_b32 v61, s29, 25
	v_writelane_b32 v61, s30, 26
	;; [unrolled: 1-line block ×3, first 2 shown]
	s_cbranch_vccnz .LBB134_13
; %bb.12:
	v_cvt_f32_u32_e32 v1, s8
	s_sub_i32 s3, 0, s8
	v_rcp_iflag_f32_e32 v1, v1
	s_nop 0
	v_mul_f32_e32 v1, 0x4f7ffffe, v1
	v_cvt_u32_f32_e32 v1, v1
	s_nop 0
	v_readfirstlane_b32 s13, v1
	s_mul_i32 s3, s3, s13
	s_mul_hi_u32 s3, s13, s3
	s_add_i32 s13, s13, s3
	s_mul_hi_u32 s3, s22, s13
	s_mul_i32 s20, s3, s8
	s_sub_i32 s20, s22, s20
	s_add_i32 s13, s3, 1
	s_sub_i32 s21, s20, s8
	s_cmp_ge_u32 s20, s8
	s_cselect_b32 s3, s13, s3
	s_cselect_b32 s20, s21, s20
	s_add_i32 s13, s3, 1
	s_cmp_ge_u32 s20, s8
	s_cselect_b32 s20, s13, s3
.LBB134_13:
	s_load_dwordx2 s[26:27], s[0:1], 0x1a0
	s_mul_i32 s3, s22, s11
	s_mul_hi_u32 s11, s22, s10
	s_add_i32 s11, s11, s3
	s_mul_i32 s3, s22, s10
	s_waitcnt lgkmcnt(0)
	v_writelane_b32 v61, s26, 28
	s_mov_b32 s10, s24
	s_sub_u32 s3, s24, s3
	v_writelane_b32 v61, s27, 29
	s_load_dwordx2 s[26:27], s[0:1], 0x0
	s_mul_hi_u32 s13, s3, s14
	v_mov_b32_e32 v1, 0
	v_mov_b64_e32 v[2:3], 0
	s_waitcnt lgkmcnt(0)
	v_writelane_b32 v61, s26, 30
	s_nop 1
	v_writelane_b32 v61, s27, 31
	v_writelane_b32 v61, s10, 32
	s_nop 1
	v_writelane_b32 v61, s11, 33
	s_subb_u32 s10, 0, s11
	s_mul_i32 s11, s3, s15
	s_add_i32 s11, s13, s11
	s_mul_i32 s10, s10, s14
	s_add_i32 s11, s11, s10
	s_mul_i32 s10, s3, s14
	s_mul_i32 s3, s20, s9
	s_mul_hi_u32 s9, s20, s8
	s_add_i32 s9, s9, s3
	s_mul_i32 s3, s20, s8
	s_sub_u32 s3, s22, s3
	s_subb_u32 s8, s23, s9
	s_mul_i32 s7, s3, s7
	s_mul_hi_u32 s9, s3, s6
	s_mul_i32 s8, s8, s6
	s_mul_i32 s6, s3, s6
	;; [unrolled: 1-line block ×3, first 2 shown]
	s_mul_hi_u32 s5, s20, s4
	s_add_i32 s7, s9, s7
	s_add_i32 s5, s5, s3
	s_mul_i32 s4, s20, s4
	s_add_i32 s7, s7, s8
	s_lshl_b64 s[4:5], s[4:5], 1
	s_add_u32 s3, s18, s4
	s_addc_u32 s8, s19, s5
	s_lshl_b64 s[4:5], s[6:7], 1
	s_add_u32 s3, s3, s4
	s_addc_u32 s6, s8, s5
	;; [unrolled: 3-line block ×3, first 2 shown]
	v_cmp_gt_u64_e64 s[6:7], s[56:57], v[0:1]
	s_mov_b64 s[4:5], exec
	s_nop 0
	v_writelane_b32 v61, s6, 34
	s_nop 1
	v_writelane_b32 v61, s7, 35
	s_and_b64 s[6:7], s[4:5], s[6:7]
	s_mov_b64 exec, s[6:7]
	s_cbranch_execz .LBB134_17
; %bb.14:
	s_load_dword s3, s[16:17], 0xc
	s_mov_b32 s7, 0
	s_mov_b64 s[8:9], 0
	v_mov_b64_e32 v[2:3], 0
	v_mov_b64_e32 v[4:5], v[0:1]
	s_waitcnt lgkmcnt(0)
	s_and_b32 s6, s3, 0xffff
.LBB134_15:                             ; =>This Inner Loop Header: Depth=1
	v_mul_lo_u32 v8, v5, s82
	v_mul_lo_u32 v9, v4, s83
	v_mad_u64_u32 v[6:7], s[10:11], v4, s82, 0
	v_add3_u32 v7, v7, v9, v8
	v_lshl_add_u64 v[6:7], v[6:7], 1, s[90:91]
	global_load_ushort v6, v[6:7], off
	v_lshl_add_u64 v[4:5], v[4:5], 0, s[6:7]
	v_cmp_le_u64_e32 vcc, s[56:57], v[4:5]
	s_or_b64 s[8:9], vcc, s[8:9]
	v_mov_b32_e32 v7, s7
	s_waitcnt vmcnt(0)
	v_cmp_u_f16_e32 vcc, v6, v6
	s_nop 1
	v_cndmask_b32_e64 v6, 0, 1, vcc
	v_lshl_add_u64 v[2:3], v[2:3], 0, v[6:7]
	s_andn2_b64 exec, exec, s[8:9]
	s_cbranch_execnz .LBB134_15
; %bb.16:
	s_or_b64 exec, exec, s[8:9]
.LBB134_17:
	s_or_b64 exec, exec, s[4:5]
	v_cmp_eq_u32_e64 s[6:7], 0, v0
	s_mov_b64 s[4:5], exec
	s_nop 0
	v_writelane_b32 v61, s6, 36
	s_nop 1
	v_writelane_b32 v61, s7, 37
	s_and_b64 s[6:7], s[4:5], s[6:7]
	s_mov_b64 exec, s[6:7]
; %bb.18:
	v_mov_b32_e32 v4, 0
	v_mov_b32_e32 v5, v4
	ds_write_b64 v4, v[4:5] offset:5136
; %bb.19:
	s_or_b64 exec, exec, s[4:5]
	s_mov_b64 s[6:7], 0
	v_cmp_ne_u64_e32 vcc, 0, v[2:3]
	s_waitcnt lgkmcnt(0)
	s_barrier
	s_and_saveexec_b64 s[4:5], vcc
	s_cbranch_execz .LBB134_24
; %bb.20:
	s_mov_b64 s[8:9], exec
.LBB134_21:                             ; =>This Inner Loop Header: Depth=1
	s_ff1_i32_b64 s3, s[8:9]
	v_readlane_b32 s11, v2, s3
	v_readlane_b32 s10, v3, s3
	s_add_u32 s6, s6, s11
	s_addc_u32 s7, s7, s10
	s_lshl_b64 s[10:11], 1, s3
	s_andn2_b64 s[8:9], s[8:9], s[10:11]
	s_cmp_lg_u64 s[8:9], 0
	s_cbranch_scc1 .LBB134_21
; %bb.22:
	v_mbcnt_lo_u32_b32 v2, exec_lo, 0
	v_mbcnt_hi_u32_b32 v2, exec_hi, v2
	v_cmp_eq_u32_e32 vcc, 0, v2
	s_and_saveexec_b64 s[8:9], vcc
	s_xor_b64 s[8:9], exec, s[8:9]
; %bb.23:
	v_mov_b32_e32 v2, 0
	v_mov_b64_e32 v[4:5], s[6:7]
	ds_add_u64 v2, v[4:5] offset:5136
.LBB134_24:
	s_or_b64 exec, exec, s[4:5]
	v_mov_b32_e32 v3, 0
	s_waitcnt lgkmcnt(0)
	s_barrier
	ds_read_b64 v[4:5], v3 offset:5136
	s_waitcnt lgkmcnt(0)
	v_readfirstlane_b32 s4, v4
	v_readfirstlane_b32 s5, v5
	s_mov_b64 s[6:7], exec
	v_readlane_b32 s8, v61, 36
	v_readlane_b32 s9, v61, 37
	s_and_b64 s[8:9], s[6:7], s[8:9]
	s_mov_b64 exec, s[8:9]
	s_cbranch_execz .LBB134_26
; %bb.25:
	v_mov_b32_e32 v4, 0
	v_mov_b32_e32 v6, s56
	;; [unrolled: 1-line block ×4, first 2 shown]
	ds_write_b32 v4, v4 offset:5144
	ds_write_b128 v4, v[4:7] offset:5120
.LBB134_26:
	s_or_b64 exec, exec, s[6:7]
	s_load_dword s3, s[0:1], 0x4f8
	v_cmp_lt_i64_e64 s[0:1], s[4:5], 1
	v_mbcnt_lo_u32_b32 v2, -1, 0
	v_mbcnt_hi_u32_b32 v28, -1, v2
	v_cmp_gt_u32_e32 vcc, 64, v0
	s_waitcnt lgkmcnt(0)
	s_bitcmp1_b32 s3, 0
	s_cselect_b64 s[6:7], -1, 0
	s_not_b64 s[4:5], s[4:5]
	s_or_b64 s[0:1], s[6:7], s[0:1]
	s_add_u32 s4, s56, s4
	s_addc_u32 s5, s57, s5
	s_lshr_b64 s[4:5], s[4:5], 1
	s_add_u32 s3, s4, 1
	s_addc_u32 s4, s5, 0
	s_and_b64 s[0:1], s[0:1], exec
	v_cmp_gt_i32_e64 s[0:1], 4, v28
	s_cselect_b32 s9, s4, s57
	s_cselect_b32 s8, s3, s56
	s_and_b64 s[66:67], vcc, s[0:1]
	v_cmp_gt_u32_e64 s[0:1], 2, v0
	v_mov_b64_e32 v[4:5], 0x600
	s_nop 0
	v_writelane_b32 v61, s0, 38
	s_barrier
	s_nop 0
	v_writelane_b32 v61, s1, 39
	v_cmp_gt_u64_e64 s[0:1], s[56:57], v[4:5]
	v_mov_b32_e32 v19, -1
	v_not_b32_e32 v18, v0
	v_writelane_b32 v61, s0, 40
	s_mov_b32 s99, 0
	v_lshlrev_b32_e32 v29, 1, v0
	v_writelane_b32 v61, s1, 41
	v_mad_u64_u32 v[4:5], s[0:1], s82, v0, 0
	v_mov_b32_e32 v2, v5
	v_mad_u64_u32 v[6:7], s[0:1], s83, v0, v[2:3]
	s_load_dword s0, s[16:17], 0xc
	v_lshlrev_b32_e32 v2, 2, v28
	v_and_b32_e32 v31, 0x100, v2
	v_lshrrev_b32_e32 v2, 1, v0
	v_mov_b32_e32 v5, v6
	s_waitcnt lgkmcnt(0)
	s_and_b32 s96, s0, 0xffff
	s_bfe_u32 s0, s0, 0xa0006
	v_and_b32_e32 v2, 0x1e0, v2
	v_lshl_add_u64 v[12:13], v[4:5], 1, s[90:91]
	v_lshlrev_b64 v[4:5], v28, -1
	s_cmp_gt_u32 s96, 63
	v_or_b32_e32 v32, 0xc00, v2
	v_add_u32_e32 v2, 2, v0
	v_not_b32_e32 v16, v4
	s_cselect_b64 s[6:7], -1, 0
	s_add_u32 s3, s96, -1
	v_mov_b32_e32 v4, s57
	v_cmp_gt_u64_e32 vcc, s[56:57], v[2:3]
	v_not_b32_e32 v17, v5
	v_writelane_b32 v61, s6, 42
	s_addc_u32 s1, 0, -1
	v_cndmask_b32_e32 v5, 0, v4, vcc
	v_mov_b32_e32 v4, s56
	v_writelane_b32 v61, s7, 43
	s_add_u32 s31, s3, s56
	v_cndmask_b32_e32 v4, v2, v4, vcc
	v_writelane_b32 v61, s3, 44
	s_addc_u32 s69, s1, s57
	v_lshl_add_u64 v[4:5], v[4:5], 0, v[18:19]
	v_writelane_b32 v61, s1, 45
	s_cmp_lt_u32 s2, s12
	v_cmp_lt_u64_e64 s[2:3], 3, v[4:5]
	s_cselect_b32 s1, 12, 18
	v_and_b32_e32 v20, -4, v4
	v_writelane_b32 v61, s2, 46
	v_mov_b32_e32 v21, v5
	s_add_u32 s70, s16, s1
	v_writelane_b32 v61, s3, 47
	v_cmp_ne_u64_e64 s[2:3], v[4:5], v[20:21]
	s_addc_u32 s71, s17, 0
	s_add_i32 s1, s0, -1
	v_writelane_b32 v61, s2, 48
	s_and_b32 s1, s1, 0xffff
	s_mov_b32 s65, s83
	v_writelane_b32 v61, s3, 49
	s_bfe_u32 s2, s96, 0x30006
	s_cmp_gt_u32 s1, 6
	s_cselect_b64 s[6:7], -1, 0
	v_writelane_b32 v61, s6, 50
	v_mov_b32_e32 v2, 0xc00
	v_cmp_eq_u32_e64 s[4:5], 0, v28
	v_writelane_b32 v61, s7, 51
	s_and_b32 s7, s0, 0x3f8
	s_cmp_lg_u32 s2, 0
	v_writelane_b32 v61, s2, 52
	s_cselect_b64 s[0:1], -1, 0
	v_writelane_b32 v61, s0, 53
	v_add_u32_e32 v30, 0xc00, v29
	v_lshlrev_b32_e32 v14, 2, v0
	v_writelane_b32 v61, s1, 54
	v_writelane_b32 v61, s66, 55
	v_mov_b32_e32 v15, v3
	s_mov_b32 s33, 0xffff
	v_writelane_b32 v61, s67, 56
	s_mov_b32 s97, s99
	v_lshl_add_u64 v[22:23], v[20:21], 0, v[0:1]
	s_mov_b32 s76, s82
	s_mov_b32 s30, s82
	;; [unrolled: 1-line block ×5, first 2 shown]
	v_lshlrev_b32_e32 v33, 3, v0
	v_lshl_or_b32 v34, v28, 3, v2
	s_lshl_b32 s77, s96, 1
	s_mov_b32 s86, 14
	s_mov_b64 s[12:13], 0
	v_mov_b64_e32 v[24:25], s[8:9]
	s_mov_b32 s94, 0x5040100
	v_mov_b64_e32 v[44:45], s[56:57]
	s_movk_i32 s6, 0x3c00
	v_mov_b32_e32 v35, 0xffff
	v_mov_b32_e32 v36, 0x8000
	v_mov_b32_e32 v37, 0x4f800000
	v_mov_b32_e32 v38, 0x5040100
	v_mov_b32_e32 v40, 0
	s_mov_b32 s88, 0
	v_mov_b32_e32 v18, 0
	v_mov_b32_e32 v39, 0
	v_writelane_b32 v61, s65, 57
	s_mov_b32 s89, s83
                                        ; implicit-def: $sgpr92_sgpr93
                                        ; implicit-def: $sgpr72_sgpr73
                                        ; implicit-def: $sgpr10_sgpr11
                                        ; implicit-def: $sgpr84_sgpr85
                                        ; implicit-def: $sgpr58_sgpr59
                                        ; implicit-def: $sgpr74_sgpr75
	v_writelane_b32 v61, s78, 58
	s_branch .LBB134_30
.LBB134_27:                             ;   in Loop: Header=BB134_30 Depth=1
	s_or_b64 exec, exec, s[18:19]
	s_and_b64 s[14:15], s[14:15], exec
	s_andn2_b64 s[24:25], s[24:25], exec
	s_andn2_b64 s[0:1], s[0:1], exec
	s_orn2_b64 s[18:19], s[8:9], exec
.LBB134_28:                             ;   in Loop: Header=BB134_30 Depth=1
	s_or_b64 exec, exec, s[2:3]
	s_andn2_b64 s[2:3], s[74:75], exec
	s_and_b64 s[8:9], s[14:15], exec
	s_or_b64 s[74:75], s[2:3], s[8:9]
	s_andn2_b64 s[2:3], s[58:59], exec
	s_and_b64 s[8:9], s[24:25], exec
	s_or_b64 s[58:59], s[2:3], s[8:9]
	;; [unrolled: 3-line block ×3, first 2 shown]
	s_orn2_b64 s[0:1], s[18:19], exec
.LBB134_29:                             ;   in Loop: Header=BB134_30 Depth=1
	s_or_b64 exec, exec, s[16:17]
	s_and_b64 s[0:1], exec, s[0:1]
	s_or_b64 s[12:13], s[0:1], s[12:13]
	s_andn2_b64 s[0:1], s[10:11], exec
	s_and_b64 s[2:3], s[74:75], exec
	s_or_b64 s[10:11], s[0:1], s[2:3]
	s_andn2_b64 s[0:1], s[72:73], exec
	s_and_b64 s[2:3], s[58:59], exec
	;; [unrolled: 3-line block ×3, first 2 shown]
	s_or_b64 s[92:93], s[0:1], s[2:3]
	v_mov_b64_e32 v[24:25], v[8:9]
	s_andn2_b64 exec, exec, s[12:13]
	s_cbranch_execz .LBB134_301
.LBB134_30:                             ; =>This Loop Header: Depth=1
                                        ;     Child Loop BB134_35 Depth 2
                                        ;     Child Loop BB134_49 Depth 2
	;; [unrolled: 1-line block ×17, first 2 shown]
	ds_read_b128 v[4:7], v3 offset:5120
	s_waitcnt lgkmcnt(0)
	v_readfirstlane_b32 s81, v5
	v_readfirstlane_b32 s80, v4
	s_cmp_lg_u64 s[80:81], 0
	s_cbranch_scc1 .LBB134_62
; %bb.31:                               ;   in Loop: Header=BB134_30 Depth=1
	v_readlane_b32 s0, v61, 40
	v_readlane_b32 s1, v61, 41
	s_and_b64 vcc, exec, s[0:1]
	s_cbranch_vccz .LBB134_43
; %bb.32:                               ;   in Loop: Header=BB134_30 Depth=1
	s_mov_b64 s[0:1], 0x601
	v_cmp_gt_u64_e32 vcc, s[0:1], v[6:7]
	s_mov_b64 s[8:9], 0
	s_mov_b64 s[0:1], 0
	s_cbranch_vccz .LBB134_44
; %bb.33:                               ;   in Loop: Header=BB134_30 Depth=1
	global_load_ushort v2, v3, s[70:71]
	global_load_ushort v6, v[12:13], off
	s_mov_b64 s[14:15], 0
	v_mov_b64_e32 v[4:5], v[0:1]
	s_waitcnt vmcnt(1)
	v_and_b32_e32 v2, 0xffff, v2
	s_branch .LBB134_35
.LBB134_34:                             ;   in Loop: Header=BB134_35 Depth=2
	s_or_b64 exec, exec, s[2:3]
	v_mov_b32_e32 v6, v7
	s_andn2_b64 exec, exec, s[14:15]
	s_cbranch_execz .LBB134_163
.LBB134_35:                             ;   Parent Loop BB134_30 Depth=1
                                        ; =>  This Inner Loop Header: Depth=2
	v_lshl_add_u64 v[4:5], v[4:5], 0, v[2:3]
	v_cmp_gt_u64_e64 s[0:1], s[56:57], v[4:5]
	v_cmp_le_u64_e32 vcc, s[56:57], v[4:5]
	s_waitcnt lgkmcnt(0)
	v_mov_b32_e32 v8, 0
	v_mov_b32_e32 v7, 0
	s_and_saveexec_b64 s[2:3], s[0:1]
	s_cbranch_execz .LBB134_37
; %bb.36:                               ;   in Loop: Header=BB134_35 Depth=2
	v_mul_lo_u32 v7, v5, s82
	v_mul_lo_u32 v9, v4, s83
	v_mad_u64_u32 v[10:11], s[0:1], v4, s82, 0
	v_add3_u32 v11, v11, v9, v7
	v_lshl_add_u64 v[10:11], v[10:11], 1, s[90:91]
	global_load_ushort v7, v[10:11], off
.LBB134_37:                             ;   in Loop: Header=BB134_35 Depth=2
	s_or_b64 exec, exec, s[2:3]
	s_waitcnt vmcnt(0)
	v_cmp_lt_i16_e64 s[0:1], -1, v6
	s_nop 1
	v_cndmask_b32_e64 v9, v35, v36, s[0:1]
	v_xor_b32_sdwa v9, v9, v6 dst_sel:DWORD dst_unused:UNUSED_PAD src0_sel:DWORD src1_sel:WORD_0
	v_cmp_o_f16_e64 s[0:1], v6, v6
	s_nop 1
	v_cndmask_b32_e64 v9, v35, v9, s[0:1]
	v_and_b32_e32 v9, v9, v39
	v_cmp_eq_u32_e64 s[0:1], v9, v18
	s_cmp_lg_u64 s[0:1], 0
	s_cselect_b64 s[2:3], -1, 0
	s_and_b64 s[2:3], s[4:5], s[2:3]
	s_and_saveexec_b64 s[16:17], s[2:3]
	s_cbranch_execz .LBB134_41
; %bb.38:                               ;   in Loop: Header=BB134_35 Depth=2
	s_mov_b64 s[20:21], exec
	v_mbcnt_lo_u32_b32 v8, s20, 0
	v_mbcnt_hi_u32_b32 v8, s21, v8
	s_bcnt1_i32_b64 s22, s[0:1]
	v_cmp_eq_u32_e64 s[2:3], 0, v8
                                        ; implicit-def: $vgpr9
	s_and_saveexec_b64 s[18:19], s[2:3]
; %bb.39:                               ;   in Loop: Header=BB134_35 Depth=2
	s_bcnt1_i32_b64 s2, s[20:21]
	s_mul_i32 s2, s22, s2
	v_mov_b32_e32 v9, s2
	ds_add_rtn_u32 v9, v3, v9 offset:5144
; %bb.40:                               ;   in Loop: Header=BB134_35 Depth=2
	s_or_b64 exec, exec, s[18:19]
	s_waitcnt lgkmcnt(0)
	v_readfirstlane_b32 s2, v9
	s_nop 1
	v_mov_b32_e32 v9, s2
	v_mad_u32_u24 v8, s22, v8, v9
.LBB134_41:                             ;   in Loop: Header=BB134_35 Depth=2
	s_or_b64 exec, exec, s[16:17]
	ds_bpermute_b32 v8, v31, v8
	s_and_b64 s[2:3], exec, vcc
	s_or_b64 s[14:15], s[2:3], s[14:15]
	s_and_saveexec_b64 s[2:3], s[0:1]
	s_cbranch_execz .LBB134_34
; %bb.42:                               ;   in Loop: Header=BB134_35 Depth=2
	v_and_b32_e32 v10, s0, v16
	v_and_b32_e32 v9, s1, v17
	v_bcnt_u32_b32 v10, v10, 0
	v_bcnt_u32_b32 v9, v9, v10
	v_lshlrev_b32_e32 v9, 1, v9
	s_waitcnt lgkmcnt(0)
	v_lshl_add_u32 v8, v8, 1, v9
	ds_write_b16 v8, v6
	s_branch .LBB134_34
.LBB134_43:                             ;   in Loop: Header=BB134_30 Depth=1
	s_mov_b64 s[8:9], -1
	s_mov_b64 s[0:1], 0
.LBB134_44:                             ;   in Loop: Header=BB134_30 Depth=1
	s_and_b64 vcc, exec, s[8:9]
	s_cbranch_vccz .LBB134_60
.LBB134_45:                             ;   in Loop: Header=BB134_30 Depth=1
	s_mov_b64 s[0:1], exec
	v_readlane_b32 s2, v61, 34
	v_readlane_b32 s3, v61, 35
	s_and_b64 s[2:3], s[0:1], s[2:3]
	s_mov_b64 exec, s[2:3]
	s_cbranch_execz .LBB134_57
; %bb.46:                               ;   in Loop: Header=BB134_30 Depth=1
	global_load_ushort v2, v3, s[70:71]
	global_load_ushort v41, v[12:13], off
	v_mov_b32_e32 v4, v0
	s_waitcnt vmcnt(1)
	v_readfirstlane_b32 s8, v2
	v_add_u32_sdwa v2, v2, v0 dst_sel:DWORD dst_unused:UNUSED_PAD src0_sel:WORD_0 src1_sel:DWORD
	v_cmp_gt_u64_e32 vcc, s[56:57], v[2:3]
	s_and_saveexec_b64 s[2:3], vcc
	s_cbranch_execz .LBB134_56
; %bb.47:                               ;   in Loop: Header=BB134_30 Depth=1
	s_and_b32 s98, s8, 0xffff
	s_cmp_eq_u32 s98, 1
	v_readlane_b32 s14, v61, 46
	s_cselect_b64 s[8:9], -1, 0
	v_readlane_b32 s15, v61, 47
	s_and_b64 s[16:17], s[14:15], s[8:9]
	s_mov_b64 s[14:15], -1
	v_mov_b64_e32 v[8:9], v[0:1]
	v_mov_b64_e32 v[6:7], v[2:3]
                                        ; implicit-def: $vgpr4_vgpr5
	s_and_saveexec_b64 s[8:9], s[16:17]
	s_cbranch_execz .LBB134_51
; %bb.48:                               ;   in Loop: Header=BB134_30 Depth=1
	v_lshl_add_u64 v[8:9], v[2:3], 0, 3
	v_lshl_add_u64 v[6:7], v[2:3], 0, 2
	;; [unrolled: 1-line block ×3, first 2 shown]
	v_mov_b64_e32 v[10:11], v[8:9]
	s_waitcnt vmcnt(0)
	v_lshlrev_b32_e32 v43, 16, v41
	s_mov_b64 s[14:15], 0
	v_mov_b64_e32 v[26:27], v[20:21]
	v_mov_b32_e32 v42, v29
	v_mov_b64_e32 v[8:9], v[6:7]
	v_mov_b64_e32 v[6:7], v[4:5]
	;; [unrolled: 1-line block ×3, first 2 shown]
.LBB134_49:                             ;   Parent Loop BB134_30 Depth=1
                                        ; =>  This Inner Loop Header: Depth=2
	v_mul_lo_u32 v41, v11, s87
	v_mul_lo_u32 v54, v10, s79
	v_mad_u64_u32 v[46:47], s[16:17], v10, s87, 0
	v_mul_lo_u32 v55, v9, s30
	v_mul_lo_u32 v56, v8, s78
	v_mad_u64_u32 v[48:49], s[16:17], v8, s30, 0
	;; [unrolled: 3-line block ×4, first 2 shown]
	v_add3_u32 v47, v47, v54, v41
	v_add3_u32 v49, v49, v56, v55
	;; [unrolled: 1-line block ×4, first 2 shown]
	v_lshl_add_u64 v[48:49], v[48:49], 1, s[90:91]
	v_lshl_add_u64 v[46:47], v[46:47], 1, s[90:91]
	v_lshl_add_u64 v[52:53], v[52:53], 1, s[90:91]
	v_lshl_add_u64 v[50:51], v[50:51], 1, s[90:91]
	global_load_ushort v48, v[48:49], off
	s_nop 0
	global_load_ushort v41, v[46:47], off
	s_nop 0
	global_load_ushort v46, v[50:51], off
	global_load_ushort v49, v[52:53], off
	v_lshl_add_u64 v[26:27], v[26:27], 0, -4
	v_cmp_eq_u64_e32 vcc, 0, v[26:27]
	v_lshl_add_u64 v[10:11], v[10:11], 0, 4
	v_lshl_add_u64 v[8:9], v[8:9], 0, 4
	;; [unrolled: 1-line block ×4, first 2 shown]
	s_or_b64 s[14:15], vcc, s[14:15]
	s_waitcnt vmcnt(2)
	v_perm_b32 v50, v41, v48, s94
	s_waitcnt vmcnt(1)
	v_perm_b32 v47, v48, v46, s94
	s_waitcnt vmcnt(0)
	v_alignbit_b32 v46, v49, v43, 16
	ds_write_b64 v42, v[46:47]
	v_add_u32_e32 v42, 8, v42
	v_mov_b32_e32 v43, v50
	s_andn2_b64 exec, exec, s[14:15]
	s_cbranch_execnz .LBB134_49
; %bb.50:                               ;   in Loop: Header=BB134_30 Depth=1
	s_or_b64 exec, exec, s[14:15]
	v_readlane_b32 s14, v61, 48
	v_lshl_add_u64 v[6:7], v[2:3], 0, v[20:21]
	v_readlane_b32 s15, v61, 49
	v_lshl_add_u64 v[4:5], v[6:7], 0, -1
	s_orn2_b64 s[14:15], s[14:15], exec
	v_mov_b64_e32 v[8:9], v[22:23]
.LBB134_51:                             ;   in Loop: Header=BB134_30 Depth=1
	s_or_b64 exec, exec, s[8:9]
	s_and_saveexec_b64 s[8:9], s[14:15]
	s_cbranch_execz .LBB134_55
; %bb.52:                               ;   in Loop: Header=BB134_30 Depth=1
	s_sub_u32 s14, 0, s98
	s_mov_b64 s[16:17], 0
	s_subb_u32 s15, 0, 0
.LBB134_53:                             ;   Parent Loop BB134_30 Depth=1
                                        ; =>  This Inner Loop Header: Depth=2
	v_mov_b64_e32 v[4:5], v[6:7]
	v_mul_lo_u32 v9, v5, s82
	v_mul_lo_u32 v10, v4, s83
	v_mad_u64_u32 v[6:7], s[18:19], v4, s82, 0
	v_add3_u32 v7, v7, v10, v9
	v_lshl_add_u64 v[6:7], v[6:7], 1, s[90:91]
	s_waitcnt vmcnt(0)
	v_mov_b32_e32 v2, v41
	global_load_ushort v41, v[6:7], off
	v_lshlrev_b32_e32 v6, 1, v8
	ds_write_b16 v6, v2
	v_lshl_add_u64 v[6:7], v[4:5], 0, s[98:99]
	v_cmp_le_u64_e32 vcc, s[56:57], v[6:7]
	s_or_b64 s[16:17], vcc, s[16:17]
	v_mov_b64_e32 v[8:9], v[4:5]
	s_andn2_b64 exec, exec, s[16:17]
	s_cbranch_execnz .LBB134_53
; %bb.54:                               ;   in Loop: Header=BB134_30 Depth=1
	s_or_b64 exec, exec, s[16:17]
	v_lshl_add_u64 v[4:5], s[14:15], 0, v[6:7]
.LBB134_55:                             ;   in Loop: Header=BB134_30 Depth=1
	s_or_b64 exec, exec, s[8:9]
.LBB134_56:                             ;   in Loop: Header=BB134_30 Depth=1
	s_or_b64 exec, exec, s[2:3]
	v_lshlrev_b32_e32 v2, 1, v4
	s_waitcnt vmcnt(0)
	ds_write_b16 v2, v41
.LBB134_57:                             ;   in Loop: Header=BB134_30 Depth=1
	s_or_b64 exec, exec, s[0:1]
	s_waitcnt lgkmcnt(0)
	s_barrier
	s_mov_b64 s[0:1], exec
	v_readlane_b32 s2, v61, 36
	v_readlane_b32 s3, v61, 37
	s_and_b64 s[2:3], s[0:1], s[2:3]
	s_mov_b64 exec, s[2:3]
; %bb.58:                               ;   in Loop: Header=BB134_30 Depth=1
	ds_write_b64 v3, v[44:45] offset:5120
; %bb.59:                               ;   in Loop: Header=BB134_30 Depth=1
	s_or_b64 exec, exec, s[0:1]
	s_mov_b64 s[0:1], -1
	s_waitcnt lgkmcnt(0)
	s_barrier
.LBB134_60:                             ;   in Loop: Header=BB134_30 Depth=1
	s_mov_b64 s[80:81], 0
	s_and_b64 vcc, exec, s[0:1]
	s_cbranch_vccz .LBB134_62
; %bb.61:                               ;   in Loop: Header=BB134_30 Depth=1
	ds_read_b64 v[4:5], v3 offset:5120
	s_waitcnt lgkmcnt(0)
	v_readfirstlane_b32 s80, v4
.LBB134_62:                             ;   in Loop: Header=BB134_30 Depth=1
	s_cmp_lt_i32 s80, 1
	s_mov_b64 s[0:1], -1
                                        ; implicit-def: $vgpr4_vgpr5
                                        ; implicit-def: $vgpr8_vgpr9
	s_cbranch_scc1 .LBB134_72
; %bb.63:                               ;   in Loop: Header=BB134_30 Depth=1
	s_and_b64 vcc, exec, s[0:1]
	s_cbranch_vccnz .LBB134_86
.LBB134_64:                             ;   in Loop: Header=BB134_30 Depth=1
	s_lshl_b32 s2, s88, 6
	s_and_saveexec_b64 s[0:1], s[4:5]
	s_cbranch_execz .LBB134_66
.LBB134_65:                             ;   in Loop: Header=BB134_30 Depth=1
	v_lshl_add_u32 v2, s2, 3, v32
	ds_write_b128 v2, v[4:7]
	ds_write_b128 v2, v[8:11] offset:16
.LBB134_66:                             ;   in Loop: Header=BB134_30 Depth=1
	s_or_b64 exec, exec, s[0:1]
	s_waitcnt lgkmcnt(0)
	s_barrier
	s_and_saveexec_b64 s[0:1], s[66:67]
	s_cbranch_execz .LBB134_101
; %bb.67:                               ;   in Loop: Header=BB134_30 Depth=1
	v_readlane_b32 s8, v61, 42
	v_readlane_b32 s9, v61, 43
	s_andn2_b64 vcc, exec, s[8:9]
	v_mov_b64_e32 v[4:5], 0
	s_cbranch_vccnz .LBB134_100
; %bb.68:                               ;   in Loop: Header=BB134_30 Depth=1
	v_readlane_b32 s8, v61, 50
	v_readlane_b32 s9, v61, 51
	s_andn2_b64 vcc, exec, s[8:9]
	s_cbranch_vccnz .LBB134_96
; %bb.69:                               ;   in Loop: Header=BB134_30 Depth=1
	v_lshl_add_u32 v2, s88, 9, v34
	v_mov_b64_e32 v[4:5], 0
	s_mov_b32 s3, 0
.LBB134_70:                             ;   Parent Loop BB134_30 Depth=1
                                        ; =>  This Inner Loop Header: Depth=2
	ds_read2_b64 v[6:9], v2 offset1:4
	ds_read2_b64 v[46:49], v2 offset0:8 offset1:12
	ds_read2_b64 v[50:53], v2 offset0:16 offset1:20
	;; [unrolled: 1-line block ×3, first 2 shown]
	s_add_i32 s3, s3, 8
	s_waitcnt lgkmcnt(3)
	v_lshl_add_u64 v[4:5], v[6:7], 0, v[4:5]
	v_lshl_add_u64 v[4:5], v[8:9], 0, v[4:5]
	s_waitcnt lgkmcnt(2)
	v_lshl_add_u64 v[4:5], v[46:47], 0, v[4:5]
	v_lshl_add_u64 v[4:5], v[48:49], 0, v[4:5]
	s_waitcnt lgkmcnt(1)
	v_lshl_add_u64 v[4:5], v[50:51], 0, v[4:5]
	v_lshl_add_u64 v[4:5], v[52:53], 0, v[4:5]
	s_waitcnt lgkmcnt(0)
	v_lshl_add_u64 v[4:5], v[54:55], 0, v[4:5]
	v_add_u32_e32 v2, 0x100, v2
	s_cmp_eq_u32 s7, s3
	v_lshl_add_u64 v[4:5], v[56:57], 0, v[4:5]
	s_cbranch_scc0 .LBB134_70
; %bb.71:                               ;   in Loop: Header=BB134_30 Depth=1
	s_mov_b32 s3, s7
	s_branch .LBB134_97
.LBB134_72:                             ;   in Loop: Header=BB134_30 Depth=1
	global_load_ushort v2, v3, s[70:71]
	s_mov_b32 s0, s99
	s_waitcnt vmcnt(0)
	v_readfirstlane_b32 s1, v2
	s_and_b32 s1, 0xffff, s1
	s_lshl_b32 s98, s1, 2
	s_mov_b32 s1, s57
	s_cmp_lg_u64 s[0:1], 0
	s_cbranch_scc0 .LBB134_95
; %bb.73:                               ;   in Loop: Header=BB134_30 Depth=1
	v_cvt_f32_u32_e32 v4, s98
	s_sub_u32 s2, 0, s98
	s_subb_u32 s3, 0, 0
	v_fmac_f32_e32 v4, 0, v37
	v_rcp_f32_e32 v4, v4
	s_nop 0
	v_mul_f32_e32 v4, 0x5f7ffffc, v4
	v_mul_f32_e32 v5, 0x2f800000, v4
	v_trunc_f32_e32 v5, v5
	v_fmac_f32_e32 v4, 0xcf800000, v5
	v_cvt_u32_f32_e32 v5, v5
	v_cvt_u32_f32_e32 v4, v4
	v_readfirstlane_b32 s8, v5
	v_readfirstlane_b32 s0, v4
	s_mul_i32 s1, s2, s8
	s_mul_hi_u32 s14, s2, s0
	s_mul_i32 s9, s3, s0
	s_add_i32 s1, s14, s1
	s_mul_i32 s15, s2, s0
	s_add_i32 s1, s1, s9
	s_mul_hi_u32 s14, s0, s15
	s_mul_i32 s16, s0, s1
	s_mul_hi_u32 s9, s0, s1
	s_add_u32 s14, s14, s16
	s_addc_u32 s9, 0, s9
	s_mul_hi_u32 s17, s8, s15
	s_mul_i32 s15, s8, s15
	s_add_u32 s14, s14, s15
	s_mul_hi_u32 s16, s8, s1
	s_addc_u32 s9, s9, s17
	s_addc_u32 s14, s16, 0
	s_mul_i32 s1, s8, s1
	s_add_u32 s1, s9, s1
	s_addc_u32 s9, 0, s14
	s_add_u32 s14, s0, s1
	s_cselect_b64 s[0:1], -1, 0
	s_cmp_lg_u64 s[0:1], 0
	s_addc_u32 s8, s8, s9
	s_mul_i32 s0, s2, s8
	s_mul_hi_u32 s1, s2, s14
	s_add_i32 s0, s1, s0
	s_mul_i32 s3, s3, s14
	s_add_i32 s0, s0, s3
	s_mul_i32 s2, s2, s14
	s_mul_hi_u32 s3, s8, s2
	s_mul_i32 s9, s8, s2
	s_mul_i32 s16, s14, s0
	s_mul_hi_u32 s2, s14, s2
	s_mul_hi_u32 s15, s14, s0
	s_add_u32 s2, s2, s16
	s_addc_u32 s15, 0, s15
	s_add_u32 s2, s2, s9
	s_mul_hi_u32 s1, s8, s0
	s_addc_u32 s2, s15, s3
	s_addc_u32 s1, s1, 0
	s_mul_i32 s0, s8, s0
	s_add_u32 s0, s2, s0
	s_addc_u32 s2, 0, s1
	s_add_u32 s3, s14, s0
	s_cselect_b64 s[0:1], -1, 0
	s_cmp_lg_u64 s[0:1], 0
	s_addc_u32 s0, s8, s2
	s_mul_i32 s2, s56, s0
	s_mul_hi_u32 s8, s56, s3
	s_mul_hi_u32 s1, s56, s0
	s_add_u32 s2, s8, s2
	s_addc_u32 s1, 0, s1
	s_mul_hi_u32 s9, s57, s3
	s_mul_i32 s3, s57, s3
	s_add_u32 s2, s2, s3
	s_mul_hi_u32 s8, s57, s0
	s_addc_u32 s1, s1, s9
	s_addc_u32 s2, s8, 0
	s_mul_i32 s0, s57, s0
	s_add_u32 s0, s1, s0
	s_addc_u32 s1, 0, s2
	s_mul_i32 s1, s98, s1
	s_mul_hi_u32 s2, s98, s0
	s_add_i32 s2, s2, s1
	s_mul_i32 s0, s98, s0
	s_sub_u32 s3, s56, s0
	s_cselect_b64 s[0:1], -1, 0
	s_cmp_lg_u64 s[0:1], 0
	s_subb_u32 s2, s57, s2
	s_sub_u32 s8, s3, s98
	s_cselect_b64 s[0:1], -1, 0
	s_cmp_lg_u64 s[0:1], 0
	s_subb_u32 s9, s2, 0
	;; [unrolled: 4-line block ×3, first 2 shown]
	s_cmp_ge_u32 s8, s98
	s_cselect_b32 s1, -1, 0
	s_cmp_eq_u32 s9, 0
	s_cselect_b32 s1, s1, -1
	s_cmp_lg_u32 s1, 0
	s_cselect_b32 s0, s0, s9
	s_cselect_b32 s8, s14, s8
	s_cmp_ge_u32 s3, s98
	s_cselect_b32 s1, -1, 0
	s_cmp_eq_u32 s2, 0
	s_cselect_b32 s1, s1, -1
	s_cmp_lg_u32 s1, 0
	s_cselect_b32 s1, s0, s2
	s_cselect_b32 s0, s8, s3
	s_cbranch_execnz .LBB134_75
.LBB134_74:                             ;   in Loop: Header=BB134_30 Depth=1
	v_cvt_f32_u32_e32 v4, s98
	s_sub_i32 s0, 0, s98
	v_rcp_iflag_f32_e32 v4, v4
	s_nop 0
	v_mul_f32_e32 v4, 0x4f7ffffe, v4
	v_cvt_u32_f32_e32 v4, v4
	s_nop 0
	v_readfirstlane_b32 s1, v4
	s_mul_i32 s0, s0, s1
	s_mul_hi_u32 s0, s1, s0
	s_add_i32 s1, s1, s0
	s_mul_hi_u32 s0, s56, s1
	s_mul_i32 s0, s0, s98
	s_sub_i32 s0, s56, s0
	s_sub_i32 s1, s0, s98
	s_cmp_ge_u32 s0, s98
	s_cselect_b32 s0, s1, s0
	s_sub_i32 s1, s0, s98
	s_cmp_ge_u32 s0, s98
	s_cselect_b32 s0, s1, s0
	s_mov_b32 s1, s99
.LBB134_75:                             ;   in Loop: Header=BB134_30 Depth=1
	s_sub_u32 s54, s56, s0
	s_subb_u32 s55, s57, s1
	v_cmp_gt_u64_e32 vcc, s[54:55], v[14:15]
	v_mov_b64_e32 v[4:5], 0
	v_mov_b64_e32 v[6:7], 0
	;; [unrolled: 1-line block ×4, first 2 shown]
	s_and_saveexec_b64 s[14:15], vcc
	s_cbranch_execz .LBB134_79
; %bb.76:                               ;   in Loop: Header=BB134_30 Depth=1
	s_mov_b64 s[60:61], 0
	s_mov_b64 s[62:63], 0
	;; [unrolled: 1-line block ×5, first 2 shown]
	v_mov_b64_e32 v[26:27], v[14:15]
.LBB134_77:                             ;   Parent Loop BB134_30 Depth=1
                                        ; =>  This Inner Loop Header: Depth=2
	v_mul_lo_u32 v6, v27, s82
	v_mul_lo_u32 v7, v26, s83
	v_mad_u64_u32 v[4:5], s[0:1], v26, s82, 0
	v_add3_u32 v5, v5, v7, v6
	s_lshl_b64 s[0:1], s[82:83], 1
	v_lshl_add_u64 v[4:5], v[4:5], 1, s[90:91]
	global_load_ushort v6, v[4:5], off
	v_lshl_add_u64 v[4:5], v[4:5], 0, s[0:1]
	global_load_ushort v7, v[4:5], off
	;; [unrolled: 2-line block ×4, first 2 shown]
	v_lshl_add_u64 v[26:27], v[26:27], 0, s[98:99]
	v_cmp_le_u64_e32 vcc, s[54:55], v[26:27]
	s_waitcnt vmcnt(3)
	v_cmp_lt_i16_e64 s[0:1], -1, v6
	s_nop 1
	v_cndmask_b32_e64 v5, v35, v36, s[0:1]
	s_waitcnt vmcnt(2)
	v_cmp_lt_i16_e64 s[0:1], -1, v7
	v_xor_b32_sdwa v5, v5, v6 dst_sel:DWORD dst_unused:UNUSED_PAD src0_sel:DWORD src1_sel:WORD_0
	s_waitcnt vmcnt(0)
	v_cmp_o_f16_e64 s[16:17], v4, v4
	v_cndmask_b32_e64 v9, v35, v36, s[0:1]
	v_cmp_o_f16_e64 s[0:1], v6, v6
	v_xor_b32_sdwa v6, v9, v7 dst_sel:DWORD dst_unused:UNUSED_PAD src0_sel:DWORD src1_sel:WORD_0
	s_nop 0
	v_cndmask_b32_e64 v5, v35, v5, s[0:1]
	v_cmp_lt_i16_e64 s[0:1], -1, v8
	v_and_b32_e32 v10, v5, v39
	v_bfe_u32 v5, v5, s86, 2
	v_cndmask_b32_e64 v9, v35, v36, s[0:1]
	v_cmp_o_f16_e64 s[0:1], v7, v7
	v_xor_b32_sdwa v7, v9, v8 dst_sel:DWORD dst_unused:UNUSED_PAD src0_sel:DWORD src1_sel:WORD_0
	v_cmp_eq_u32_e64 s[2:3], 0, v5
	v_cndmask_b32_e64 v6, v35, v6, s[0:1]
	v_cmp_lt_i16_e64 s[0:1], -1, v4
	v_cmp_eq_u32_e64 s[34:35], 1, v5
	v_cmp_eq_u32_e64 s[36:37], 2, v5
	v_cndmask_b32_e64 v9, v35, v36, s[0:1]
	v_cmp_o_f16_e64 s[0:1], v8, v8
	v_xor_b32_sdwa v8, v9, v4 dst_sel:DWORD dst_unused:UNUSED_PAD src0_sel:DWORD src1_sel:WORD_0
	v_and_b32_e32 v9, v6, v39
	v_cndmask_b32_e64 v7, v35, v7, s[0:1]
	v_cmp_eq_u32_e64 s[0:1], v10, v18
	v_bfe_u32 v6, v6, s86, 2
	v_cmp_eq_u32_e64 s[18:19], 3, v5
	v_cndmask_b32_e64 v4, v35, v8, s[16:17]
	v_and_b32_e32 v5, v7, v39
	v_bfe_u32 v7, v7, s86, 2
	s_and_b64 s[2:3], s[0:1], s[2:3]
	v_cmp_eq_u32_e64 s[16:17], v9, v18
	v_cmp_eq_u32_e64 s[26:27], 0, v6
	;; [unrolled: 1-line block ×5, first 2 shown]
	v_cndmask_b32_e64 v6, 0, 1, s[2:3]
	v_cmp_eq_u32_e64 s[22:23], v5, v18
	v_and_b32_e32 v5, v4, v39
	v_bfe_u32 v4, v4, s86, 2
	v_cmp_eq_u32_e64 s[2:3], 0, v7
	s_and_b64 s[8:9], s[16:17], s[26:27]
	v_cmp_eq_u32_e64 s[26:27], v5, v18
	v_cmp_eq_u32_e64 s[48:49], 0, v4
	s_and_b64 s[2:3], s[22:23], s[2:3]
	v_cmp_ne_u32_e64 s[46:47], 0, v6
	v_cndmask_b32_e64 v6, 0, 1, s[8:9]
	v_cmp_eq_u32_e64 s[50:51], 1, v4
	v_cmp_eq_u32_e64 s[52:53], 2, v4
	;; [unrolled: 1-line block ×3, first 2 shown]
	v_cndmask_b32_e64 v4, 0, 1, s[2:3]
	s_and_b64 s[8:9], s[26:27], s[48:49]
	v_cmp_ne_u32_e64 s[2:3], 0, v4
	v_cndmask_b32_e64 v4, 0, 1, s[8:9]
	s_bcnt1_i32_b64 s66, s[46:47]
	v_cmp_ne_u32_e64 s[46:47], 0, v6
	s_bcnt1_i32_b64 s8, s[2:3]
	v_cmp_ne_u32_e64 s[2:3], 0, v4
	s_bcnt1_i32_b64 s46, s[46:47]
	s_bcnt1_i32_b64 s2, s[2:3]
	s_add_u32 s3, s66, s64
	s_addc_u32 s9, 0, s65
	s_add_u32 s3, s3, s46
	s_addc_u32 s9, s9, 0
	;; [unrolled: 2-line block ×4, first 2 shown]
	s_and_b64 s[2:3], s[0:1], s[34:35]
	v_cmp_eq_u32_e64 s[42:43], 1, v7
	v_cndmask_b32_e64 v6, 0, 1, s[2:3]
	s_and_b64 s[2:3], s[16:17], s[38:39]
	v_cmp_eq_u32_e64 s[44:45], 2, v7
	v_cmp_eq_u32_e64 s[24:25], 3, v7
	v_cndmask_b32_e64 v7, 0, 1, s[2:3]
	s_and_b64 s[2:3], s[22:23], s[42:43]
	v_cndmask_b32_e64 v8, 0, 1, s[2:3]
	s_and_b64 s[2:3], s[26:27], s[50:51]
	v_cndmask_b32_e64 v9, 0, 1, s[2:3]
	v_cmp_ne_u32_e64 s[2:3], 0, v6
	v_cmp_ne_u32_e64 s[34:35], 0, v7
	;; [unrolled: 1-line block ×4, first 2 shown]
	s_bcnt1_i32_b64 s2, s[2:3]
	s_bcnt1_i32_b64 s3, s[34:35]
	;; [unrolled: 1-line block ×4, first 2 shown]
	s_add_u32 s2, s2, s78
	s_addc_u32 s34, 0, s79
	s_add_u32 s2, s2, s3
	s_addc_u32 s3, s34, 0
	;; [unrolled: 2-line block ×4, first 2 shown]
	s_and_b64 s[2:3], s[0:1], s[36:37]
	v_cndmask_b32_e64 v8, 0, 1, s[2:3]
	s_and_b64 s[2:3], s[16:17], s[40:41]
	v_cndmask_b32_e64 v9, 0, 1, s[2:3]
	;; [unrolled: 2-line block ×4, first 2 shown]
	v_cmp_ne_u32_e64 s[2:3], 0, v8
	v_cmp_ne_u32_e64 s[34:35], 0, v9
	;; [unrolled: 1-line block ×4, first 2 shown]
	s_bcnt1_i32_b64 s2, s[2:3]
	s_bcnt1_i32_b64 s3, s[34:35]
	;; [unrolled: 1-line block ×4, first 2 shown]
	s_add_u32 s2, s2, s94
	s_addc_u32 s34, 0, s95
	s_add_u32 s2, s2, s3
	s_addc_u32 s3, s34, 0
	;; [unrolled: 2-line block ×4, first 2 shown]
	s_and_b64 s[0:1], s[0:1], s[18:19]
	v_cndmask_b32_e64 v10, 0, 1, s[0:1]
	s_and_b64 s[0:1], s[16:17], s[20:21]
	v_cndmask_b32_e64 v11, 0, 1, s[0:1]
	;; [unrolled: 2-line block ×4, first 2 shown]
	v_cmp_ne_u32_e64 s[0:1], 0, v10
	v_cmp_ne_u32_e64 s[2:3], 0, v11
	;; [unrolled: 1-line block ×4, first 2 shown]
	s_bcnt1_i32_b64 s0, s[0:1]
	s_bcnt1_i32_b64 s1, s[2:3]
	;; [unrolled: 1-line block ×4, first 2 shown]
	s_add_u32 s0, s0, s62
	s_addc_u32 s8, 0, s63
	s_add_u32 s0, s0, s1
	s_addc_u32 s1, s8, 0
	;; [unrolled: 2-line block ×4, first 2 shown]
	v_mov_b64_e32 v[4:5], s[64:65]
	v_mov_b64_e32 v[6:7], s[78:79]
	;; [unrolled: 1-line block ×3, first 2 shown]
	s_or_b64 s[60:61], vcc, s[60:61]
	v_mov_b64_e32 v[10:11], s[62:63]
	s_andn2_b64 exec, exec, s[60:61]
	s_cbranch_execnz .LBB134_77
; %bb.78:                               ;   in Loop: Header=BB134_30 Depth=1
	s_or_b64 exec, exec, s[60:61]
	v_readlane_b32 s66, v61, 55
	v_readlane_b32 s67, v61, 56
	;; [unrolled: 1-line block ×4, first 2 shown]
	s_mov_b32 s79, s89
	s_mov_b32 s94, 0x5040100
.LBB134_79:                             ;   in Loop: Header=BB134_30 Depth=1
	s_or_b64 exec, exec, s[14:15]
	v_lshl_add_u64 v[26:27], s[54:55], 0, v[0:1]
	v_and_b32_e32 v2, 0xffff, v2
	v_cmp_gt_u64_e32 vcc, s[56:57], v[26:27]
	s_and_saveexec_b64 s[2:3], vcc
	s_cbranch_execz .LBB134_85
; %bb.80:                               ;   in Loop: Header=BB134_30 Depth=1
	v_mul_lo_u32 v41, v27, s82
	v_mul_lo_u32 v46, v26, s83
	v_mad_u64_u32 v[42:43], s[0:1], v26, s82, 0
	v_add3_u32 v43, v43, v46, v41
	v_lshl_add_u64 v[42:43], v[42:43], 1, s[90:91]
	global_load_ushort v42, v[42:43], off
	s_mov_b64 s[8:9], 0
	s_branch .LBB134_82
.LBB134_81:                             ;   in Loop: Header=BB134_82 Depth=2
	s_or_b64 exec, exec, s[14:15]
	s_and_b64 s[0:1], exec, vcc
	s_waitcnt vmcnt(0)
	v_cmp_lt_i16_e32 vcc, -1, v42
	s_or_b64 s[8:9], s[0:1], s[8:9]
	s_nop 0
	v_cndmask_b32_e32 v43, v35, v36, vcc
	v_xor_b32_sdwa v43, v43, v42 dst_sel:DWORD dst_unused:UNUSED_PAD src0_sel:DWORD src1_sel:WORD_0
	v_cmp_o_f16_e32 vcc, v42, v42
	s_nop 1
	v_cndmask_b32_e32 v42, v35, v43, vcc
	v_and_b32_e32 v43, v42, v39
	v_bfe_u32 v42, v42, s86, 2
	v_cmp_eq_u32_e32 vcc, v43, v18
	v_cmp_eq_u32_e64 s[0:1], 0, v42
	s_and_b64 s[0:1], vcc, s[0:1]
	s_nop 0
	v_cndmask_b32_e64 v43, 0, 1, s[0:1]
	v_cmp_ne_u32_e64 s[0:1], 0, v43
	s_bcnt1_i32_b64 s98, s[0:1]
	v_cmp_eq_u32_e64 s[0:1], 1, v42
	s_and_b64 s[0:1], vcc, s[0:1]
	v_lshl_add_u64 v[4:5], s[98:99], 0, v[4:5]
	v_cndmask_b32_e64 v43, 0, 1, s[0:1]
	v_cmp_ne_u32_e64 s[0:1], 0, v43
	s_bcnt1_i32_b64 s98, s[0:1]
	v_cmp_eq_u32_e64 s[0:1], 2, v42
	s_and_b64 s[0:1], vcc, s[0:1]
	v_lshl_add_u64 v[6:7], s[98:99], 0, v[6:7]
	;; [unrolled: 6-line block ×3, first 2 shown]
	v_cndmask_b32_e64 v42, 0, 1, s[0:1]
	v_cmp_ne_u32_e32 vcc, 0, v42
	s_bcnt1_i32_b64 s98, vcc
	v_lshl_add_u64 v[10:11], s[98:99], 0, v[10:11]
	v_mov_b32_e32 v42, v41
	s_andn2_b64 exec, exec, s[8:9]
	s_cbranch_execz .LBB134_84
.LBB134_82:                             ;   Parent Loop BB134_30 Depth=1
                                        ; =>  This Inner Loop Header: Depth=2
	v_lshl_add_u64 v[26:27], v[26:27], 0, v[2:3]
	v_cmp_gt_u64_e64 s[0:1], s[56:57], v[26:27]
	v_cmp_le_u64_e32 vcc, s[56:57], v[26:27]
	v_mov_b32_e32 v41, 0
	s_and_saveexec_b64 s[14:15], s[0:1]
	s_cbranch_execz .LBB134_81
; %bb.83:                               ;   in Loop: Header=BB134_82 Depth=2
	v_mul_lo_u32 v41, v27, s82
	v_mul_lo_u32 v43, v26, s83
	v_mad_u64_u32 v[46:47], s[0:1], v26, s82, 0
	v_add3_u32 v47, v47, v43, v41
	v_lshl_add_u64 v[46:47], v[46:47], 1, s[90:91]
	global_load_ushort v41, v[46:47], off
	s_branch .LBB134_81
.LBB134_84:                             ;   in Loop: Header=BB134_30 Depth=1
	s_or_b64 exec, exec, s[8:9]
.LBB134_85:                             ;   in Loop: Header=BB134_30 Depth=1
	s_or_b64 exec, exec, s[2:3]
	s_branch .LBB134_64
.LBB134_86:                             ;   in Loop: Header=BB134_30 Depth=1
	global_load_ushort v2, v3, s[70:71]
	v_mov_b64_e32 v[8:9], 0
	s_waitcnt vmcnt(0)
	v_readfirstlane_b32 s0, v2
	s_and_b32 s68, 0xffff, s0
	s_lshl_b32 s98, s68, 2
	v_cvt_f32_u32_e32 v4, s98
	s_sub_i32 s0, 0, s98
	v_rcp_iflag_f32_e32 v6, v4
	v_mov_b64_e32 v[4:5], 0
	v_mul_f32_e32 v6, 0x4f7ffffe, v6
	v_cvt_u32_f32_e32 v10, v6
	v_mov_b64_e32 v[6:7], 0
	v_readfirstlane_b32 s1, v10
	s_mul_i32 s0, s0, s1
	s_mul_hi_u32 s0, s1, s0
	s_add_i32 s1, s1, s0
	s_mul_hi_u32 s0, s80, s1
	s_mul_i32 s1, s0, s98
	s_sub_i32 s1, s80, s1
	s_add_i32 s2, s0, 1
	s_sub_i32 s3, s1, s98
	s_cmp_ge_u32 s1, s98
	s_cselect_b32 s0, s2, s0
	s_cselect_b32 s1, s3, s1
	s_add_i32 s2, s0, 1
	s_cmp_ge_u32 s1, s98
	s_cselect_b32 s0, s2, s0
	s_mul_hi_u32 s15, s68, s0
	s_mul_i32 s14, s68, s0
	s_lshl_b64 s[60:61], s[14:15], 2
	v_cmp_gt_u64_e32 vcc, s[60:61], v[14:15]
	v_mov_b64_e32 v[10:11], 0
	s_and_saveexec_b64 s[62:63], vcc
	s_cbranch_execz .LBB134_90
; %bb.87:                               ;   in Loop: Header=BB134_30 Depth=1
	s_lshl_b32 s15, s68, 3
	s_mov_b64 s[64:65], 0
	v_mov_b32_e32 v41, v33
	s_mov_b64 s[66:67], 0
	s_mov_b64 s[78:79], 0
	;; [unrolled: 1-line block ×4, first 2 shown]
	v_mov_b64_e32 v[26:27], v[14:15]
.LBB134_88:                             ;   Parent Loop BB134_30 Depth=1
                                        ; =>  This Inner Loop Header: Depth=2
	ds_read_b64 v[4:5], v41
	v_lshl_add_u64 v[26:27], v[26:27], 0, s[98:99]
	v_cmp_le_u64_e32 vcc, s[60:61], v[26:27]
	v_add_u32_e32 v41, s15, v41
	s_waitcnt lgkmcnt(0)
	v_cmp_lt_i16_e64 s[0:1], -1, v4
	v_cmp_o_f16_e64 s[2:3], v5, v5
	s_nop 0
	v_cndmask_b32_e64 v6, v35, v36, s[0:1]
	v_cmp_gt_i16_sdwa s[0:1], v4, v19 src0_sel:WORD_1 src1_sel:DWORD
	v_cmp_o_f16_sdwa s[16:17], v5, v5 src0_sel:WORD_1 src1_sel:WORD_1
	v_cmp_o_f16_e64 s[18:19], v4, v4
	v_cndmask_b32_e64 v7, v35, v36, s[0:1]
	v_cmp_lt_i16_e64 s[0:1], -1, v5
	v_xor_b32_sdwa v7, v7, v4 dst_sel:DWORD dst_unused:UNUSED_PAD src0_sel:DWORD src1_sel:WORD_1
	s_nop 0
	v_cndmask_b32_e64 v8, v35, v36, s[0:1]
	v_cmp_gt_i16_sdwa s[0:1], v5, v19 src0_sel:WORD_1 src1_sel:DWORD
	v_bitop3_b32 v8, v8, v5, s33 bitop3:0x78
	s_nop 0
	v_cndmask_b32_e64 v9, v35, v36, s[0:1]
	v_xor_b32_sdwa v9, v9, v5 dst_sel:DWORD dst_unused:UNUSED_PAD src0_sel:DWORD src1_sel:WORD_1
	v_bitop3_b32 v5, v6, v4, s33 bitop3:0x78
	v_cmp_o_f16_sdwa s[0:1], v4, v4 src0_sel:WORD_1 src1_sel:WORD_1
	v_cndmask_b32_e64 v4, v35, v5, s[18:19]
	v_cndmask_b32_e64 v6, v35, v8, s[2:3]
	;; [unrolled: 1-line block ×3, first 2 shown]
	v_and_b32_e32 v8, v4, v39
	v_bfe_u32 v4, v4, s86, 2
	v_cndmask_b32_e64 v7, v35, v9, s[16:17]
	v_and_b32_e32 v9, v5, v39
	v_bfe_u32 v5, v5, s86, 2
	v_cmp_eq_u32_e64 s[20:21], v8, v18
	v_cmp_eq_u32_e64 s[2:3], 0, v4
	v_and_b32_e32 v10, v6, v39
	v_bfe_u32 v6, v6, s86, 2
	v_cmp_eq_u32_e64 s[18:19], v9, v18
	v_cmp_eq_u32_e64 s[34:35], 0, v5
	s_and_b64 s[2:3], s[20:21], s[2:3]
	v_and_b32_e32 v11, v7, v39
	v_bfe_u32 v7, v7, s86, 2
	v_cmp_eq_u32_e64 s[16:17], v10, v18
	v_cmp_eq_u32_e64 s[36:37], 0, v6
	;; [unrolled: 1-line block ×5, first 2 shown]
	v_cndmask_b32_e64 v4, 0, 1, s[2:3]
	s_and_b64 s[2:3], s[18:19], s[34:35]
	v_cmp_eq_u32_e64 s[0:1], v11, v18
	v_cmp_eq_u32_e64 s[38:39], 0, v7
	v_cmp_eq_u32_e64 s[42:43], 1, v5
	v_cmp_eq_u32_e64 s[50:51], 2, v5
	v_cmp_eq_u32_e64 s[26:27], 3, v5
	v_cndmask_b32_e64 v5, 0, 1, s[2:3]
	s_and_b64 s[2:3], s[16:17], s[36:37]
	v_cmp_eq_u32_e64 s[44:45], 1, v6
	v_cmp_eq_u32_e64 s[52:53], 2, v6
	;; [unrolled: 1-line block ×3, first 2 shown]
	v_cndmask_b32_e64 v6, 0, 1, s[2:3]
	s_and_b64 s[2:3], s[0:1], s[38:39]
	v_cmp_eq_u32_e64 s[46:47], 1, v7
	v_cmp_eq_u32_e64 s[54:55], 2, v7
	;; [unrolled: 1-line block ×3, first 2 shown]
	v_cndmask_b32_e64 v7, 0, 1, s[2:3]
	v_cmp_ne_u32_e64 s[2:3], 0, v4
	v_cmp_ne_u32_e64 s[34:35], 0, v5
	;; [unrolled: 1-line block ×4, first 2 shown]
	s_bcnt1_i32_b64 s2, s[2:3]
	s_bcnt1_i32_b64 s3, s[34:35]
	s_bcnt1_i32_b64 s34, s[36:37]
	s_bcnt1_i32_b64 s35, s[38:39]
	s_add_u32 s2, s2, s8
	s_addc_u32 s8, 0, s9
	s_add_u32 s2, s2, s3
	s_addc_u32 s3, s8, 0
	;; [unrolled: 2-line block ×4, first 2 shown]
	s_and_b64 s[2:3], s[20:21], s[40:41]
	v_cndmask_b32_e64 v6, 0, 1, s[2:3]
	s_and_b64 s[2:3], s[18:19], s[42:43]
	v_cndmask_b32_e64 v7, 0, 1, s[2:3]
	;; [unrolled: 2-line block ×4, first 2 shown]
	v_cmp_ne_u32_e64 s[2:3], 0, v6
	v_cmp_ne_u32_e64 s[34:35], 0, v7
	v_cmp_ne_u32_e64 s[36:37], 0, v8
	v_cmp_ne_u32_e64 s[38:39], 0, v9
	s_bcnt1_i32_b64 s2, s[2:3]
	s_bcnt1_i32_b64 s3, s[34:35]
	s_bcnt1_i32_b64 s34, s[36:37]
	s_bcnt1_i32_b64 s35, s[38:39]
	s_add_u32 s2, s2, s94
	s_addc_u32 s36, 0, s95
	s_add_u32 s2, s2, s3
	s_addc_u32 s3, s36, 0
	;; [unrolled: 2-line block ×4, first 2 shown]
	s_and_b64 s[2:3], s[20:21], s[48:49]
	v_cndmask_b32_e64 v8, 0, 1, s[2:3]
	s_and_b64 s[2:3], s[18:19], s[50:51]
	v_cndmask_b32_e64 v9, 0, 1, s[2:3]
	;; [unrolled: 2-line block ×4, first 2 shown]
	v_cmp_ne_u32_e64 s[2:3], 0, v8
	v_cmp_ne_u32_e64 s[34:35], 0, v9
	v_cmp_ne_u32_e64 s[36:37], 0, v10
	v_cmp_ne_u32_e64 s[38:39], 0, v11
	s_bcnt1_i32_b64 s2, s[2:3]
	s_bcnt1_i32_b64 s3, s[34:35]
	;; [unrolled: 1-line block ×4, first 2 shown]
	s_add_u32 s2, s2, s78
	s_addc_u32 s36, 0, s79
	s_add_u32 s2, s2, s3
	s_addc_u32 s3, s36, 0
	;; [unrolled: 2-line block ×4, first 2 shown]
	s_and_b64 s[2:3], s[20:21], s[28:29]
	v_cndmask_b32_e64 v10, 0, 1, s[2:3]
	s_and_b64 s[2:3], s[18:19], s[26:27]
	v_cndmask_b32_e64 v11, 0, 1, s[2:3]
	s_and_b64 s[2:3], s[16:17], s[24:25]
	s_and_b64 s[0:1], s[0:1], s[22:23]
	v_cndmask_b32_e64 v42, 0, 1, s[2:3]
	v_cndmask_b32_e64 v43, 0, 1, s[0:1]
	v_cmp_ne_u32_e64 s[0:1], 0, v10
	v_cmp_ne_u32_e64 s[2:3], 0, v11
	;; [unrolled: 1-line block ×4, first 2 shown]
	s_bcnt1_i32_b64 s0, s[0:1]
	s_bcnt1_i32_b64 s1, s[2:3]
	;; [unrolled: 1-line block ×4, first 2 shown]
	s_add_u32 s0, s0, s66
	s_addc_u32 s16, 0, s67
	s_add_u32 s0, s0, s1
	s_addc_u32 s1, s16, 0
	;; [unrolled: 2-line block ×4, first 2 shown]
	v_mov_b64_e32 v[4:5], s[8:9]
	v_mov_b64_e32 v[6:7], s[94:95]
	;; [unrolled: 1-line block ×3, first 2 shown]
	s_or_b64 s[64:65], vcc, s[64:65]
	v_mov_b64_e32 v[10:11], s[66:67]
	s_andn2_b64 exec, exec, s[64:65]
	s_cbranch_execnz .LBB134_88
; %bb.89:                               ;   in Loop: Header=BB134_30 Depth=1
	s_or_b64 exec, exec, s[64:65]
	v_readlane_b32 s66, v61, 55
	v_readlane_b32 s67, v61, 56
	v_readlane_b32 s65, v61, 57
	v_readlane_b32 s78, v61, 58
	s_mov_b32 s79, s89
	s_mov_b32 s94, 0x5040100
.LBB134_90:                             ;   in Loop: Header=BB134_30 Depth=1
	s_or_b64 exec, exec, s[62:63]
	s_and_b32 s8, s80, 0x7fffffff
	s_mov_b32 s9, s99
	v_lshl_add_u64 v[26:27], s[60:61], 0, v[0:1]
	v_and_b32_e32 v2, 0xffff, v2
	v_cmp_gt_u64_e32 vcc, s[8:9], v[26:27]
	s_and_saveexec_b64 s[22:23], vcc
	s_cbranch_execz .LBB134_94
; %bb.91:                               ;   in Loop: Header=BB134_30 Depth=1
	v_lshl_add_u32 v41, s14, 3, v29
	s_lshl_b32 s24, s68, 1
	s_mov_b64 s[14:15], 0
.LBB134_92:                             ;   Parent Loop BB134_30 Depth=1
                                        ; =>  This Inner Loop Header: Depth=2
	ds_read_u16 v42, v41
	v_lshl_add_u64 v[26:27], v[26:27], 0, v[2:3]
	v_cmp_le_u64_e32 vcc, s[8:9], v[26:27]
	v_add_u32_e32 v41, s24, v41
	s_waitcnt lgkmcnt(0)
	v_cmp_lt_i16_e64 s[0:1], -1, v42
	s_nop 1
	v_cndmask_b32_e64 v43, v35, v36, s[0:1]
	v_xor_b32_sdwa v43, v43, v42 dst_sel:DWORD dst_unused:UNUSED_PAD src0_sel:DWORD src1_sel:WORD_0
	v_cmp_o_f16_e64 s[0:1], v42, v42
	s_nop 1
	v_cndmask_b32_e64 v42, v35, v43, s[0:1]
	v_and_b32_e32 v43, v42, v39
	v_bfe_u32 v42, v42, s86, 2
	v_cmp_eq_u32_e64 s[0:1], v43, v18
	v_cmp_eq_u32_e64 s[2:3], 0, v42
	;; [unrolled: 1-line block ×3, first 2 shown]
	s_and_b64 s[2:3], s[0:1], s[2:3]
	v_cmp_eq_u32_e64 s[18:19], 2, v42
	v_cmp_eq_u32_e64 s[20:21], 3, v42
	v_cndmask_b32_e64 v42, 0, 1, s[2:3]
	s_and_b64 s[2:3], s[0:1], s[16:17]
	v_cndmask_b32_e64 v43, 0, 1, s[2:3]
	s_and_b64 s[2:3], s[0:1], s[18:19]
	s_and_b64 s[0:1], s[0:1], s[20:21]
	v_cndmask_b32_e64 v47, 0, 1, s[0:1]
	v_cmp_ne_u32_e64 s[0:1], 0, v42
	v_cndmask_b32_e64 v46, 0, 1, s[2:3]
	v_cmp_ne_u32_e64 s[2:3], 0, v43
	s_bcnt1_i32_b64 s98, s[0:1]
	v_cmp_ne_u32_e64 s[16:17], 0, v46
	v_lshl_add_u64 v[4:5], s[98:99], 0, v[4:5]
	s_bcnt1_i32_b64 s98, s[2:3]
	v_cmp_ne_u32_e64 s[18:19], 0, v47
	v_lshl_add_u64 v[6:7], s[98:99], 0, v[6:7]
	s_bcnt1_i32_b64 s98, s[16:17]
	v_lshl_add_u64 v[8:9], s[98:99], 0, v[8:9]
	s_bcnt1_i32_b64 s98, s[18:19]
	s_or_b64 s[14:15], vcc, s[14:15]
	v_lshl_add_u64 v[10:11], s[98:99], 0, v[10:11]
	s_andn2_b64 exec, exec, s[14:15]
	s_cbranch_execnz .LBB134_92
; %bb.93:                               ;   in Loop: Header=BB134_30 Depth=1
	s_or_b64 exec, exec, s[14:15]
.LBB134_94:                             ;   in Loop: Header=BB134_30 Depth=1
	s_or_b64 exec, exec, s[22:23]
	s_lshl_b32 s2, s88, 6
	s_and_saveexec_b64 s[0:1], s[4:5]
	s_cbranch_execnz .LBB134_65
	s_branch .LBB134_66
.LBB134_95:                             ;   in Loop: Header=BB134_30 Depth=1
                                        ; implicit-def: $sgpr0_sgpr1
	s_branch .LBB134_74
.LBB134_96:                             ;   in Loop: Header=BB134_30 Depth=1
	s_mov_b32 s3, 0
	v_mov_b64_e32 v[4:5], 0
.LBB134_97:                             ;   in Loop: Header=BB134_30 Depth=1
	v_readlane_b32 s8, v61, 53
	v_readlane_b32 s9, v61, 54
	s_andn2_b64 vcc, exec, s[8:9]
	s_cbranch_vccnz .LBB134_100
; %bb.98:                               ;   in Loop: Header=BB134_30 Depth=1
	s_lshl_b32 s8, s88, 9
	s_lshl_b32 s3, s3, 5
	s_add_i32 s8, s8, s3
	v_add_u32_e32 v2, s8, v34
	v_readlane_b32 s3, v61, 52
.LBB134_99:                             ;   Parent Loop BB134_30 Depth=1
                                        ; =>  This Inner Loop Header: Depth=2
	ds_read_b64 v[6:7], v2
	s_add_i32 s3, s3, -1
	v_add_u32_e32 v2, 32, v2
	s_cmp_lg_u32 s3, 0
	s_waitcnt lgkmcnt(0)
	v_lshl_add_u64 v[4:5], v[6:7], 0, v[4:5]
	s_cbranch_scc1 .LBB134_99
.LBB134_100:                            ;   in Loop: Header=BB134_30 Depth=1
	v_add_lshl_u32 v2, s2, v28, 3
	ds_write_b64 v2, v[4:5] offset:3072
.LBB134_101:                            ;   in Loop: Header=BB134_30 Depth=1
	s_or_b64 exec, exec, s[0:1]
	s_lshl_b32 s0, s2, 3
	v_mov_b32_e32 v2, s0
	s_waitcnt lgkmcnt(0)
	s_barrier
	ds_read_b128 v[8:11], v2 offset:3088
	ds_read_b128 v[4:7], v2 offset:3072
	s_lshl_b32 s64, 3, s86
	v_cmp_eq_u64_e64 s[0:1], 1, v[24:25]
	s_not_b32 s54, s64
	s_waitcnt lgkmcnt(1)
	v_readfirstlane_b32 s22, v8
	s_waitcnt lgkmcnt(0)
	v_cmp_eq_u64_e32 vcc, 1, v[4:5]
	v_readfirstlane_b32 s23, v9
	v_readfirstlane_b32 s2, v10
	;; [unrolled: 1-line block ×3, first 2 shown]
	s_and_b64 s[18:19], vcc, s[0:1]
	s_mov_b64 s[0:1], -1
	s_mov_b64 s[20:21], -1
                                        ; implicit-def: $sgpr14_sgpr15
                                        ; implicit-def: $sgpr8_sgpr9
	s_and_saveexec_b64 s[16:17], s[18:19]
	s_cbranch_execz .LBB134_135
; %bb.102:                              ;   in Loop: Header=BB134_30 Depth=1
	ds_read_b64 v[8:9], v3 offset:5120
	s_waitcnt lgkmcnt(0)
	s_barrier
	v_readfirstlane_b32 s24, v8
	v_readfirstlane_b32 s25, v9
	s_mov_b64 s[8:9], exec
	v_readlane_b32 s14, v61, 38
	v_readlane_b32 s15, v61, 39
	s_and_b64 s[14:15], s[8:9], s[14:15]
	s_mov_b64 exec, s[14:15]
; %bb.103:                              ;   in Loop: Header=BB134_30 Depth=1
	ds_write_b16 v30, v3
; %bb.104:                              ;   in Loop: Header=BB134_30 Depth=1
	s_or_b64 exec, exec, s[8:9]
	v_and_b32_e32 v18, s54, v18
	v_or_b32_e32 v39, s64, v39
	s_mov_b64 s[8:9], -1
	s_mov_b64 s[14:15], 0
	s_cmp_eq_u64 s[24:25], 0
	s_mov_b64 s[20:21], 0
	s_mov_b64 s[26:27], -1
	s_waitcnt lgkmcnt(0)
	s_barrier
                                        ; implicit-def: $vgpr40
	s_cbranch_scc1 .LBB134_119
; %bb.105:                              ;   in Loop: Header=BB134_30 Depth=1
	v_readlane_b32 s20, v61, 44
	s_add_u32 s34, s24, s20
	v_readlane_b32 s20, v61, 45
	s_addc_u32 s21, s25, s20
	s_mov_b32 s20, s99
	s_cmp_lg_u64 s[20:21], 0
	s_cbranch_scc0 .LBB134_162
; %bb.106:                              ;   in Loop: Header=BB134_30 Depth=1
	v_cvt_f32_u32_e32 v2, s96
	s_sub_u32 s20, 0, s96
	s_subb_u32 s28, 0, 0
	v_fmac_f32_e32 v2, 0, v37
	v_rcp_f32_e32 v2, v2
	s_nop 0
	v_mul_f32_e32 v2, 0x5f7ffffc, v2
	v_mul_f32_e32 v8, 0x2f800000, v2
	v_trunc_f32_e32 v8, v8
	v_fmac_f32_e32 v2, 0xcf800000, v8
	v_cvt_u32_f32_e32 v8, v8
	v_cvt_u32_f32_e32 v2, v2
	v_readfirstlane_b32 s29, v8
	v_readfirstlane_b32 s26, v2
	s_mul_i32 s27, s20, s29
	s_mul_hi_u32 s36, s20, s26
	s_mul_i32 s35, s28, s26
	s_add_i32 s27, s36, s27
	s_mul_i32 s37, s20, s26
	s_add_i32 s27, s27, s35
	s_mul_hi_u32 s36, s26, s37
	s_mul_i32 s38, s26, s27
	s_mul_hi_u32 s35, s26, s27
	s_add_u32 s36, s36, s38
	s_addc_u32 s35, 0, s35
	s_mul_hi_u32 s39, s29, s37
	s_mul_i32 s37, s29, s37
	s_add_u32 s36, s36, s37
	s_mul_hi_u32 s38, s29, s27
	s_addc_u32 s35, s35, s39
	s_addc_u32 s36, s38, 0
	s_mul_i32 s27, s29, s27
	s_add_u32 s27, s35, s27
	s_addc_u32 s35, 0, s36
	s_add_u32 s36, s26, s27
	s_cselect_b64 s[26:27], -1, 0
	s_cmp_lg_u64 s[26:27], 0
	s_addc_u32 s29, s29, s35
	s_mul_i32 s26, s20, s29
	s_mul_hi_u32 s27, s20, s36
	s_add_i32 s26, s27, s26
	s_mul_i32 s28, s28, s36
	s_add_i32 s26, s26, s28
	s_mul_i32 s20, s20, s36
	s_mul_hi_u32 s28, s29, s20
	s_mul_i32 s35, s29, s20
	s_mul_i32 s38, s36, s26
	s_mul_hi_u32 s20, s36, s20
	s_mul_hi_u32 s37, s36, s26
	s_add_u32 s20, s20, s38
	s_addc_u32 s37, 0, s37
	s_add_u32 s20, s20, s35
	s_mul_hi_u32 s27, s29, s26
	s_addc_u32 s20, s37, s28
	s_addc_u32 s27, s27, 0
	s_mul_i32 s26, s29, s26
	s_add_u32 s20, s20, s26
	s_addc_u32 s28, 0, s27
	s_add_u32 s20, s36, s20
	s_cselect_b64 s[26:27], -1, 0
	s_cmp_lg_u64 s[26:27], 0
	s_addc_u32 s26, s29, s28
	s_mul_i32 s28, s34, s26
	s_mul_hi_u32 s29, s34, s20
	s_mul_hi_u32 s27, s34, s26
	s_add_u32 s28, s29, s28
	s_addc_u32 s27, 0, s27
	s_mul_hi_u32 s35, s21, s20
	s_mul_i32 s20, s21, s20
	s_add_u32 s20, s28, s20
	s_mul_hi_u32 s29, s21, s26
	s_addc_u32 s20, s27, s35
	s_addc_u32 s27, s29, 0
	s_mul_i32 s26, s21, s26
	s_add_u32 s20, s20, s26
	s_addc_u32 s26, 0, s27
	s_mul_i32 s26, s96, s26
	s_mul_hi_u32 s27, s96, s20
	s_add_i32 s28, s27, s26
	s_mul_i32 s20, s96, s20
	s_sub_u32 s20, s34, s20
	s_cselect_b64 s[26:27], -1, 0
	s_cmp_lg_u64 s[26:27], 0
	s_subb_u32 s28, s21, s28
	s_sub_u32 s29, s20, s96
	s_cselect_b64 s[26:27], -1, 0
	s_cmp_lg_u64 s[26:27], 0
	s_subb_u32 s35, s28, 0
	;; [unrolled: 4-line block ×3, first 2 shown]
	s_cmp_ge_u32 s29, s96
	s_cselect_b32 s27, -1, 0
	s_cmp_eq_u32 s35, 0
	s_cselect_b32 s27, s27, -1
	s_cmp_lg_u32 s27, 0
	s_cselect_b32 s26, s26, s35
	s_cselect_b32 s29, s36, s29
	s_cmp_ge_u32 s20, s96
	s_cselect_b32 s27, -1, 0
	s_cmp_eq_u32 s28, 0
	s_cselect_b32 s27, s27, -1
	s_cmp_lg_u32 s27, 0
	s_cselect_b32 s27, s26, s28
	s_cselect_b32 s26, s29, s20
	s_cbranch_execnz .LBB134_108
.LBB134_107:                            ;   in Loop: Header=BB134_30 Depth=1
	v_cvt_f32_u32_e32 v2, s96
	s_sub_i32 s20, 0, s96
	v_rcp_iflag_f32_e32 v2, v2
	s_nop 0
	v_mul_f32_e32 v2, 0x4f7ffffe, v2
	v_cvt_u32_f32_e32 v2, v2
	s_nop 0
	v_readfirstlane_b32 s26, v2
	s_mul_i32 s20, s20, s26
	s_mul_hi_u32 s20, s26, s20
	s_add_i32 s26, s26, s20
	s_mul_hi_u32 s20, s34, s26
	s_mul_i32 s20, s20, s96
	s_sub_i32 s20, s34, s20
	s_sub_i32 s26, s20, s96
	s_cmp_ge_u32 s20, s96
	s_cselect_b32 s20, s26, s20
	s_sub_i32 s26, s20, s96
	s_cmp_ge_u32 s20, s96
	s_cselect_b32 s98, s26, s20
	s_mov_b64 s[26:27], s[98:99]
.LBB134_108:                            ;   in Loop: Header=BB134_30 Depth=1
	s_sub_u32 s34, s34, s26
	s_subb_u32 s35, s21, s27
	v_cmp_gt_u64_e32 vcc, s[34:35], v[0:1]
	s_mov_b64 s[26:27], 0
	s_mov_b64 s[20:21], 0
                                        ; implicit-def: $vgpr40
	s_and_saveexec_b64 s[28:29], vcc
	s_cbranch_execz .LBB134_118
; %bb.109:                              ;   in Loop: Header=BB134_30 Depth=1
	v_mov_b32_e32 v2, v29
	v_mov_b64_e32 v[8:9], v[0:1]
                                        ; implicit-def: $sgpr36_sgpr37
	s_branch .LBB134_113
.LBB134_110:                            ;   in Loop: Header=BB134_113 Depth=2
	s_or_b64 exec, exec, s[38:39]
	s_waitcnt lgkmcnt(0)
	s_barrier
	ds_read_b32 v10, v3 offset:3072
	s_waitcnt lgkmcnt(0)
	s_barrier
	v_cmp_neq_f16_e32 vcc, 0, v10
	s_cbranch_vccnz .LBB134_116
; %bb.111:                              ;   in Loop: Header=BB134_113 Depth=2
	v_lshl_add_u64 v[8:9], v[8:9], 0, s[96:97]
	v_cmp_le_u64_e32 vcc, s[34:35], v[8:9]
	v_add_u32_e32 v2, s77, v2
	s_mov_b64 s[38:39], 0
	s_orn2_b64 s[40:41], vcc, exec
.LBB134_112:                            ;   in Loop: Header=BB134_113 Depth=2
	s_and_b64 s[40:41], exec, s[40:41]
	s_or_b64 s[20:21], s[40:41], s[20:21]
	s_andn2_b64 s[36:37], s[36:37], exec
	s_and_b64 s[38:39], s[38:39], exec
	s_or_b64 s[36:37], s[36:37], s[38:39]
	s_andn2_b64 exec, exec, s[20:21]
	s_cbranch_execz .LBB134_117
.LBB134_113:                            ;   Parent Loop BB134_30 Depth=1
                                        ; =>  This Inner Loop Header: Depth=2
	v_cmp_gt_u64_e32 vcc, s[24:25], v[8:9]
	s_and_saveexec_b64 s[38:39], vcc
	s_cbranch_execz .LBB134_110
; %bb.114:                              ;   in Loop: Header=BB134_113 Depth=2
	ds_read_u16 v10, v2
	s_waitcnt lgkmcnt(0)
	v_cmp_lt_i16_e32 vcc, -1, v10
	s_nop 1
	v_cndmask_b32_e32 v11, v35, v36, vcc
	v_xor_b32_sdwa v11, v11, v10 dst_sel:DWORD dst_unused:UNUSED_PAD src0_sel:DWORD src1_sel:WORD_0
	v_cmp_o_f16_e32 vcc, v10, v10
	s_nop 1
	v_cndmask_b32_e32 v11, v35, v11, vcc
	v_and_b32_e32 v11, v11, v39
	v_cmp_eq_u32_e32 vcc, v11, v18
	s_and_b64 exec, exec, vcc
	s_cbranch_execz .LBB134_110
; %bb.115:                              ;   in Loop: Header=BB134_113 Depth=2
	v_perm_b32 v10, v10, s6, v38
	ds_write_b32 v3, v10 offset:3072
	s_branch .LBB134_110
.LBB134_116:                            ;   in Loop: Header=BB134_113 Depth=2
	s_mov_b64 s[40:41], -1
                                        ; implicit-def: $vgpr8_vgpr9
                                        ; implicit-def: $vgpr2
	s_mov_b64 s[38:39], -1
	s_branch .LBB134_112
.LBB134_117:                            ;   in Loop: Header=BB134_30 Depth=1
	s_or_b64 exec, exec, s[20:21]
	v_lshrrev_b32_e32 v40, 16, v10
	s_and_b64 s[20:21], s[36:37], exec
.LBB134_118:                            ;   in Loop: Header=BB134_30 Depth=1
	s_or_b64 exec, exec, s[28:29]
.LBB134_119:                            ;   in Loop: Header=BB134_30 Depth=1
	s_and_b64 vcc, exec, s[26:27]
	s_cbranch_vccz .LBB134_134
; %bb.120:                              ;   in Loop: Header=BB134_30 Depth=1
	s_mov_b32 s68, s99
	s_cmp_lg_u64 s[68:69], 0
	s_cbranch_scc0 .LBB134_166
; %bb.121:                              ;   in Loop: Header=BB134_30 Depth=1
	v_cvt_f32_u32_e32 v2, s96
	s_sub_u32 s14, 0, s96
	s_subb_u32 s15, 0, 0
	v_fmac_f32_e32 v2, 0, v37
	v_rcp_f32_e32 v2, v2
	s_nop 0
	v_mul_f32_e32 v2, 0x5f7ffffc, v2
	v_mul_f32_e32 v8, 0x2f800000, v2
	v_trunc_f32_e32 v8, v8
	v_fmac_f32_e32 v2, 0xcf800000, v8
	v_cvt_u32_f32_e32 v8, v8
	v_cvt_u32_f32_e32 v2, v2
	v_readfirstlane_b32 s24, v8
	v_readfirstlane_b32 s8, v2
	s_mul_i32 s9, s14, s24
	s_mul_hi_u32 s26, s14, s8
	s_mul_i32 s25, s15, s8
	s_add_i32 s9, s26, s9
	s_mul_i32 s27, s14, s8
	s_add_i32 s9, s9, s25
	s_mul_hi_u32 s26, s8, s27
	s_mul_i32 s28, s8, s9
	s_mul_hi_u32 s25, s8, s9
	s_add_u32 s26, s26, s28
	s_addc_u32 s25, 0, s25
	s_mul_hi_u32 s29, s24, s27
	s_mul_i32 s27, s24, s27
	s_add_u32 s26, s26, s27
	s_mul_hi_u32 s28, s24, s9
	s_addc_u32 s25, s25, s29
	s_addc_u32 s26, s28, 0
	s_mul_i32 s9, s24, s9
	s_add_u32 s9, s25, s9
	s_addc_u32 s25, 0, s26
	s_add_u32 s26, s8, s9
	s_cselect_b64 s[8:9], -1, 0
	s_cmp_lg_u64 s[8:9], 0
	s_addc_u32 s24, s24, s25
	s_mul_i32 s8, s14, s24
	s_mul_hi_u32 s9, s14, s26
	s_add_i32 s8, s9, s8
	s_mul_i32 s15, s15, s26
	s_add_i32 s8, s8, s15
	s_mul_i32 s14, s14, s26
	s_mul_hi_u32 s15, s24, s14
	s_mul_i32 s25, s24, s14
	s_mul_i32 s28, s26, s8
	s_mul_hi_u32 s14, s26, s14
	s_mul_hi_u32 s27, s26, s8
	s_add_u32 s14, s14, s28
	s_addc_u32 s27, 0, s27
	s_add_u32 s14, s14, s25
	s_mul_hi_u32 s9, s24, s8
	s_addc_u32 s14, s27, s15
	s_addc_u32 s9, s9, 0
	s_mul_i32 s8, s24, s8
	s_add_u32 s8, s14, s8
	s_addc_u32 s14, 0, s9
	s_add_u32 s15, s26, s8
	s_cselect_b64 s[8:9], -1, 0
	s_cmp_lg_u64 s[8:9], 0
	s_addc_u32 s8, s24, s14
	s_mul_i32 s14, s31, s8
	s_mul_hi_u32 s24, s31, s15
	s_mul_hi_u32 s9, s31, s8
	s_add_u32 s14, s24, s14
	s_addc_u32 s9, 0, s9
	s_mul_hi_u32 s25, s69, s15
	s_mul_i32 s15, s69, s15
	s_add_u32 s14, s14, s15
	s_mul_hi_u32 s24, s69, s8
	s_addc_u32 s9, s9, s25
	s_addc_u32 s14, s24, 0
	s_mul_i32 s8, s69, s8
	s_add_u32 s8, s9, s8
	s_addc_u32 s9, 0, s14
	s_mul_i32 s9, s96, s9
	s_mul_hi_u32 s14, s96, s8
	s_add_i32 s14, s14, s9
	s_mul_i32 s8, s96, s8
	s_sub_u32 s15, s31, s8
	s_cselect_b64 s[8:9], -1, 0
	s_cmp_lg_u64 s[8:9], 0
	s_subb_u32 s14, s69, s14
	s_sub_u32 s24, s15, s96
	s_cselect_b64 s[8:9], -1, 0
	s_cmp_lg_u64 s[8:9], 0
	s_subb_u32 s25, s14, 0
	;; [unrolled: 4-line block ×3, first 2 shown]
	s_cmp_ge_u32 s24, s96
	s_cselect_b32 s9, -1, 0
	s_cmp_eq_u32 s25, 0
	s_cselect_b32 s9, s9, -1
	s_cmp_lg_u32 s9, 0
	s_cselect_b32 s8, s8, s25
	s_cselect_b32 s24, s26, s24
	s_cmp_ge_u32 s15, s96
	s_cselect_b32 s9, -1, 0
	s_cmp_eq_u32 s14, 0
	s_cselect_b32 s9, s9, -1
	s_cmp_lg_u32 s9, 0
	s_cselect_b32 s9, s8, s14
	s_cselect_b32 s8, s24, s15
	s_cbranch_execnz .LBB134_123
.LBB134_122:                            ;   in Loop: Header=BB134_30 Depth=1
	v_cvt_f32_u32_e32 v2, s96
	s_sub_i32 s8, 0, s96
	v_rcp_iflag_f32_e32 v2, v2
	s_nop 0
	v_mul_f32_e32 v2, 0x4f7ffffe, v2
	v_cvt_u32_f32_e32 v2, v2
	s_nop 0
	v_readfirstlane_b32 s9, v2
	s_mul_i32 s8, s8, s9
	s_mul_hi_u32 s8, s9, s8
	s_add_i32 s9, s9, s8
	s_mul_hi_u32 s8, s31, s9
	s_mul_i32 s8, s8, s96
	s_sub_i32 s8, s31, s8
	s_sub_i32 s9, s8, s96
	s_cmp_ge_u32 s8, s96
	s_cselect_b32 s8, s9, s8
	s_sub_i32 s9, s8, s96
	s_cmp_ge_u32 s8, s96
	s_cselect_b32 s98, s9, s8
	s_mov_b64 s[8:9], s[98:99]
.LBB134_123:                            ;   in Loop: Header=BB134_30 Depth=1
	s_sub_u32 s14, s31, s8
	s_subb_u32 s15, s69, s9
	v_cmp_gt_u64_e32 vcc, s[14:15], v[0:1]
                                        ; implicit-def: $vgpr40
	s_and_saveexec_b64 s[8:9], vcc
	s_cbranch_execz .LBB134_133
; %bb.124:                              ;   in Loop: Header=BB134_30 Depth=1
	s_mov_b64 s[24:25], 0
	v_mov_b64_e32 v[8:9], v[0:1]
                                        ; implicit-def: $sgpr26_sgpr27
	s_branch .LBB134_128
.LBB134_125:                            ;   in Loop: Header=BB134_128 Depth=2
	s_or_b64 exec, exec, s[28:29]
	s_waitcnt lgkmcnt(0)
	s_barrier
	ds_read_b32 v2, v3 offset:3072
	s_waitcnt lgkmcnt(0)
	s_barrier
	v_cmp_neq_f16_e32 vcc, 0, v2
	s_cbranch_vccnz .LBB134_131
; %bb.126:                              ;   in Loop: Header=BB134_128 Depth=2
	v_lshl_add_u64 v[8:9], v[8:9], 0, s[96:97]
	v_cmp_le_u64_e32 vcc, s[14:15], v[8:9]
	s_mov_b64 s[28:29], 0
	s_orn2_b64 s[34:35], vcc, exec
.LBB134_127:                            ;   in Loop: Header=BB134_128 Depth=2
	s_and_b64 s[34:35], exec, s[34:35]
	s_or_b64 s[24:25], s[34:35], s[24:25]
	s_andn2_b64 s[26:27], s[26:27], exec
	s_and_b64 s[28:29], s[28:29], exec
	s_or_b64 s[26:27], s[26:27], s[28:29]
	s_andn2_b64 exec, exec, s[24:25]
	s_cbranch_execz .LBB134_132
.LBB134_128:                            ;   Parent Loop BB134_30 Depth=1
                                        ; =>  This Inner Loop Header: Depth=2
	v_cmp_gt_u64_e32 vcc, s[56:57], v[8:9]
	s_and_saveexec_b64 s[28:29], vcc
	s_cbranch_execz .LBB134_125
; %bb.129:                              ;   in Loop: Header=BB134_128 Depth=2
	v_mul_lo_u32 v2, v9, s82
	v_mul_lo_u32 v26, v8, s83
	v_mad_u64_u32 v[10:11], s[34:35], v8, s82, 0
	v_add3_u32 v11, v11, v26, v2
	v_lshl_add_u64 v[10:11], v[10:11], 1, s[90:91]
	global_load_ushort v2, v[10:11], off
	s_waitcnt vmcnt(0)
	v_cmp_lt_i16_e32 vcc, -1, v2
	s_nop 1
	v_cndmask_b32_e32 v10, v35, v36, vcc
	v_xor_b32_sdwa v10, v10, v2 dst_sel:DWORD dst_unused:UNUSED_PAD src0_sel:DWORD src1_sel:WORD_0
	v_cmp_o_f16_e32 vcc, v2, v2
	s_nop 1
	v_cndmask_b32_e32 v10, v35, v10, vcc
	v_and_b32_e32 v10, v10, v39
	v_cmp_eq_u32_e32 vcc, v10, v18
	s_and_b64 exec, exec, vcc
	s_cbranch_execz .LBB134_125
; %bb.130:                              ;   in Loop: Header=BB134_128 Depth=2
	v_perm_b32 v2, v2, s6, v38
	ds_write_b32 v3, v2 offset:3072
	s_branch .LBB134_125
.LBB134_131:                            ;   in Loop: Header=BB134_128 Depth=2
	s_mov_b64 s[34:35], -1
                                        ; implicit-def: $vgpr8_vgpr9
	s_mov_b64 s[28:29], -1
	s_branch .LBB134_127
.LBB134_132:                            ;   in Loop: Header=BB134_30 Depth=1
	s_or_b64 exec, exec, s[24:25]
	s_andn2_b64 s[14:15], s[20:21], exec
	s_and_b64 s[20:21], s[26:27], exec
	v_lshrrev_b32_e32 v40, 16, v2
	s_or_b64 s[20:21], s[14:15], s[20:21]
.LBB134_133:                            ;   in Loop: Header=BB134_30 Depth=1
	s_or_b64 exec, exec, s[8:9]
	s_mov_b64 s[8:9], 0
	s_mov_b64 s[14:15], -1
.LBB134_134:                            ;   in Loop: Header=BB134_30 Depth=1
	s_orn2_b64 s[20:21], s[20:21], exec
.LBB134_135:                            ;   in Loop: Header=BB134_30 Depth=1
	s_or_b64 exec, exec, s[16:17]
	s_andn2_b64 s[16:17], s[58:59], exec
	s_and_b64 s[14:15], s[14:15], exec
	s_or_b64 s[58:59], s[16:17], s[14:15]
	s_andn2_b64 s[14:15], s[84:85], exec
	s_and_b64 s[8:9], s[8:9], exec
	s_andn2_b64 s[74:75], s[74:75], exec
	s_or_b64 s[84:85], s[14:15], s[8:9]
                                        ; implicit-def: $vgpr8_vgpr9
	s_and_saveexec_b64 s[16:17], s[20:21]
	s_cbranch_execz .LBB134_29
; %bb.136:                              ;   in Loop: Header=BB134_30 Depth=1
	s_xor_b64 s[8:9], s[18:19], -1
	v_mov_b32_e32 v2, 1
	s_mov_b64 s[14:15], 0
	v_mov_b64_e32 v[8:9], 1
	s_and_saveexec_b64 s[0:1], s[8:9]
	s_cbranch_execz .LBB134_145
; %bb.137:                              ;   in Loop: Header=BB134_30 Depth=1
	v_cmp_le_u64_e32 vcc, v[24:25], v[4:5]
	s_and_saveexec_b64 s[8:9], vcc
	s_xor_b64 s[8:9], exec, s[8:9]
	s_cbranch_execz .LBB134_142
; %bb.138:                              ;   in Loop: Header=BB134_30 Depth=1
	ds_read_b64 v[8:9], v3 offset:5120
	v_and_b32_e32 v18, s54, v18
	v_or_b32_e32 v39, s64, v39
	s_waitcnt lgkmcnt(0)
	v_cmp_ne_u64_e32 vcc, 0, v[8:9]
	s_cbranch_vccnz .LBB134_142
; %bb.139:                              ;   in Loop: Header=BB134_30 Depth=1
	s_mov_b64 s[14:15], exec
	v_readlane_b32 s18, v61, 36
	v_readlane_b32 s19, v61, 37
	s_and_b64 s[18:19], s[14:15], s[18:19]
	s_mov_b64 exec, s[18:19]
; %bb.140:                              ;   in Loop: Header=BB134_30 Depth=1
	ds_write_b64 v3, v[4:5] offset:5128
; %bb.141:                              ;   in Loop: Header=BB134_30 Depth=1
	s_or_b64 exec, exec, s[14:15]
	s_waitcnt lgkmcnt(0)
	s_barrier
.LBB134_142:                            ;   in Loop: Header=BB134_30 Depth=1
	s_or_saveexec_b64 s[8:9], s[8:9]
	s_mov_b64 s[14:15], 0
	v_mov_b32_e32 v2, 8
	s_xor_b64 exec, exec, s[8:9]
; %bb.143:                              ;   in Loop: Header=BB134_30 Depth=1
	v_sub_co_u32_e32 v24, vcc, v24, v4
	s_mov_b64 s[14:15], exec
	s_nop 0
	v_subb_co_u32_e32 v25, vcc, v25, v5, vcc
	v_mov_b32_e32 v2, 0
; %bb.144:                              ;   in Loop: Header=BB134_30 Depth=1
	s_or_b64 exec, exec, s[8:9]
	s_and_b64 s[14:15], s[14:15], exec
	v_mov_b64_e32 v[8:9], v[24:25]
.LBB134_145:                            ;   in Loop: Header=BB134_30 Depth=1
	s_or_b64 exec, exec, s[0:1]
	s_mov_b64 s[18:19], -1
	s_mov_b64 s[8:9], -1
                                        ; implicit-def: $sgpr0_sgpr1
                                        ; implicit-def: $sgpr24_sgpr25
	s_and_saveexec_b64 s[20:21], s[14:15]
	s_xor_b64 s[20:21], exec, s[20:21]
	s_cbranch_execz .LBB134_296
; %bb.146:                              ;   in Loop: Header=BB134_30 Depth=1
	v_cmp_eq_u64_e32 vcc, 1, v[6:7]
	v_cmp_eq_u64_e64 s[0:1], 1, v[8:9]
	s_and_b64 s[28:29], vcc, s[0:1]
                                        ; implicit-def: $sgpr24_sgpr25
                                        ; implicit-def: $sgpr0_sgpr1
	s_and_saveexec_b64 s[26:27], s[28:29]
	s_cbranch_execz .LBB134_185
; %bb.147:                              ;   in Loop: Header=BB134_30 Depth=1
	ds_read_b64 v[4:5], v3 offset:5120
	s_waitcnt lgkmcnt(0)
	s_barrier
	v_readfirstlane_b32 s14, v4
	v_readfirstlane_b32 s15, v5
	s_mov_b64 s[0:1], exec
	v_readlane_b32 s8, v61, 38
	v_readlane_b32 s9, v61, 39
	s_and_b64 s[8:9], s[0:1], s[8:9]
	s_mov_b64 exec, s[8:9]
; %bb.148:                              ;   in Loop: Header=BB134_30 Depth=1
	ds_write_b16 v30, v3
; %bb.149:                              ;   in Loop: Header=BB134_30 Depth=1
	s_or_b64 exec, exec, s[0:1]
	v_and_b32_e32 v4, s54, v18
	v_lshl_or_b32 v18, 1, s86, v4
	v_or_b32_e32 v39, s64, v39
	s_mov_b64 s[0:1], -1
	s_mov_b64 s[24:25], 0
	s_cmp_eq_u64 s[14:15], 0
	s_mov_b64 s[8:9], 0
	s_mov_b64 s[34:35], -1
	s_waitcnt lgkmcnt(0)
	s_barrier
                                        ; implicit-def: $vgpr40
	s_cbranch_scc1 .LBB134_169
; %bb.150:                              ;   in Loop: Header=BB134_30 Depth=1
	v_readlane_b32 s8, v61, 44
	s_add_u32 s38, s14, s8
	v_readlane_b32 s8, v61, 45
	s_addc_u32 s9, s15, s8
	s_mov_b32 s8, s99
	s_cmp_lg_u64 s[8:9], 0
	s_cbranch_scc0 .LBB134_213
; %bb.151:                              ;   in Loop: Header=BB134_30 Depth=1
	v_cvt_f32_u32_e32 v4, s96
	s_sub_u32 s8, 0, s96
	s_subb_u32 s36, 0, 0
	v_fmac_f32_e32 v4, 0, v37
	v_rcp_f32_e32 v4, v4
	s_nop 0
	v_mul_f32_e32 v4, 0x5f7ffffc, v4
	v_mul_f32_e32 v5, 0x2f800000, v4
	v_trunc_f32_e32 v5, v5
	v_fmac_f32_e32 v4, 0xcf800000, v5
	v_cvt_u32_f32_e32 v5, v5
	v_cvt_u32_f32_e32 v4, v4
	v_readfirstlane_b32 s37, v5
	v_readfirstlane_b32 s34, v4
	s_mul_i32 s35, s8, s37
	s_mul_hi_u32 s40, s8, s34
	s_mul_i32 s39, s36, s34
	s_add_i32 s35, s40, s35
	s_mul_i32 s41, s8, s34
	s_add_i32 s35, s35, s39
	s_mul_hi_u32 s40, s34, s41
	s_mul_i32 s42, s34, s35
	s_mul_hi_u32 s39, s34, s35
	s_add_u32 s40, s40, s42
	s_addc_u32 s39, 0, s39
	s_mul_hi_u32 s43, s37, s41
	s_mul_i32 s41, s37, s41
	s_add_u32 s40, s40, s41
	s_mul_hi_u32 s42, s37, s35
	s_addc_u32 s39, s39, s43
	s_addc_u32 s40, s42, 0
	s_mul_i32 s35, s37, s35
	s_add_u32 s35, s39, s35
	s_addc_u32 s39, 0, s40
	s_add_u32 s40, s34, s35
	s_cselect_b64 s[34:35], -1, 0
	s_cmp_lg_u64 s[34:35], 0
	s_addc_u32 s37, s37, s39
	s_mul_i32 s34, s8, s37
	s_mul_hi_u32 s35, s8, s40
	s_add_i32 s34, s35, s34
	s_mul_i32 s36, s36, s40
	s_add_i32 s34, s34, s36
	s_mul_i32 s8, s8, s40
	s_mul_hi_u32 s36, s37, s8
	s_mul_i32 s39, s37, s8
	s_mul_i32 s42, s40, s34
	s_mul_hi_u32 s8, s40, s8
	s_mul_hi_u32 s41, s40, s34
	s_add_u32 s8, s8, s42
	s_addc_u32 s41, 0, s41
	s_add_u32 s8, s8, s39
	s_mul_hi_u32 s35, s37, s34
	s_addc_u32 s8, s41, s36
	s_addc_u32 s35, s35, 0
	s_mul_i32 s34, s37, s34
	s_add_u32 s8, s8, s34
	s_addc_u32 s36, 0, s35
	s_add_u32 s8, s40, s8
	s_cselect_b64 s[34:35], -1, 0
	s_cmp_lg_u64 s[34:35], 0
	s_addc_u32 s34, s37, s36
	s_mul_i32 s36, s38, s34
	s_mul_hi_u32 s37, s38, s8
	s_mul_hi_u32 s35, s38, s34
	s_add_u32 s36, s37, s36
	s_addc_u32 s35, 0, s35
	s_mul_hi_u32 s39, s9, s8
	s_mul_i32 s8, s9, s8
	s_add_u32 s8, s36, s8
	s_mul_hi_u32 s37, s9, s34
	s_addc_u32 s8, s35, s39
	s_addc_u32 s35, s37, 0
	s_mul_i32 s34, s9, s34
	s_add_u32 s8, s8, s34
	s_addc_u32 s34, 0, s35
	s_mul_i32 s34, s96, s34
	s_mul_hi_u32 s35, s96, s8
	s_add_i32 s36, s35, s34
	s_mul_i32 s8, s96, s8
	s_sub_u32 s8, s38, s8
	s_cselect_b64 s[34:35], -1, 0
	s_cmp_lg_u64 s[34:35], 0
	s_subb_u32 s36, s9, s36
	s_sub_u32 s37, s8, s96
	s_cselect_b64 s[34:35], -1, 0
	s_cmp_lg_u64 s[34:35], 0
	s_subb_u32 s39, s36, 0
	;; [unrolled: 4-line block ×3, first 2 shown]
	s_cmp_ge_u32 s37, s96
	s_cselect_b32 s35, -1, 0
	s_cmp_eq_u32 s39, 0
	s_cselect_b32 s35, s35, -1
	s_cmp_lg_u32 s35, 0
	s_cselect_b32 s34, s34, s39
	s_cselect_b32 s37, s40, s37
	s_cmp_ge_u32 s8, s96
	s_cselect_b32 s35, -1, 0
	s_cmp_eq_u32 s36, 0
	s_cselect_b32 s35, s35, -1
	s_cmp_lg_u32 s35, 0
	s_cselect_b32 s35, s34, s36
	s_cselect_b32 s34, s37, s8
	s_cbranch_execnz .LBB134_153
.LBB134_152:                            ;   in Loop: Header=BB134_30 Depth=1
	v_cvt_f32_u32_e32 v4, s96
	s_sub_i32 s8, 0, s96
	v_rcp_iflag_f32_e32 v4, v4
	s_nop 0
	v_mul_f32_e32 v4, 0x4f7ffffe, v4
	v_cvt_u32_f32_e32 v4, v4
	s_nop 0
	v_readfirstlane_b32 s34, v4
	s_mul_i32 s8, s8, s34
	s_mul_hi_u32 s8, s34, s8
	s_add_i32 s34, s34, s8
	s_mul_hi_u32 s8, s38, s34
	s_mul_i32 s8, s8, s96
	s_sub_i32 s8, s38, s8
	s_sub_i32 s34, s8, s96
	s_cmp_ge_u32 s8, s96
	s_cselect_b32 s8, s34, s8
	s_sub_i32 s34, s8, s96
	s_cmp_ge_u32 s8, s96
	s_cselect_b32 s98, s34, s8
	s_mov_b64 s[34:35], s[98:99]
.LBB134_153:                            ;   in Loop: Header=BB134_30 Depth=1
	s_sub_u32 s38, s38, s34
	s_subb_u32 s39, s9, s35
	v_cmp_gt_u64_e32 vcc, s[38:39], v[0:1]
	s_mov_b64 s[34:35], 0
	s_mov_b64 s[8:9], 0
                                        ; implicit-def: $vgpr40
	s_and_saveexec_b64 s[36:37], vcc
	s_cbranch_execz .LBB134_168
; %bb.154:                              ;   in Loop: Header=BB134_30 Depth=1
	v_mov_b32_e32 v10, v29
	v_mov_b64_e32 v[4:5], v[0:1]
                                        ; implicit-def: $sgpr40_sgpr41
	s_branch .LBB134_158
.LBB134_155:                            ;   in Loop: Header=BB134_158 Depth=2
	s_or_b64 exec, exec, s[42:43]
	s_waitcnt lgkmcnt(0)
	s_barrier
	ds_read_b32 v11, v3 offset:3072
	s_waitcnt lgkmcnt(0)
	s_barrier
	v_cmp_neq_f16_e32 vcc, 0, v11
	s_cbranch_vccnz .LBB134_161
; %bb.156:                              ;   in Loop: Header=BB134_158 Depth=2
	v_lshl_add_u64 v[4:5], v[4:5], 0, s[96:97]
	v_cmp_le_u64_e32 vcc, s[38:39], v[4:5]
	v_add_u32_e32 v10, s77, v10
	s_mov_b64 s[42:43], 0
	s_orn2_b64 s[44:45], vcc, exec
.LBB134_157:                            ;   in Loop: Header=BB134_158 Depth=2
	s_and_b64 s[44:45], exec, s[44:45]
	s_or_b64 s[8:9], s[44:45], s[8:9]
	s_andn2_b64 s[40:41], s[40:41], exec
	s_and_b64 s[42:43], s[42:43], exec
	s_or_b64 s[40:41], s[40:41], s[42:43]
	s_andn2_b64 exec, exec, s[8:9]
	s_cbranch_execz .LBB134_167
.LBB134_158:                            ;   Parent Loop BB134_30 Depth=1
                                        ; =>  This Inner Loop Header: Depth=2
	v_cmp_gt_u64_e32 vcc, s[14:15], v[4:5]
	s_and_saveexec_b64 s[42:43], vcc
	s_cbranch_execz .LBB134_155
; %bb.159:                              ;   in Loop: Header=BB134_158 Depth=2
	ds_read_u16 v11, v10
	s_waitcnt lgkmcnt(0)
	v_cmp_lt_i16_e32 vcc, -1, v11
	s_nop 1
	v_cndmask_b32_e32 v24, v35, v36, vcc
	v_xor_b32_sdwa v24, v24, v11 dst_sel:DWORD dst_unused:UNUSED_PAD src0_sel:DWORD src1_sel:WORD_0
	v_cmp_o_f16_e32 vcc, v11, v11
	s_nop 1
	v_cndmask_b32_e32 v24, v35, v24, vcc
	v_and_b32_e32 v24, v24, v39
	v_cmp_eq_u32_e32 vcc, v24, v18
	s_and_b64 exec, exec, vcc
	s_cbranch_execz .LBB134_155
; %bb.160:                              ;   in Loop: Header=BB134_158 Depth=2
	v_perm_b32 v11, v11, s6, v38
	ds_write_b32 v3, v11 offset:3072
	s_branch .LBB134_155
.LBB134_161:                            ;   in Loop: Header=BB134_158 Depth=2
	s_mov_b64 s[44:45], -1
                                        ; implicit-def: $vgpr4_vgpr5
                                        ; implicit-def: $vgpr10
	s_mov_b64 s[42:43], -1
	s_branch .LBB134_157
.LBB134_162:                            ;   in Loop: Header=BB134_30 Depth=1
                                        ; implicit-def: $sgpr26_sgpr27
	s_branch .LBB134_107
.LBB134_163:                            ;   in Loop: Header=BB134_30 Depth=1
	s_or_b64 exec, exec, s[14:15]
	s_waitcnt lgkmcnt(0)
	s_barrier
	s_mov_b64 s[0:1], exec
	v_readlane_b32 s2, v61, 36
	v_readlane_b32 s3, v61, 37
	s_and_b64 s[2:3], s[0:1], s[2:3]
	s_mov_b64 exec, s[2:3]
	s_cbranch_execz .LBB134_165
; %bb.164:                              ;   in Loop: Header=BB134_30 Depth=1
	ds_read_b32 v4, v3 offset:5144
	s_waitcnt lgkmcnt(0)
	v_ashrrev_i32_e32 v5, 31, v4
	ds_write_b64 v3, v[4:5] offset:5120
.LBB134_165:                            ;   in Loop: Header=BB134_30 Depth=1
	s_or_b64 exec, exec, s[0:1]
	s_waitcnt lgkmcnt(0)
	s_barrier
	s_mov_b64 s[0:1], -1
	s_and_b64 vcc, exec, s[8:9]
	s_cbranch_vccnz .LBB134_45
	s_branch .LBB134_60
.LBB134_166:                            ;   in Loop: Header=BB134_30 Depth=1
                                        ; implicit-def: $sgpr8_sgpr9
	s_branch .LBB134_122
.LBB134_167:                            ;   in Loop: Header=BB134_30 Depth=1
	s_or_b64 exec, exec, s[8:9]
	v_lshrrev_b32_e32 v40, 16, v11
	s_and_b64 s[8:9], s[40:41], exec
.LBB134_168:                            ;   in Loop: Header=BB134_30 Depth=1
	s_or_b64 exec, exec, s[36:37]
.LBB134_169:                            ;   in Loop: Header=BB134_30 Depth=1
	s_and_b64 vcc, exec, s[34:35]
	s_cbranch_vccz .LBB134_184
; %bb.170:                              ;   in Loop: Header=BB134_30 Depth=1
	s_mov_b32 s68, s99
	s_cmp_lg_u64 s[68:69], 0
	s_cbranch_scc0 .LBB134_214
; %bb.171:                              ;   in Loop: Header=BB134_30 Depth=1
	v_cvt_f32_u32_e32 v4, s96
	s_sub_u32 s14, 0, s96
	s_subb_u32 s15, 0, 0
	v_fmac_f32_e32 v4, 0, v37
	v_rcp_f32_e32 v4, v4
	s_nop 0
	v_mul_f32_e32 v4, 0x5f7ffffc, v4
	v_mul_f32_e32 v5, 0x2f800000, v4
	v_trunc_f32_e32 v5, v5
	v_fmac_f32_e32 v4, 0xcf800000, v5
	v_cvt_u32_f32_e32 v5, v5
	v_cvt_u32_f32_e32 v4, v4
	v_readfirstlane_b32 s24, v5
	v_readfirstlane_b32 s0, v4
	s_mul_i32 s1, s14, s24
	s_mul_hi_u32 s34, s14, s0
	s_mul_i32 s25, s15, s0
	s_add_i32 s1, s34, s1
	s_mul_i32 s35, s14, s0
	s_add_i32 s1, s1, s25
	s_mul_hi_u32 s34, s0, s35
	s_mul_i32 s36, s0, s1
	s_mul_hi_u32 s25, s0, s1
	s_add_u32 s34, s34, s36
	s_addc_u32 s25, 0, s25
	s_mul_hi_u32 s37, s24, s35
	s_mul_i32 s35, s24, s35
	s_add_u32 s34, s34, s35
	s_mul_hi_u32 s36, s24, s1
	s_addc_u32 s25, s25, s37
	s_addc_u32 s34, s36, 0
	s_mul_i32 s1, s24, s1
	s_add_u32 s1, s25, s1
	s_addc_u32 s25, 0, s34
	s_add_u32 s34, s0, s1
	s_cselect_b64 s[0:1], -1, 0
	s_cmp_lg_u64 s[0:1], 0
	s_addc_u32 s24, s24, s25
	s_mul_i32 s0, s14, s24
	s_mul_hi_u32 s1, s14, s34
	s_add_i32 s0, s1, s0
	s_mul_i32 s15, s15, s34
	s_add_i32 s0, s0, s15
	s_mul_i32 s14, s14, s34
	s_mul_hi_u32 s15, s24, s14
	s_mul_i32 s25, s24, s14
	s_mul_i32 s36, s34, s0
	s_mul_hi_u32 s14, s34, s14
	s_mul_hi_u32 s35, s34, s0
	s_add_u32 s14, s14, s36
	s_addc_u32 s35, 0, s35
	s_add_u32 s14, s14, s25
	s_mul_hi_u32 s1, s24, s0
	s_addc_u32 s14, s35, s15
	s_addc_u32 s1, s1, 0
	s_mul_i32 s0, s24, s0
	s_add_u32 s0, s14, s0
	s_addc_u32 s14, 0, s1
	s_add_u32 s15, s34, s0
	s_cselect_b64 s[0:1], -1, 0
	s_cmp_lg_u64 s[0:1], 0
	s_addc_u32 s0, s24, s14
	s_mul_i32 s14, s31, s0
	s_mul_hi_u32 s24, s31, s15
	s_mul_hi_u32 s1, s31, s0
	s_add_u32 s14, s24, s14
	s_addc_u32 s1, 0, s1
	s_mul_hi_u32 s25, s69, s15
	s_mul_i32 s15, s69, s15
	s_add_u32 s14, s14, s15
	s_mul_hi_u32 s24, s69, s0
	s_addc_u32 s1, s1, s25
	s_addc_u32 s14, s24, 0
	s_mul_i32 s0, s69, s0
	s_add_u32 s0, s1, s0
	s_addc_u32 s1, 0, s14
	s_mul_i32 s1, s96, s1
	s_mul_hi_u32 s14, s96, s0
	s_add_i32 s14, s14, s1
	s_mul_i32 s0, s96, s0
	s_sub_u32 s15, s31, s0
	s_cselect_b64 s[0:1], -1, 0
	s_cmp_lg_u64 s[0:1], 0
	s_subb_u32 s14, s69, s14
	s_sub_u32 s24, s15, s96
	s_cselect_b64 s[0:1], -1, 0
	s_cmp_lg_u64 s[0:1], 0
	s_subb_u32 s25, s14, 0
	;; [unrolled: 4-line block ×3, first 2 shown]
	s_cmp_ge_u32 s24, s96
	s_cselect_b32 s1, -1, 0
	s_cmp_eq_u32 s25, 0
	s_cselect_b32 s1, s1, -1
	s_cmp_lg_u32 s1, 0
	s_cselect_b32 s0, s0, s25
	s_cselect_b32 s24, s34, s24
	s_cmp_ge_u32 s15, s96
	s_cselect_b32 s1, -1, 0
	s_cmp_eq_u32 s14, 0
	s_cselect_b32 s1, s1, -1
	s_cmp_lg_u32 s1, 0
	s_cselect_b32 s1, s0, s14
	s_cselect_b32 s0, s24, s15
	s_cbranch_execnz .LBB134_173
.LBB134_172:                            ;   in Loop: Header=BB134_30 Depth=1
	v_cvt_f32_u32_e32 v4, s96
	s_sub_i32 s0, 0, s96
	v_rcp_iflag_f32_e32 v4, v4
	s_nop 0
	v_mul_f32_e32 v4, 0x4f7ffffe, v4
	v_cvt_u32_f32_e32 v4, v4
	s_nop 0
	v_readfirstlane_b32 s1, v4
	s_mul_i32 s0, s0, s1
	s_mul_hi_u32 s0, s1, s0
	s_add_i32 s1, s1, s0
	s_mul_hi_u32 s0, s31, s1
	s_mul_i32 s0, s0, s96
	s_sub_i32 s0, s31, s0
	s_sub_i32 s1, s0, s96
	s_cmp_ge_u32 s0, s96
	s_cselect_b32 s0, s1, s0
	s_sub_i32 s1, s0, s96
	s_cmp_ge_u32 s0, s96
	s_cselect_b32 s98, s1, s0
	s_mov_b64 s[0:1], s[98:99]
.LBB134_173:                            ;   in Loop: Header=BB134_30 Depth=1
	s_sub_u32 s14, s31, s0
	s_subb_u32 s15, s69, s1
	v_cmp_gt_u64_e32 vcc, s[14:15], v[0:1]
                                        ; implicit-def: $vgpr40
	s_and_saveexec_b64 s[0:1], vcc
	s_cbranch_execz .LBB134_183
; %bb.174:                              ;   in Loop: Header=BB134_30 Depth=1
	s_mov_b64 s[24:25], 0
	v_mov_b64_e32 v[4:5], v[0:1]
                                        ; implicit-def: $sgpr34_sgpr35
	s_branch .LBB134_178
.LBB134_175:                            ;   in Loop: Header=BB134_178 Depth=2
	s_or_b64 exec, exec, s[36:37]
	s_waitcnt lgkmcnt(0)
	s_barrier
	ds_read_b32 v10, v3 offset:3072
	s_waitcnt lgkmcnt(0)
	s_barrier
	v_cmp_eq_f16_e32 vcc, 0, v10
	s_cbranch_vccz .LBB134_181
; %bb.176:                              ;   in Loop: Header=BB134_178 Depth=2
	v_lshl_add_u64 v[4:5], v[4:5], 0, s[96:97]
	v_cmp_le_u64_e32 vcc, s[14:15], v[4:5]
	s_mov_b64 s[36:37], 0
	s_orn2_b64 s[38:39], vcc, exec
.LBB134_177:                            ;   in Loop: Header=BB134_178 Depth=2
	s_and_b64 s[38:39], exec, s[38:39]
	s_or_b64 s[24:25], s[38:39], s[24:25]
	s_andn2_b64 s[34:35], s[34:35], exec
	s_and_b64 s[36:37], s[36:37], exec
	s_or_b64 s[34:35], s[34:35], s[36:37]
	s_andn2_b64 exec, exec, s[24:25]
	s_cbranch_execz .LBB134_182
.LBB134_178:                            ;   Parent Loop BB134_30 Depth=1
                                        ; =>  This Inner Loop Header: Depth=2
	v_cmp_gt_u64_e32 vcc, s[56:57], v[4:5]
	s_and_saveexec_b64 s[36:37], vcc
	s_cbranch_execz .LBB134_175
; %bb.179:                              ;   in Loop: Header=BB134_178 Depth=2
	v_mul_lo_u32 v24, v5, s82
	v_mul_lo_u32 v25, v4, s83
	v_mad_u64_u32 v[10:11], s[38:39], v4, s82, 0
	v_add3_u32 v11, v11, v25, v24
	v_lshl_add_u64 v[10:11], v[10:11], 1, s[90:91]
	global_load_ushort v10, v[10:11], off
	s_waitcnt vmcnt(0)
	v_cmp_lt_i16_e32 vcc, -1, v10
	s_nop 1
	v_cndmask_b32_e32 v11, v35, v36, vcc
	v_xor_b32_sdwa v11, v11, v10 dst_sel:DWORD dst_unused:UNUSED_PAD src0_sel:DWORD src1_sel:WORD_0
	v_cmp_o_f16_e32 vcc, v10, v10
	s_nop 1
	v_cndmask_b32_e32 v11, v35, v11, vcc
	v_and_b32_e32 v11, v11, v39
	v_cmp_eq_u32_e32 vcc, v11, v18
	s_and_b64 exec, exec, vcc
	s_cbranch_execz .LBB134_175
; %bb.180:                              ;   in Loop: Header=BB134_178 Depth=2
	v_perm_b32 v10, v10, s6, v38
	ds_write_b32 v3, v10 offset:3072
	s_branch .LBB134_175
.LBB134_181:                            ;   in Loop: Header=BB134_178 Depth=2
	s_mov_b64 s[38:39], -1
                                        ; implicit-def: $vgpr4_vgpr5
	s_mov_b64 s[36:37], -1
	s_branch .LBB134_177
.LBB134_182:                            ;   in Loop: Header=BB134_30 Depth=1
	s_or_b64 exec, exec, s[24:25]
	s_andn2_b64 s[8:9], s[8:9], exec
	s_and_b64 s[14:15], s[34:35], exec
	v_lshrrev_b32_e32 v40, 16, v10
	s_or_b64 s[8:9], s[8:9], s[14:15]
.LBB134_183:                            ;   in Loop: Header=BB134_30 Depth=1
	s_or_b64 exec, exec, s[0:1]
	s_mov_b64 s[0:1], 0
	s_mov_b64 s[24:25], -1
.LBB134_184:                            ;   in Loop: Header=BB134_30 Depth=1
	s_orn2_b64 s[8:9], s[8:9], exec
.LBB134_185:                            ;   in Loop: Header=BB134_30 Depth=1
	s_or_b64 exec, exec, s[26:27]
	s_mov_b64 s[14:15], 0
	s_and_saveexec_b64 s[26:27], s[8:9]
	s_cbranch_execz .LBB134_295
; %bb.186:                              ;   in Loop: Header=BB134_30 Depth=1
	s_xor_b64 s[28:29], s[28:29], -1
	v_mov_b32_e32 v2, 1
	v_mov_b64_e32 v[4:5], 1
	s_and_saveexec_b64 s[8:9], s[28:29]
	s_cbranch_execz .LBB134_196
; %bb.187:                              ;   in Loop: Header=BB134_30 Depth=1
	v_cmp_le_u64_e32 vcc, v[8:9], v[6:7]
	s_and_saveexec_b64 s[14:15], vcc
	s_xor_b64 s[14:15], exec, s[14:15]
	s_cbranch_execz .LBB134_193
; %bb.188:                              ;   in Loop: Header=BB134_30 Depth=1
	ds_read_b64 v[4:5], v3 offset:5120
	v_and_b32_e32 v2, s54, v18
	v_lshl_or_b32 v18, 1, s86, v2
	v_or_b32_e32 v39, s64, v39
	s_waitcnt lgkmcnt(0)
	v_cmp_ne_u64_e32 vcc, 0, v[4:5]
	s_cbranch_vccnz .LBB134_192
; %bb.189:                              ;   in Loop: Header=BB134_30 Depth=1
	s_mov_b64 s[28:29], exec
	v_readlane_b32 s34, v61, 36
	v_readlane_b32 s35, v61, 37
	s_and_b64 s[34:35], s[28:29], s[34:35]
	s_mov_b64 exec, s[34:35]
; %bb.190:                              ;   in Loop: Header=BB134_30 Depth=1
	ds_write_b64 v3, v[6:7] offset:5128
; %bb.191:                              ;   in Loop: Header=BB134_30 Depth=1
	s_or_b64 exec, exec, s[28:29]
	s_waitcnt lgkmcnt(0)
	s_barrier
.LBB134_192:                            ;   in Loop: Header=BB134_30 Depth=1
                                        ; implicit-def: $vgpr4_vgpr5_vgpr6_vgpr7
.LBB134_193:                            ;   in Loop: Header=BB134_30 Depth=1
	s_or_saveexec_b64 s[14:15], s[14:15]
	s_mov_b64 s[28:29], 0
	v_mov_b32_e32 v2, 8
	s_xor_b64 exec, exec, s[14:15]
; %bb.194:                              ;   in Loop: Header=BB134_30 Depth=1
	v_sub_co_u32_e32 v8, vcc, v8, v6
	s_mov_b64 s[28:29], exec
	s_nop 0
	v_subb_co_u32_e32 v9, vcc, v9, v7, vcc
	v_mov_b32_e32 v2, 0
; %bb.195:                              ;   in Loop: Header=BB134_30 Depth=1
	s_or_b64 exec, exec, s[14:15]
	s_and_b64 s[14:15], s[28:29], exec
	v_mov_b64_e32 v[4:5], v[8:9]
.LBB134_196:                            ;   in Loop: Header=BB134_30 Depth=1
	s_or_b64 exec, exec, s[8:9]
	s_mov_b64 s[8:9], -1
                                        ; implicit-def: $sgpr34_sgpr35
                                        ; implicit-def: $sgpr36_sgpr37
	s_and_saveexec_b64 s[28:29], s[14:15]
	s_cbranch_execz .LBB134_294
; %bb.197:                              ;   in Loop: Header=BB134_30 Depth=1
	s_cmp_eq_u64 s[22:23], 1
	s_cselect_b64 s[8:9], -1, 0
	v_cmp_eq_u64_e32 vcc, 1, v[4:5]
	s_and_b64 s[40:41], s[8:9], vcc
	s_mov_b64 s[8:9], -1
                                        ; implicit-def: $sgpr36_sgpr37
                                        ; implicit-def: $sgpr34_sgpr35
	s_and_saveexec_b64 s[38:39], s[40:41]
	s_cbranch_execz .LBB134_233
; %bb.198:                              ;   in Loop: Header=BB134_30 Depth=1
	ds_read_b64 v[6:7], v3 offset:5120
	s_waitcnt lgkmcnt(0)
	s_barrier
	v_readfirstlane_b32 s14, v6
	v_readfirstlane_b32 s15, v7
	s_mov_b64 s[8:9], exec
	v_readlane_b32 s34, v61, 38
	v_readlane_b32 s35, v61, 39
	s_and_b64 s[34:35], s[8:9], s[34:35]
	s_mov_b64 exec, s[34:35]
; %bb.199:                              ;   in Loop: Header=BB134_30 Depth=1
	ds_write_b16 v30, v3
; %bb.200:                              ;   in Loop: Header=BB134_30 Depth=1
	s_or_b64 exec, exec, s[8:9]
	v_and_b32_e32 v6, s54, v18
	v_lshl_or_b32 v18, 2, s86, v6
	v_or_b32_e32 v39, s64, v39
	s_mov_b64 s[34:35], -1
	s_mov_b64 s[36:37], 0
	s_cmp_eq_u64 s[14:15], 0
	s_mov_b64 s[8:9], 0
	s_mov_b64 s[42:43], -1
	s_waitcnt lgkmcnt(0)
	s_barrier
                                        ; implicit-def: $vgpr40
	s_cbranch_scc1 .LBB134_217
; %bb.201:                              ;   in Loop: Header=BB134_30 Depth=1
	v_readlane_b32 s8, v61, 44
	s_add_u32 s46, s14, s8
	v_readlane_b32 s8, v61, 45
	s_addc_u32 s9, s15, s8
	s_mov_b32 s8, s99
	s_cmp_lg_u64 s[8:9], 0
	s_cbranch_scc0 .LBB134_260
; %bb.202:                              ;   in Loop: Header=BB134_30 Depth=1
	v_cvt_f32_u32_e32 v6, s96
	s_sub_u32 s8, 0, s96
	s_subb_u32 s44, 0, 0
	v_fmac_f32_e32 v6, 0, v37
	v_rcp_f32_e32 v6, v6
	s_nop 0
	v_mul_f32_e32 v6, 0x5f7ffffc, v6
	v_mul_f32_e32 v7, 0x2f800000, v6
	v_trunc_f32_e32 v7, v7
	v_fmac_f32_e32 v6, 0xcf800000, v7
	v_cvt_u32_f32_e32 v7, v7
	v_cvt_u32_f32_e32 v6, v6
	v_readfirstlane_b32 s45, v7
	v_readfirstlane_b32 s42, v6
	s_mul_i32 s43, s8, s45
	s_mul_hi_u32 s48, s8, s42
	s_mul_i32 s47, s44, s42
	s_add_i32 s43, s48, s43
	s_mul_i32 s49, s8, s42
	s_add_i32 s43, s43, s47
	s_mul_hi_u32 s48, s42, s49
	s_mul_i32 s50, s42, s43
	s_mul_hi_u32 s47, s42, s43
	s_add_u32 s48, s48, s50
	s_addc_u32 s47, 0, s47
	s_mul_hi_u32 s51, s45, s49
	s_mul_i32 s49, s45, s49
	s_add_u32 s48, s48, s49
	s_mul_hi_u32 s50, s45, s43
	s_addc_u32 s47, s47, s51
	s_addc_u32 s48, s50, 0
	s_mul_i32 s43, s45, s43
	s_add_u32 s43, s47, s43
	s_addc_u32 s47, 0, s48
	s_add_u32 s48, s42, s43
	s_cselect_b64 s[42:43], -1, 0
	s_cmp_lg_u64 s[42:43], 0
	s_addc_u32 s45, s45, s47
	s_mul_i32 s42, s8, s45
	s_mul_hi_u32 s43, s8, s48
	s_add_i32 s42, s43, s42
	s_mul_i32 s44, s44, s48
	s_add_i32 s42, s42, s44
	s_mul_i32 s8, s8, s48
	s_mul_hi_u32 s44, s45, s8
	s_mul_i32 s47, s45, s8
	s_mul_i32 s50, s48, s42
	s_mul_hi_u32 s8, s48, s8
	s_mul_hi_u32 s49, s48, s42
	s_add_u32 s8, s8, s50
	s_addc_u32 s49, 0, s49
	s_add_u32 s8, s8, s47
	s_mul_hi_u32 s43, s45, s42
	s_addc_u32 s8, s49, s44
	s_addc_u32 s43, s43, 0
	s_mul_i32 s42, s45, s42
	s_add_u32 s8, s8, s42
	s_addc_u32 s44, 0, s43
	s_add_u32 s8, s48, s8
	s_cselect_b64 s[42:43], -1, 0
	s_cmp_lg_u64 s[42:43], 0
	s_addc_u32 s42, s45, s44
	s_mul_i32 s44, s46, s42
	s_mul_hi_u32 s45, s46, s8
	s_mul_hi_u32 s43, s46, s42
	s_add_u32 s44, s45, s44
	s_addc_u32 s43, 0, s43
	s_mul_hi_u32 s47, s9, s8
	s_mul_i32 s8, s9, s8
	s_add_u32 s8, s44, s8
	s_mul_hi_u32 s45, s9, s42
	s_addc_u32 s8, s43, s47
	s_addc_u32 s43, s45, 0
	s_mul_i32 s42, s9, s42
	s_add_u32 s8, s8, s42
	s_addc_u32 s42, 0, s43
	s_mul_i32 s42, s96, s42
	s_mul_hi_u32 s43, s96, s8
	s_add_i32 s44, s43, s42
	s_mul_i32 s8, s96, s8
	s_sub_u32 s8, s46, s8
	s_cselect_b64 s[42:43], -1, 0
	s_cmp_lg_u64 s[42:43], 0
	s_subb_u32 s44, s9, s44
	s_sub_u32 s45, s8, s96
	s_cselect_b64 s[42:43], -1, 0
	s_cmp_lg_u64 s[42:43], 0
	s_subb_u32 s47, s44, 0
	;; [unrolled: 4-line block ×3, first 2 shown]
	s_cmp_ge_u32 s45, s96
	s_cselect_b32 s43, -1, 0
	s_cmp_eq_u32 s47, 0
	s_cselect_b32 s43, s43, -1
	s_cmp_lg_u32 s43, 0
	s_cselect_b32 s42, s42, s47
	s_cselect_b32 s45, s48, s45
	s_cmp_ge_u32 s8, s96
	s_cselect_b32 s43, -1, 0
	s_cmp_eq_u32 s44, 0
	s_cselect_b32 s43, s43, -1
	s_cmp_lg_u32 s43, 0
	s_cselect_b32 s43, s42, s44
	s_cselect_b32 s42, s45, s8
	s_cbranch_execnz .LBB134_204
.LBB134_203:                            ;   in Loop: Header=BB134_30 Depth=1
	v_cvt_f32_u32_e32 v6, s96
	s_sub_i32 s8, 0, s96
	v_rcp_iflag_f32_e32 v6, v6
	s_nop 0
	v_mul_f32_e32 v6, 0x4f7ffffe, v6
	v_cvt_u32_f32_e32 v6, v6
	s_nop 0
	v_readfirstlane_b32 s42, v6
	s_mul_i32 s8, s8, s42
	s_mul_hi_u32 s8, s42, s8
	s_add_i32 s42, s42, s8
	s_mul_hi_u32 s8, s46, s42
	s_mul_i32 s8, s8, s96
	s_sub_i32 s8, s46, s8
	s_sub_i32 s42, s8, s96
	s_cmp_ge_u32 s8, s96
	s_cselect_b32 s8, s42, s8
	s_sub_i32 s42, s8, s96
	s_cmp_ge_u32 s8, s96
	s_cselect_b32 s98, s42, s8
	s_mov_b64 s[42:43], s[98:99]
.LBB134_204:                            ;   in Loop: Header=BB134_30 Depth=1
	s_sub_u32 s46, s46, s42
	s_subb_u32 s47, s9, s43
	v_cmp_gt_u64_e32 vcc, s[46:47], v[0:1]
	s_mov_b64 s[42:43], 0
	s_mov_b64 s[8:9], 0
                                        ; implicit-def: $vgpr40
	s_and_saveexec_b64 s[44:45], vcc
	s_cbranch_execz .LBB134_216
; %bb.205:                              ;   in Loop: Header=BB134_30 Depth=1
	v_mov_b32_e32 v8, v29
	v_mov_b64_e32 v[6:7], v[0:1]
                                        ; implicit-def: $sgpr48_sgpr49
	s_branch .LBB134_209
.LBB134_206:                            ;   in Loop: Header=BB134_209 Depth=2
	s_or_b64 exec, exec, s[50:51]
	s_waitcnt lgkmcnt(0)
	s_barrier
	ds_read_b32 v9, v3 offset:3072
	s_waitcnt lgkmcnt(0)
	s_barrier
	v_cmp_neq_f16_e32 vcc, 0, v9
	s_cbranch_vccnz .LBB134_212
; %bb.207:                              ;   in Loop: Header=BB134_209 Depth=2
	v_lshl_add_u64 v[6:7], v[6:7], 0, s[96:97]
	v_cmp_le_u64_e32 vcc, s[46:47], v[6:7]
	v_add_u32_e32 v8, s77, v8
	s_mov_b64 s[50:51], 0
	s_orn2_b64 s[52:53], vcc, exec
.LBB134_208:                            ;   in Loop: Header=BB134_209 Depth=2
	s_and_b64 s[52:53], exec, s[52:53]
	s_or_b64 s[8:9], s[52:53], s[8:9]
	s_andn2_b64 s[48:49], s[48:49], exec
	s_and_b64 s[50:51], s[50:51], exec
	s_or_b64 s[48:49], s[48:49], s[50:51]
	s_andn2_b64 exec, exec, s[8:9]
	s_cbranch_execz .LBB134_215
.LBB134_209:                            ;   Parent Loop BB134_30 Depth=1
                                        ; =>  This Inner Loop Header: Depth=2
	v_cmp_gt_u64_e32 vcc, s[14:15], v[6:7]
	s_and_saveexec_b64 s[50:51], vcc
	s_cbranch_execz .LBB134_206
; %bb.210:                              ;   in Loop: Header=BB134_209 Depth=2
	ds_read_u16 v9, v8
	s_waitcnt lgkmcnt(0)
	v_cmp_lt_i16_e32 vcc, -1, v9
	s_nop 1
	v_cndmask_b32_e32 v10, v35, v36, vcc
	v_xor_b32_sdwa v10, v10, v9 dst_sel:DWORD dst_unused:UNUSED_PAD src0_sel:DWORD src1_sel:WORD_0
	v_cmp_o_f16_e32 vcc, v9, v9
	s_nop 1
	v_cndmask_b32_e32 v10, v35, v10, vcc
	v_and_b32_e32 v10, v10, v39
	v_cmp_eq_u32_e32 vcc, v10, v18
	s_and_b64 exec, exec, vcc
	s_cbranch_execz .LBB134_206
; %bb.211:                              ;   in Loop: Header=BB134_209 Depth=2
	v_perm_b32 v9, v9, s6, v38
	ds_write_b32 v3, v9 offset:3072
	s_branch .LBB134_206
.LBB134_212:                            ;   in Loop: Header=BB134_209 Depth=2
	s_mov_b64 s[52:53], -1
                                        ; implicit-def: $vgpr6_vgpr7
                                        ; implicit-def: $vgpr8
	s_mov_b64 s[50:51], -1
	s_branch .LBB134_208
.LBB134_213:                            ;   in Loop: Header=BB134_30 Depth=1
                                        ; implicit-def: $sgpr34_sgpr35
	s_branch .LBB134_152
.LBB134_214:                            ;   in Loop: Header=BB134_30 Depth=1
                                        ; implicit-def: $sgpr0_sgpr1
	s_branch .LBB134_172
.LBB134_215:                            ;   in Loop: Header=BB134_30 Depth=1
	s_or_b64 exec, exec, s[8:9]
	v_lshrrev_b32_e32 v40, 16, v9
	s_and_b64 s[8:9], s[48:49], exec
.LBB134_216:                            ;   in Loop: Header=BB134_30 Depth=1
	s_or_b64 exec, exec, s[44:45]
.LBB134_217:                            ;   in Loop: Header=BB134_30 Depth=1
	s_and_b64 vcc, exec, s[42:43]
	s_cbranch_vccz .LBB134_232
; %bb.218:                              ;   in Loop: Header=BB134_30 Depth=1
	s_mov_b32 s68, s99
	s_cmp_lg_u64 s[68:69], 0
	s_cbranch_scc0 .LBB134_261
; %bb.219:                              ;   in Loop: Header=BB134_30 Depth=1
	v_cvt_f32_u32_e32 v6, s96
	s_sub_u32 s34, 0, s96
	s_subb_u32 s35, 0, 0
	v_fmac_f32_e32 v6, 0, v37
	v_rcp_f32_e32 v6, v6
	s_nop 0
	v_mul_f32_e32 v6, 0x5f7ffffc, v6
	v_mul_f32_e32 v7, 0x2f800000, v6
	v_trunc_f32_e32 v7, v7
	v_fmac_f32_e32 v6, 0xcf800000, v7
	v_cvt_u32_f32_e32 v7, v7
	v_cvt_u32_f32_e32 v6, v6
	v_readfirstlane_b32 s36, v7
	v_readfirstlane_b32 s14, v6
	s_mul_i32 s15, s34, s36
	s_mul_hi_u32 s42, s34, s14
	s_mul_i32 s37, s35, s14
	s_add_i32 s15, s42, s15
	s_mul_i32 s43, s34, s14
	s_add_i32 s15, s15, s37
	s_mul_hi_u32 s42, s14, s43
	s_mul_i32 s44, s14, s15
	s_mul_hi_u32 s37, s14, s15
	s_add_u32 s42, s42, s44
	s_addc_u32 s37, 0, s37
	s_mul_hi_u32 s45, s36, s43
	s_mul_i32 s43, s36, s43
	s_add_u32 s42, s42, s43
	s_mul_hi_u32 s44, s36, s15
	s_addc_u32 s37, s37, s45
	s_addc_u32 s42, s44, 0
	s_mul_i32 s15, s36, s15
	s_add_u32 s15, s37, s15
	s_addc_u32 s37, 0, s42
	s_add_u32 s42, s14, s15
	s_cselect_b64 s[14:15], -1, 0
	s_cmp_lg_u64 s[14:15], 0
	s_addc_u32 s36, s36, s37
	s_mul_i32 s14, s34, s36
	s_mul_hi_u32 s15, s34, s42
	s_add_i32 s14, s15, s14
	s_mul_i32 s35, s35, s42
	s_add_i32 s14, s14, s35
	s_mul_i32 s34, s34, s42
	s_mul_hi_u32 s35, s36, s34
	s_mul_i32 s37, s36, s34
	s_mul_i32 s44, s42, s14
	s_mul_hi_u32 s34, s42, s34
	s_mul_hi_u32 s43, s42, s14
	s_add_u32 s34, s34, s44
	s_addc_u32 s43, 0, s43
	s_add_u32 s34, s34, s37
	s_mul_hi_u32 s15, s36, s14
	s_addc_u32 s34, s43, s35
	s_addc_u32 s15, s15, 0
	s_mul_i32 s14, s36, s14
	s_add_u32 s14, s34, s14
	s_addc_u32 s34, 0, s15
	s_add_u32 s35, s42, s14
	s_cselect_b64 s[14:15], -1, 0
	s_cmp_lg_u64 s[14:15], 0
	s_addc_u32 s14, s36, s34
	s_mul_i32 s34, s31, s14
	s_mul_hi_u32 s36, s31, s35
	s_mul_hi_u32 s15, s31, s14
	s_add_u32 s34, s36, s34
	s_addc_u32 s15, 0, s15
	s_mul_hi_u32 s37, s69, s35
	s_mul_i32 s35, s69, s35
	s_add_u32 s34, s34, s35
	s_mul_hi_u32 s36, s69, s14
	s_addc_u32 s15, s15, s37
	s_addc_u32 s34, s36, 0
	s_mul_i32 s14, s69, s14
	s_add_u32 s14, s15, s14
	s_addc_u32 s15, 0, s34
	s_mul_i32 s15, s96, s15
	s_mul_hi_u32 s34, s96, s14
	s_add_i32 s34, s34, s15
	s_mul_i32 s14, s96, s14
	s_sub_u32 s35, s31, s14
	s_cselect_b64 s[14:15], -1, 0
	s_cmp_lg_u64 s[14:15], 0
	s_subb_u32 s34, s69, s34
	s_sub_u32 s36, s35, s96
	s_cselect_b64 s[14:15], -1, 0
	s_cmp_lg_u64 s[14:15], 0
	s_subb_u32 s37, s34, 0
	;; [unrolled: 4-line block ×3, first 2 shown]
	s_cmp_ge_u32 s36, s96
	s_cselect_b32 s15, -1, 0
	s_cmp_eq_u32 s37, 0
	s_cselect_b32 s15, s15, -1
	s_cmp_lg_u32 s15, 0
	s_cselect_b32 s14, s14, s37
	s_cselect_b32 s36, s42, s36
	s_cmp_ge_u32 s35, s96
	s_cselect_b32 s15, -1, 0
	s_cmp_eq_u32 s34, 0
	s_cselect_b32 s15, s15, -1
	s_cmp_lg_u32 s15, 0
	s_cselect_b32 s15, s14, s34
	s_cselect_b32 s14, s36, s35
	s_cbranch_execnz .LBB134_221
.LBB134_220:                            ;   in Loop: Header=BB134_30 Depth=1
	v_cvt_f32_u32_e32 v6, s96
	s_sub_i32 s14, 0, s96
	v_rcp_iflag_f32_e32 v6, v6
	s_nop 0
	v_mul_f32_e32 v6, 0x4f7ffffe, v6
	v_cvt_u32_f32_e32 v6, v6
	s_nop 0
	v_readfirstlane_b32 s15, v6
	s_mul_i32 s14, s14, s15
	s_mul_hi_u32 s14, s15, s14
	s_add_i32 s15, s15, s14
	s_mul_hi_u32 s14, s31, s15
	s_mul_i32 s14, s14, s96
	s_sub_i32 s14, s31, s14
	s_sub_i32 s15, s14, s96
	s_cmp_ge_u32 s14, s96
	s_cselect_b32 s14, s15, s14
	s_sub_i32 s15, s14, s96
	s_cmp_ge_u32 s14, s96
	s_cselect_b32 s98, s15, s14
	s_mov_b64 s[14:15], s[98:99]
.LBB134_221:                            ;   in Loop: Header=BB134_30 Depth=1
	s_sub_u32 s34, s31, s14
	s_subb_u32 s35, s69, s15
	v_cmp_gt_u64_e32 vcc, s[34:35], v[0:1]
                                        ; implicit-def: $vgpr40
	s_and_saveexec_b64 s[14:15], vcc
	s_cbranch_execz .LBB134_231
; %bb.222:                              ;   in Loop: Header=BB134_30 Depth=1
	s_mov_b64 s[36:37], 0
	v_mov_b64_e32 v[6:7], v[0:1]
                                        ; implicit-def: $sgpr42_sgpr43
	s_branch .LBB134_226
.LBB134_223:                            ;   in Loop: Header=BB134_226 Depth=2
	s_or_b64 exec, exec, s[44:45]
	s_waitcnt lgkmcnt(0)
	s_barrier
	ds_read_b32 v8, v3 offset:3072
	s_waitcnt lgkmcnt(0)
	s_barrier
	v_cmp_eq_f16_e32 vcc, 0, v8
	s_cbranch_vccz .LBB134_229
; %bb.224:                              ;   in Loop: Header=BB134_226 Depth=2
	v_lshl_add_u64 v[6:7], v[6:7], 0, s[96:97]
	v_cmp_le_u64_e32 vcc, s[34:35], v[6:7]
	s_mov_b64 s[44:45], 0
	s_orn2_b64 s[46:47], vcc, exec
.LBB134_225:                            ;   in Loop: Header=BB134_226 Depth=2
	s_and_b64 s[46:47], exec, s[46:47]
	s_or_b64 s[36:37], s[46:47], s[36:37]
	s_andn2_b64 s[42:43], s[42:43], exec
	s_and_b64 s[44:45], s[44:45], exec
	s_or_b64 s[42:43], s[42:43], s[44:45]
	s_andn2_b64 exec, exec, s[36:37]
	s_cbranch_execz .LBB134_230
.LBB134_226:                            ;   Parent Loop BB134_30 Depth=1
                                        ; =>  This Inner Loop Header: Depth=2
	v_cmp_gt_u64_e32 vcc, s[56:57], v[6:7]
	s_and_saveexec_b64 s[44:45], vcc
	s_cbranch_execz .LBB134_223
; %bb.227:                              ;   in Loop: Header=BB134_226 Depth=2
	v_mul_lo_u32 v10, v7, s82
	v_mul_lo_u32 v11, v6, s83
	v_mad_u64_u32 v[8:9], s[46:47], v6, s82, 0
	v_add3_u32 v9, v9, v11, v10
	v_lshl_add_u64 v[8:9], v[8:9], 1, s[90:91]
	global_load_ushort v8, v[8:9], off
	s_waitcnt vmcnt(0)
	v_cmp_lt_i16_e32 vcc, -1, v8
	s_nop 1
	v_cndmask_b32_e32 v9, v35, v36, vcc
	v_xor_b32_sdwa v9, v9, v8 dst_sel:DWORD dst_unused:UNUSED_PAD src0_sel:DWORD src1_sel:WORD_0
	v_cmp_o_f16_e32 vcc, v8, v8
	s_nop 1
	v_cndmask_b32_e32 v9, v35, v9, vcc
	v_and_b32_e32 v9, v9, v39
	v_cmp_eq_u32_e32 vcc, v9, v18
	s_and_b64 exec, exec, vcc
	s_cbranch_execz .LBB134_223
; %bb.228:                              ;   in Loop: Header=BB134_226 Depth=2
	v_perm_b32 v8, v8, s6, v38
	ds_write_b32 v3, v8 offset:3072
	s_branch .LBB134_223
.LBB134_229:                            ;   in Loop: Header=BB134_226 Depth=2
	s_mov_b64 s[46:47], -1
                                        ; implicit-def: $vgpr6_vgpr7
	s_mov_b64 s[44:45], -1
	s_branch .LBB134_225
.LBB134_230:                            ;   in Loop: Header=BB134_30 Depth=1
	s_or_b64 exec, exec, s[36:37]
	s_andn2_b64 s[8:9], s[8:9], exec
	s_and_b64 s[34:35], s[42:43], exec
	v_lshrrev_b32_e32 v40, 16, v8
	s_or_b64 s[8:9], s[8:9], s[34:35]
.LBB134_231:                            ;   in Loop: Header=BB134_30 Depth=1
	s_or_b64 exec, exec, s[14:15]
	s_mov_b64 s[34:35], 0
	s_mov_b64 s[36:37], -1
.LBB134_232:                            ;   in Loop: Header=BB134_30 Depth=1
	s_orn2_b64 s[8:9], s[8:9], exec
.LBB134_233:                            ;   in Loop: Header=BB134_30 Depth=1
	s_or_b64 exec, exec, s[38:39]
	s_mov_b64 s[14:15], 0
	s_and_saveexec_b64 s[38:39], s[8:9]
	s_cbranch_execz .LBB134_293
; %bb.234:                              ;   in Loop: Header=BB134_30 Depth=1
	s_xor_b64 s[40:41], s[40:41], -1
	v_mov_b32_e32 v2, 1
	v_mov_b64_e32 v[6:7], 1
	s_and_saveexec_b64 s[8:9], s[40:41]
	s_cbranch_execz .LBB134_243
; %bb.235:                              ;   in Loop: Header=BB134_30 Depth=1
	v_cmp_ge_u64_e32 vcc, s[22:23], v[4:5]
	s_and_saveexec_b64 s[14:15], vcc
	s_xor_b64 s[14:15], exec, s[14:15]
	s_cbranch_execz .LBB134_240
; %bb.236:                              ;   in Loop: Header=BB134_30 Depth=1
	ds_read_b64 v[6:7], v3 offset:5120
	v_and_b32_e32 v2, s54, v18
	v_lshl_or_b32 v18, 2, s86, v2
	v_or_b32_e32 v39, s64, v39
	s_waitcnt lgkmcnt(0)
	v_cmp_ne_u64_e32 vcc, 0, v[6:7]
	s_cbranch_vccnz .LBB134_240
; %bb.237:                              ;   in Loop: Header=BB134_30 Depth=1
	s_mov_b64 s[40:41], exec
	v_readlane_b32 s42, v61, 36
	v_readlane_b32 s43, v61, 37
	s_and_b64 s[42:43], s[40:41], s[42:43]
	s_mov_b64 exec, s[42:43]
; %bb.238:                              ;   in Loop: Header=BB134_30 Depth=1
	v_mov_b64_e32 v[6:7], s[22:23]
	ds_write_b64 v3, v[6:7] offset:5128
; %bb.239:                              ;   in Loop: Header=BB134_30 Depth=1
	s_or_b64 exec, exec, s[40:41]
	s_waitcnt lgkmcnt(0)
	s_barrier
.LBB134_240:                            ;   in Loop: Header=BB134_30 Depth=1
	s_or_saveexec_b64 s[14:15], s[14:15]
	s_mov_b64 s[40:41], 0
	v_mov_b32_e32 v2, 8
	s_xor_b64 exec, exec, s[14:15]
; %bb.241:                              ;   in Loop: Header=BB134_30 Depth=1
	v_mov_b32_e32 v2, s23
	v_subrev_co_u32_e32 v4, vcc, s22, v4
	s_mov_b64 s[40:41], exec
	s_nop 0
	v_subb_co_u32_e32 v5, vcc, v5, v2, vcc
	v_mov_b32_e32 v2, 0
; %bb.242:                              ;   in Loop: Header=BB134_30 Depth=1
	s_or_b64 exec, exec, s[14:15]
	s_and_b64 s[14:15], s[40:41], exec
	v_mov_b64_e32 v[6:7], v[4:5]
.LBB134_243:                            ;   in Loop: Header=BB134_30 Depth=1
	s_or_b64 exec, exec, s[8:9]
	s_mov_b64 s[8:9], -1
                                        ; implicit-def: $sgpr46_sgpr47
                                        ; implicit-def: $sgpr44_sgpr45
	s_and_saveexec_b64 s[22:23], s[14:15]
	s_cbranch_execz .LBB134_292
; %bb.244:                              ;   in Loop: Header=BB134_30 Depth=1
	s_cmp_eq_u64 s[2:3], 1
	s_cselect_b64 s[8:9], -1, 0
	v_cmp_eq_u64_e32 vcc, 1, v[6:7]
	s_and_b64 s[40:41], s[8:9], vcc
	s_mov_b64 s[14:15], -1
                                        ; implicit-def: $sgpr46_sgpr47
                                        ; implicit-def: $sgpr44_sgpr45
	s_and_saveexec_b64 s[42:43], s[40:41]
	s_cbranch_execz .LBB134_280
; %bb.245:                              ;   in Loop: Header=BB134_30 Depth=1
	ds_read_b64 v[4:5], v3 offset:5120
	s_waitcnt lgkmcnt(0)
	s_barrier
	v_readfirstlane_b32 s14, v4
	v_readfirstlane_b32 s15, v5
	s_mov_b64 s[8:9], exec
	v_readlane_b32 s44, v61, 38
	v_readlane_b32 s45, v61, 39
	s_and_b64 s[44:45], s[8:9], s[44:45]
	s_mov_b64 exec, s[44:45]
; %bb.246:                              ;   in Loop: Header=BB134_30 Depth=1
	ds_write_b16 v30, v3
; %bb.247:                              ;   in Loop: Header=BB134_30 Depth=1
	s_or_b64 exec, exec, s[8:9]
	v_or_b32_e32 v18, s64, v18
	v_or_b32_e32 v39, s64, v39
	s_mov_b64 s[44:45], -1
	s_mov_b64 s[46:47], 0
	s_cmp_eq_u64 s[14:15], 0
	s_mov_b64 s[8:9], 0
	s_mov_b64 s[48:49], -1
	s_waitcnt lgkmcnt(0)
	s_barrier
                                        ; implicit-def: $vgpr40
	s_cbranch_scc1 .LBB134_264
; %bb.248:                              ;   in Loop: Header=BB134_30 Depth=1
	v_readlane_b32 s8, v61, 44
	s_add_u32 s52, s14, s8
	v_readlane_b32 s8, v61, 45
	s_addc_u32 s9, s15, s8
	s_mov_b32 s8, s99
	s_cmp_lg_u64 s[8:9], 0
	s_cbranch_scc0 .LBB134_299
; %bb.249:                              ;   in Loop: Header=BB134_30 Depth=1
	v_cvt_f32_u32_e32 v4, s96
	s_sub_u32 s8, 0, s96
	s_subb_u32 s50, 0, 0
	v_fmac_f32_e32 v4, 0, v37
	v_rcp_f32_e32 v4, v4
	s_nop 0
	v_mul_f32_e32 v4, 0x5f7ffffc, v4
	v_mul_f32_e32 v5, 0x2f800000, v4
	v_trunc_f32_e32 v5, v5
	v_fmac_f32_e32 v4, 0xcf800000, v5
	v_cvt_u32_f32_e32 v5, v5
	v_cvt_u32_f32_e32 v4, v4
	v_readfirstlane_b32 s51, v5
	v_readfirstlane_b32 s48, v4
	s_mul_i32 s49, s8, s51
	s_mul_hi_u32 s54, s8, s48
	s_mul_i32 s53, s50, s48
	s_add_i32 s49, s54, s49
	s_mul_i32 s55, s8, s48
	s_add_i32 s49, s49, s53
	s_mul_hi_u32 s54, s48, s55
	s_mul_i32 s60, s48, s49
	s_mul_hi_u32 s53, s48, s49
	s_add_u32 s54, s54, s60
	s_addc_u32 s53, 0, s53
	s_mul_hi_u32 s61, s51, s55
	s_mul_i32 s55, s51, s55
	s_add_u32 s54, s54, s55
	s_mul_hi_u32 s60, s51, s49
	s_addc_u32 s53, s53, s61
	s_addc_u32 s54, s60, 0
	s_mul_i32 s49, s51, s49
	s_add_u32 s49, s53, s49
	s_addc_u32 s53, 0, s54
	s_add_u32 s54, s48, s49
	s_cselect_b64 s[48:49], -1, 0
	s_cmp_lg_u64 s[48:49], 0
	s_addc_u32 s51, s51, s53
	s_mul_i32 s48, s8, s51
	s_mul_hi_u32 s49, s8, s54
	s_add_i32 s48, s49, s48
	s_mul_i32 s50, s50, s54
	s_add_i32 s48, s48, s50
	s_mul_i32 s8, s8, s54
	s_mul_hi_u32 s50, s51, s8
	s_mul_i32 s53, s51, s8
	s_mul_i32 s60, s54, s48
	s_mul_hi_u32 s8, s54, s8
	s_mul_hi_u32 s55, s54, s48
	s_add_u32 s8, s8, s60
	s_addc_u32 s55, 0, s55
	s_add_u32 s8, s8, s53
	s_mul_hi_u32 s49, s51, s48
	s_addc_u32 s8, s55, s50
	s_addc_u32 s49, s49, 0
	s_mul_i32 s48, s51, s48
	s_add_u32 s8, s8, s48
	s_addc_u32 s50, 0, s49
	s_add_u32 s8, s54, s8
	s_cselect_b64 s[48:49], -1, 0
	s_cmp_lg_u64 s[48:49], 0
	s_addc_u32 s48, s51, s50
	s_mul_i32 s50, s52, s48
	s_mul_hi_u32 s51, s52, s8
	s_mul_hi_u32 s49, s52, s48
	s_add_u32 s50, s51, s50
	s_addc_u32 s49, 0, s49
	s_mul_hi_u32 s53, s9, s8
	s_mul_i32 s8, s9, s8
	s_add_u32 s8, s50, s8
	s_mul_hi_u32 s51, s9, s48
	s_addc_u32 s8, s49, s53
	s_addc_u32 s49, s51, 0
	s_mul_i32 s48, s9, s48
	s_add_u32 s8, s8, s48
	s_addc_u32 s48, 0, s49
	s_mul_i32 s48, s96, s48
	s_mul_hi_u32 s49, s96, s8
	s_add_i32 s50, s49, s48
	s_mul_i32 s8, s96, s8
	s_sub_u32 s8, s52, s8
	s_cselect_b64 s[48:49], -1, 0
	s_cmp_lg_u64 s[48:49], 0
	s_subb_u32 s50, s9, s50
	s_sub_u32 s51, s8, s96
	s_cselect_b64 s[48:49], -1, 0
	s_cmp_lg_u64 s[48:49], 0
	s_subb_u32 s53, s50, 0
	;; [unrolled: 4-line block ×3, first 2 shown]
	s_cmp_ge_u32 s51, s96
	s_cselect_b32 s49, -1, 0
	s_cmp_eq_u32 s53, 0
	s_cselect_b32 s49, s49, -1
	s_cmp_lg_u32 s49, 0
	s_cselect_b32 s48, s48, s53
	s_cselect_b32 s51, s54, s51
	s_cmp_ge_u32 s8, s96
	s_cselect_b32 s49, -1, 0
	s_cmp_eq_u32 s50, 0
	s_cselect_b32 s49, s49, -1
	s_cmp_lg_u32 s49, 0
	s_cselect_b32 s49, s48, s50
	s_cselect_b32 s48, s51, s8
	s_cbranch_execnz .LBB134_251
.LBB134_250:                            ;   in Loop: Header=BB134_30 Depth=1
	v_cvt_f32_u32_e32 v4, s96
	s_sub_i32 s8, 0, s96
	v_rcp_iflag_f32_e32 v4, v4
	s_nop 0
	v_mul_f32_e32 v4, 0x4f7ffffe, v4
	v_cvt_u32_f32_e32 v4, v4
	s_nop 0
	v_readfirstlane_b32 s48, v4
	s_mul_i32 s8, s8, s48
	s_mul_hi_u32 s8, s48, s8
	s_add_i32 s48, s48, s8
	s_mul_hi_u32 s8, s52, s48
	s_mul_i32 s8, s8, s96
	s_sub_i32 s8, s52, s8
	s_sub_i32 s48, s8, s96
	s_cmp_ge_u32 s8, s96
	s_cselect_b32 s8, s48, s8
	s_sub_i32 s48, s8, s96
	s_cmp_ge_u32 s8, s96
	s_cselect_b32 s98, s48, s8
	s_mov_b64 s[48:49], s[98:99]
.LBB134_251:                            ;   in Loop: Header=BB134_30 Depth=1
	s_sub_u32 s52, s52, s48
	s_subb_u32 s53, s9, s49
	v_cmp_gt_u64_e32 vcc, s[52:53], v[0:1]
	s_mov_b64 s[48:49], 0
	s_mov_b64 s[8:9], 0
                                        ; implicit-def: $vgpr40
	s_and_saveexec_b64 s[50:51], vcc
	s_cbranch_execz .LBB134_263
; %bb.252:                              ;   in Loop: Header=BB134_30 Depth=1
	v_mov_b32_e32 v8, v29
	v_mov_b64_e32 v[4:5], v[0:1]
                                        ; implicit-def: $sgpr54_sgpr55
	s_branch .LBB134_256
.LBB134_253:                            ;   in Loop: Header=BB134_256 Depth=2
	s_or_b64 exec, exec, s[60:61]
	s_waitcnt lgkmcnt(0)
	s_barrier
	ds_read_b32 v9, v3 offset:3072
	s_waitcnt lgkmcnt(0)
	s_barrier
	v_cmp_neq_f16_e32 vcc, 0, v9
	s_cbranch_vccnz .LBB134_259
; %bb.254:                              ;   in Loop: Header=BB134_256 Depth=2
	v_lshl_add_u64 v[4:5], v[4:5], 0, s[96:97]
	v_cmp_le_u64_e32 vcc, s[52:53], v[4:5]
	v_add_u32_e32 v8, s77, v8
	s_mov_b64 s[60:61], 0
	s_orn2_b64 s[62:63], vcc, exec
.LBB134_255:                            ;   in Loop: Header=BB134_256 Depth=2
	s_and_b64 s[62:63], exec, s[62:63]
	s_or_b64 s[8:9], s[62:63], s[8:9]
	s_andn2_b64 s[54:55], s[54:55], exec
	s_and_b64 s[60:61], s[60:61], exec
	s_or_b64 s[54:55], s[54:55], s[60:61]
	s_andn2_b64 exec, exec, s[8:9]
	s_cbranch_execz .LBB134_262
.LBB134_256:                            ;   Parent Loop BB134_30 Depth=1
                                        ; =>  This Inner Loop Header: Depth=2
	v_cmp_gt_u64_e32 vcc, s[14:15], v[4:5]
	s_and_saveexec_b64 s[60:61], vcc
	s_cbranch_execz .LBB134_253
; %bb.257:                              ;   in Loop: Header=BB134_256 Depth=2
	ds_read_u16 v9, v8
	s_waitcnt lgkmcnt(0)
	v_cmp_lt_i16_e32 vcc, -1, v9
	s_nop 1
	v_cndmask_b32_e32 v10, v35, v36, vcc
	v_xor_b32_sdwa v10, v10, v9 dst_sel:DWORD dst_unused:UNUSED_PAD src0_sel:DWORD src1_sel:WORD_0
	v_cmp_o_f16_e32 vcc, v9, v9
	s_nop 1
	v_cndmask_b32_e32 v10, v35, v10, vcc
	v_and_b32_e32 v10, v10, v39
	v_cmp_eq_u32_e32 vcc, v10, v18
	s_and_b64 exec, exec, vcc
	s_cbranch_execz .LBB134_253
; %bb.258:                              ;   in Loop: Header=BB134_256 Depth=2
	v_perm_b32 v9, v9, s6, v38
	ds_write_b32 v3, v9 offset:3072
	s_branch .LBB134_253
.LBB134_259:                            ;   in Loop: Header=BB134_256 Depth=2
	s_mov_b64 s[62:63], -1
                                        ; implicit-def: $vgpr4_vgpr5
                                        ; implicit-def: $vgpr8
	s_mov_b64 s[60:61], -1
	s_branch .LBB134_255
.LBB134_260:                            ;   in Loop: Header=BB134_30 Depth=1
                                        ; implicit-def: $sgpr42_sgpr43
	s_branch .LBB134_203
.LBB134_261:                            ;   in Loop: Header=BB134_30 Depth=1
                                        ; implicit-def: $sgpr14_sgpr15
	s_branch .LBB134_220
.LBB134_262:                            ;   in Loop: Header=BB134_30 Depth=1
	s_or_b64 exec, exec, s[8:9]
	v_lshrrev_b32_e32 v40, 16, v9
	s_and_b64 s[8:9], s[54:55], exec
.LBB134_263:                            ;   in Loop: Header=BB134_30 Depth=1
	s_or_b64 exec, exec, s[50:51]
.LBB134_264:                            ;   in Loop: Header=BB134_30 Depth=1
	s_and_b64 vcc, exec, s[48:49]
	s_cbranch_vccz .LBB134_279
; %bb.265:                              ;   in Loop: Header=BB134_30 Depth=1
	s_mov_b32 s68, s99
	s_cmp_lg_u64 s[68:69], 0
	s_cbranch_scc0 .LBB134_300
; %bb.266:                              ;   in Loop: Header=BB134_30 Depth=1
	v_cvt_f32_u32_e32 v4, s96
	s_sub_u32 s44, 0, s96
	s_subb_u32 s45, 0, 0
	v_fmac_f32_e32 v4, 0, v37
	v_rcp_f32_e32 v4, v4
	s_nop 0
	v_mul_f32_e32 v4, 0x5f7ffffc, v4
	v_mul_f32_e32 v5, 0x2f800000, v4
	v_trunc_f32_e32 v5, v5
	v_fmac_f32_e32 v4, 0xcf800000, v5
	v_cvt_u32_f32_e32 v5, v5
	v_cvt_u32_f32_e32 v4, v4
	v_readfirstlane_b32 s46, v5
	v_readfirstlane_b32 s14, v4
	s_mul_i32 s15, s44, s46
	s_mul_hi_u32 s48, s44, s14
	s_mul_i32 s47, s45, s14
	s_add_i32 s15, s48, s15
	s_mul_i32 s49, s44, s14
	s_add_i32 s15, s15, s47
	s_mul_hi_u32 s48, s14, s49
	s_mul_i32 s50, s14, s15
	s_mul_hi_u32 s47, s14, s15
	s_add_u32 s48, s48, s50
	s_addc_u32 s47, 0, s47
	s_mul_hi_u32 s51, s46, s49
	s_mul_i32 s49, s46, s49
	s_add_u32 s48, s48, s49
	s_mul_hi_u32 s50, s46, s15
	s_addc_u32 s47, s47, s51
	s_addc_u32 s48, s50, 0
	s_mul_i32 s15, s46, s15
	s_add_u32 s15, s47, s15
	s_addc_u32 s47, 0, s48
	s_add_u32 s48, s14, s15
	s_cselect_b64 s[14:15], -1, 0
	s_cmp_lg_u64 s[14:15], 0
	s_addc_u32 s46, s46, s47
	s_mul_i32 s14, s44, s46
	s_mul_hi_u32 s15, s44, s48
	s_add_i32 s14, s15, s14
	s_mul_i32 s45, s45, s48
	s_add_i32 s14, s14, s45
	s_mul_i32 s44, s44, s48
	s_mul_hi_u32 s45, s46, s44
	s_mul_i32 s47, s46, s44
	s_mul_i32 s50, s48, s14
	s_mul_hi_u32 s44, s48, s44
	s_mul_hi_u32 s49, s48, s14
	s_add_u32 s44, s44, s50
	s_addc_u32 s49, 0, s49
	s_add_u32 s44, s44, s47
	s_mul_hi_u32 s15, s46, s14
	s_addc_u32 s44, s49, s45
	s_addc_u32 s15, s15, 0
	s_mul_i32 s14, s46, s14
	s_add_u32 s14, s44, s14
	s_addc_u32 s44, 0, s15
	s_add_u32 s45, s48, s14
	s_cselect_b64 s[14:15], -1, 0
	s_cmp_lg_u64 s[14:15], 0
	s_addc_u32 s14, s46, s44
	s_mul_i32 s44, s31, s14
	s_mul_hi_u32 s46, s31, s45
	s_mul_hi_u32 s15, s31, s14
	s_add_u32 s44, s46, s44
	s_addc_u32 s15, 0, s15
	s_mul_hi_u32 s47, s69, s45
	s_mul_i32 s45, s69, s45
	s_add_u32 s44, s44, s45
	s_mul_hi_u32 s46, s69, s14
	s_addc_u32 s15, s15, s47
	s_addc_u32 s44, s46, 0
	s_mul_i32 s14, s69, s14
	s_add_u32 s14, s15, s14
	s_addc_u32 s15, 0, s44
	s_mul_i32 s15, s96, s15
	s_mul_hi_u32 s44, s96, s14
	s_add_i32 s44, s44, s15
	s_mul_i32 s14, s96, s14
	s_sub_u32 s45, s31, s14
	s_cselect_b64 s[14:15], -1, 0
	s_cmp_lg_u64 s[14:15], 0
	s_subb_u32 s44, s69, s44
	s_sub_u32 s46, s45, s96
	s_cselect_b64 s[14:15], -1, 0
	s_cmp_lg_u64 s[14:15], 0
	s_subb_u32 s47, s44, 0
	;; [unrolled: 4-line block ×3, first 2 shown]
	s_cmp_ge_u32 s46, s96
	s_cselect_b32 s15, -1, 0
	s_cmp_eq_u32 s47, 0
	s_cselect_b32 s15, s15, -1
	s_cmp_lg_u32 s15, 0
	s_cselect_b32 s14, s14, s47
	s_cselect_b32 s46, s48, s46
	s_cmp_ge_u32 s45, s96
	s_cselect_b32 s15, -1, 0
	s_cmp_eq_u32 s44, 0
	s_cselect_b32 s15, s15, -1
	s_cmp_lg_u32 s15, 0
	s_cselect_b32 s15, s14, s44
	s_cselect_b32 s14, s46, s45
	s_cbranch_execnz .LBB134_268
.LBB134_267:                            ;   in Loop: Header=BB134_30 Depth=1
	v_cvt_f32_u32_e32 v4, s96
	s_sub_i32 s14, 0, s96
	v_rcp_iflag_f32_e32 v4, v4
	s_nop 0
	v_mul_f32_e32 v4, 0x4f7ffffe, v4
	v_cvt_u32_f32_e32 v4, v4
	s_nop 0
	v_readfirstlane_b32 s15, v4
	s_mul_i32 s14, s14, s15
	s_mul_hi_u32 s14, s15, s14
	s_add_i32 s15, s15, s14
	s_mul_hi_u32 s14, s31, s15
	s_mul_i32 s14, s14, s96
	s_sub_i32 s14, s31, s14
	s_sub_i32 s15, s14, s96
	s_cmp_ge_u32 s14, s96
	s_cselect_b32 s14, s15, s14
	s_sub_i32 s15, s14, s96
	s_cmp_ge_u32 s14, s96
	s_cselect_b32 s98, s15, s14
	s_mov_b64 s[14:15], s[98:99]
.LBB134_268:                            ;   in Loop: Header=BB134_30 Depth=1
	s_sub_u32 s44, s31, s14
	s_subb_u32 s45, s69, s15
	v_cmp_gt_u64_e32 vcc, s[44:45], v[0:1]
                                        ; implicit-def: $vgpr40
	s_and_saveexec_b64 s[14:15], vcc
	s_cbranch_execz .LBB134_278
; %bb.269:                              ;   in Loop: Header=BB134_30 Depth=1
	s_mov_b64 s[46:47], 0
	v_mov_b64_e32 v[4:5], v[0:1]
                                        ; implicit-def: $sgpr48_sgpr49
	s_branch .LBB134_273
.LBB134_270:                            ;   in Loop: Header=BB134_273 Depth=2
	s_or_b64 exec, exec, s[50:51]
	s_waitcnt lgkmcnt(0)
	s_barrier
	ds_read_b32 v8, v3 offset:3072
	s_waitcnt lgkmcnt(0)
	s_barrier
	v_cmp_eq_f16_e32 vcc, 0, v8
	s_cbranch_vccz .LBB134_276
; %bb.271:                              ;   in Loop: Header=BB134_273 Depth=2
	v_lshl_add_u64 v[4:5], v[4:5], 0, s[96:97]
	v_cmp_le_u64_e32 vcc, s[44:45], v[4:5]
	s_mov_b64 s[50:51], 0
	s_orn2_b64 s[52:53], vcc, exec
.LBB134_272:                            ;   in Loop: Header=BB134_273 Depth=2
	s_and_b64 s[52:53], exec, s[52:53]
	s_or_b64 s[46:47], s[52:53], s[46:47]
	s_andn2_b64 s[48:49], s[48:49], exec
	s_and_b64 s[50:51], s[50:51], exec
	s_or_b64 s[48:49], s[48:49], s[50:51]
	s_andn2_b64 exec, exec, s[46:47]
	s_cbranch_execz .LBB134_277
.LBB134_273:                            ;   Parent Loop BB134_30 Depth=1
                                        ; =>  This Inner Loop Header: Depth=2
	v_cmp_gt_u64_e32 vcc, s[56:57], v[4:5]
	s_and_saveexec_b64 s[50:51], vcc
	s_cbranch_execz .LBB134_270
; %bb.274:                              ;   in Loop: Header=BB134_273 Depth=2
	v_mul_lo_u32 v10, v5, s82
	v_mul_lo_u32 v11, v4, s83
	v_mad_u64_u32 v[8:9], s[52:53], v4, s82, 0
	v_add3_u32 v9, v9, v11, v10
	v_lshl_add_u64 v[8:9], v[8:9], 1, s[90:91]
	global_load_ushort v8, v[8:9], off
	s_waitcnt vmcnt(0)
	v_cmp_lt_i16_e32 vcc, -1, v8
	s_nop 1
	v_cndmask_b32_e32 v9, v35, v36, vcc
	v_xor_b32_sdwa v9, v9, v8 dst_sel:DWORD dst_unused:UNUSED_PAD src0_sel:DWORD src1_sel:WORD_0
	v_cmp_o_f16_e32 vcc, v8, v8
	s_nop 1
	v_cndmask_b32_e32 v9, v35, v9, vcc
	v_and_b32_e32 v9, v9, v39
	v_cmp_eq_u32_e32 vcc, v9, v18
	s_and_b64 exec, exec, vcc
	s_cbranch_execz .LBB134_270
; %bb.275:                              ;   in Loop: Header=BB134_273 Depth=2
	v_perm_b32 v8, v8, s6, v38
	ds_write_b32 v3, v8 offset:3072
	s_branch .LBB134_270
.LBB134_276:                            ;   in Loop: Header=BB134_273 Depth=2
	s_mov_b64 s[52:53], -1
                                        ; implicit-def: $vgpr4_vgpr5
	s_mov_b64 s[50:51], -1
	s_branch .LBB134_272
.LBB134_277:                            ;   in Loop: Header=BB134_30 Depth=1
	s_or_b64 exec, exec, s[46:47]
	s_andn2_b64 s[8:9], s[8:9], exec
	s_and_b64 s[44:45], s[48:49], exec
	v_lshrrev_b32_e32 v40, 16, v8
	s_or_b64 s[8:9], s[8:9], s[44:45]
.LBB134_278:                            ;   in Loop: Header=BB134_30 Depth=1
	s_or_b64 exec, exec, s[14:15]
	s_mov_b64 s[44:45], 0
	s_mov_b64 s[46:47], -1
.LBB134_279:                            ;   in Loop: Header=BB134_30 Depth=1
	s_orn2_b64 s[14:15], s[8:9], exec
.LBB134_280:                            ;   in Loop: Header=BB134_30 Depth=1
	s_or_b64 exec, exec, s[42:43]
	s_mov_b64 s[42:43], 0
	s_and_saveexec_b64 s[8:9], s[14:15]
	s_cbranch_execz .LBB134_291
; %bb.281:                              ;   in Loop: Header=BB134_30 Depth=1
	s_xor_b64 s[40:41], s[40:41], -1
	v_mov_b64_e32 v[4:5], 1
	v_mov_b32_e32 v2, 1
	s_and_saveexec_b64 s[14:15], s[40:41]
	s_cbranch_execz .LBB134_290
; %bb.282:                              ;   in Loop: Header=BB134_30 Depth=1
	v_cmp_ge_u64_e32 vcc, s[2:3], v[6:7]
	s_and_saveexec_b64 s[40:41], vcc
	s_xor_b64 s[40:41], exec, s[40:41]
	s_cbranch_execz .LBB134_287
; %bb.283:                              ;   in Loop: Header=BB134_30 Depth=1
	ds_read_b64 v[4:5], v3 offset:5120
	v_or_b32_e32 v18, s64, v18
	v_or_b32_e32 v39, s64, v39
	s_waitcnt lgkmcnt(0)
	v_cmp_ne_u64_e32 vcc, 0, v[4:5]
	s_cbranch_vccnz .LBB134_287
; %bb.284:                              ;   in Loop: Header=BB134_30 Depth=1
	s_mov_b64 s[42:43], exec
	v_readlane_b32 s48, v61, 36
	v_readlane_b32 s49, v61, 37
	s_and_b64 s[48:49], s[42:43], s[48:49]
	s_mov_b64 exec, s[48:49]
; %bb.285:                              ;   in Loop: Header=BB134_30 Depth=1
	v_mov_b64_e32 v[4:5], s[2:3]
	ds_write_b64 v3, v[4:5] offset:5128
; %bb.286:                              ;   in Loop: Header=BB134_30 Depth=1
	s_or_b64 exec, exec, s[42:43]
	s_waitcnt lgkmcnt(0)
	s_barrier
.LBB134_287:                            ;   in Loop: Header=BB134_30 Depth=1
	s_andn2_saveexec_b64 s[40:41], s[40:41]
; %bb.288:                              ;   in Loop: Header=BB134_30 Depth=1
	v_mov_b32_e32 v2, s3
	v_subrev_co_u32_e32 v6, vcc, s2, v6
	s_nop 1
	v_subb_co_u32_e32 v7, vcc, v7, v2, vcc
; %bb.289:                              ;   in Loop: Header=BB134_30 Depth=1
	s_or_b64 exec, exec, s[40:41]
	v_mov_b32_e32 v2, 8
	v_mov_b64_e32 v[4:5], v[6:7]
.LBB134_290:                            ;   in Loop: Header=BB134_30 Depth=1
	s_or_b64 exec, exec, s[14:15]
	s_mov_b64 s[42:43], exec
	v_mov_b64_e32 v[6:7], v[4:5]
.LBB134_291:                            ;   in Loop: Header=BB134_30 Depth=1
	s_or_b64 exec, exec, s[8:9]
	s_orn2_b64 s[8:9], s[42:43], exec
.LBB134_292:                            ;   in Loop: Header=BB134_30 Depth=1
	s_or_b64 exec, exec, s[22:23]
	s_andn2_b64 s[2:3], s[36:37], exec
	s_and_b64 s[14:15], s[46:47], exec
	s_or_b64 s[36:37], s[2:3], s[14:15]
	s_andn2_b64 s[2:3], s[34:35], exec
	s_and_b64 s[14:15], s[44:45], exec
	s_or_b64 s[34:35], s[2:3], s[14:15]
	s_and_b64 s[14:15], s[8:9], exec
	v_mov_b64_e32 v[4:5], v[6:7]
.LBB134_293:                            ;   in Loop: Header=BB134_30 Depth=1
	s_or_b64 exec, exec, s[38:39]
	s_orn2_b64 s[8:9], s[14:15], exec
.LBB134_294:                            ;   in Loop: Header=BB134_30 Depth=1
	s_or_b64 exec, exec, s[28:29]
	s_andn2_b64 s[2:3], s[24:25], exec
	s_and_b64 s[14:15], s[36:37], exec
	s_or_b64 s[24:25], s[2:3], s[14:15]
	s_andn2_b64 s[0:1], s[0:1], exec
	s_and_b64 s[2:3], s[34:35], exec
	s_or_b64 s[0:1], s[0:1], s[2:3]
	s_and_b64 s[14:15], s[8:9], exec
	v_mov_b64_e32 v[8:9], v[4:5]
.LBB134_295:                            ;   in Loop: Header=BB134_30 Depth=1
	s_or_b64 exec, exec, s[26:27]
	s_orn2_b64 s[8:9], s[14:15], exec
.LBB134_296:                            ;   in Loop: Header=BB134_30 Depth=1
	s_or_b64 exec, exec, s[20:21]
	s_mov_b64 s[14:15], 0
	s_and_saveexec_b64 s[2:3], s[8:9]
	s_xor_b64 s[2:3], exec, s[2:3]
	s_cbranch_execz .LBB134_28
; %bb.297:                              ;   in Loop: Header=BB134_30 Depth=1
	v_and_b32_e32 v2, 7, v2
	v_cmp_eq_u32_e32 vcc, 0, v2
	s_mov_b64 s[8:9], -1
	s_mov_b64 s[14:15], -1
	s_and_saveexec_b64 s[18:19], vcc
	s_cbranch_execz .LBB134_27
; %bb.298:                              ;   in Loop: Header=BB134_30 Depth=1
	s_xor_b32 s88, s88, 1
	s_add_i32 s20, s86, -2
	s_cmp_eq_u32 s86, 0
	s_cselect_b64 s[8:9], -1, 0
	s_xor_b64 s[14:15], exec, -1
	s_orn2_b64 s[8:9], s[8:9], exec
	s_mov_b32 s86, s20
	s_branch .LBB134_27
.LBB134_299:                            ;   in Loop: Header=BB134_30 Depth=1
                                        ; implicit-def: $sgpr48_sgpr49
	s_branch .LBB134_250
.LBB134_300:                            ;   in Loop: Header=BB134_30 Depth=1
                                        ; implicit-def: $sgpr14_sgpr15
	s_branch .LBB134_267
.LBB134_301:
	s_or_b64 exec, exec, s[12:13]
	s_xor_b64 s[4:5], s[72:73], -1
	s_xor_b64 s[2:3], s[92:93], -1
	s_xor_b64 s[6:7], s[10:11], -1
	s_mov_b64 s[0:1], 0
	s_and_saveexec_b64 s[8:9], s[2:3]
	s_xor_b64 s[2:3], exec, s[8:9]
	s_cbranch_execnz .LBB134_306
; %bb.302:
	s_andn2_saveexec_b64 s[2:3], s[2:3]
	s_cbranch_execnz .LBB134_319
.LBB134_303:
	s_or_b64 exec, exec, s[2:3]
	s_and_saveexec_b64 s[2:3], s[0:1]
.LBB134_304:
	; divergent unreachable
.LBB134_305:
	s_endpgm
.LBB134_306:
	s_and_saveexec_b64 s[0:1], s[4:5]
	s_xor_b64 s[4:5], exec, s[0:1]
	s_cbranch_execz .LBB134_317
; %bb.307:
	s_and_saveexec_b64 s[0:1], s[6:7]
	s_xor_b64 s[0:1], exec, s[0:1]
; %bb.308:
	v_and_b32_e32 v2, 0x8000, v18
	v_mov_b32_e32 v3, 0x8000
	v_mov_b32_e32 v4, 0xffff
	v_cmp_eq_u32_e32 vcc, 0, v2
	s_nop 1
	v_cndmask_b32_e32 v2, v3, v4, vcc
	v_xor_b32_e32 v40, v2, v18
; %bb.309:
	s_or_b64 exec, exec, s[0:1]
	v_readlane_b32 s8, v61, 8
	v_readlane_b32 s0, v61, 4
	;; [unrolled: 1-line block ×4, first 2 shown]
	s_mov_b32 s14, s0
	s_mul_i32 s0, s0, s9
	s_mul_hi_u32 s1, s14, s8
	s_add_i32 s1, s1, s0
	s_mul_i32 s0, s14, s8
	v_readlane_b32 s12, v61, 6
	v_readlane_b32 s16, v61, 24
	;; [unrolled: 1-line block ×3, first 2 shown]
	s_sub_u32 s0, s12, s0
	v_readlane_b32 s18, v61, 26
	v_readlane_b32 s19, v61, 27
	s_subb_u32 s1, s13, s1
	s_mul_i32 s6, s0, s19
	s_mul_hi_u32 s7, s0, s18
	v_readlane_b32 s10, v61, 10
	v_readlane_b32 s11, v61, 11
	;; [unrolled: 1-line block ×3, first 2 shown]
	s_add_i32 s6, s7, s6
	s_mul_i32 s1, s1, s18
	s_add_i32 s1, s6, s1
	s_mul_i32 s6, s14, s17
	s_mul_hi_u32 s7, s14, s16
	s_mul_i32 s8, s12, s11
	s_mul_hi_u32 s9, s12, s10
	s_add_i32 s7, s7, s6
	s_add_i32 s9, s9, s8
	s_mul_i32 s8, s12, s10
	v_readlane_b32 s10, v61, 32
	v_readlane_b32 s12, v61, 22
	;; [unrolled: 1-line block ×3, first 2 shown]
	s_sub_u32 s8, s10, s8
	v_readlane_b32 s13, v61, 23
	s_subb_u32 s9, 0, s9
	s_mul_i32 s10, s8, s13
	s_mul_hi_u32 s11, s8, s12
	s_mul_i32 s6, s14, s16
	s_add_i32 s10, s11, s10
	s_mul_i32 s9, s9, s12
	s_add_i32 s9, s10, s9
	s_lshl_b64 s[6:7], s[6:7], 1
	v_readlane_b32 s10, v61, 30
	s_mul_i32 s0, s0, s18
	v_readlane_b32 s11, v61, 31
	s_add_u32 s6, s10, s6
	s_addc_u32 s7, s11, s7
	s_lshl_b64 s[0:1], s[0:1], 1
	s_mul_i32 s8, s8, s12
	s_add_u32 s6, s6, s0
	s_addc_u32 s7, s7, s1
	s_lshl_b64 s[0:1], s[8:9], 1
	s_add_u32 s0, s6, s0
	s_addc_u32 s1, s7, s1
	v_mov_b32_e32 v2, 0
	global_store_short v2, v40, s[0:1]
	s_mov_b64 s[6:7], exec
	v_readlane_b32 s0, v61, 34
	v_readlane_b32 s1, v61, 35
	s_and_b64 s[0:1], s[6:7], s[0:1]
	s_mov_b64 exec, s[0:1]
	s_cbranch_execz .LBB134_316
; %bb.310:
	v_cmp_u_f16_e32 vcc, v40, v40
	s_mov_b64 s[8:9], 0
	s_xor_b64 s[12:13], vcc, -1
                                        ; implicit-def: $sgpr10_sgpr11
                                        ; implicit-def: $sgpr16_sgpr17
                                        ; implicit-def: $sgpr14_sgpr15
	s_branch .LBB134_312
.LBB134_311:                            ;   in Loop: Header=BB134_312 Depth=1
	s_or_b64 exec, exec, s[0:1]
	s_and_b64 s[0:1], exec, s[16:17]
	s_or_b64 s[8:9], s[0:1], s[8:9]
	s_andn2_b64 s[0:1], s[10:11], exec
	s_and_b64 s[10:11], s[14:15], exec
	s_or_b64 s[10:11], s[0:1], s[10:11]
	s_andn2_b64 exec, exec, s[8:9]
	s_cbranch_execz .LBB134_314
.LBB134_312:                            ; =>This Inner Loop Header: Depth=1
	v_mov_b64_e32 v[2:3], v[0:1]
	v_mul_lo_u32 v4, v3, s82
	v_mul_lo_u32 v5, v2, s83
	v_mad_u64_u32 v[0:1], s[0:1], v2, s82, 0
	v_add3_u32 v1, v1, v5, v4
	v_lshl_add_u64 v[0:1], v[0:1], 1, s[90:91]
	global_load_ushort v0, v[0:1], off
	s_or_b64 s[14:15], s[14:15], exec
	s_or_b64 s[16:17], s[16:17], exec
	s_waitcnt vmcnt(0)
	v_cmp_o_f16_e64 s[0:1], v0, v0
	v_cmp_neq_f16_e32 vcc, v0, v40
	s_or_b64 s[0:1], s[12:13], s[0:1]
	s_and_b64 s[18:19], vcc, s[0:1]
                                        ; implicit-def: $vgpr0_vgpr1
	s_and_saveexec_b64 s[0:1], s[18:19]
	s_cbranch_execz .LBB134_311
; %bb.313:                              ;   in Loop: Header=BB134_312 Depth=1
	v_lshl_add_u64 v[0:1], v[2:3], 0, s[96:97]
	v_cmp_le_u64_e32 vcc, s[56:57], v[0:1]
	s_andn2_b64 s[16:17], s[16:17], exec
	s_and_b64 s[18:19], vcc, exec
	s_andn2_b64 s[14:15], s[14:15], exec
	s_or_b64 s[16:17], s[16:17], s[18:19]
	s_branch .LBB134_311
.LBB134_314:
	s_or_b64 exec, exec, s[8:9]
	s_and_saveexec_b64 s[0:1], s[10:11]
	s_xor_b64 s[0:1], exec, s[0:1]
	s_cbranch_execz .LBB134_316
; %bb.315:
	v_readlane_b32 s12, v61, 0
	v_readlane_b32 s0, v61, 12
	;; [unrolled: 1-line block ×4, first 2 shown]
	s_mov_b32 s10, s0
	s_mul_i32 s0, s0, s13
	s_mul_hi_u32 s1, s10, s12
	s_add_i32 s1, s1, s0
	s_mul_i32 s0, s10, s12
	v_readlane_b32 s12, v61, 14
	v_readlane_b32 s16, v61, 18
	;; [unrolled: 1-line block ×3, first 2 shown]
	s_sub_u32 s0, s12, s0
	v_readlane_b32 s18, v61, 20
	v_readlane_b32 s19, v61, 21
	s_subb_u32 s1, s13, s1
	s_mul_i32 s8, s0, s19
	s_mul_hi_u32 s9, s0, s18
	v_readlane_b32 s17, v61, 19
	s_add_i32 s8, s9, s8
	s_mul_i32 s1, s1, s18
	v_readlane_b32 s14, v61, 2
	v_readlane_b32 s15, v61, 3
	s_add_i32 s1, s8, s1
	s_mul_i32 s8, s10, s17
	s_mul_hi_u32 s9, s10, s16
	s_add_i32 s9, s9, s8
	s_mul_i32 s8, s10, s16
	s_mul_i32 s10, s12, s15
	s_mul_hi_u32 s11, s12, s14
	s_add_i32 s11, s11, s10
	s_mul_i32 s10, s12, s14
	v_readlane_b32 s12, v61, 32
	v_readlane_b32 s14, v61, 16
	;; [unrolled: 1-line block ×3, first 2 shown]
	s_sub_u32 s10, s12, s10
	v_readlane_b32 s15, v61, 17
	s_subb_u32 s11, 0, s11
	s_mul_i32 s12, s10, s15
	s_mul_hi_u32 s13, s10, s14
	s_add_i32 s12, s13, s12
	s_mul_i32 s11, s11, s14
	s_add_i32 s11, s12, s11
	s_lshl_b64 s[8:9], s[8:9], 3
	v_readlane_b32 s12, v61, 28
	s_mul_i32 s0, s0, s18
	v_readlane_b32 s13, v61, 29
	s_add_u32 s8, s12, s8
	s_addc_u32 s9, s13, s9
	s_lshl_b64 s[0:1], s[0:1], 3
	s_mul_i32 s10, s10, s14
	s_add_u32 s8, s8, s0
	s_addc_u32 s9, s9, s1
	s_lshl_b64 s[0:1], s[10:11], 3
	s_add_u32 s0, s8, s0
	s_addc_u32 s1, s9, s1
	v_mov_b32_e32 v0, 0
	global_store_dwordx2 v0, v[2:3], s[0:1]
.LBB134_316:
	s_or_b64 exec, exec, s[6:7]
.LBB134_317:
	s_or_saveexec_b64 s[0:1], s[4:5]
	s_mov_b64 s[4:5], 0
	s_xor_b64 exec, exec, s[0:1]
	s_cbranch_execnz .LBB134_320
.LBB134_318:
	s_or_b64 exec, exec, s[0:1]
	s_and_b64 s[0:1], s[4:5], exec
	s_andn2_saveexec_b64 s[2:3], s[2:3]
	s_cbranch_execz .LBB134_303
.LBB134_319:
	s_or_b64 s[0:1], s[0:1], exec
	s_trap 2
	s_or_b64 exec, exec, s[2:3]
	s_and_saveexec_b64 s[2:3], s[0:1]
	s_cbranch_execnz .LBB134_304
	s_branch .LBB134_305
.LBB134_320:
	s_mov_b64 s[4:5], exec
	s_trap 2
	s_branch .LBB134_318
	.section	.rodata,"a",@progbits
	.p2align	6, 0x0
	.amdhsa_kernel _ZN2at6native12_GLOBAL__N_112gatherMedianIN3c104HalfEmLi3EEEvNS_4cuda6detail10TensorInfoIT_T0_EENS7_IlS9_EENS7_IKS8_S9_EES9_S9_S9_b
		.amdhsa_group_segment_fixed_size 5152
		.amdhsa_private_segment_fixed_size 0
		.amdhsa_kernarg_size 1536
		.amdhsa_user_sgpr_count 2
		.amdhsa_user_sgpr_dispatch_ptr 0
		.amdhsa_user_sgpr_queue_ptr 0
		.amdhsa_user_sgpr_kernarg_segment_ptr 1
		.amdhsa_user_sgpr_dispatch_id 0
		.amdhsa_user_sgpr_kernarg_preload_length 0
		.amdhsa_user_sgpr_kernarg_preload_offset 0
		.amdhsa_user_sgpr_private_segment_size 0
		.amdhsa_uses_dynamic_stack 0
		.amdhsa_enable_private_segment 0
		.amdhsa_system_sgpr_workgroup_id_x 1
		.amdhsa_system_sgpr_workgroup_id_y 1
		.amdhsa_system_sgpr_workgroup_id_z 1
		.amdhsa_system_sgpr_workgroup_info 0
		.amdhsa_system_vgpr_workitem_id 0
		.amdhsa_next_free_vgpr 62
		.amdhsa_next_free_sgpr 100
		.amdhsa_accum_offset 64
		.amdhsa_reserve_vcc 1
		.amdhsa_float_round_mode_32 0
		.amdhsa_float_round_mode_16_64 0
		.amdhsa_float_denorm_mode_32 3
		.amdhsa_float_denorm_mode_16_64 3
		.amdhsa_dx10_clamp 1
		.amdhsa_ieee_mode 1
		.amdhsa_fp16_overflow 0
		.amdhsa_tg_split 0
		.amdhsa_exception_fp_ieee_invalid_op 0
		.amdhsa_exception_fp_denorm_src 0
		.amdhsa_exception_fp_ieee_div_zero 0
		.amdhsa_exception_fp_ieee_overflow 0
		.amdhsa_exception_fp_ieee_underflow 0
		.amdhsa_exception_fp_ieee_inexact 0
		.amdhsa_exception_int_div_zero 0
	.end_amdhsa_kernel
	.section	.text._ZN2at6native12_GLOBAL__N_112gatherMedianIN3c104HalfEmLi3EEEvNS_4cuda6detail10TensorInfoIT_T0_EENS7_IlS9_EENS7_IKS8_S9_EES9_S9_S9_b,"axG",@progbits,_ZN2at6native12_GLOBAL__N_112gatherMedianIN3c104HalfEmLi3EEEvNS_4cuda6detail10TensorInfoIT_T0_EENS7_IlS9_EENS7_IKS8_S9_EES9_S9_S9_b,comdat
.Lfunc_end134:
	.size	_ZN2at6native12_GLOBAL__N_112gatherMedianIN3c104HalfEmLi3EEEvNS_4cuda6detail10TensorInfoIT_T0_EENS7_IlS9_EENS7_IKS8_S9_EES9_S9_S9_b, .Lfunc_end134-_ZN2at6native12_GLOBAL__N_112gatherMedianIN3c104HalfEmLi3EEEvNS_4cuda6detail10TensorInfoIT_T0_EENS7_IlS9_EENS7_IKS8_S9_EES9_S9_S9_b
                                        ; -- End function
	.set _ZN2at6native12_GLOBAL__N_112gatherMedianIN3c104HalfEmLi3EEEvNS_4cuda6detail10TensorInfoIT_T0_EENS7_IlS9_EENS7_IKS8_S9_EES9_S9_S9_b.num_vgpr, 62
	.set _ZN2at6native12_GLOBAL__N_112gatherMedianIN3c104HalfEmLi3EEEvNS_4cuda6detail10TensorInfoIT_T0_EENS7_IlS9_EENS7_IKS8_S9_EES9_S9_S9_b.num_agpr, 0
	.set _ZN2at6native12_GLOBAL__N_112gatherMedianIN3c104HalfEmLi3EEEvNS_4cuda6detail10TensorInfoIT_T0_EENS7_IlS9_EENS7_IKS8_S9_EES9_S9_S9_b.numbered_sgpr, 100
	.set _ZN2at6native12_GLOBAL__N_112gatherMedianIN3c104HalfEmLi3EEEvNS_4cuda6detail10TensorInfoIT_T0_EENS7_IlS9_EENS7_IKS8_S9_EES9_S9_S9_b.num_named_barrier, 0
	.set _ZN2at6native12_GLOBAL__N_112gatherMedianIN3c104HalfEmLi3EEEvNS_4cuda6detail10TensorInfoIT_T0_EENS7_IlS9_EENS7_IKS8_S9_EES9_S9_S9_b.private_seg_size, 0
	.set _ZN2at6native12_GLOBAL__N_112gatherMedianIN3c104HalfEmLi3EEEvNS_4cuda6detail10TensorInfoIT_T0_EENS7_IlS9_EENS7_IKS8_S9_EES9_S9_S9_b.uses_vcc, 1
	.set _ZN2at6native12_GLOBAL__N_112gatherMedianIN3c104HalfEmLi3EEEvNS_4cuda6detail10TensorInfoIT_T0_EENS7_IlS9_EENS7_IKS8_S9_EES9_S9_S9_b.uses_flat_scratch, 0
	.set _ZN2at6native12_GLOBAL__N_112gatherMedianIN3c104HalfEmLi3EEEvNS_4cuda6detail10TensorInfoIT_T0_EENS7_IlS9_EENS7_IKS8_S9_EES9_S9_S9_b.has_dyn_sized_stack, 0
	.set _ZN2at6native12_GLOBAL__N_112gatherMedianIN3c104HalfEmLi3EEEvNS_4cuda6detail10TensorInfoIT_T0_EENS7_IlS9_EENS7_IKS8_S9_EES9_S9_S9_b.has_recursion, 0
	.set _ZN2at6native12_GLOBAL__N_112gatherMedianIN3c104HalfEmLi3EEEvNS_4cuda6detail10TensorInfoIT_T0_EENS7_IlS9_EENS7_IKS8_S9_EES9_S9_S9_b.has_indirect_call, 0
	.section	.AMDGPU.csdata,"",@progbits
; Kernel info:
; codeLenInByte = 17480
; TotalNumSgprs: 106
; NumVgprs: 62
; NumAgprs: 0
; TotalNumVgprs: 62
; ScratchSize: 0
; MemoryBound: 0
; FloatMode: 240
; IeeeMode: 1
; LDSByteSize: 5152 bytes/workgroup (compile time only)
; SGPRBlocks: 13
; VGPRBlocks: 7
; NumSGPRsForWavesPerEU: 106
; NumVGPRsForWavesPerEU: 62
; AccumOffset: 64
; Occupancy: 7
; WaveLimiterHint : 1
; COMPUTE_PGM_RSRC2:SCRATCH_EN: 0
; COMPUTE_PGM_RSRC2:USER_SGPR: 2
; COMPUTE_PGM_RSRC2:TRAP_HANDLER: 0
; COMPUTE_PGM_RSRC2:TGID_X_EN: 1
; COMPUTE_PGM_RSRC2:TGID_Y_EN: 1
; COMPUTE_PGM_RSRC2:TGID_Z_EN: 1
; COMPUTE_PGM_RSRC2:TIDIG_COMP_CNT: 0
; COMPUTE_PGM_RSRC3_GFX90A:ACCUM_OFFSET: 15
; COMPUTE_PGM_RSRC3_GFX90A:TG_SPLIT: 0
	.section	.text._ZN2at6native12_GLOBAL__N_112gatherMedianIN3c104HalfEmLin1EEEvNS_4cuda6detail10TensorInfoIT_T0_EENS7_IlS9_EENS7_IKS8_S9_EES9_S9_S9_b,"axG",@progbits,_ZN2at6native12_GLOBAL__N_112gatherMedianIN3c104HalfEmLin1EEEvNS_4cuda6detail10TensorInfoIT_T0_EENS7_IlS9_EENS7_IKS8_S9_EES9_S9_S9_b,comdat
	.globl	_ZN2at6native12_GLOBAL__N_112gatherMedianIN3c104HalfEmLin1EEEvNS_4cuda6detail10TensorInfoIT_T0_EENS7_IlS9_EENS7_IKS8_S9_EES9_S9_S9_b ; -- Begin function _ZN2at6native12_GLOBAL__N_112gatherMedianIN3c104HalfEmLin1EEEvNS_4cuda6detail10TensorInfoIT_T0_EENS7_IlS9_EENS7_IKS8_S9_EES9_S9_S9_b
	.p2align	8
	.type	_ZN2at6native12_GLOBAL__N_112gatherMedianIN3c104HalfEmLin1EEEvNS_4cuda6detail10TensorInfoIT_T0_EENS7_IlS9_EENS7_IKS8_S9_EES9_S9_S9_b,@function
_ZN2at6native12_GLOBAL__N_112gatherMedianIN3c104HalfEmLin1EEEvNS_4cuda6detail10TensorInfoIT_T0_EENS7_IlS9_EENS7_IKS8_S9_EES9_S9_S9_b: ; @_ZN2at6native12_GLOBAL__N_112gatherMedianIN3c104HalfEmLin1EEEvNS_4cuda6detail10TensorInfoIT_T0_EENS7_IlS9_EENS7_IKS8_S9_EES9_S9_S9_b
; %bb.0:
	s_load_dwordx2 s[10:11], s[0:1], 0x500
	s_load_dwordx4 s[56:59], s[0:1], 0x4e0
	s_add_u32 s12, s0, 0x500
	s_addc_u32 s13, s1, 0
	s_mov_b32 s5, 0
	s_waitcnt lgkmcnt(0)
	s_mul_i32 s4, s11, s4
	s_add_i32 s3, s4, s3
	s_mul_i32 s3, s3, s10
	s_add_i32 s4, s3, s2
	v_mov_b64_e32 v[2:3], s[4:5]
	v_cmp_le_u64_e32 vcc, s[58:59], v[2:3]
	s_cbranch_vccnz .LBB135_322
; %bb.1:
	s_load_dword s6, s[0:1], 0x198
	s_load_dwordx2 s[60:61], s[0:1], 0x4f0
	s_mov_b64 s[58:59], 0
	s_mov_b64 s[20:21], s[4:5]
	s_waitcnt lgkmcnt(0)
	s_cmp_lt_i32 s6, 2
	s_cbranch_scc1 .LBB135_9
; %bb.2:
	s_add_i32 s3, s6, 1
	s_add_i32 s8, s6, -1
	s_mov_b32 s6, 0
	s_mov_b32 s9, s6
	s_lshl_b64 s[8:9], s[8:9], 3
	s_add_u32 s7, s0, s8
	s_addc_u32 s9, s1, s9
	s_add_u32 s8, s7, 8
	s_addc_u32 s9, s9, 0
	s_mov_b64 s[14:15], s[4:5]
.LBB135_3:                              ; =>This Inner Loop Header: Depth=1
	s_load_dwordx2 s[16:17], s[8:9], 0x0
	s_waitcnt lgkmcnt(0)
	s_or_b64 s[18:19], s[14:15], s[16:17]
	s_mov_b32 s7, s19
	s_cmp_lg_u64 s[6:7], 0
	s_cbranch_scc0 .LBB135_8
; %bb.4:                                ;   in Loop: Header=BB135_3 Depth=1
	v_cvt_f32_u32_e32 v1, s16
	v_cvt_f32_u32_e32 v2, s17
	s_sub_u32 s7, 0, s16
	s_subb_u32 s11, 0, s17
	v_fmac_f32_e32 v1, 0x4f800000, v2
	v_rcp_f32_e32 v1, v1
	s_nop 0
	v_mul_f32_e32 v1, 0x5f7ffffc, v1
	v_mul_f32_e32 v2, 0x2f800000, v1
	v_trunc_f32_e32 v2, v2
	v_fmac_f32_e32 v1, 0xcf800000, v2
	v_cvt_u32_f32_e32 v2, v2
	v_cvt_u32_f32_e32 v1, v1
	v_readfirstlane_b32 s20, v2
	v_readfirstlane_b32 s18, v1
	s_mul_i32 s19, s7, s20
	s_mul_hi_u32 s22, s7, s18
	s_mul_i32 s21, s11, s18
	s_add_i32 s19, s22, s19
	s_mul_i32 s23, s7, s18
	s_add_i32 s19, s19, s21
	s_mul_i32 s22, s18, s19
	s_mul_hi_u32 s24, s18, s23
	s_mul_hi_u32 s21, s18, s19
	s_add_u32 s22, s24, s22
	s_addc_u32 s21, 0, s21
	s_mul_hi_u32 s25, s20, s23
	s_mul_i32 s23, s20, s23
	s_add_u32 s22, s22, s23
	s_mul_hi_u32 s24, s20, s19
	s_addc_u32 s21, s21, s25
	s_addc_u32 s22, s24, 0
	s_mul_i32 s19, s20, s19
	s_add_u32 s19, s21, s19
	s_addc_u32 s21, 0, s22
	s_add_u32 s22, s18, s19
	s_cselect_b64 s[18:19], -1, 0
	s_cmp_lg_u64 s[18:19], 0
	s_addc_u32 s20, s20, s21
	s_mul_i32 s18, s7, s20
	s_mul_hi_u32 s19, s7, s22
	s_add_i32 s18, s19, s18
	s_mul_i32 s11, s11, s22
	s_add_i32 s18, s18, s11
	s_mul_i32 s7, s7, s22
	s_mul_hi_u32 s19, s20, s7
	s_mul_i32 s21, s20, s7
	s_mul_i32 s24, s22, s18
	s_mul_hi_u32 s7, s22, s7
	s_mul_hi_u32 s23, s22, s18
	s_add_u32 s7, s7, s24
	s_addc_u32 s23, 0, s23
	s_add_u32 s7, s7, s21
	s_mul_hi_u32 s11, s20, s18
	s_addc_u32 s7, s23, s19
	s_addc_u32 s11, s11, 0
	s_mul_i32 s18, s20, s18
	s_add_u32 s7, s7, s18
	s_addc_u32 s11, 0, s11
	s_add_u32 s7, s22, s7
	s_cselect_b64 s[18:19], -1, 0
	s_cmp_lg_u64 s[18:19], 0
	s_addc_u32 s11, s20, s11
	s_mul_i32 s19, s14, s11
	s_mul_hi_u32 s20, s14, s7
	s_mul_hi_u32 s18, s14, s11
	s_add_u32 s19, s20, s19
	s_addc_u32 s18, 0, s18
	s_mul_hi_u32 s21, s15, s7
	s_mul_i32 s7, s15, s7
	s_add_u32 s7, s19, s7
	s_mul_hi_u32 s20, s15, s11
	s_addc_u32 s7, s18, s21
	s_addc_u32 s18, s20, 0
	s_mul_i32 s11, s15, s11
	s_add_u32 s7, s7, s11
	s_addc_u32 s11, 0, s18
	s_mul_i32 s18, s16, s11
	s_mul_hi_u32 s19, s16, s7
	s_add_i32 s18, s19, s18
	s_mul_i32 s19, s17, s7
	s_add_i32 s22, s18, s19
	s_sub_i32 s20, s15, s22
	s_mul_i32 s18, s16, s7
	s_sub_u32 s23, s14, s18
	s_cselect_b64 s[18:19], -1, 0
	s_cmp_lg_u64 s[18:19], 0
	s_subb_u32 s24, s20, s17
	s_sub_u32 s25, s23, s16
	s_cselect_b64 s[20:21], -1, 0
	s_cmp_lg_u64 s[20:21], 0
	s_subb_u32 s20, s24, 0
	s_cmp_ge_u32 s20, s17
	s_cselect_b32 s21, -1, 0
	s_cmp_ge_u32 s25, s16
	s_cselect_b32 s24, -1, 0
	s_cmp_eq_u32 s20, s17
	s_cselect_b32 s20, s24, s21
	s_add_u32 s21, s7, 1
	s_addc_u32 s24, s11, 0
	s_add_u32 s25, s7, 2
	s_addc_u32 s26, s11, 0
	s_cmp_lg_u32 s20, 0
	s_cselect_b32 s20, s25, s21
	s_cselect_b32 s21, s26, s24
	s_cmp_lg_u64 s[18:19], 0
	s_subb_u32 s18, s15, s22
	s_cmp_ge_u32 s18, s17
	s_cselect_b32 s19, -1, 0
	s_cmp_ge_u32 s23, s16
	s_cselect_b32 s22, -1, 0
	s_cmp_eq_u32 s18, s17
	s_cselect_b32 s18, s22, s19
	s_cmp_lg_u32 s18, 0
	s_cselect_b32 s21, s21, s11
	s_cselect_b32 s20, s20, s7
	s_cbranch_execnz .LBB135_6
.LBB135_5:                              ;   in Loop: Header=BB135_3 Depth=1
	v_cvt_f32_u32_e32 v1, s16
	s_sub_i32 s7, 0, s16
	s_mov_b32 s21, s6
	v_rcp_iflag_f32_e32 v1, v1
	s_nop 0
	v_mul_f32_e32 v1, 0x4f7ffffe, v1
	v_cvt_u32_f32_e32 v1, v1
	s_nop 0
	v_readfirstlane_b32 s11, v1
	s_mul_i32 s7, s7, s11
	s_mul_hi_u32 s7, s11, s7
	s_add_i32 s11, s11, s7
	s_mul_hi_u32 s7, s14, s11
	s_mul_i32 s18, s7, s16
	s_sub_i32 s18, s14, s18
	s_add_i32 s11, s7, 1
	s_sub_i32 s19, s18, s16
	s_cmp_ge_u32 s18, s16
	s_cselect_b32 s7, s11, s7
	s_cselect_b32 s18, s19, s18
	s_add_i32 s11, s7, 1
	s_cmp_ge_u32 s18, s16
	s_cselect_b32 s20, s11, s7
.LBB135_6:                              ;   in Loop: Header=BB135_3 Depth=1
	s_mul_i32 s7, s20, s17
	s_mul_hi_u32 s11, s20, s16
	s_load_dwordx2 s[18:19], s[8:9], 0xc8
	s_add_i32 s7, s11, s7
	s_mul_i32 s11, s21, s16
	s_add_i32 s7, s7, s11
	s_mul_i32 s11, s20, s16
	s_sub_u32 s11, s14, s11
	s_subb_u32 s7, s15, s7
	s_waitcnt lgkmcnt(0)
	s_mul_i32 s7, s18, s7
	s_mul_hi_u32 s14, s18, s11
	s_add_i32 s7, s14, s7
	s_mul_i32 s14, s19, s11
	s_add_i32 s7, s7, s14
	s_mul_i32 s11, s18, s11
	s_add_u32 s58, s11, s58
	s_addc_u32 s59, s7, s59
	s_add_i32 s3, s3, -1
	s_add_u32 s8, s8, -8
	s_addc_u32 s9, s9, -1
	s_cmp_gt_u32 s3, 2
	s_cbranch_scc0 .LBB135_9
; %bb.7:                                ;   in Loop: Header=BB135_3 Depth=1
	s_mov_b64 s[14:15], s[20:21]
	s_branch .LBB135_3
.LBB135_8:                              ;   in Loop: Header=BB135_3 Depth=1
                                        ; implicit-def: $sgpr20_sgpr21
	s_branch .LBB135_5
.LBB135_9:
	s_load_dword s8, s[0:1], 0x338
	s_load_dwordx2 s[6:7], s[0:1], 0xd0
                                        ; implicit-def: $vgpr71 : SGPR spill to VGPR lane
	s_mov_b64 s[62:63], 0
	v_writelane_b32 v71, s20, 0
	s_mov_b64 s[50:51], s[4:5]
	s_nop 0
	v_writelane_b32 v71, s21, 1
	s_waitcnt lgkmcnt(0)
	v_writelane_b32 v71, s6, 2
	s_nop 1
	v_writelane_b32 v71, s7, 3
	s_add_u32 s6, s0, 0x1a0
	s_addc_u32 s7, s1, 0
	s_cmp_lt_i32 s8, 2
	s_cbranch_scc1 .LBB135_17
; %bb.10:
	s_add_i32 s3, s8, 1
	s_add_i32 s14, s8, -1
	s_mov_b32 s8, 0
	s_mov_b32 s15, s8
	s_lshl_b64 s[14:15], s[14:15], 3
	s_add_u32 s9, s6, s14
	s_addc_u32 s11, s7, s15
	s_add_u32 s14, s9, 8
	s_addc_u32 s15, s11, 0
	s_mov_b64 s[16:17], s[4:5]
.LBB135_11:                             ; =>This Inner Loop Header: Depth=1
	s_load_dwordx2 s[18:19], s[14:15], 0x0
	s_waitcnt lgkmcnt(0)
	s_or_b64 s[20:21], s[16:17], s[18:19]
	s_mov_b32 s9, s21
	s_cmp_lg_u64 s[8:9], 0
	s_cbranch_scc0 .LBB135_16
; %bb.12:                               ;   in Loop: Header=BB135_11 Depth=1
	v_cvt_f32_u32_e32 v1, s18
	v_cvt_f32_u32_e32 v2, s19
	s_sub_u32 s9, 0, s18
	s_subb_u32 s11, 0, s19
	v_fmac_f32_e32 v1, 0x4f800000, v2
	v_rcp_f32_e32 v1, v1
	s_nop 0
	v_mul_f32_e32 v1, 0x5f7ffffc, v1
	v_mul_f32_e32 v2, 0x2f800000, v1
	v_trunc_f32_e32 v2, v2
	v_fmac_f32_e32 v1, 0xcf800000, v2
	v_cvt_u32_f32_e32 v2, v2
	v_cvt_u32_f32_e32 v1, v1
	v_readfirstlane_b32 s22, v2
	v_readfirstlane_b32 s20, v1
	s_mul_i32 s21, s9, s22
	s_mul_hi_u32 s24, s9, s20
	s_mul_i32 s23, s11, s20
	s_add_i32 s21, s24, s21
	s_mul_i32 s25, s9, s20
	s_add_i32 s21, s21, s23
	s_mul_i32 s24, s20, s21
	s_mul_hi_u32 s26, s20, s25
	s_mul_hi_u32 s23, s20, s21
	s_add_u32 s24, s26, s24
	s_addc_u32 s23, 0, s23
	s_mul_hi_u32 s27, s22, s25
	s_mul_i32 s25, s22, s25
	s_add_u32 s24, s24, s25
	s_mul_hi_u32 s26, s22, s21
	s_addc_u32 s23, s23, s27
	s_addc_u32 s24, s26, 0
	s_mul_i32 s21, s22, s21
	s_add_u32 s21, s23, s21
	s_addc_u32 s23, 0, s24
	s_add_u32 s24, s20, s21
	s_cselect_b64 s[20:21], -1, 0
	s_cmp_lg_u64 s[20:21], 0
	s_addc_u32 s22, s22, s23
	s_mul_i32 s20, s9, s22
	s_mul_hi_u32 s21, s9, s24
	s_add_i32 s20, s21, s20
	s_mul_i32 s11, s11, s24
	s_add_i32 s20, s20, s11
	s_mul_i32 s9, s9, s24
	s_mul_hi_u32 s21, s22, s9
	s_mul_i32 s23, s22, s9
	s_mul_i32 s26, s24, s20
	s_mul_hi_u32 s9, s24, s9
	s_mul_hi_u32 s25, s24, s20
	s_add_u32 s9, s9, s26
	s_addc_u32 s25, 0, s25
	s_add_u32 s9, s9, s23
	s_mul_hi_u32 s11, s22, s20
	s_addc_u32 s9, s25, s21
	s_addc_u32 s11, s11, 0
	s_mul_i32 s20, s22, s20
	s_add_u32 s9, s9, s20
	s_addc_u32 s11, 0, s11
	s_add_u32 s9, s24, s9
	s_cselect_b64 s[20:21], -1, 0
	s_cmp_lg_u64 s[20:21], 0
	s_addc_u32 s11, s22, s11
	s_mul_i32 s21, s16, s11
	s_mul_hi_u32 s22, s16, s9
	s_mul_hi_u32 s20, s16, s11
	s_add_u32 s21, s22, s21
	s_addc_u32 s20, 0, s20
	s_mul_hi_u32 s23, s17, s9
	s_mul_i32 s9, s17, s9
	s_add_u32 s9, s21, s9
	s_mul_hi_u32 s22, s17, s11
	s_addc_u32 s9, s20, s23
	s_addc_u32 s20, s22, 0
	s_mul_i32 s11, s17, s11
	s_add_u32 s9, s9, s11
	s_addc_u32 s11, 0, s20
	s_mul_i32 s20, s18, s11
	s_mul_hi_u32 s21, s18, s9
	s_add_i32 s20, s21, s20
	s_mul_i32 s21, s19, s9
	s_add_i32 s24, s20, s21
	s_sub_i32 s22, s17, s24
	s_mul_i32 s20, s18, s9
	s_sub_u32 s25, s16, s20
	s_cselect_b64 s[20:21], -1, 0
	s_cmp_lg_u64 s[20:21], 0
	s_subb_u32 s26, s22, s19
	s_sub_u32 s27, s25, s18
	s_cselect_b64 s[22:23], -1, 0
	s_cmp_lg_u64 s[22:23], 0
	s_subb_u32 s22, s26, 0
	s_cmp_ge_u32 s22, s19
	s_cselect_b32 s23, -1, 0
	s_cmp_ge_u32 s27, s18
	s_cselect_b32 s26, -1, 0
	s_cmp_eq_u32 s22, s19
	s_cselect_b32 s22, s26, s23
	s_add_u32 s23, s9, 1
	s_addc_u32 s26, s11, 0
	s_add_u32 s27, s9, 2
	s_addc_u32 s28, s11, 0
	s_cmp_lg_u32 s22, 0
	s_cselect_b32 s22, s27, s23
	s_cselect_b32 s23, s28, s26
	s_cmp_lg_u64 s[20:21], 0
	s_subb_u32 s20, s17, s24
	s_cmp_ge_u32 s20, s19
	s_cselect_b32 s21, -1, 0
	s_cmp_ge_u32 s25, s18
	s_cselect_b32 s24, -1, 0
	s_cmp_eq_u32 s20, s19
	s_cselect_b32 s20, s24, s21
	s_cmp_lg_u32 s20, 0
	s_cselect_b32 s51, s23, s11
	s_cselect_b32 s50, s22, s9
	s_cbranch_execnz .LBB135_14
.LBB135_13:                             ;   in Loop: Header=BB135_11 Depth=1
	v_cvt_f32_u32_e32 v1, s18
	s_sub_i32 s9, 0, s18
	s_mov_b32 s51, s8
	v_rcp_iflag_f32_e32 v1, v1
	s_nop 0
	v_mul_f32_e32 v1, 0x4f7ffffe, v1
	v_cvt_u32_f32_e32 v1, v1
	s_nop 0
	v_readfirstlane_b32 s11, v1
	s_mul_i32 s9, s9, s11
	s_mul_hi_u32 s9, s11, s9
	s_add_i32 s11, s11, s9
	s_mul_hi_u32 s9, s16, s11
	s_mul_i32 s20, s9, s18
	s_sub_i32 s20, s16, s20
	s_add_i32 s11, s9, 1
	s_sub_i32 s21, s20, s18
	s_cmp_ge_u32 s20, s18
	s_cselect_b32 s9, s11, s9
	s_cselect_b32 s20, s21, s20
	s_add_i32 s11, s9, 1
	s_cmp_ge_u32 s20, s18
	s_cselect_b32 s50, s11, s9
.LBB135_14:                             ;   in Loop: Header=BB135_11 Depth=1
	s_mul_i32 s9, s50, s19
	s_mul_hi_u32 s11, s50, s18
	s_load_dwordx2 s[20:21], s[14:15], 0xc8
	s_add_i32 s9, s11, s9
	s_mul_i32 s11, s51, s18
	s_add_i32 s9, s9, s11
	s_mul_i32 s11, s50, s18
	s_sub_u32 s11, s16, s11
	s_subb_u32 s9, s17, s9
	s_waitcnt lgkmcnt(0)
	s_mul_i32 s9, s20, s9
	s_mul_hi_u32 s16, s20, s11
	s_add_i32 s9, s16, s9
	s_mul_i32 s16, s21, s11
	s_add_i32 s9, s9, s16
	s_mul_i32 s11, s20, s11
	s_add_u32 s62, s11, s62
	s_addc_u32 s63, s9, s63
	s_add_i32 s3, s3, -1
	s_add_u32 s14, s14, -8
	s_addc_u32 s15, s15, -1
	s_cmp_gt_u32 s3, 2
	s_cbranch_scc0 .LBB135_17
; %bb.15:                               ;   in Loop: Header=BB135_11 Depth=1
	s_mov_b64 s[16:17], s[50:51]
	s_branch .LBB135_11
.LBB135_16:                             ;   in Loop: Header=BB135_11 Depth=1
                                        ; implicit-def: $sgpr50_sgpr51
	s_branch .LBB135_13
.LBB135_17:
	s_load_dword s8, s[0:1], 0x4d8
	s_load_dwordx2 s[14:15], s[6:7], 0xd0
	s_add_u32 s9, s0, 0x340
	s_addc_u32 s11, s1, 0
                                        ; kill: killed $sgpr6 killed $sgpr7
	s_mov_b64 s[6:7], 0
	s_waitcnt lgkmcnt(0)
	s_cmp_lt_i32 s8, 2
	v_writelane_b32 v71, s14, 4
	s_nop 1
	v_writelane_b32 v71, s15, 5
	s_cbranch_scc1 .LBB135_25
; %bb.18:
	s_add_i32 s3, s8, 1
	s_add_i32 s6, s8, -1
	s_mov_b32 s8, 0
	s_mov_b32 s7, s8
	s_lshl_b64 s[6:7], s[6:7], 3
	s_add_u32 s6, s9, s6
	s_addc_u32 s7, s11, s7
	s_add_u32 s14, s6, 8
	s_addc_u32 s15, s7, 0
	s_mov_b64 s[6:7], 0
.LBB135_19:                             ; =>This Inner Loop Header: Depth=1
	s_load_dwordx2 s[16:17], s[14:15], 0x0
	s_waitcnt lgkmcnt(0)
	s_or_b64 s[18:19], s[4:5], s[16:17]
	s_mov_b32 s9, s19
	s_cmp_lg_u64 s[8:9], 0
	s_cbranch_scc0 .LBB135_24
; %bb.20:                               ;   in Loop: Header=BB135_19 Depth=1
	v_cvt_f32_u32_e32 v1, s16
	v_cvt_f32_u32_e32 v2, s17
	s_sub_u32 s9, 0, s16
	s_subb_u32 s11, 0, s17
	v_fmac_f32_e32 v1, 0x4f800000, v2
	v_rcp_f32_e32 v1, v1
	s_nop 0
	v_mul_f32_e32 v1, 0x5f7ffffc, v1
	v_mul_f32_e32 v2, 0x2f800000, v1
	v_trunc_f32_e32 v2, v2
	v_fmac_f32_e32 v1, 0xcf800000, v2
	v_cvt_u32_f32_e32 v2, v2
	v_cvt_u32_f32_e32 v1, v1
	v_readfirstlane_b32 s20, v2
	v_readfirstlane_b32 s18, v1
	s_mul_i32 s19, s9, s20
	s_mul_hi_u32 s22, s9, s18
	s_mul_i32 s21, s11, s18
	s_add_i32 s19, s22, s19
	s_mul_i32 s23, s9, s18
	s_add_i32 s19, s19, s21
	s_mul_i32 s22, s18, s19
	s_mul_hi_u32 s24, s18, s23
	s_mul_hi_u32 s21, s18, s19
	s_add_u32 s22, s24, s22
	s_addc_u32 s21, 0, s21
	s_mul_hi_u32 s25, s20, s23
	s_mul_i32 s23, s20, s23
	s_add_u32 s22, s22, s23
	s_mul_hi_u32 s24, s20, s19
	s_addc_u32 s21, s21, s25
	s_addc_u32 s22, s24, 0
	s_mul_i32 s19, s20, s19
	s_add_u32 s19, s21, s19
	s_addc_u32 s21, 0, s22
	s_add_u32 s22, s18, s19
	s_cselect_b64 s[18:19], -1, 0
	s_cmp_lg_u64 s[18:19], 0
	s_addc_u32 s20, s20, s21
	s_mul_i32 s18, s9, s20
	s_mul_hi_u32 s19, s9, s22
	s_add_i32 s18, s19, s18
	s_mul_i32 s11, s11, s22
	s_add_i32 s18, s18, s11
	s_mul_i32 s9, s9, s22
	s_mul_hi_u32 s19, s20, s9
	s_mul_i32 s21, s20, s9
	s_mul_i32 s24, s22, s18
	s_mul_hi_u32 s9, s22, s9
	s_mul_hi_u32 s23, s22, s18
	s_add_u32 s9, s9, s24
	s_addc_u32 s23, 0, s23
	s_add_u32 s9, s9, s21
	s_mul_hi_u32 s11, s20, s18
	s_addc_u32 s9, s23, s19
	s_addc_u32 s11, s11, 0
	s_mul_i32 s18, s20, s18
	s_add_u32 s9, s9, s18
	s_addc_u32 s11, 0, s11
	s_add_u32 s9, s22, s9
	s_cselect_b64 s[18:19], -1, 0
	s_cmp_lg_u64 s[18:19], 0
	s_addc_u32 s11, s20, s11
	s_mul_i32 s19, s4, s11
	s_mul_hi_u32 s20, s4, s9
	s_mul_hi_u32 s18, s4, s11
	s_add_u32 s19, s20, s19
	s_addc_u32 s18, 0, s18
	s_mul_hi_u32 s21, s5, s9
	s_mul_i32 s9, s5, s9
	s_add_u32 s9, s19, s9
	s_mul_hi_u32 s20, s5, s11
	s_addc_u32 s9, s18, s21
	s_addc_u32 s18, s20, 0
	s_mul_i32 s11, s5, s11
	s_add_u32 s9, s9, s11
	s_addc_u32 s11, 0, s18
	s_mul_i32 s18, s16, s11
	s_mul_hi_u32 s19, s16, s9
	s_add_i32 s18, s19, s18
	s_mul_i32 s19, s17, s9
	s_add_i32 s22, s18, s19
	s_sub_i32 s20, s5, s22
	s_mul_i32 s18, s16, s9
	s_sub_u32 s23, s4, s18
	s_cselect_b64 s[18:19], -1, 0
	s_cmp_lg_u64 s[18:19], 0
	s_subb_u32 s24, s20, s17
	s_sub_u32 s25, s23, s16
	s_cselect_b64 s[20:21], -1, 0
	s_cmp_lg_u64 s[20:21], 0
	s_subb_u32 s20, s24, 0
	s_cmp_ge_u32 s20, s17
	s_cselect_b32 s21, -1, 0
	s_cmp_ge_u32 s25, s16
	s_cselect_b32 s24, -1, 0
	s_cmp_eq_u32 s20, s17
	s_cselect_b32 s20, s24, s21
	s_add_u32 s21, s9, 1
	s_addc_u32 s24, s11, 0
	s_add_u32 s25, s9, 2
	s_addc_u32 s26, s11, 0
	s_cmp_lg_u32 s20, 0
	s_cselect_b32 s20, s25, s21
	s_cselect_b32 s21, s26, s24
	s_cmp_lg_u64 s[18:19], 0
	s_subb_u32 s18, s5, s22
	s_cmp_ge_u32 s18, s17
	s_cselect_b32 s19, -1, 0
	s_cmp_ge_u32 s23, s16
	s_cselect_b32 s22, -1, 0
	s_cmp_eq_u32 s18, s17
	s_cselect_b32 s18, s22, s19
	s_cmp_lg_u32 s18, 0
	s_cselect_b32 s19, s21, s11
	s_cselect_b32 s18, s20, s9
	s_cbranch_execnz .LBB135_22
.LBB135_21:                             ;   in Loop: Header=BB135_19 Depth=1
	v_cvt_f32_u32_e32 v1, s16
	s_sub_i32 s9, 0, s16
	v_rcp_iflag_f32_e32 v1, v1
	s_nop 0
	v_mul_f32_e32 v1, 0x4f7ffffe, v1
	v_cvt_u32_f32_e32 v1, v1
	s_nop 0
	v_readfirstlane_b32 s11, v1
	s_mul_i32 s9, s9, s11
	s_mul_hi_u32 s9, s11, s9
	s_add_i32 s11, s11, s9
	s_mul_hi_u32 s9, s4, s11
	s_mul_i32 s18, s9, s16
	s_sub_i32 s18, s4, s18
	s_add_i32 s11, s9, 1
	s_sub_i32 s19, s18, s16
	s_cmp_ge_u32 s18, s16
	s_cselect_b32 s9, s11, s9
	s_cselect_b32 s18, s19, s18
	s_add_i32 s11, s9, 1
	s_cmp_ge_u32 s18, s16
	s_cselect_b32 s18, s11, s9
	s_mov_b32 s19, s8
.LBB135_22:                             ;   in Loop: Header=BB135_19 Depth=1
	s_mul_i32 s9, s18, s17
	s_mul_hi_u32 s11, s18, s16
	s_load_dwordx2 s[20:21], s[14:15], 0xc8
	s_add_i32 s9, s11, s9
	s_mul_i32 s11, s19, s16
	s_add_i32 s9, s9, s11
	s_mul_i32 s11, s18, s16
	s_sub_u32 s4, s4, s11
	s_subb_u32 s5, s5, s9
	s_waitcnt lgkmcnt(0)
	s_mul_i32 s5, s20, s5
	s_mul_hi_u32 s9, s20, s4
	s_add_i32 s5, s9, s5
	s_mul_i32 s9, s21, s4
	s_add_i32 s5, s5, s9
	s_mul_i32 s4, s20, s4
	s_add_u32 s6, s4, s6
	s_addc_u32 s7, s5, s7
	s_add_i32 s3, s3, -1
	s_add_u32 s14, s14, -8
	s_addc_u32 s15, s15, -1
	s_cmp_gt_u32 s3, 2
	s_cbranch_scc0 .LBB135_26
; %bb.23:                               ;   in Loop: Header=BB135_19 Depth=1
	s_mov_b64 s[4:5], s[18:19]
	s_branch .LBB135_19
.LBB135_24:                             ;   in Loop: Header=BB135_19 Depth=1
                                        ; implicit-def: $sgpr18_sgpr19
	s_branch .LBB135_21
.LBB135_25:
	s_mov_b64 s[18:19], s[4:5]
.LBB135_26:
	s_load_dwordx2 s[4:5], s[0:1], 0x410
	s_load_dwordx2 s[8:9], s[0:1], 0x0
	v_mov_b32_e32 v1, 0
	v_mov_b64_e32 v[2:3], 0
	v_cmp_gt_u64_e64 s[16:17], s[56:57], v[0:1]
	s_waitcnt lgkmcnt(0)
	s_mul_i32 s3, s4, s19
	v_writelane_b32 v71, s8, 6
	s_mul_hi_u32 s11, s4, s18
	s_add_i32 s3, s11, s3
	v_writelane_b32 v71, s9, 7
	s_load_dwordx2 s[8:9], s[0:1], 0x1a0
	s_mul_i32 s5, s5, s18
	s_add_i32 s5, s3, s5
	s_mul_i32 s4, s4, s18
	s_waitcnt lgkmcnt(0)
	v_writelane_b32 v71, s8, 8
	s_nop 1
	v_writelane_b32 v71, s9, 9
	s_load_dwordx2 s[8:9], s[0:1], 0x340
	s_mov_b64 s[14:15], exec
	v_writelane_b32 v71, s16, 10
	s_nop 1
	v_writelane_b32 v71, s17, 11
	s_and_b64 s[16:17], s[14:15], s[16:17]
	s_mov_b64 exec, s[16:17]
	s_cbranch_execz .LBB135_30
; %bb.27:
	s_load_dword s3, s[12:13], 0xc
	v_mad_u64_u32 v[2:3], s[20:21], s60, v0, 0
	v_mov_b32_e32 v4, v3
	v_mad_u64_u32 v[4:5], s[20:21], s61, v0, v[4:5]
	s_lshl_b64 s[18:19], s[4:5], 1
	s_waitcnt lgkmcnt(0)
	s_and_b32 s16, s3, 0xffff
	s_lshl_b64 s[20:21], s[6:7], 1
	s_add_u32 s3, s8, s20
	s_addc_u32 s11, s9, s21
	s_add_u32 s18, s3, s18
	v_mov_b32_e32 v3, v4
	s_addc_u32 s19, s11, s19
	s_mul_i32 s3, s61, s16
	s_mul_hi_u32 s11, s60, s16
	v_lshl_add_u64 v[4:5], v[2:3], 1, s[18:19]
	s_add_i32 s19, s11, s3
	s_mul_i32 s18, s60, s16
	s_mov_b32 s17, 0
	s_lshl_b64 s[20:21], s[18:19], 1
	s_mov_b64 s[18:19], 0
	v_mov_b64_e32 v[2:3], 0
	v_mov_b64_e32 v[6:7], v[0:1]
.LBB135_28:                             ; =>This Inner Loop Header: Depth=1
	global_load_ushort v8, v[4:5], off
	v_lshl_add_u64 v[6:7], v[6:7], 0, s[16:17]
	v_cmp_le_u64_e32 vcc, s[56:57], v[6:7]
	s_or_b64 s[18:19], vcc, s[18:19]
	v_mov_b32_e32 v9, s17
	v_lshl_add_u64 v[4:5], v[4:5], 0, s[20:21]
	s_waitcnt vmcnt(0)
	v_cmp_u_f16_e32 vcc, v8, v8
	s_nop 1
	v_cndmask_b32_e64 v8, 0, 1, vcc
	v_lshl_add_u64 v[2:3], v[2:3], 0, v[8:9]
	s_andn2_b64 exec, exec, s[18:19]
	s_cbranch_execnz .LBB135_28
; %bb.29:
	s_or_b64 exec, exec, s[18:19]
.LBB135_30:
	s_or_b64 exec, exec, s[14:15]
	v_cmp_eq_u32_e64 s[16:17], 0, v0
	s_mov_b64 s[14:15], exec
	s_nop 0
	v_writelane_b32 v71, s16, 12
	s_nop 1
	v_writelane_b32 v71, s17, 13
	s_and_b64 s[16:17], s[14:15], s[16:17]
	s_mov_b64 exec, s[16:17]
; %bb.31:
	v_mov_b32_e32 v4, 0
	v_mov_b32_e32 v5, v4
	ds_write_b64 v4, v[4:5] offset:5136
; %bb.32:
	s_or_b64 exec, exec, s[14:15]
	s_mov_b64 s[16:17], 0
	v_cmp_ne_u64_e32 vcc, 0, v[2:3]
	s_waitcnt lgkmcnt(0)
	s_barrier
	s_and_saveexec_b64 s[14:15], vcc
	s_cbranch_execz .LBB135_37
; %bb.33:
	s_mov_b64 s[18:19], exec
.LBB135_34:                             ; =>This Inner Loop Header: Depth=1
	s_ff1_i32_b64 s3, s[18:19]
	v_readlane_b32 s20, v2, s3
	v_readlane_b32 s11, v3, s3
	s_add_u32 s16, s16, s20
	s_addc_u32 s17, s17, s11
	s_lshl_b64 s[20:21], 1, s3
	s_andn2_b64 s[18:19], s[18:19], s[20:21]
	s_cmp_lg_u64 s[18:19], 0
	s_cbranch_scc1 .LBB135_34
; %bb.35:
	v_mbcnt_lo_u32_b32 v2, exec_lo, 0
	v_mbcnt_hi_u32_b32 v2, exec_hi, v2
	v_cmp_eq_u32_e32 vcc, 0, v2
	s_and_saveexec_b64 s[18:19], vcc
	s_xor_b64 s[18:19], exec, s[18:19]
; %bb.36:
	v_mov_b32_e32 v2, 0
	v_mov_b64_e32 v[4:5], s[16:17]
	ds_add_u64 v2, v[4:5] offset:5136
.LBB135_37:
	s_or_b64 exec, exec, s[14:15]
	v_mov_b32_e32 v3, 0
	s_waitcnt lgkmcnt(0)
	s_barrier
	ds_read_b64 v[4:5], v3 offset:5136
	s_waitcnt lgkmcnt(0)
	v_readfirstlane_b32 s14, v4
	v_readfirstlane_b32 s15, v5
	s_mov_b64 s[16:17], exec
	v_readlane_b32 s18, v71, 12
	v_readlane_b32 s19, v71, 13
	s_and_b64 s[18:19], s[16:17], s[18:19]
	s_mov_b64 exec, s[18:19]
	s_cbranch_execz .LBB135_39
; %bb.38:
	v_mov_b32_e32 v4, 0
	v_mov_b32_e32 v6, s56
	;; [unrolled: 1-line block ×4, first 2 shown]
	ds_write_b32 v4, v4 offset:5144
	ds_write_b128 v4, v[4:7] offset:5120
.LBB135_39:
	s_or_b64 exec, exec, s[16:17]
	s_load_dword s3, s[0:1], 0x4f8
	v_cmp_lt_i64_e64 s[0:1], s[14:15], 1
	v_mbcnt_lo_u32_b32 v2, -1, 0
	v_mbcnt_hi_u32_b32 v46, -1, v2
	v_cmp_gt_u32_e32 vcc, 64, v0
	s_waitcnt lgkmcnt(0)
	s_bitcmp1_b32 s3, 0
	s_cselect_b64 s[16:17], -1, 0
	s_not_b64 s[14:15], s[14:15]
	s_or_b64 s[0:1], s[16:17], s[0:1]
	s_add_u32 s14, s56, s14
	s_addc_u32 s15, s57, s15
	s_lshr_b64 s[14:15], s[14:15], 1
	s_add_u32 s3, s14, 1
	s_addc_u32 s11, s15, 0
	s_and_b64 s[0:1], s[0:1], exec
	s_cselect_b32 s15, s11, s57
	s_cselect_b32 s14, s3, s56
	s_lshl_b64 s[16:17], s[4:5], 1
	s_add_u32 s18, s8, s16
	s_addc_u32 s19, s9, s17
	s_lshl_b64 s[78:79], s[6:7], 1
	s_add_u32 s80, s18, s78
	v_cmp_gt_i32_e64 s[0:1], 4, v46
	s_addc_u32 s81, s19, s79
	s_and_b64 s[84:85], vcc, s[0:1]
	v_cmp_gt_u32_e64 s[0:1], 2, v0
	v_mov_b64_e32 v[4:5], 0x600
	s_nop 0
	v_writelane_b32 v71, s0, 14
	s_barrier
	s_nop 0
	v_writelane_b32 v71, s1, 15
	v_cmp_gt_u64_e64 s[0:1], s[56:57], v[4:5]
	v_lshlrev_b64 v[8:9], v46, -1
	v_not_b32_e32 v18, v8
	v_writelane_b32 v71, s0, 16
	v_mov_b32_e32 v8, s57
	v_not_b32_e32 v19, v9
	v_writelane_b32 v71, s1, 17
	v_mad_u64_u32 v[6:7], s[0:1], s60, v0, 0
	v_mov_b32_e32 v2, v7
	v_mad_u64_u32 v[4:5], s[0:1], s61, v0, v[2:3]
	s_load_dword s0, s[12:13], 0xc
	v_lshlrev_b32_e32 v2, 2, v46
	v_and_b32_e32 v49, 0x100, v2
	v_lshrrev_b32_e32 v2, 1, v0
	v_and_b32_e32 v2, 0x1e0, v2
	s_waitcnt lgkmcnt(0)
	s_and_b32 s76, s0, 0xffff
	s_bfe_u32 s0, s0, 0xa0006
	s_cmp_gt_u32 s76, 63
	s_cselect_b64 s[6:7], -1, 0
	s_add_u32 s1, s76, -1
	s_addc_u32 s3, 0, -1
	s_add_u32 s93, s1, s56
	v_writelane_b32 v71, s6, 18
	s_addc_u32 s55, s3, s57
	v_or_b32_e32 v50, 0xc00, v2
	v_writelane_b32 v71, s7, 19
	s_cmp_lt_u32 s2, s10
	v_add_u32_e32 v2, 2, v0
	v_writelane_b32 v71, s1, 20
	s_cselect_b32 s1, 12, 18
	v_cmp_gt_u64_e32 vcc, s[56:57], v[2:3]
	s_add_u32 s2, s12, s1
	v_writelane_b32 v71, s3, 21
	v_cndmask_b32_e32 v9, 0, v8, vcc
	v_mov_b32_e32 v8, s56
	s_addc_u32 s3, s13, 0
	v_cndmask_b32_e32 v8, v2, v8, vcc
	v_mov_b32_e32 v21, -1
	v_not_b32_e32 v20, v0
	v_writelane_b32 v71, s2, 22
	v_lshl_add_u64 v[8:9], v[8:9], 0, v[20:21]
	s_mov_b32 s1, s60
	v_writelane_b32 v71, s3, 23
	v_cmp_lt_u64_e64 s[2:3], 3, v[8:9]
	v_and_b32_e32 v22, -4, v8
	v_mov_b32_e32 v23, v9
	v_writelane_b32 v71, s2, 24
	v_lshlrev_b32_e32 v16, 3, v0
	v_or_b32_e32 v10, 6, v16
	v_writelane_b32 v71, s3, 25
	v_writelane_b32 v71, s1, 26
	s_mov_b32 s1, s61
	v_writelane_b32 v71, s1, 27
	v_cmp_ne_u64_e64 s[2:3], v[8:9], v[22:23]
	s_add_i32 s1, s0, -1
	s_and_b32 s1, s1, 0xffff
	v_writelane_b32 v71, s2, 28
	v_mov_b64_e32 v[8:9], s[18:19]
	v_mov_b32_e32 v7, v4
	v_writelane_b32 v71, s3, 29
	s_bfe_u32 s2, s76, 0x30006
	s_cmp_gt_u32 s1, 6
	s_cselect_b64 s[6:7], -1, 0
	v_writelane_b32 v71, s6, 30
	s_and_b32 s86, s0, 0x3f8
	s_cmp_lg_u32 s2, 0
	v_writelane_b32 v71, s7, 31
	v_writelane_b32 v71, s2, 32
	s_cselect_b64 s[0:1], -1, 0
	v_writelane_b32 v71, s0, 33
	v_lshlrev_b64 v[4:5], 1, v[6:7]
	s_mov_b32 s73, s61
	v_writelane_b32 v71, s1, 34
	s_add_u32 s0, s16, s78
	s_addc_u32 s1, s17, s79
	s_add_u32 s0, s8, s0
	s_addc_u32 s1, s9, s1
	v_writelane_b32 v71, s0, 35
	s_lshl_b32 s87, s76, 1
	s_mov_b32 s83, 0
	v_writelane_b32 v71, s1, 36
	s_lshl_b64 s[0:1], s[60:61], 1
	v_writelane_b32 v71, s0, 37
	v_lshlrev_b32_e32 v47, 1, v0
	s_mov_b32 s53, s60
	v_writelane_b32 v71, s1, 38
	v_mad_u64_u32 v[26:27], s[0:1], s60, v10, v[8:9]
	v_mov_b32_e32 v2, v27
	v_mad_u64_u32 v[10:11], s[0:1], s61, v10, v[2:3]
	s_lshl_b64 s[0:1], s[60:61], 3
	v_mov_b32_e32 v27, v10
	v_writelane_b32 v71, s0, 39
	v_or_b32_e32 v10, 4, v16
	v_cmp_eq_u32_e64 s[4:5], 0, v46
	v_writelane_b32 v71, s1, 40
	v_mad_u64_u32 v[28:29], s[0:1], s60, v10, v[8:9]
	v_mov_b32_e32 v2, v29
	v_mad_u64_u32 v[10:11], s[0:1], s61, v10, v[2:3]
	v_mov_b32_e32 v29, v10
	v_or_b32_e32 v10, 2, v16
	v_mad_u64_u32 v[30:31], s[0:1], s60, v10, v[8:9]
	v_mov_b32_e32 v2, v31
	v_mad_u64_u32 v[8:9], s[0:1], s61, v10, v[2:3]
	s_add_u32 s0, s8, s78
	s_addc_u32 s1, s9, s79
	s_add_u32 s0, s0, s16
	s_addc_u32 s1, s1, s17
	v_lshl_add_u64 v[16:17], s[0:1], 0, v[4:5]
	s_mul_i32 s0, s61, s76
	s_mul_hi_u32 s1, s60, s76
	s_add_i32 s1, s1, s0
	s_mul_i32 s0, s60, s76
	v_writelane_b32 v71, s84, 41
	s_lshl_b64 s[90:91], s[0:1], 1
	v_mov_b32_e32 v2, 0xc00
	v_writelane_b32 v71, s85, 42
	v_writelane_b32 v71, s90, 43
	v_add_u32_e32 v48, 0xc00, v47
	v_lshl_add_u64 v[12:13], s[80:81], 0, v[4:5]
	v_writelane_b32 v71, s91, 44
	v_writelane_b32 v71, s50, 45
	v_lshlrev_b32_e32 v14, 2, v0
	v_mov_b32_e32 v15, v3
	v_writelane_b32 v71, s51, 46
	v_writelane_b32 v71, s73, 47
	s_mov_b32 s33, 0xffff
	s_mov_b32 s77, s83
	v_lshl_add_u64 v[24:25], v[22:23], 0, v[0:1]
	s_mov_b32 s68, s60
	s_mov_b32 s54, s61
	v_mov_b32_e32 v31, v8
	v_lshl_add_u64 v[32:33], v[6:7], 3, s[18:19]
	v_lshlrev_b32_e32 v20, 3, v0
	v_lshl_or_b32 v51, v46, 3, v2
	s_mov_b32 s64, 14
	s_mov_b64 s[74:75], 0
	v_mov_b64_e32 v[34:35], s[14:15]
	v_mov_b64_e32 v[60:61], s[56:57]
	v_mov_b32_e32 v53, 0xffff
	v_mov_b32_e32 v54, 0x8000
	v_mov_b32_e32 v55, 0x4f800000
	v_mov_b32_e32 v56, 0x5040100
	v_mov_b32_e32 v58, 0
	v_mov_b32_e32 v52, 0
	v_mov_b32_e32 v57, 0
	s_mov_b32 s65, 0
	v_writelane_b32 v71, s53, 48
                                        ; implicit-def: $sgpr66_sgpr67
                                        ; implicit-def: $sgpr10_sgpr11
                                        ; implicit-def: $sgpr12_sgpr13
                                        ; implicit-def: $sgpr14_sgpr15
                                        ; implicit-def: $sgpr94_sgpr95
                                        ; implicit-def: $sgpr98_sgpr99
	v_writelane_b32 v71, s54, 49
	s_branch .LBB135_43
.LBB135_40:                             ;   in Loop: Header=BB135_43 Depth=1
	s_or_b64 exec, exec, s[18:19]
	s_and_b64 s[8:9], s[8:9], exec
	s_andn2_b64 s[24:25], s[24:25], exec
	s_andn2_b64 s[0:1], s[0:1], exec
	s_orn2_b64 s[18:19], s[6:7], exec
.LBB135_41:                             ;   in Loop: Header=BB135_43 Depth=1
	s_or_b64 exec, exec, s[2:3]
	s_andn2_b64 s[2:3], s[98:99], exec
	s_and_b64 s[6:7], s[8:9], exec
	s_or_b64 s[98:99], s[2:3], s[6:7]
	s_andn2_b64 s[2:3], s[94:95], exec
	s_and_b64 s[6:7], s[24:25], exec
	s_or_b64 s[94:95], s[2:3], s[6:7]
	;; [unrolled: 3-line block ×3, first 2 shown]
	s_orn2_b64 s[0:1], s[18:19], exec
.LBB135_42:                             ;   in Loop: Header=BB135_43 Depth=1
	s_or_b64 exec, exec, s[16:17]
	s_and_b64 s[0:1], exec, s[0:1]
	s_or_b64 s[74:75], s[0:1], s[74:75]
	s_andn2_b64 s[0:1], s[12:13], exec
	s_and_b64 s[2:3], s[98:99], exec
	s_or_b64 s[12:13], s[0:1], s[2:3]
	s_andn2_b64 s[0:1], s[10:11], exec
	s_and_b64 s[2:3], s[94:95], exec
	;; [unrolled: 3-line block ×3, first 2 shown]
	s_or_b64 s[66:67], s[0:1], s[2:3]
	v_mov_b64_e32 v[34:35], v[8:9]
	s_andn2_b64 exec, exec, s[74:75]
	s_cbranch_execz .LBB135_318
.LBB135_43:                             ; =>This Loop Header: Depth=1
                                        ;     Child Loop BB135_48 Depth 2
                                        ;     Child Loop BB135_62 Depth 2
	;; [unrolled: 1-line block ×17, first 2 shown]
	ds_read_b128 v[4:7], v3 offset:5120
	s_waitcnt lgkmcnt(0)
	v_readfirstlane_b32 s97, v5
	v_readfirstlane_b32 s96, v4
	s_cmp_lg_u64 s[96:97], 0
	s_cbranch_scc1 .LBB135_75
; %bb.44:                               ;   in Loop: Header=BB135_43 Depth=1
	v_readlane_b32 s0, v71, 16
	v_readlane_b32 s1, v71, 17
	s_and_b64 vcc, exec, s[0:1]
	s_cbranch_vccz .LBB135_56
; %bb.45:                               ;   in Loop: Header=BB135_43 Depth=1
	s_mov_b64 s[0:1], 0x601
	v_cmp_gt_u64_e32 vcc, s[0:1], v[6:7]
	s_mov_b64 s[6:7], 0
	s_mov_b64 s[0:1], 0
	s_cbranch_vccz .LBB135_57
; %bb.46:                               ;   in Loop: Header=BB135_43 Depth=1
	v_readlane_b32 s0, v71, 22
	v_readlane_b32 s1, v71, 23
	s_nop 4
	global_load_ushort v6, v3, s[0:1]
	global_load_ushort v8, v[12:13], off
	v_readlane_b32 s0, v71, 35
	v_readlane_b32 s1, v71, 36
	;; [unrolled: 1-line block ×4, first 2 shown]
	v_mov_b64_e32 v[4:5], s[0:1]
	s_mov_b64 s[8:9], 0
	s_waitcnt vmcnt(1)
	v_readfirstlane_b32 s0, v6
	s_and_b32 s0, 0xffff, s0
	s_nop 0
	v_add_u32_e32 v7, s0, v0
	s_mul_i32 s2, s19, s0
	s_mul_hi_u32 s3, s18, s0
	s_mul_i32 s16, s18, s0
	v_mad_u64_u32 v[4:5], s[0:1], s18, v7, v[4:5]
	v_and_b32_e32 v2, 0xffff, v6
	v_mov_b32_e32 v6, v5
	v_mad_u64_u32 v[6:7], s[0:1], s19, v7, v[6:7]
	s_add_i32 s17, s3, s2
	v_mov_b32_e32 v5, v6
	v_mov_b64_e32 v[6:7], v[0:1]
	s_branch .LBB135_48
.LBB135_47:                             ;   in Loop: Header=BB135_48 Depth=2
	s_or_b64 exec, exec, s[2:3]
	v_lshl_add_u64 v[4:5], v[4:5], 0, s[16:17]
	v_mov_b32_e32 v8, v9
	s_andn2_b64 exec, exec, s[8:9]
	s_cbranch_execz .LBB135_136
.LBB135_48:                             ;   Parent Loop BB135_43 Depth=1
                                        ; =>  This Inner Loop Header: Depth=2
	v_lshl_add_u64 v[6:7], v[6:7], 0, v[2:3]
	v_cmp_gt_u64_e64 s[0:1], s[56:57], v[6:7]
	v_cmp_le_u64_e32 vcc, s[56:57], v[6:7]
	s_waitcnt lgkmcnt(0)
	v_mov_b32_e32 v10, 0
	v_mov_b32_e32 v9, 0
	s_and_saveexec_b64 s[2:3], s[0:1]
	s_cbranch_execz .LBB135_50
; %bb.49:                               ;   in Loop: Header=BB135_48 Depth=2
	global_load_ushort v9, v[4:5], off
.LBB135_50:                             ;   in Loop: Header=BB135_48 Depth=2
	s_or_b64 exec, exec, s[2:3]
	s_waitcnt vmcnt(0)
	v_cmp_lt_i16_e64 s[0:1], -1, v8
	s_nop 1
	v_cndmask_b32_e64 v11, v53, v54, s[0:1]
	v_xor_b32_sdwa v11, v11, v8 dst_sel:DWORD dst_unused:UNUSED_PAD src0_sel:DWORD src1_sel:WORD_0
	v_cmp_o_f16_e64 s[0:1], v8, v8
	s_nop 1
	v_cndmask_b32_e64 v11, v53, v11, s[0:1]
	v_and_b32_e32 v11, v11, v57
	v_cmp_eq_u32_e64 s[0:1], v11, v52
	s_cmp_lg_u64 s[0:1], 0
	s_cselect_b64 s[2:3], -1, 0
	s_and_b64 s[2:3], s[4:5], s[2:3]
	s_and_saveexec_b64 s[18:19], s[2:3]
	s_cbranch_execz .LBB135_54
; %bb.51:                               ;   in Loop: Header=BB135_48 Depth=2
	s_mov_b64 s[22:23], exec
	v_mbcnt_lo_u32_b32 v10, s22, 0
	v_mbcnt_hi_u32_b32 v10, s23, v10
	s_bcnt1_i32_b64 s24, s[0:1]
	v_cmp_eq_u32_e64 s[2:3], 0, v10
                                        ; implicit-def: $vgpr11
	s_and_saveexec_b64 s[20:21], s[2:3]
; %bb.52:                               ;   in Loop: Header=BB135_48 Depth=2
	s_bcnt1_i32_b64 s2, s[22:23]
	s_mul_i32 s2, s24, s2
	v_mov_b32_e32 v11, s2
	ds_add_rtn_u32 v11, v3, v11 offset:5144
; %bb.53:                               ;   in Loop: Header=BB135_48 Depth=2
	s_or_b64 exec, exec, s[20:21]
	s_waitcnt lgkmcnt(0)
	v_readfirstlane_b32 s2, v11
	s_nop 1
	v_mov_b32_e32 v11, s2
	v_mad_u32_u24 v10, s24, v10, v11
.LBB135_54:                             ;   in Loop: Header=BB135_48 Depth=2
	s_or_b64 exec, exec, s[18:19]
	ds_bpermute_b32 v10, v49, v10
	s_and_b64 s[2:3], exec, vcc
	s_or_b64 s[8:9], s[2:3], s[8:9]
	s_and_saveexec_b64 s[2:3], s[0:1]
	s_cbranch_execz .LBB135_47
; %bb.55:                               ;   in Loop: Header=BB135_48 Depth=2
	v_and_b32_e32 v36, s0, v18
	v_and_b32_e32 v11, s1, v19
	v_bcnt_u32_b32 v36, v36, 0
	v_bcnt_u32_b32 v11, v11, v36
	v_lshlrev_b32_e32 v11, 1, v11
	s_waitcnt lgkmcnt(0)
	v_lshl_add_u32 v10, v10, 1, v11
	ds_write_b16 v10, v8
	s_branch .LBB135_47
.LBB135_56:                             ;   in Loop: Header=BB135_43 Depth=1
	s_mov_b64 s[6:7], -1
	s_mov_b64 s[0:1], 0
.LBB135_57:                             ;   in Loop: Header=BB135_43 Depth=1
	s_and_b64 vcc, exec, s[6:7]
	s_cbranch_vccz .LBB135_73
.LBB135_58:                             ;   in Loop: Header=BB135_43 Depth=1
	s_mov_b64 s[0:1], exec
	v_readlane_b32 s2, v71, 10
	v_readlane_b32 s3, v71, 11
	s_and_b64 s[2:3], s[0:1], s[2:3]
	s_mov_b64 exec, s[2:3]
	s_cbranch_execz .LBB135_70
; %bb.59:                               ;   in Loop: Header=BB135_43 Depth=1
	v_readlane_b32 s2, v71, 22
	v_readlane_b32 s3, v71, 23
	s_nop 4
	global_load_ushort v2, v3, s[2:3]
	global_load_ushort v38, v[12:13], off
	v_mov_b32_e32 v8, v0
	s_waitcnt vmcnt(1)
	v_readfirstlane_b32 s6, v2
	v_add_u32_sdwa v2, v2, v0 dst_sel:DWORD dst_unused:UNUSED_PAD src0_sel:WORD_0 src1_sel:DWORD
	v_cmp_gt_u64_e32 vcc, s[56:57], v[2:3]
	s_and_saveexec_b64 s[2:3], vcc
	s_cbranch_execz .LBB135_69
; %bb.60:                               ;   in Loop: Header=BB135_43 Depth=1
	s_and_b32 s82, s6, 0xffff
	s_cmp_eq_u32 s82, 1
	v_readlane_b32 s8, v71, 24
	s_cselect_b64 s[6:7], -1, 0
	v_readlane_b32 s9, v71, 25
	s_and_b64 s[16:17], s[8:9], s[6:7]
	s_mov_b64 s[8:9], -1
	v_mov_b64_e32 v[6:7], v[0:1]
	v_mov_b64_e32 v[4:5], v[2:3]
                                        ; implicit-def: $vgpr8_vgpr9
	s_and_saveexec_b64 s[6:7], s[16:17]
	s_cbranch_execz .LBB135_64
; %bb.61:                               ;   in Loop: Header=BB135_43 Depth=1
	v_lshl_add_u64 v[8:9], v[2:3], 0, 3
	v_lshl_add_u64 v[6:7], v[2:3], 0, 2
	v_lshl_add_u64 v[4:5], v[2:3], 0, 1
	v_mov_b64_e32 v[10:11], v[8:9]
	s_waitcnt vmcnt(0)
	v_lshlrev_b32_e32 v40, 16, v38
	s_mov_b64 s[8:9], 0
	v_mov_b64_e32 v[36:37], v[22:23]
	v_mov_b32_e32 v39, v47
	v_mov_b64_e32 v[8:9], v[6:7]
	v_mov_b64_e32 v[6:7], v[4:5]
	;; [unrolled: 1-line block ×3, first 2 shown]
	v_readlane_b32 s18, v71, 26
	v_readlane_b32 s19, v71, 27
	s_mov_b32 s20, 0x5040100
.LBB135_62:                             ;   Parent Loop BB135_43 Depth=1
                                        ; =>  This Inner Loop Header: Depth=2
	v_mul_lo_u32 v38, v11, s18
	v_mul_lo_u32 v41, v10, s19
	v_mad_u64_u32 v[42:43], s[16:17], v10, s18, 0
	v_mul_lo_u32 v59, v9, s53
	v_mul_lo_u32 v66, v8, s54
	v_mad_u64_u32 v[44:45], s[16:17], v8, s53, 0
	v_mul_lo_u32 v67, v7, s68
	v_mul_lo_u32 v68, v6, s73
	v_mad_u64_u32 v[62:63], s[16:17], v6, s68, 0
	v_mul_lo_u32 v69, v5, s60
	v_mul_lo_u32 v70, v4, s61
	v_mad_u64_u32 v[64:65], s[16:17], v4, s60, 0
	v_add3_u32 v43, v43, v41, v38
	v_add3_u32 v45, v45, v66, v59
	;; [unrolled: 1-line block ×4, first 2 shown]
	v_lshl_add_u64 v[44:45], v[44:45], 1, s[80:81]
	v_lshl_add_u64 v[42:43], v[42:43], 1, s[80:81]
	;; [unrolled: 1-line block ×4, first 2 shown]
	global_load_ushort v41, v[44:45], off
	global_load_ushort v38, v[42:43], off
	s_nop 0
	global_load_ushort v42, v[62:63], off
	global_load_ushort v43, v[64:65], off
	v_lshl_add_u64 v[36:37], v[36:37], 0, -4
	v_cmp_eq_u64_e32 vcc, 0, v[36:37]
	v_lshl_add_u64 v[10:11], v[10:11], 0, 4
	v_lshl_add_u64 v[8:9], v[8:9], 0, 4
	;; [unrolled: 1-line block ×4, first 2 shown]
	s_or_b64 s[8:9], vcc, s[8:9]
	s_waitcnt vmcnt(2)
	v_perm_b32 v44, v38, v41, s20
	s_waitcnt vmcnt(1)
	v_perm_b32 v41, v41, v42, s20
	s_waitcnt vmcnt(0)
	v_alignbit_b32 v40, v43, v40, 16
	ds_write_b64 v39, v[40:41]
	v_add_u32_e32 v39, 8, v39
	v_mov_b32_e32 v40, v44
	s_andn2_b64 exec, exec, s[8:9]
	s_cbranch_execnz .LBB135_62
; %bb.63:                               ;   in Loop: Header=BB135_43 Depth=1
	s_or_b64 exec, exec, s[8:9]
	v_readlane_b32 s8, v71, 28
	v_lshl_add_u64 v[4:5], v[2:3], 0, v[22:23]
	v_readlane_b32 s9, v71, 29
	v_lshl_add_u64 v[8:9], v[4:5], 0, -1
	s_orn2_b64 s[8:9], s[8:9], exec
	v_mov_b64_e32 v[6:7], v[24:25]
.LBB135_64:                             ;   in Loop: Header=BB135_43 Depth=1
	s_or_b64 exec, exec, s[6:7]
	s_and_saveexec_b64 s[6:7], s[8:9]
	s_cbranch_execz .LBB135_68
; %bb.65:                               ;   in Loop: Header=BB135_43 Depth=1
	v_readlane_b32 s18, v71, 35
	v_readlane_b32 s19, v71, 36
	;; [unrolled: 1-line block ×4, first 2 shown]
	v_mov_b64_e32 v[8:9], s[18:19]
	v_mad_u64_u32 v[8:9], s[18:19], s20, v4, v[8:9]
	s_sub_u32 s8, 0, s82
	v_mul_lo_u32 v2, s20, v5
	v_mul_lo_u32 v7, s21, v4
	s_mul_i32 s18, s21, s82
	s_mul_hi_u32 s19, s20, s82
	s_mov_b64 s[16:17], 0
	s_subb_u32 s9, 0, 0
	v_add3_u32 v9, v7, v9, v2
	s_add_i32 s19, s19, s18
	s_mul_i32 s18, s20, s82
.LBB135_66:                             ;   Parent Loop BB135_43 Depth=1
                                        ; =>  This Inner Loop Header: Depth=2
	s_waitcnt vmcnt(0)
	v_mov_b32_e32 v2, v38
	global_load_ushort v38, v[8:9], off
	v_mov_b64_e32 v[10:11], v[4:5]
	v_lshlrev_b32_e32 v4, 1, v6
	ds_write_b16 v4, v2
	v_lshl_add_u64 v[4:5], v[10:11], 0, s[82:83]
	v_cmp_le_u64_e32 vcc, s[56:57], v[4:5]
	v_lshl_add_u64 v[8:9], v[8:9], 0, s[18:19]
	s_or_b64 s[16:17], vcc, s[16:17]
	v_mov_b64_e32 v[6:7], v[10:11]
	s_andn2_b64 exec, exec, s[16:17]
	s_cbranch_execnz .LBB135_66
; %bb.67:                               ;   in Loop: Header=BB135_43 Depth=1
	s_or_b64 exec, exec, s[16:17]
	v_lshl_add_u64 v[8:9], s[8:9], 0, v[4:5]
.LBB135_68:                             ;   in Loop: Header=BB135_43 Depth=1
	s_or_b64 exec, exec, s[6:7]
.LBB135_69:                             ;   in Loop: Header=BB135_43 Depth=1
	s_or_b64 exec, exec, s[2:3]
	v_lshlrev_b32_e32 v2, 1, v8
	s_waitcnt vmcnt(0)
	ds_write_b16 v2, v38
.LBB135_70:                             ;   in Loop: Header=BB135_43 Depth=1
	s_or_b64 exec, exec, s[0:1]
	s_waitcnt lgkmcnt(0)
	s_barrier
	s_mov_b64 s[0:1], exec
	v_readlane_b32 s2, v71, 12
	v_readlane_b32 s3, v71, 13
	s_and_b64 s[2:3], s[0:1], s[2:3]
	s_mov_b64 exec, s[2:3]
; %bb.71:                               ;   in Loop: Header=BB135_43 Depth=1
	ds_write_b64 v3, v[60:61] offset:5120
; %bb.72:                               ;   in Loop: Header=BB135_43 Depth=1
	s_or_b64 exec, exec, s[0:1]
	s_mov_b64 s[0:1], -1
	s_waitcnt lgkmcnt(0)
	s_barrier
.LBB135_73:                             ;   in Loop: Header=BB135_43 Depth=1
	s_mov_b64 s[96:97], 0
	s_and_b64 vcc, exec, s[0:1]
	s_cbranch_vccz .LBB135_75
; %bb.74:                               ;   in Loop: Header=BB135_43 Depth=1
	ds_read_b64 v[4:5], v3 offset:5120
	s_waitcnt lgkmcnt(0)
	v_readfirstlane_b32 s96, v4
.LBB135_75:                             ;   in Loop: Header=BB135_43 Depth=1
	s_cmp_lt_i32 s96, 1
	s_mov_b64 s[0:1], -1
                                        ; implicit-def: $vgpr4_vgpr5
                                        ; implicit-def: $vgpr8_vgpr9
	s_cbranch_scc1 .LBB135_85
; %bb.76:                               ;   in Loop: Header=BB135_43 Depth=1
	s_and_b64 vcc, exec, s[0:1]
	s_cbranch_vccnz .LBB135_99
.LBB135_77:                             ;   in Loop: Header=BB135_43 Depth=1
	s_lshl_b32 s2, s65, 6
	s_and_saveexec_b64 s[0:1], s[4:5]
	s_cbranch_execz .LBB135_79
.LBB135_78:                             ;   in Loop: Header=BB135_43 Depth=1
	v_lshl_add_u32 v2, s2, 3, v50
	ds_write_b128 v2, v[4:7]
	ds_write_b128 v2, v[8:11] offset:16
.LBB135_79:                             ;   in Loop: Header=BB135_43 Depth=1
	s_or_b64 exec, exec, s[0:1]
	s_waitcnt lgkmcnt(0)
	s_barrier
	s_and_saveexec_b64 s[0:1], s[84:85]
	s_cbranch_execz .LBB135_114
; %bb.80:                               ;   in Loop: Header=BB135_43 Depth=1
	v_readlane_b32 s6, v71, 18
	v_readlane_b32 s7, v71, 19
	s_andn2_b64 vcc, exec, s[6:7]
	v_mov_b64_e32 v[4:5], 0
	s_cbranch_vccnz .LBB135_113
; %bb.81:                               ;   in Loop: Header=BB135_43 Depth=1
	v_readlane_b32 s6, v71, 30
	v_readlane_b32 s7, v71, 31
	s_andn2_b64 vcc, exec, s[6:7]
	s_cbranch_vccnz .LBB135_109
; %bb.82:                               ;   in Loop: Header=BB135_43 Depth=1
	v_lshl_add_u32 v2, s65, 9, v51
	v_mov_b64_e32 v[4:5], 0
	s_mov_b32 s3, 0
.LBB135_83:                             ;   Parent Loop BB135_43 Depth=1
                                        ; =>  This Inner Loop Header: Depth=2
	ds_read2_b64 v[6:9], v2 offset1:4
	ds_read2_b64 v[36:39], v2 offset0:8 offset1:12
	ds_read2_b64 v[40:43], v2 offset0:16 offset1:20
	;; [unrolled: 1-line block ×3, first 2 shown]
	s_add_i32 s3, s3, 8
	s_waitcnt lgkmcnt(3)
	v_lshl_add_u64 v[4:5], v[6:7], 0, v[4:5]
	v_lshl_add_u64 v[4:5], v[8:9], 0, v[4:5]
	s_waitcnt lgkmcnt(2)
	v_lshl_add_u64 v[4:5], v[36:37], 0, v[4:5]
	v_lshl_add_u64 v[4:5], v[38:39], 0, v[4:5]
	;; [unrolled: 3-line block ×3, first 2 shown]
	s_waitcnt lgkmcnt(0)
	v_lshl_add_u64 v[4:5], v[62:63], 0, v[4:5]
	v_add_u32_e32 v2, 0x100, v2
	s_cmp_eq_u32 s86, s3
	v_lshl_add_u64 v[4:5], v[64:65], 0, v[4:5]
	s_cbranch_scc0 .LBB135_83
; %bb.84:                               ;   in Loop: Header=BB135_43 Depth=1
	s_mov_b32 s3, s86
	s_branch .LBB135_110
.LBB135_85:                             ;   in Loop: Header=BB135_43 Depth=1
	v_readlane_b32 s0, v71, 22
	v_readlane_b32 s1, v71, 23
	s_nop 4
	global_load_ushort v2, v3, s[0:1]
	s_mov_b32 s0, s83
	s_waitcnt vmcnt(0)
	v_readfirstlane_b32 s1, v2
	s_and_b32 s8, s1, 0xffff
	s_lshl_b32 s82, s8, 2
	s_mov_b32 s1, s57
	s_cmp_lg_u64 s[0:1], 0
	s_cbranch_scc0 .LBB135_108
; %bb.86:                               ;   in Loop: Header=BB135_43 Depth=1
	v_cvt_f32_u32_e32 v2, s82
	s_sub_u32 s2, 0, s82
	s_subb_u32 s3, 0, 0
	v_fmac_f32_e32 v2, 0, v55
	v_rcp_f32_e32 v2, v2
	s_nop 0
	v_mul_f32_e32 v2, 0x5f7ffffc, v2
	v_mul_f32_e32 v4, 0x2f800000, v2
	v_trunc_f32_e32 v4, v4
	v_fmac_f32_e32 v2, 0xcf800000, v4
	v_cvt_u32_f32_e32 v4, v4
	v_cvt_u32_f32_e32 v2, v2
	v_readfirstlane_b32 s6, v4
	v_readfirstlane_b32 s0, v2
	s_mul_i32 s1, s2, s6
	s_mul_hi_u32 s9, s2, s0
	s_mul_i32 s7, s3, s0
	s_add_i32 s1, s9, s1
	s_mul_i32 s16, s2, s0
	s_add_i32 s1, s1, s7
	s_mul_hi_u32 s9, s0, s16
	s_mul_i32 s17, s0, s1
	s_mul_hi_u32 s7, s0, s1
	s_add_u32 s9, s9, s17
	s_addc_u32 s7, 0, s7
	s_mul_hi_u32 s18, s6, s16
	s_mul_i32 s16, s6, s16
	s_add_u32 s9, s9, s16
	s_mul_hi_u32 s17, s6, s1
	s_addc_u32 s7, s7, s18
	s_addc_u32 s9, s17, 0
	s_mul_i32 s1, s6, s1
	s_add_u32 s1, s7, s1
	s_addc_u32 s7, 0, s9
	s_add_u32 s9, s0, s1
	s_cselect_b64 s[0:1], -1, 0
	s_cmp_lg_u64 s[0:1], 0
	s_addc_u32 s6, s6, s7
	s_mul_i32 s0, s2, s6
	s_mul_hi_u32 s1, s2, s9
	s_add_i32 s0, s1, s0
	s_mul_i32 s3, s3, s9
	s_add_i32 s0, s0, s3
	s_mul_i32 s2, s2, s9
	s_mul_hi_u32 s3, s6, s2
	s_mul_i32 s7, s6, s2
	s_mul_i32 s17, s9, s0
	s_mul_hi_u32 s2, s9, s2
	s_mul_hi_u32 s16, s9, s0
	s_add_u32 s2, s2, s17
	s_addc_u32 s16, 0, s16
	s_add_u32 s2, s2, s7
	s_mul_hi_u32 s1, s6, s0
	s_addc_u32 s2, s16, s3
	s_addc_u32 s1, s1, 0
	s_mul_i32 s0, s6, s0
	s_add_u32 s0, s2, s0
	s_addc_u32 s2, 0, s1
	s_add_u32 s3, s9, s0
	s_cselect_b64 s[0:1], -1, 0
	s_cmp_lg_u64 s[0:1], 0
	s_addc_u32 s0, s6, s2
	s_mul_i32 s2, s56, s0
	s_mul_hi_u32 s6, s56, s3
	s_mul_hi_u32 s1, s56, s0
	s_add_u32 s2, s6, s2
	s_addc_u32 s1, 0, s1
	s_mul_hi_u32 s7, s57, s3
	s_mul_i32 s3, s57, s3
	s_add_u32 s2, s2, s3
	s_mul_hi_u32 s6, s57, s0
	s_addc_u32 s1, s1, s7
	s_addc_u32 s2, s6, 0
	s_mul_i32 s0, s57, s0
	s_add_u32 s0, s1, s0
	s_addc_u32 s1, 0, s2
	s_mul_i32 s1, s82, s1
	s_mul_hi_u32 s2, s82, s0
	s_add_i32 s2, s2, s1
	s_mul_i32 s0, s82, s0
	s_sub_u32 s3, s56, s0
	s_cselect_b64 s[0:1], -1, 0
	s_cmp_lg_u64 s[0:1], 0
	s_subb_u32 s2, s57, s2
	s_sub_u32 s6, s3, s82
	s_cselect_b64 s[0:1], -1, 0
	s_cmp_lg_u64 s[0:1], 0
	s_subb_u32 s7, s2, 0
	;; [unrolled: 4-line block ×3, first 2 shown]
	s_cmp_ge_u32 s6, s82
	s_cselect_b32 s1, -1, 0
	s_cmp_eq_u32 s7, 0
	s_cselect_b32 s1, s1, -1
	s_cmp_lg_u32 s1, 0
	s_cselect_b32 s0, s0, s7
	s_cselect_b32 s6, s9, s6
	s_cmp_ge_u32 s3, s82
	s_cselect_b32 s1, -1, 0
	s_cmp_eq_u32 s2, 0
	s_cselect_b32 s1, s1, -1
	s_cmp_lg_u32 s1, 0
	s_cselect_b32 s1, s0, s2
	s_cselect_b32 s0, s6, s3
	s_cbranch_execnz .LBB135_88
.LBB135_87:                             ;   in Loop: Header=BB135_43 Depth=1
	v_cvt_f32_u32_e32 v2, s82
	s_sub_i32 s0, 0, s82
	v_rcp_iflag_f32_e32 v2, v2
	s_nop 0
	v_mul_f32_e32 v2, 0x4f7ffffe, v2
	v_cvt_u32_f32_e32 v2, v2
	s_nop 0
	v_readfirstlane_b32 s1, v2
	s_mul_i32 s0, s0, s1
	s_mul_hi_u32 s0, s1, s0
	s_add_i32 s1, s1, s0
	s_mul_hi_u32 s0, s56, s1
	s_mul_i32 s0, s0, s82
	s_sub_i32 s0, s56, s0
	s_sub_i32 s1, s0, s82
	s_cmp_ge_u32 s0, s82
	s_cselect_b32 s0, s1, s0
	s_sub_i32 s1, s0, s82
	s_cmp_ge_u32 s0, s82
	s_cselect_b32 s0, s1, s0
	s_mov_b32 s1, s83
.LBB135_88:                             ;   in Loop: Header=BB135_43 Depth=1
	s_sub_u32 s30, s56, s0
	s_subb_u32 s31, s57, s1
	s_mov_b32 s9, s83
	v_cmp_gt_u64_e32 vcc, s[30:31], v[14:15]
	v_mov_b64_e32 v[4:5], 0
	v_mov_b64_e32 v[6:7], 0
	v_mov_b64_e32 v[8:9], 0
	v_mov_b64_e32 v[10:11], 0
	s_and_saveexec_b64 s[88:89], vcc
	s_cbranch_execz .LBB135_92
; %bb.89:                               ;   in Loop: Header=BB135_43 Depth=1
	v_readlane_b32 s2, v71, 39
	v_readlane_b32 s3, v71, 40
	s_mul_i32 s0, s3, s8
	s_mul_hi_u32 s1, s2, s8
	s_mov_b32 s69, s55
	s_mov_b32 s97, s93
	s_add_i32 s73, s1, s0
	s_mul_i32 s72, s2, s8
	s_mov_b64 s[6:7], 0
	v_mov_b64_e32 v[36:37], v[32:33]
	v_mov_b64_e32 v[38:39], v[30:31]
	;; [unrolled: 1-line block ×4, first 2 shown]
	s_mov_b64 s[70:71], 0
	s_mov_b64 s[84:85], 0
	;; [unrolled: 1-line block ×4, first 2 shown]
	v_mov_b64_e32 v[44:45], v[14:15]
.LBB135_90:                             ;   Parent Loop BB135_43 Depth=1
                                        ; =>  This Inner Loop Header: Depth=2
	v_lshl_add_u64 v[4:5], v[36:37], 0, s[78:79]
	v_lshl_add_u64 v[6:7], v[38:39], 0, s[78:79]
	v_lshl_add_u64 v[8:9], v[40:41], 0, s[78:79]
	v_lshl_add_u64 v[10:11], v[42:43], 0, s[78:79]
	global_load_ushort v2, v[4:5], off
	s_nop 0
	global_load_ushort v4, v[6:7], off
	global_load_ushort v5, v[8:9], off
	s_nop 0
	global_load_ushort v6, v[10:11], off
	v_lshl_add_u64 v[44:45], v[44:45], 0, s[82:83]
	v_cmp_le_u64_e32 vcc, s[30:31], v[44:45]
	v_lshl_add_u64 v[42:43], v[42:43], 0, s[72:73]
	v_lshl_add_u64 v[40:41], v[40:41], 0, s[72:73]
	;; [unrolled: 1-line block ×4, first 2 shown]
	s_waitcnt vmcnt(3)
	v_cmp_lt_i16_e64 s[0:1], -1, v2
	s_nop 1
	v_cndmask_b32_e64 v7, v53, v54, s[0:1]
	s_waitcnt vmcnt(2)
	v_cmp_lt_i16_e64 s[0:1], -1, v4
	s_waitcnt vmcnt(1)
	v_cmp_o_f16_e64 s[2:3], v5, v5
	s_waitcnt vmcnt(0)
	v_cmp_o_f16_e64 s[16:17], v6, v6
	v_cndmask_b32_e64 v8, v53, v54, s[0:1]
	v_cmp_lt_i16_e64 s[0:1], -1, v5
	v_xor_b32_sdwa v8, v8, v4 dst_sel:DWORD dst_unused:UNUSED_PAD src0_sel:DWORD src1_sel:WORD_0
	v_cmp_o_f16_e64 s[18:19], v2, v2
	v_cndmask_b32_e64 v9, v53, v54, s[0:1]
	v_cmp_lt_i16_e64 s[0:1], -1, v6
	s_nop 1
	v_cndmask_b32_e64 v10, v53, v54, s[0:1]
	v_cmp_o_f16_e64 s[0:1], v4, v4
	v_xor_b32_sdwa v4, v9, v5 dst_sel:DWORD dst_unused:UNUSED_PAD src0_sel:DWORD src1_sel:WORD_0
	v_xor_b32_sdwa v5, v10, v6 dst_sel:DWORD dst_unused:UNUSED_PAD src0_sel:DWORD src1_sel:WORD_0
	;; [unrolled: 1-line block ×3, first 2 shown]
	v_cndmask_b32_e64 v2, v53, v6, s[18:19]
	v_cndmask_b32_e64 v6, v53, v8, s[0:1]
	v_and_b32_e32 v7, v2, v57
	v_bfe_u32 v2, v2, s64, 2
	v_cndmask_b32_e64 v4, v53, v4, s[2:3]
	v_and_b32_e32 v8, v6, v57
	v_bfe_u32 v6, v6, s64, 2
	v_cmp_eq_u32_e64 s[20:21], v7, v52
	v_cmp_eq_u32_e64 s[2:3], 0, v2
	v_cndmask_b32_e64 v5, v53, v5, s[16:17]
	v_and_b32_e32 v9, v4, v57
	v_bfe_u32 v4, v4, s64, 2
	v_cmp_eq_u32_e64 s[18:19], v8, v52
	v_cmp_eq_u32_e64 s[34:35], 0, v6
	s_and_b64 s[2:3], s[20:21], s[2:3]
	v_and_b32_e32 v10, v5, v57
	v_bfe_u32 v5, v5, s64, 2
	v_cmp_eq_u32_e64 s[16:17], v9, v52
	v_cmp_eq_u32_e64 s[36:37], 0, v4
	;; [unrolled: 1-line block ×5, first 2 shown]
	v_cndmask_b32_e64 v2, 0, 1, s[2:3]
	s_and_b64 s[2:3], s[18:19], s[34:35]
	v_cmp_eq_u32_e64 s[0:1], v10, v52
	v_cmp_eq_u32_e64 s[38:39], 0, v5
	;; [unrolled: 1-line block ×5, first 2 shown]
	v_cndmask_b32_e64 v4, 0, 1, s[2:3]
	s_and_b64 s[2:3], s[16:17], s[36:37]
	v_cmp_eq_u32_e64 s[46:47], 1, v5
	v_cmp_eq_u32_e64 s[54:55], 2, v5
	;; [unrolled: 1-line block ×3, first 2 shown]
	v_cndmask_b32_e64 v5, 0, 1, s[2:3]
	s_and_b64 s[2:3], s[0:1], s[38:39]
	v_cmp_eq_u32_e64 s[42:43], 1, v6
	v_cmp_eq_u32_e64 s[50:51], 2, v6
	;; [unrolled: 1-line block ×3, first 2 shown]
	v_cndmask_b32_e64 v6, 0, 1, s[2:3]
	v_cmp_ne_u32_e64 s[2:3], 0, v2
	v_cmp_ne_u32_e64 s[34:35], 0, v4
	;; [unrolled: 1-line block ×4, first 2 shown]
	s_bcnt1_i32_b64 s2, s[2:3]
	s_bcnt1_i32_b64 s3, s[34:35]
	;; [unrolled: 1-line block ×4, first 2 shown]
	s_add_u32 s2, s2, s90
	s_addc_u32 s36, 0, s91
	s_add_u32 s2, s2, s3
	s_addc_u32 s3, s36, 0
	;; [unrolled: 2-line block ×4, first 2 shown]
	s_and_b64 s[2:3], s[20:21], s[40:41]
	v_cndmask_b32_e64 v2, 0, 1, s[2:3]
	s_and_b64 s[2:3], s[18:19], s[42:43]
	v_cndmask_b32_e64 v6, 0, 1, s[2:3]
	;; [unrolled: 2-line block ×4, first 2 shown]
	v_cmp_ne_u32_e64 s[2:3], 0, v2
	v_cmp_ne_u32_e64 s[34:35], 0, v6
	;; [unrolled: 1-line block ×4, first 2 shown]
	s_bcnt1_i32_b64 s2, s[2:3]
	s_bcnt1_i32_b64 s3, s[34:35]
	;; [unrolled: 1-line block ×4, first 2 shown]
	s_add_u32 s2, s2, s92
	s_addc_u32 s36, 0, s93
	s_add_u32 s2, s2, s3
	s_addc_u32 s3, s36, 0
	;; [unrolled: 2-line block ×4, first 2 shown]
	s_and_b64 s[2:3], s[20:21], s[48:49]
	v_cndmask_b32_e64 v2, 0, 1, s[2:3]
	s_and_b64 s[2:3], s[18:19], s[50:51]
	v_cndmask_b32_e64 v8, 0, 1, s[2:3]
	s_and_b64 s[2:3], s[16:17], s[52:53]
	v_cndmask_b32_e64 v9, 0, 1, s[2:3]
	s_and_b64 s[2:3], s[0:1], s[54:55]
	v_cndmask_b32_e64 v10, 0, 1, s[2:3]
	v_cmp_ne_u32_e64 s[2:3], 0, v2
	v_cmp_ne_u32_e64 s[34:35], 0, v8
	v_cmp_ne_u32_e64 s[36:37], 0, v9
	v_cmp_ne_u32_e64 s[38:39], 0, v10
	s_bcnt1_i32_b64 s2, s[2:3]
	s_bcnt1_i32_b64 s3, s[34:35]
	;; [unrolled: 1-line block ×4, first 2 shown]
	s_add_u32 s2, s2, s84
	s_addc_u32 s36, 0, s85
	s_add_u32 s2, s2, s3
	s_addc_u32 s3, s36, 0
	;; [unrolled: 2-line block ×4, first 2 shown]
	s_and_b64 s[2:3], s[20:21], s[28:29]
	v_cndmask_b32_e64 v2, 0, 1, s[2:3]
	s_and_b64 s[2:3], s[18:19], s[26:27]
	v_cndmask_b32_e64 v10, 0, 1, s[2:3]
	s_and_b64 s[2:3], s[16:17], s[24:25]
	s_and_b64 s[0:1], s[0:1], s[22:23]
	v_cndmask_b32_e64 v11, 0, 1, s[2:3]
	v_cndmask_b32_e64 v59, 0, 1, s[0:1]
	v_cmp_ne_u32_e64 s[0:1], 0, v2
	v_cmp_ne_u32_e64 s[2:3], 0, v10
	;; [unrolled: 1-line block ×4, first 2 shown]
	s_bcnt1_i32_b64 s0, s[0:1]
	s_bcnt1_i32_b64 s1, s[2:3]
	;; [unrolled: 1-line block ×4, first 2 shown]
	s_add_u32 s0, s0, s70
	s_addc_u32 s16, 0, s71
	s_add_u32 s0, s0, s1
	s_addc_u32 s1, s16, 0
	;; [unrolled: 2-line block ×4, first 2 shown]
	v_mov_b64_e32 v[4:5], s[90:91]
	v_mov_b64_e32 v[6:7], s[92:93]
	;; [unrolled: 1-line block ×3, first 2 shown]
	s_or_b64 s[6:7], vcc, s[6:7]
	v_mov_b64_e32 v[10:11], s[70:71]
	s_andn2_b64 exec, exec, s[6:7]
	s_cbranch_execnz .LBB135_90
; %bb.91:                               ;   in Loop: Header=BB135_43 Depth=1
	s_or_b64 exec, exec, s[6:7]
	v_readlane_b32 s84, v71, 41
	v_readlane_b32 s90, v71, 43
	v_readlane_b32 s50, v71, 45
	v_readlane_b32 s85, v71, 42
	v_readlane_b32 s91, v71, 44
	s_mov_b32 s93, s97
	s_mov_b32 s55, s69
	v_readlane_b32 s51, v71, 46
	v_readlane_b32 s73, v71, 47
	v_readlane_b32 s53, v71, 48
	v_readlane_b32 s54, v71, 49
.LBB135_92:                             ;   in Loop: Header=BB135_43 Depth=1
	s_or_b64 exec, exec, s[88:89]
	v_lshl_add_u64 v[36:37], s[30:31], 0, v[0:1]
	v_cmp_gt_u64_e32 vcc, s[56:57], v[36:37]
	s_and_saveexec_b64 s[2:3], vcc
	s_cbranch_execz .LBB135_98
; %bb.93:                               ;   in Loop: Header=BB135_43 Depth=1
	v_mul_lo_u32 v2, v37, s60
	v_mul_lo_u32 v40, v36, s61
	v_mad_u64_u32 v[38:39], s[0:1], v36, s60, 0
	v_add3_u32 v39, v39, v40, v2
	v_lshl_add_u64 v[38:39], v[38:39], 1, s[80:81]
	global_load_ushort v38, v[38:39], off
	s_mov_b64 s[6:7], 0
	s_branch .LBB135_95
.LBB135_94:                             ;   in Loop: Header=BB135_95 Depth=2
	s_or_b64 exec, exec, s[16:17]
	s_and_b64 s[0:1], exec, vcc
	s_waitcnt vmcnt(0)
	v_cmp_lt_i16_e32 vcc, -1, v38
	s_or_b64 s[6:7], s[0:1], s[6:7]
	s_nop 0
	v_cndmask_b32_e32 v39, v53, v54, vcc
	v_xor_b32_sdwa v39, v39, v38 dst_sel:DWORD dst_unused:UNUSED_PAD src0_sel:DWORD src1_sel:WORD_0
	v_cmp_o_f16_e32 vcc, v38, v38
	s_nop 1
	v_cndmask_b32_e32 v38, v53, v39, vcc
	v_and_b32_e32 v39, v38, v57
	v_bfe_u32 v38, v38, s64, 2
	v_cmp_eq_u32_e32 vcc, v39, v52
	v_cmp_eq_u32_e64 s[0:1], 0, v38
	s_and_b64 s[0:1], vcc, s[0:1]
	s_nop 0
	v_cndmask_b32_e64 v39, 0, 1, s[0:1]
	v_cmp_ne_u32_e64 s[0:1], 0, v39
	s_bcnt1_i32_b64 s82, s[0:1]
	v_cmp_eq_u32_e64 s[0:1], 1, v38
	s_and_b64 s[0:1], vcc, s[0:1]
	v_lshl_add_u64 v[4:5], s[82:83], 0, v[4:5]
	v_cndmask_b32_e64 v39, 0, 1, s[0:1]
	v_cmp_ne_u32_e64 s[0:1], 0, v39
	s_bcnt1_i32_b64 s82, s[0:1]
	v_cmp_eq_u32_e64 s[0:1], 2, v38
	s_and_b64 s[0:1], vcc, s[0:1]
	v_lshl_add_u64 v[6:7], s[82:83], 0, v[6:7]
	;; [unrolled: 6-line block ×3, first 2 shown]
	v_cndmask_b32_e64 v38, 0, 1, s[0:1]
	v_cmp_ne_u32_e32 vcc, 0, v38
	s_bcnt1_i32_b64 s82, vcc
	v_lshl_add_u64 v[10:11], s[82:83], 0, v[10:11]
	v_mov_b32_e32 v38, v2
	s_andn2_b64 exec, exec, s[6:7]
	s_cbranch_execz .LBB135_97
.LBB135_95:                             ;   Parent Loop BB135_43 Depth=1
                                        ; =>  This Inner Loop Header: Depth=2
	v_lshl_add_u64 v[36:37], v[36:37], 0, s[8:9]
	v_cmp_gt_u64_e64 s[0:1], s[56:57], v[36:37]
	v_cmp_le_u64_e32 vcc, s[56:57], v[36:37]
	v_mov_b32_e32 v2, 0
	s_and_saveexec_b64 s[16:17], s[0:1]
	s_cbranch_execz .LBB135_94
; %bb.96:                               ;   in Loop: Header=BB135_95 Depth=2
	v_mul_lo_u32 v2, v37, s60
	v_mul_lo_u32 v39, v36, s61
	v_mad_u64_u32 v[40:41], s[0:1], v36, s60, 0
	v_add3_u32 v41, v41, v39, v2
	v_lshl_add_u64 v[40:41], v[40:41], 1, s[80:81]
	global_load_ushort v2, v[40:41], off
	s_branch .LBB135_94
.LBB135_97:                             ;   in Loop: Header=BB135_43 Depth=1
	s_or_b64 exec, exec, s[6:7]
.LBB135_98:                             ;   in Loop: Header=BB135_43 Depth=1
	s_or_b64 exec, exec, s[2:3]
	s_branch .LBB135_77
.LBB135_99:                             ;   in Loop: Header=BB135_43 Depth=1
	v_readlane_b32 s0, v71, 22
	v_readlane_b32 s1, v71, 23
	v_mov_b64_e32 v[8:9], 0
	s_nop 3
	global_load_ushort v2, v3, s[0:1]
	s_waitcnt vmcnt(0)
	v_readfirstlane_b32 s0, v2
	s_and_b32 s92, 0xffff, s0
	s_lshl_b32 s82, s92, 2
	v_cvt_f32_u32_e32 v4, s82
	s_sub_i32 s0, 0, s82
	v_rcp_iflag_f32_e32 v6, v4
	v_mov_b64_e32 v[4:5], 0
	v_mul_f32_e32 v6, 0x4f7ffffe, v6
	v_cvt_u32_f32_e32 v10, v6
	v_mov_b64_e32 v[6:7], 0
	v_readfirstlane_b32 s1, v10
	s_mul_i32 s0, s0, s1
	s_mul_hi_u32 s0, s1, s0
	s_add_i32 s1, s1, s0
	s_mul_hi_u32 s0, s96, s1
	s_mul_i32 s1, s0, s82
	s_sub_i32 s1, s96, s1
	s_add_i32 s2, s0, 1
	s_sub_i32 s3, s1, s82
	s_cmp_ge_u32 s1, s82
	s_cselect_b32 s0, s2, s0
	s_cselect_b32 s1, s3, s1
	s_add_i32 s2, s0, 1
	s_cmp_ge_u32 s1, s82
	s_cselect_b32 s0, s2, s0
	s_mul_hi_u32 s9, s92, s0
	s_mul_i32 s8, s92, s0
	s_lshl_b64 s[30:31], s[8:9], 2
	v_cmp_gt_u64_e32 vcc, s[30:31], v[14:15]
	v_mov_b64_e32 v[10:11], 0
	s_and_saveexec_b64 s[6:7], vcc
	s_cbranch_execz .LBB135_103
; %bb.100:                              ;   in Loop: Header=BB135_43 Depth=1
	s_mov_b32 s69, s55
	s_lshl_b32 s9, s92, 3
	s_mov_b64 s[70:71], 0
	v_mov_b32_e32 v38, v20
	s_mov_b64 s[72:73], 0
	s_mov_b64 s[84:85], 0
	;; [unrolled: 1-line block ×4, first 2 shown]
	v_mov_b64_e32 v[36:37], v[14:15]
.LBB135_101:                            ;   Parent Loop BB135_43 Depth=1
                                        ; =>  This Inner Loop Header: Depth=2
	ds_read_b64 v[4:5], v38
	v_lshl_add_u64 v[36:37], v[36:37], 0, s[82:83]
	v_cmp_le_u64_e32 vcc, s[30:31], v[36:37]
	v_add_u32_e32 v38, s9, v38
	s_waitcnt lgkmcnt(0)
	v_cmp_lt_i16_e64 s[0:1], -1, v4
	v_cmp_o_f16_e64 s[2:3], v5, v5
	s_nop 0
	v_cndmask_b32_e64 v6, v53, v54, s[0:1]
	v_cmp_gt_i16_sdwa s[0:1], v4, v21 src0_sel:WORD_1 src1_sel:DWORD
	v_cmp_o_f16_sdwa s[16:17], v5, v5 src0_sel:WORD_1 src1_sel:WORD_1
	v_cmp_o_f16_e64 s[18:19], v4, v4
	v_cndmask_b32_e64 v7, v53, v54, s[0:1]
	v_cmp_lt_i16_e64 s[0:1], -1, v5
	v_xor_b32_sdwa v7, v7, v4 dst_sel:DWORD dst_unused:UNUSED_PAD src0_sel:DWORD src1_sel:WORD_1
	s_nop 0
	v_cndmask_b32_e64 v8, v53, v54, s[0:1]
	v_cmp_gt_i16_sdwa s[0:1], v5, v21 src0_sel:WORD_1 src1_sel:DWORD
	v_bitop3_b32 v8, v8, v5, s33 bitop3:0x78
	s_nop 0
	v_cndmask_b32_e64 v9, v53, v54, s[0:1]
	v_xor_b32_sdwa v9, v9, v5 dst_sel:DWORD dst_unused:UNUSED_PAD src0_sel:DWORD src1_sel:WORD_1
	v_bitop3_b32 v5, v6, v4, s33 bitop3:0x78
	v_cmp_o_f16_sdwa s[0:1], v4, v4 src0_sel:WORD_1 src1_sel:WORD_1
	v_cndmask_b32_e64 v4, v53, v5, s[18:19]
	v_cndmask_b32_e64 v6, v53, v8, s[2:3]
	;; [unrolled: 1-line block ×3, first 2 shown]
	v_and_b32_e32 v8, v4, v57
	v_bfe_u32 v4, v4, s64, 2
	v_cndmask_b32_e64 v7, v53, v9, s[16:17]
	v_and_b32_e32 v9, v5, v57
	v_bfe_u32 v5, v5, s64, 2
	v_cmp_eq_u32_e64 s[20:21], v8, v52
	v_cmp_eq_u32_e64 s[2:3], 0, v4
	v_and_b32_e32 v10, v6, v57
	v_bfe_u32 v6, v6, s64, 2
	v_cmp_eq_u32_e64 s[18:19], v9, v52
	v_cmp_eq_u32_e64 s[34:35], 0, v5
	s_and_b64 s[2:3], s[20:21], s[2:3]
	v_and_b32_e32 v11, v7, v57
	v_bfe_u32 v7, v7, s64, 2
	v_cmp_eq_u32_e64 s[16:17], v10, v52
	v_cmp_eq_u32_e64 s[36:37], 0, v6
	;; [unrolled: 1-line block ×5, first 2 shown]
	v_cndmask_b32_e64 v4, 0, 1, s[2:3]
	s_and_b64 s[2:3], s[18:19], s[34:35]
	v_cmp_eq_u32_e64 s[0:1], v11, v52
	v_cmp_eq_u32_e64 s[38:39], 0, v7
	;; [unrolled: 1-line block ×5, first 2 shown]
	v_cndmask_b32_e64 v5, 0, 1, s[2:3]
	s_and_b64 s[2:3], s[16:17], s[36:37]
	v_cmp_eq_u32_e64 s[44:45], 1, v6
	v_cmp_eq_u32_e64 s[52:53], 2, v6
	;; [unrolled: 1-line block ×3, first 2 shown]
	v_cndmask_b32_e64 v6, 0, 1, s[2:3]
	s_and_b64 s[2:3], s[0:1], s[38:39]
	v_cmp_eq_u32_e64 s[46:47], 1, v7
	v_cmp_eq_u32_e64 s[54:55], 2, v7
	v_cmp_eq_u32_e64 s[22:23], 3, v7
	v_cndmask_b32_e64 v7, 0, 1, s[2:3]
	v_cmp_ne_u32_e64 s[2:3], 0, v4
	v_cmp_ne_u32_e64 s[34:35], 0, v5
	;; [unrolled: 1-line block ×4, first 2 shown]
	s_bcnt1_i32_b64 s2, s[2:3]
	s_bcnt1_i32_b64 s3, s[34:35]
	;; [unrolled: 1-line block ×4, first 2 shown]
	s_add_u32 s2, s2, s90
	s_addc_u32 s36, 0, s91
	s_add_u32 s2, s2, s3
	s_addc_u32 s3, s36, 0
	s_add_u32 s2, s2, s34
	s_addc_u32 s3, s3, 0
	s_add_u32 s90, s2, s35
	s_addc_u32 s91, s3, 0
	s_and_b64 s[2:3], s[20:21], s[40:41]
	v_cndmask_b32_e64 v6, 0, 1, s[2:3]
	s_and_b64 s[2:3], s[18:19], s[42:43]
	v_cndmask_b32_e64 v7, 0, 1, s[2:3]
	;; [unrolled: 2-line block ×4, first 2 shown]
	v_cmp_ne_u32_e64 s[2:3], 0, v6
	v_cmp_ne_u32_e64 s[34:35], 0, v7
	;; [unrolled: 1-line block ×4, first 2 shown]
	s_bcnt1_i32_b64 s2, s[2:3]
	s_bcnt1_i32_b64 s3, s[34:35]
	;; [unrolled: 1-line block ×4, first 2 shown]
	s_add_u32 s2, s2, s88
	s_addc_u32 s36, 0, s89
	s_add_u32 s2, s2, s3
	s_addc_u32 s3, s36, 0
	;; [unrolled: 2-line block ×4, first 2 shown]
	s_and_b64 s[2:3], s[20:21], s[48:49]
	v_cndmask_b32_e64 v8, 0, 1, s[2:3]
	s_and_b64 s[2:3], s[18:19], s[50:51]
	v_cndmask_b32_e64 v9, 0, 1, s[2:3]
	;; [unrolled: 2-line block ×4, first 2 shown]
	v_cmp_ne_u32_e64 s[2:3], 0, v8
	v_cmp_ne_u32_e64 s[34:35], 0, v9
	;; [unrolled: 1-line block ×4, first 2 shown]
	s_bcnt1_i32_b64 s2, s[2:3]
	s_bcnt1_i32_b64 s3, s[34:35]
	s_bcnt1_i32_b64 s34, s[36:37]
	s_bcnt1_i32_b64 s35, s[38:39]
	s_add_u32 s2, s2, s84
	s_addc_u32 s36, 0, s85
	s_add_u32 s2, s2, s3
	s_addc_u32 s3, s36, 0
	;; [unrolled: 2-line block ×4, first 2 shown]
	s_and_b64 s[2:3], s[20:21], s[28:29]
	v_cndmask_b32_e64 v10, 0, 1, s[2:3]
	s_and_b64 s[2:3], s[18:19], s[26:27]
	v_cndmask_b32_e64 v11, 0, 1, s[2:3]
	s_and_b64 s[2:3], s[16:17], s[24:25]
	s_and_b64 s[0:1], s[0:1], s[22:23]
	v_cndmask_b32_e64 v39, 0, 1, s[2:3]
	v_cndmask_b32_e64 v40, 0, 1, s[0:1]
	v_cmp_ne_u32_e64 s[0:1], 0, v10
	v_cmp_ne_u32_e64 s[2:3], 0, v11
	;; [unrolled: 1-line block ×4, first 2 shown]
	s_bcnt1_i32_b64 s0, s[0:1]
	s_bcnt1_i32_b64 s1, s[2:3]
	;; [unrolled: 1-line block ×4, first 2 shown]
	s_add_u32 s0, s0, s72
	s_addc_u32 s16, 0, s73
	s_add_u32 s0, s0, s1
	s_addc_u32 s1, s16, 0
	;; [unrolled: 2-line block ×4, first 2 shown]
	v_mov_b64_e32 v[4:5], s[90:91]
	v_mov_b64_e32 v[6:7], s[88:89]
	;; [unrolled: 1-line block ×3, first 2 shown]
	s_or_b64 s[70:71], vcc, s[70:71]
	v_mov_b64_e32 v[10:11], s[72:73]
	s_andn2_b64 exec, exec, s[70:71]
	s_cbranch_execnz .LBB135_101
; %bb.102:                              ;   in Loop: Header=BB135_43 Depth=1
	s_or_b64 exec, exec, s[70:71]
	v_readlane_b32 s84, v71, 41
	v_readlane_b32 s90, v71, 43
	v_readlane_b32 s50, v71, 45
	v_readlane_b32 s85, v71, 42
	v_readlane_b32 s91, v71, 44
	s_mov_b32 s55, s69
	v_readlane_b32 s51, v71, 46
	v_readlane_b32 s73, v71, 47
	;; [unrolled: 1-line block ×4, first 2 shown]
.LBB135_103:                            ;   in Loop: Header=BB135_43 Depth=1
	s_or_b64 exec, exec, s[6:7]
	s_and_b32 s6, s96, 0x7fffffff
	s_mov_b32 s7, s83
	v_lshl_add_u64 v[36:37], s[30:31], 0, v[0:1]
	v_and_b32_e32 v2, 0xffff, v2
	v_cmp_gt_u64_e32 vcc, s[6:7], v[36:37]
	s_and_saveexec_b64 s[22:23], vcc
	s_cbranch_execz .LBB135_107
; %bb.104:                              ;   in Loop: Header=BB135_43 Depth=1
	v_lshl_add_u32 v38, s8, 3, v47
	s_lshl_b32 s24, s92, 1
	s_mov_b64 s[8:9], 0
.LBB135_105:                            ;   Parent Loop BB135_43 Depth=1
                                        ; =>  This Inner Loop Header: Depth=2
	ds_read_u16 v39, v38
	v_lshl_add_u64 v[36:37], v[36:37], 0, v[2:3]
	v_cmp_le_u64_e32 vcc, s[6:7], v[36:37]
	v_add_u32_e32 v38, s24, v38
	s_waitcnt lgkmcnt(0)
	v_cmp_lt_i16_e64 s[0:1], -1, v39
	s_nop 1
	v_cndmask_b32_e64 v40, v53, v54, s[0:1]
	v_xor_b32_sdwa v40, v40, v39 dst_sel:DWORD dst_unused:UNUSED_PAD src0_sel:DWORD src1_sel:WORD_0
	v_cmp_o_f16_e64 s[0:1], v39, v39
	s_nop 1
	v_cndmask_b32_e64 v39, v53, v40, s[0:1]
	v_and_b32_e32 v40, v39, v57
	v_bfe_u32 v39, v39, s64, 2
	v_cmp_eq_u32_e64 s[0:1], v40, v52
	v_cmp_eq_u32_e64 s[2:3], 0, v39
	;; [unrolled: 1-line block ×3, first 2 shown]
	s_and_b64 s[2:3], s[0:1], s[2:3]
	v_cmp_eq_u32_e64 s[18:19], 2, v39
	v_cmp_eq_u32_e64 s[20:21], 3, v39
	v_cndmask_b32_e64 v39, 0, 1, s[2:3]
	s_and_b64 s[2:3], s[0:1], s[16:17]
	v_cndmask_b32_e64 v40, 0, 1, s[2:3]
	s_and_b64 s[2:3], s[0:1], s[18:19]
	s_and_b64 s[0:1], s[0:1], s[20:21]
	v_cndmask_b32_e64 v42, 0, 1, s[0:1]
	v_cmp_ne_u32_e64 s[0:1], 0, v39
	v_cndmask_b32_e64 v41, 0, 1, s[2:3]
	v_cmp_ne_u32_e64 s[2:3], 0, v40
	s_bcnt1_i32_b64 s82, s[0:1]
	v_cmp_ne_u32_e64 s[16:17], 0, v41
	v_lshl_add_u64 v[4:5], s[82:83], 0, v[4:5]
	s_bcnt1_i32_b64 s82, s[2:3]
	v_cmp_ne_u32_e64 s[18:19], 0, v42
	v_lshl_add_u64 v[6:7], s[82:83], 0, v[6:7]
	s_bcnt1_i32_b64 s82, s[16:17]
	v_lshl_add_u64 v[8:9], s[82:83], 0, v[8:9]
	s_bcnt1_i32_b64 s82, s[18:19]
	s_or_b64 s[8:9], vcc, s[8:9]
	v_lshl_add_u64 v[10:11], s[82:83], 0, v[10:11]
	s_andn2_b64 exec, exec, s[8:9]
	s_cbranch_execnz .LBB135_105
; %bb.106:                              ;   in Loop: Header=BB135_43 Depth=1
	s_or_b64 exec, exec, s[8:9]
.LBB135_107:                            ;   in Loop: Header=BB135_43 Depth=1
	s_or_b64 exec, exec, s[22:23]
	s_lshl_b32 s2, s65, 6
	s_and_saveexec_b64 s[0:1], s[4:5]
	s_cbranch_execnz .LBB135_78
	s_branch .LBB135_79
.LBB135_108:                            ;   in Loop: Header=BB135_43 Depth=1
                                        ; implicit-def: $sgpr0_sgpr1
	s_branch .LBB135_87
.LBB135_109:                            ;   in Loop: Header=BB135_43 Depth=1
	s_mov_b32 s3, 0
	v_mov_b64_e32 v[4:5], 0
.LBB135_110:                            ;   in Loop: Header=BB135_43 Depth=1
	v_readlane_b32 s6, v71, 33
	v_readlane_b32 s7, v71, 34
	s_andn2_b64 vcc, exec, s[6:7]
	s_cbranch_vccnz .LBB135_113
; %bb.111:                              ;   in Loop: Header=BB135_43 Depth=1
	s_lshl_b32 s6, s65, 9
	s_lshl_b32 s3, s3, 5
	s_add_i32 s6, s6, s3
	v_add_u32_e32 v2, s6, v51
	v_readlane_b32 s3, v71, 32
.LBB135_112:                            ;   Parent Loop BB135_43 Depth=1
                                        ; =>  This Inner Loop Header: Depth=2
	ds_read_b64 v[6:7], v2
	s_add_i32 s3, s3, -1
	v_add_u32_e32 v2, 32, v2
	s_cmp_lg_u32 s3, 0
	s_waitcnt lgkmcnt(0)
	v_lshl_add_u64 v[4:5], v[6:7], 0, v[4:5]
	s_cbranch_scc1 .LBB135_112
.LBB135_113:                            ;   in Loop: Header=BB135_43 Depth=1
	v_add_lshl_u32 v2, s2, v46, 3
	ds_write_b64 v2, v[4:5] offset:3072
.LBB135_114:                            ;   in Loop: Header=BB135_43 Depth=1
	s_or_b64 exec, exec, s[0:1]
	s_lshl_b32 s0, s2, 3
	v_mov_b32_e32 v2, s0
	s_waitcnt lgkmcnt(0)
	s_barrier
	ds_read_b128 v[8:11], v2 offset:3088
	ds_read_b128 v[4:7], v2 offset:3072
	s_lshl_b32 s72, 3, s64
	v_cmp_eq_u64_e64 s[0:1], 1, v[34:35]
	s_not_b32 s52, s72
	s_waitcnt lgkmcnt(1)
	v_readfirstlane_b32 s22, v8
	s_waitcnt lgkmcnt(0)
	v_cmp_eq_u64_e32 vcc, 1, v[4:5]
	v_readfirstlane_b32 s23, v9
	v_readfirstlane_b32 s2, v10
	;; [unrolled: 1-line block ×3, first 2 shown]
	s_and_b64 s[8:9], vcc, s[0:1]
	s_mov_b64 s[0:1], -1
	s_mov_b64 s[20:21], -1
                                        ; implicit-def: $sgpr18_sgpr19
                                        ; implicit-def: $sgpr6_sgpr7
	s_and_saveexec_b64 s[16:17], s[8:9]
	s_cbranch_execz .LBB135_154
; %bb.115:                              ;   in Loop: Header=BB135_43 Depth=1
	ds_read_b64 v[8:9], v3 offset:5120
	s_waitcnt lgkmcnt(0)
	s_barrier
	v_readfirstlane_b32 s24, v8
	v_readfirstlane_b32 s25, v9
	s_mov_b64 s[6:7], exec
	v_readlane_b32 s18, v71, 14
	v_readlane_b32 s19, v71, 15
	s_and_b64 s[18:19], s[6:7], s[18:19]
	s_mov_b64 exec, s[18:19]
; %bb.116:                              ;   in Loop: Header=BB135_43 Depth=1
	ds_write_b16 v48, v3
; %bb.117:                              ;   in Loop: Header=BB135_43 Depth=1
	s_or_b64 exec, exec, s[6:7]
	v_and_b32_e32 v52, s52, v52
	v_or_b32_e32 v57, s72, v57
	s_mov_b64 s[6:7], -1
	s_mov_b64 s[18:19], 0
	s_cmp_eq_u64 s[24:25], 0
	s_mov_b64 s[20:21], 0
	s_mov_b64 s[26:27], -1
	s_waitcnt lgkmcnt(0)
	s_barrier
                                        ; implicit-def: $vgpr58
	s_cbranch_scc1 .LBB135_132
; %bb.118:                              ;   in Loop: Header=BB135_43 Depth=1
	v_readlane_b32 s20, v71, 20
	s_add_u32 s30, s24, s20
	v_readlane_b32 s20, v71, 21
	s_addc_u32 s21, s25, s20
	s_mov_b32 s20, s83
	s_cmp_lg_u64 s[20:21], 0
	s_cbranch_scc0 .LBB135_135
; %bb.119:                              ;   in Loop: Header=BB135_43 Depth=1
	v_cvt_f32_u32_e32 v2, s76
	s_sub_u32 s20, 0, s76
	s_subb_u32 s28, 0, 0
	v_fmac_f32_e32 v2, 0, v55
	v_rcp_f32_e32 v2, v2
	s_nop 0
	v_mul_f32_e32 v2, 0x5f7ffffc, v2
	v_mul_f32_e32 v8, 0x2f800000, v2
	v_trunc_f32_e32 v8, v8
	v_fmac_f32_e32 v2, 0xcf800000, v8
	v_cvt_u32_f32_e32 v8, v8
	v_cvt_u32_f32_e32 v2, v2
	v_readfirstlane_b32 s29, v8
	v_readfirstlane_b32 s26, v2
	s_mul_i32 s27, s20, s29
	s_mul_hi_u32 s34, s20, s26
	s_mul_i32 s31, s28, s26
	s_add_i32 s27, s34, s27
	s_mul_i32 s35, s20, s26
	s_add_i32 s27, s27, s31
	s_mul_hi_u32 s34, s26, s35
	s_mul_i32 s36, s26, s27
	s_mul_hi_u32 s31, s26, s27
	s_add_u32 s34, s34, s36
	s_addc_u32 s31, 0, s31
	s_mul_hi_u32 s37, s29, s35
	s_mul_i32 s35, s29, s35
	s_add_u32 s34, s34, s35
	s_mul_hi_u32 s36, s29, s27
	s_addc_u32 s31, s31, s37
	s_addc_u32 s34, s36, 0
	s_mul_i32 s27, s29, s27
	s_add_u32 s27, s31, s27
	s_addc_u32 s31, 0, s34
	s_add_u32 s34, s26, s27
	s_cselect_b64 s[26:27], -1, 0
	s_cmp_lg_u64 s[26:27], 0
	s_addc_u32 s29, s29, s31
	s_mul_i32 s26, s20, s29
	s_mul_hi_u32 s27, s20, s34
	s_add_i32 s26, s27, s26
	s_mul_i32 s28, s28, s34
	s_add_i32 s26, s26, s28
	s_mul_i32 s20, s20, s34
	s_mul_hi_u32 s28, s29, s20
	s_mul_i32 s31, s29, s20
	s_mul_i32 s36, s34, s26
	s_mul_hi_u32 s20, s34, s20
	s_mul_hi_u32 s35, s34, s26
	s_add_u32 s20, s20, s36
	s_addc_u32 s35, 0, s35
	s_add_u32 s20, s20, s31
	s_mul_hi_u32 s27, s29, s26
	s_addc_u32 s20, s35, s28
	s_addc_u32 s27, s27, 0
	s_mul_i32 s26, s29, s26
	s_add_u32 s20, s20, s26
	s_addc_u32 s28, 0, s27
	s_add_u32 s20, s34, s20
	s_cselect_b64 s[26:27], -1, 0
	s_cmp_lg_u64 s[26:27], 0
	s_addc_u32 s26, s29, s28
	s_mul_i32 s28, s30, s26
	s_mul_hi_u32 s29, s30, s20
	s_mul_hi_u32 s27, s30, s26
	s_add_u32 s28, s29, s28
	s_addc_u32 s27, 0, s27
	s_mul_hi_u32 s31, s21, s20
	s_mul_i32 s20, s21, s20
	s_add_u32 s20, s28, s20
	s_mul_hi_u32 s29, s21, s26
	s_addc_u32 s20, s27, s31
	s_addc_u32 s27, s29, 0
	s_mul_i32 s26, s21, s26
	s_add_u32 s20, s20, s26
	s_addc_u32 s26, 0, s27
	s_mul_i32 s26, s76, s26
	s_mul_hi_u32 s27, s76, s20
	s_add_i32 s28, s27, s26
	s_mul_i32 s20, s76, s20
	s_sub_u32 s20, s30, s20
	s_cselect_b64 s[26:27], -1, 0
	s_cmp_lg_u64 s[26:27], 0
	s_subb_u32 s28, s21, s28
	s_sub_u32 s29, s20, s76
	s_cselect_b64 s[26:27], -1, 0
	s_cmp_lg_u64 s[26:27], 0
	s_subb_u32 s31, s28, 0
	s_sub_u32 s34, s29, s76
	s_cselect_b64 s[26:27], -1, 0
	s_cmp_lg_u64 s[26:27], 0
	s_subb_u32 s26, s31, 0
	s_cmp_ge_u32 s29, s76
	s_cselect_b32 s27, -1, 0
	s_cmp_eq_u32 s31, 0
	s_cselect_b32 s27, s27, -1
	s_cmp_lg_u32 s27, 0
	s_cselect_b32 s26, s26, s31
	s_cselect_b32 s29, s34, s29
	s_cmp_ge_u32 s20, s76
	s_cselect_b32 s27, -1, 0
	s_cmp_eq_u32 s28, 0
	s_cselect_b32 s27, s27, -1
	s_cmp_lg_u32 s27, 0
	s_cselect_b32 s27, s26, s28
	s_cselect_b32 s26, s29, s20
	s_cbranch_execnz .LBB135_121
.LBB135_120:                            ;   in Loop: Header=BB135_43 Depth=1
	v_cvt_f32_u32_e32 v2, s76
	s_sub_i32 s20, 0, s76
	v_rcp_iflag_f32_e32 v2, v2
	s_nop 0
	v_mul_f32_e32 v2, 0x4f7ffffe, v2
	v_cvt_u32_f32_e32 v2, v2
	s_nop 0
	v_readfirstlane_b32 s26, v2
	s_mul_i32 s20, s20, s26
	s_mul_hi_u32 s20, s26, s20
	s_add_i32 s26, s26, s20
	s_mul_hi_u32 s20, s30, s26
	s_mul_i32 s20, s20, s76
	s_sub_i32 s20, s30, s20
	s_sub_i32 s26, s20, s76
	s_cmp_ge_u32 s20, s76
	s_cselect_b32 s20, s26, s20
	s_sub_i32 s26, s20, s76
	s_cmp_ge_u32 s20, s76
	s_cselect_b32 s82, s26, s20
	s_mov_b64 s[26:27], s[82:83]
.LBB135_121:                            ;   in Loop: Header=BB135_43 Depth=1
	s_sub_u32 s30, s30, s26
	s_subb_u32 s31, s21, s27
	v_cmp_gt_u64_e32 vcc, s[30:31], v[0:1]
	s_mov_b64 s[26:27], 0
	s_mov_b64 s[20:21], 0
                                        ; implicit-def: $vgpr58
	s_and_saveexec_b64 s[28:29], vcc
	s_cbranch_execz .LBB135_131
; %bb.122:                              ;   in Loop: Header=BB135_43 Depth=1
	v_mov_b32_e32 v2, v47
	v_mov_b64_e32 v[8:9], v[0:1]
                                        ; implicit-def: $sgpr34_sgpr35
	s_branch .LBB135_126
.LBB135_123:                            ;   in Loop: Header=BB135_126 Depth=2
	s_or_b64 exec, exec, s[36:37]
	s_waitcnt lgkmcnt(0)
	s_barrier
	ds_read_b32 v10, v3 offset:3072
	s_waitcnt lgkmcnt(0)
	s_barrier
	v_cmp_neq_f16_e32 vcc, 0, v10
	s_cbranch_vccnz .LBB135_129
; %bb.124:                              ;   in Loop: Header=BB135_126 Depth=2
	v_lshl_add_u64 v[8:9], v[8:9], 0, s[76:77]
	v_cmp_le_u64_e32 vcc, s[30:31], v[8:9]
	v_add_u32_e32 v2, s87, v2
	s_mov_b64 s[36:37], 0
	s_orn2_b64 s[38:39], vcc, exec
.LBB135_125:                            ;   in Loop: Header=BB135_126 Depth=2
	s_and_b64 s[38:39], exec, s[38:39]
	s_or_b64 s[20:21], s[38:39], s[20:21]
	s_andn2_b64 s[34:35], s[34:35], exec
	s_and_b64 s[36:37], s[36:37], exec
	s_or_b64 s[34:35], s[34:35], s[36:37]
	s_andn2_b64 exec, exec, s[20:21]
	s_cbranch_execz .LBB135_130
.LBB135_126:                            ;   Parent Loop BB135_43 Depth=1
                                        ; =>  This Inner Loop Header: Depth=2
	v_cmp_gt_u64_e32 vcc, s[24:25], v[8:9]
	s_and_saveexec_b64 s[36:37], vcc
	s_cbranch_execz .LBB135_123
; %bb.127:                              ;   in Loop: Header=BB135_126 Depth=2
	ds_read_u16 v10, v2
	s_waitcnt lgkmcnt(0)
	v_cmp_lt_i16_e32 vcc, -1, v10
	s_nop 1
	v_cndmask_b32_e32 v11, v53, v54, vcc
	v_xor_b32_sdwa v11, v11, v10 dst_sel:DWORD dst_unused:UNUSED_PAD src0_sel:DWORD src1_sel:WORD_0
	v_cmp_o_f16_e32 vcc, v10, v10
	s_nop 1
	v_cndmask_b32_e32 v11, v53, v11, vcc
	v_and_b32_e32 v11, v11, v57
	v_cmp_eq_u32_e32 vcc, v11, v52
	s_and_b64 exec, exec, vcc
	s_cbranch_execz .LBB135_123
; %bb.128:                              ;   in Loop: Header=BB135_126 Depth=2
	s_movk_i32 s38, 0x3c00
	v_perm_b32 v10, v10, s38, v56
	ds_write_b32 v3, v10 offset:3072
	s_branch .LBB135_123
.LBB135_129:                            ;   in Loop: Header=BB135_126 Depth=2
	s_mov_b64 s[38:39], -1
                                        ; implicit-def: $vgpr8_vgpr9
                                        ; implicit-def: $vgpr2
	s_mov_b64 s[36:37], -1
	s_branch .LBB135_125
.LBB135_130:                            ;   in Loop: Header=BB135_43 Depth=1
	s_or_b64 exec, exec, s[20:21]
	v_lshrrev_b32_e32 v58, 16, v10
	s_and_b64 s[20:21], s[34:35], exec
.LBB135_131:                            ;   in Loop: Header=BB135_43 Depth=1
	s_or_b64 exec, exec, s[28:29]
.LBB135_132:                            ;   in Loop: Header=BB135_43 Depth=1
	s_and_b64 vcc, exec, s[26:27]
	s_cbranch_vccz .LBB135_153
; %bb.133:                              ;   in Loop: Header=BB135_43 Depth=1
	s_mov_b32 s54, s83
	s_cmp_lg_u64 s[54:55], 0
	s_cbranch_scc0 .LBB135_139
; %bb.134:                              ;   in Loop: Header=BB135_43 Depth=1
	v_cvt_f32_u32_e32 v2, s76
	s_sub_u32 s18, 0, s76
	s_subb_u32 s19, 0, 0
	v_fmac_f32_e32 v2, 0, v55
	v_rcp_f32_e32 v2, v2
	s_nop 0
	v_mul_f32_e32 v2, 0x5f7ffffc, v2
	v_mul_f32_e32 v8, 0x2f800000, v2
	v_trunc_f32_e32 v8, v8
	v_fmac_f32_e32 v2, 0xcf800000, v8
	v_cvt_u32_f32_e32 v8, v8
	v_cvt_u32_f32_e32 v2, v2
	v_readfirstlane_b32 s24, v8
	v_readfirstlane_b32 s6, v2
	s_mul_i32 s7, s18, s24
	s_mul_hi_u32 s26, s18, s6
	s_mul_i32 s25, s19, s6
	s_add_i32 s7, s26, s7
	s_mul_i32 s27, s18, s6
	s_add_i32 s7, s7, s25
	s_mul_hi_u32 s26, s6, s27
	s_mul_i32 s28, s6, s7
	s_mul_hi_u32 s25, s6, s7
	s_add_u32 s26, s26, s28
	s_addc_u32 s25, 0, s25
	s_mul_hi_u32 s29, s24, s27
	s_mul_i32 s27, s24, s27
	s_add_u32 s26, s26, s27
	s_mul_hi_u32 s28, s24, s7
	s_addc_u32 s25, s25, s29
	s_addc_u32 s26, s28, 0
	s_mul_i32 s7, s24, s7
	s_add_u32 s7, s25, s7
	s_addc_u32 s25, 0, s26
	s_add_u32 s26, s6, s7
	s_cselect_b64 s[6:7], -1, 0
	s_cmp_lg_u64 s[6:7], 0
	s_addc_u32 s24, s24, s25
	s_mul_i32 s6, s18, s24
	s_mul_hi_u32 s7, s18, s26
	s_add_i32 s6, s7, s6
	s_mul_i32 s19, s19, s26
	s_add_i32 s6, s6, s19
	s_mul_i32 s18, s18, s26
	s_mul_hi_u32 s19, s24, s18
	s_mul_i32 s25, s24, s18
	s_mul_i32 s28, s26, s6
	s_mul_hi_u32 s18, s26, s18
	s_mul_hi_u32 s27, s26, s6
	s_add_u32 s18, s18, s28
	s_addc_u32 s27, 0, s27
	s_add_u32 s18, s18, s25
	s_mul_hi_u32 s7, s24, s6
	s_addc_u32 s18, s27, s19
	s_addc_u32 s7, s7, 0
	s_mul_i32 s6, s24, s6
	s_add_u32 s6, s18, s6
	s_addc_u32 s18, 0, s7
	s_add_u32 s19, s26, s6
	s_cselect_b64 s[6:7], -1, 0
	s_cmp_lg_u64 s[6:7], 0
	s_addc_u32 s6, s24, s18
	s_mul_i32 s18, s93, s6
	s_mul_hi_u32 s24, s93, s19
	s_mul_hi_u32 s7, s93, s6
	s_add_u32 s18, s24, s18
	s_addc_u32 s7, 0, s7
	s_mul_hi_u32 s25, s55, s19
	s_mul_i32 s19, s55, s19
	s_add_u32 s18, s18, s19
	s_mul_hi_u32 s24, s55, s6
	s_addc_u32 s7, s7, s25
	s_addc_u32 s18, s24, 0
	s_mul_i32 s6, s55, s6
	s_add_u32 s6, s7, s6
	s_addc_u32 s7, 0, s18
	s_mul_i32 s7, s76, s7
	s_mul_hi_u32 s18, s76, s6
	s_add_i32 s18, s18, s7
	s_mul_i32 s6, s76, s6
	s_sub_u32 s19, s93, s6
	s_cselect_b64 s[6:7], -1, 0
	s_cmp_lg_u64 s[6:7], 0
	s_subb_u32 s18, s55, s18
	s_sub_u32 s24, s19, s76
	s_cselect_b64 s[6:7], -1, 0
	s_cmp_lg_u64 s[6:7], 0
	s_subb_u32 s25, s18, 0
	;; [unrolled: 4-line block ×3, first 2 shown]
	s_cmp_ge_u32 s24, s76
	s_cselect_b32 s7, -1, 0
	s_cmp_eq_u32 s25, 0
	s_cselect_b32 s7, s7, -1
	s_cmp_lg_u32 s7, 0
	s_cselect_b32 s6, s6, s25
	s_cselect_b32 s24, s26, s24
	s_cmp_ge_u32 s19, s76
	s_cselect_b32 s7, -1, 0
	s_cmp_eq_u32 s18, 0
	s_cselect_b32 s7, s7, -1
	s_cmp_lg_u32 s7, 0
	s_cselect_b32 s7, s6, s18
	s_cselect_b32 s6, s24, s19
	s_mov_b64 s[18:19], 0
	s_branch .LBB135_140
.LBB135_135:                            ;   in Loop: Header=BB135_43 Depth=1
                                        ; implicit-def: $sgpr26_sgpr27
	s_branch .LBB135_120
.LBB135_136:                            ;   in Loop: Header=BB135_43 Depth=1
	s_or_b64 exec, exec, s[8:9]
	s_waitcnt lgkmcnt(0)
	s_barrier
	s_mov_b64 s[0:1], exec
	v_readlane_b32 s2, v71, 12
	v_readlane_b32 s3, v71, 13
	s_and_b64 s[2:3], s[0:1], s[2:3]
	s_mov_b64 exec, s[2:3]
	s_cbranch_execz .LBB135_138
; %bb.137:                              ;   in Loop: Header=BB135_43 Depth=1
	ds_read_b32 v4, v3 offset:5144
	s_waitcnt lgkmcnt(0)
	v_ashrrev_i32_e32 v5, 31, v4
	ds_write_b64 v3, v[4:5] offset:5120
.LBB135_138:                            ;   in Loop: Header=BB135_43 Depth=1
	s_or_b64 exec, exec, s[0:1]
	s_waitcnt lgkmcnt(0)
	s_barrier
	s_mov_b64 s[0:1], -1
	s_and_b64 vcc, exec, s[6:7]
	s_cbranch_vccnz .LBB135_58
	s_branch .LBB135_73
.LBB135_139:                            ;   in Loop: Header=BB135_43 Depth=1
	s_mov_b64 s[18:19], -1
                                        ; implicit-def: $sgpr6_sgpr7
.LBB135_140:                            ;   in Loop: Header=BB135_43 Depth=1
	s_andn2_b64 vcc, exec, s[18:19]
	v_readlane_b32 s53, v71, 48
	v_readlane_b32 s54, v71, 49
	s_cbranch_vccnz .LBB135_142
; %bb.141:                              ;   in Loop: Header=BB135_43 Depth=1
	v_cvt_f32_u32_e32 v2, s76
	s_sub_i32 s6, 0, s76
	v_rcp_iflag_f32_e32 v2, v2
	s_nop 0
	v_mul_f32_e32 v2, 0x4f7ffffe, v2
	v_cvt_u32_f32_e32 v2, v2
	s_nop 0
	v_readfirstlane_b32 s7, v2
	s_mul_i32 s6, s6, s7
	s_mul_hi_u32 s6, s7, s6
	s_add_i32 s7, s7, s6
	s_mul_hi_u32 s6, s93, s7
	s_mul_i32 s6, s6, s76
	s_sub_i32 s6, s93, s6
	s_sub_i32 s7, s6, s76
	s_cmp_ge_u32 s6, s76
	s_cselect_b32 s6, s7, s6
	s_sub_i32 s7, s6, s76
	s_cmp_ge_u32 s6, s76
	s_cselect_b32 s82, s7, s6
	s_mov_b64 s[6:7], s[82:83]
.LBB135_142:                            ;   in Loop: Header=BB135_43 Depth=1
	s_sub_u32 s18, s93, s6
	s_subb_u32 s19, s55, s7
	v_cmp_gt_u64_e32 vcc, s[18:19], v[0:1]
                                        ; implicit-def: $vgpr58
	s_and_saveexec_b64 s[6:7], vcc
	s_cbranch_execz .LBB135_152
; %bb.143:                              ;   in Loop: Header=BB135_43 Depth=1
	s_mov_b64 s[24:25], 0
	v_mov_b64_e32 v[8:9], v[16:17]
	v_mov_b64_e32 v[10:11], v[0:1]
                                        ; implicit-def: $sgpr26_sgpr27
	s_branch .LBB135_147
.LBB135_144:                            ;   in Loop: Header=BB135_147 Depth=2
	s_or_b64 exec, exec, s[28:29]
	s_waitcnt lgkmcnt(0)
	s_barrier
	ds_read_b32 v2, v3 offset:3072
	s_waitcnt lgkmcnt(0)
	s_barrier
	v_cmp_neq_f16_e32 vcc, 0, v2
	s_cbranch_vccnz .LBB135_150
; %bb.145:                              ;   in Loop: Header=BB135_147 Depth=2
	v_lshl_add_u64 v[10:11], v[10:11], 0, s[76:77]
	v_cmp_le_u64_e32 vcc, s[18:19], v[10:11]
	v_lshl_add_u64 v[8:9], v[8:9], 0, s[90:91]
	s_mov_b64 s[28:29], 0
	s_orn2_b64 s[30:31], vcc, exec
.LBB135_146:                            ;   in Loop: Header=BB135_147 Depth=2
	s_and_b64 s[30:31], exec, s[30:31]
	s_or_b64 s[24:25], s[30:31], s[24:25]
	s_andn2_b64 s[26:27], s[26:27], exec
	s_and_b64 s[28:29], s[28:29], exec
	s_or_b64 s[26:27], s[26:27], s[28:29]
	s_andn2_b64 exec, exec, s[24:25]
	s_cbranch_execz .LBB135_151
.LBB135_147:                            ;   Parent Loop BB135_43 Depth=1
                                        ; =>  This Inner Loop Header: Depth=2
	v_cmp_gt_u64_e32 vcc, s[56:57], v[10:11]
	s_and_saveexec_b64 s[28:29], vcc
	s_cbranch_execz .LBB135_144
; %bb.148:                              ;   in Loop: Header=BB135_147 Depth=2
	global_load_ushort v2, v[8:9], off
	s_waitcnt vmcnt(0)
	v_cmp_lt_i16_e32 vcc, -1, v2
	s_nop 1
	v_cndmask_b32_e32 v36, v53, v54, vcc
	v_xor_b32_sdwa v36, v36, v2 dst_sel:DWORD dst_unused:UNUSED_PAD src0_sel:DWORD src1_sel:WORD_0
	v_cmp_o_f16_e32 vcc, v2, v2
	s_nop 1
	v_cndmask_b32_e32 v36, v53, v36, vcc
	v_and_b32_e32 v36, v36, v57
	v_cmp_eq_u32_e32 vcc, v36, v52
	s_and_b64 exec, exec, vcc
	s_cbranch_execz .LBB135_144
; %bb.149:                              ;   in Loop: Header=BB135_147 Depth=2
	s_movk_i32 s30, 0x3c00
	v_perm_b32 v2, v2, s30, v56
	ds_write_b32 v3, v2 offset:3072
	s_branch .LBB135_144
.LBB135_150:                            ;   in Loop: Header=BB135_147 Depth=2
	s_mov_b64 s[30:31], -1
                                        ; implicit-def: $vgpr10_vgpr11
                                        ; implicit-def: $vgpr8_vgpr9
	s_mov_b64 s[28:29], -1
	s_branch .LBB135_146
.LBB135_151:                            ;   in Loop: Header=BB135_43 Depth=1
	s_or_b64 exec, exec, s[24:25]
	s_andn2_b64 s[18:19], s[20:21], exec
	s_and_b64 s[20:21], s[26:27], exec
	v_lshrrev_b32_e32 v58, 16, v2
	s_or_b64 s[20:21], s[18:19], s[20:21]
.LBB135_152:                            ;   in Loop: Header=BB135_43 Depth=1
	s_or_b64 exec, exec, s[6:7]
	s_mov_b64 s[6:7], 0
	s_mov_b64 s[18:19], -1
.LBB135_153:                            ;   in Loop: Header=BB135_43 Depth=1
	s_orn2_b64 s[20:21], s[20:21], exec
.LBB135_154:                            ;   in Loop: Header=BB135_43 Depth=1
	s_or_b64 exec, exec, s[16:17]
	s_andn2_b64 s[16:17], s[94:95], exec
	s_and_b64 s[18:19], s[18:19], exec
	s_andn2_b64 s[14:15], s[14:15], exec
	s_and_b64 s[6:7], s[6:7], exec
	s_andn2_b64 s[98:99], s[98:99], exec
	s_or_b64 s[94:95], s[16:17], s[18:19]
	s_or_b64 s[14:15], s[14:15], s[6:7]
                                        ; implicit-def: $vgpr8_vgpr9
	s_and_saveexec_b64 s[16:17], s[20:21]
	s_cbranch_execz .LBB135_42
; %bb.155:                              ;   in Loop: Header=BB135_43 Depth=1
	s_xor_b64 s[6:7], s[8:9], -1
	v_mov_b32_e32 v2, 1
	s_mov_b64 s[8:9], 0
	v_mov_b64_e32 v[8:9], 1
	s_and_saveexec_b64 s[0:1], s[6:7]
	s_cbranch_execz .LBB135_164
; %bb.156:                              ;   in Loop: Header=BB135_43 Depth=1
	v_cmp_le_u64_e32 vcc, v[34:35], v[4:5]
	s_and_saveexec_b64 s[6:7], vcc
	s_xor_b64 s[6:7], exec, s[6:7]
	s_cbranch_execz .LBB135_161
; %bb.157:                              ;   in Loop: Header=BB135_43 Depth=1
	ds_read_b64 v[8:9], v3 offset:5120
	v_and_b32_e32 v52, s52, v52
	v_or_b32_e32 v57, s72, v57
	s_waitcnt lgkmcnt(0)
	v_cmp_ne_u64_e32 vcc, 0, v[8:9]
	s_cbranch_vccnz .LBB135_161
; %bb.158:                              ;   in Loop: Header=BB135_43 Depth=1
	s_mov_b64 s[8:9], exec
	v_readlane_b32 s18, v71, 12
	v_readlane_b32 s19, v71, 13
	s_and_b64 s[18:19], s[8:9], s[18:19]
	s_mov_b64 exec, s[18:19]
; %bb.159:                              ;   in Loop: Header=BB135_43 Depth=1
	ds_write_b64 v3, v[4:5] offset:5128
; %bb.160:                              ;   in Loop: Header=BB135_43 Depth=1
	s_or_b64 exec, exec, s[8:9]
	s_waitcnt lgkmcnt(0)
	s_barrier
.LBB135_161:                            ;   in Loop: Header=BB135_43 Depth=1
	s_or_saveexec_b64 s[6:7], s[6:7]
	s_mov_b64 s[8:9], 0
	v_mov_b32_e32 v2, 8
	s_xor_b64 exec, exec, s[6:7]
; %bb.162:                              ;   in Loop: Header=BB135_43 Depth=1
	v_sub_co_u32_e32 v34, vcc, v34, v4
	s_mov_b64 s[8:9], exec
	s_nop 0
	v_subb_co_u32_e32 v35, vcc, v35, v5, vcc
	v_mov_b32_e32 v2, 0
; %bb.163:                              ;   in Loop: Header=BB135_43 Depth=1
	s_or_b64 exec, exec, s[6:7]
	s_and_b64 s[8:9], s[8:9], exec
	v_mov_b64_e32 v[8:9], v[34:35]
.LBB135_164:                            ;   in Loop: Header=BB135_43 Depth=1
	s_or_b64 exec, exec, s[0:1]
	s_mov_b64 s[18:19], -1
	s_mov_b64 s[6:7], -1
                                        ; implicit-def: $sgpr0_sgpr1
                                        ; implicit-def: $sgpr24_sgpr25
	s_and_saveexec_b64 s[20:21], s[8:9]
	s_xor_b64 s[20:21], exec, s[20:21]
	s_cbranch_execz .LBB135_315
; %bb.165:                              ;   in Loop: Header=BB135_43 Depth=1
	v_cmp_eq_u64_e32 vcc, 1, v[6:7]
	v_cmp_eq_u64_e64 s[0:1], 1, v[8:9]
	s_and_b64 s[8:9], vcc, s[0:1]
                                        ; implicit-def: $sgpr24_sgpr25
                                        ; implicit-def: $sgpr0_sgpr1
	s_and_saveexec_b64 s[26:27], s[8:9]
	s_cbranch_execz .LBB135_202
; %bb.166:                              ;   in Loop: Header=BB135_43 Depth=1
	ds_read_b64 v[4:5], v3 offset:5120
	s_waitcnt lgkmcnt(0)
	s_barrier
	v_readfirstlane_b32 s28, v4
	v_readfirstlane_b32 s29, v5
	s_mov_b64 s[0:1], exec
	v_readlane_b32 s6, v71, 14
	v_readlane_b32 s7, v71, 15
	s_and_b64 s[6:7], s[0:1], s[6:7]
	s_mov_b64 exec, s[6:7]
; %bb.167:                              ;   in Loop: Header=BB135_43 Depth=1
	ds_write_b16 v48, v3
; %bb.168:                              ;   in Loop: Header=BB135_43 Depth=1
	s_or_b64 exec, exec, s[0:1]
	v_and_b32_e32 v4, s52, v52
	v_lshl_or_b32 v52, 1, s64, v4
	v_or_b32_e32 v57, s72, v57
	s_mov_b64 s[0:1], -1
	s_mov_b64 s[24:25], 0
	s_cmp_eq_u64 s[28:29], 0
	s_mov_b64 s[6:7], 0
	s_mov_b64 s[30:31], -1
	s_waitcnt lgkmcnt(0)
	s_barrier
                                        ; implicit-def: $vgpr58
	s_cbranch_scc1 .LBB135_183
; %bb.169:                              ;   in Loop: Header=BB135_43 Depth=1
	v_readlane_b32 s6, v71, 20
	s_add_u32 s36, s28, s6
	v_readlane_b32 s6, v71, 21
	s_addc_u32 s7, s29, s6
	s_mov_b32 s6, s83
	s_cmp_lg_u64 s[6:7], 0
	s_cbranch_scc0 .LBB135_186
; %bb.170:                              ;   in Loop: Header=BB135_43 Depth=1
	v_cvt_f32_u32_e32 v4, s76
	s_sub_u32 s6, 0, s76
	s_subb_u32 s34, 0, 0
	v_fmac_f32_e32 v4, 0, v55
	v_rcp_f32_e32 v4, v4
	s_nop 0
	v_mul_f32_e32 v4, 0x5f7ffffc, v4
	v_mul_f32_e32 v5, 0x2f800000, v4
	v_trunc_f32_e32 v5, v5
	v_fmac_f32_e32 v4, 0xcf800000, v5
	v_cvt_u32_f32_e32 v5, v5
	v_cvt_u32_f32_e32 v4, v4
	v_readfirstlane_b32 s35, v5
	v_readfirstlane_b32 s30, v4
	s_mul_i32 s31, s6, s35
	s_mul_hi_u32 s38, s6, s30
	s_mul_i32 s37, s34, s30
	s_add_i32 s31, s38, s31
	s_mul_i32 s39, s6, s30
	s_add_i32 s31, s31, s37
	s_mul_hi_u32 s38, s30, s39
	s_mul_i32 s40, s30, s31
	s_mul_hi_u32 s37, s30, s31
	s_add_u32 s38, s38, s40
	s_addc_u32 s37, 0, s37
	s_mul_hi_u32 s41, s35, s39
	s_mul_i32 s39, s35, s39
	s_add_u32 s38, s38, s39
	s_mul_hi_u32 s40, s35, s31
	s_addc_u32 s37, s37, s41
	s_addc_u32 s38, s40, 0
	s_mul_i32 s31, s35, s31
	s_add_u32 s31, s37, s31
	s_addc_u32 s37, 0, s38
	s_add_u32 s38, s30, s31
	s_cselect_b64 s[30:31], -1, 0
	s_cmp_lg_u64 s[30:31], 0
	s_addc_u32 s35, s35, s37
	s_mul_i32 s30, s6, s35
	s_mul_hi_u32 s31, s6, s38
	s_add_i32 s30, s31, s30
	s_mul_i32 s34, s34, s38
	s_add_i32 s30, s30, s34
	s_mul_i32 s6, s6, s38
	s_mul_hi_u32 s34, s35, s6
	s_mul_i32 s37, s35, s6
	s_mul_i32 s40, s38, s30
	s_mul_hi_u32 s6, s38, s6
	s_mul_hi_u32 s39, s38, s30
	s_add_u32 s6, s6, s40
	s_addc_u32 s39, 0, s39
	s_add_u32 s6, s6, s37
	s_mul_hi_u32 s31, s35, s30
	s_addc_u32 s6, s39, s34
	s_addc_u32 s31, s31, 0
	s_mul_i32 s30, s35, s30
	s_add_u32 s6, s6, s30
	s_addc_u32 s34, 0, s31
	s_add_u32 s6, s38, s6
	s_cselect_b64 s[30:31], -1, 0
	s_cmp_lg_u64 s[30:31], 0
	s_addc_u32 s30, s35, s34
	s_mul_i32 s34, s36, s30
	s_mul_hi_u32 s35, s36, s6
	s_mul_hi_u32 s31, s36, s30
	s_add_u32 s34, s35, s34
	s_addc_u32 s31, 0, s31
	s_mul_hi_u32 s37, s7, s6
	s_mul_i32 s6, s7, s6
	s_add_u32 s6, s34, s6
	s_mul_hi_u32 s35, s7, s30
	s_addc_u32 s6, s31, s37
	s_addc_u32 s31, s35, 0
	s_mul_i32 s30, s7, s30
	s_add_u32 s6, s6, s30
	s_addc_u32 s30, 0, s31
	s_mul_i32 s30, s76, s30
	s_mul_hi_u32 s31, s76, s6
	s_add_i32 s34, s31, s30
	s_mul_i32 s6, s76, s6
	s_sub_u32 s6, s36, s6
	s_cselect_b64 s[30:31], -1, 0
	s_cmp_lg_u64 s[30:31], 0
	s_subb_u32 s34, s7, s34
	s_sub_u32 s35, s6, s76
	s_cselect_b64 s[30:31], -1, 0
	s_cmp_lg_u64 s[30:31], 0
	s_subb_u32 s37, s34, 0
	;; [unrolled: 4-line block ×3, first 2 shown]
	s_cmp_ge_u32 s35, s76
	s_cselect_b32 s31, -1, 0
	s_cmp_eq_u32 s37, 0
	s_cselect_b32 s31, s31, -1
	s_cmp_lg_u32 s31, 0
	s_cselect_b32 s30, s30, s37
	s_cselect_b32 s35, s38, s35
	s_cmp_ge_u32 s6, s76
	s_cselect_b32 s31, -1, 0
	s_cmp_eq_u32 s34, 0
	s_cselect_b32 s31, s31, -1
	s_cmp_lg_u32 s31, 0
	s_cselect_b32 s31, s30, s34
	s_cselect_b32 s30, s35, s6
	s_cbranch_execnz .LBB135_172
.LBB135_171:                            ;   in Loop: Header=BB135_43 Depth=1
	v_cvt_f32_u32_e32 v4, s76
	s_sub_i32 s6, 0, s76
	v_rcp_iflag_f32_e32 v4, v4
	s_nop 0
	v_mul_f32_e32 v4, 0x4f7ffffe, v4
	v_cvt_u32_f32_e32 v4, v4
	s_nop 0
	v_readfirstlane_b32 s30, v4
	s_mul_i32 s6, s6, s30
	s_mul_hi_u32 s6, s30, s6
	s_add_i32 s30, s30, s6
	s_mul_hi_u32 s6, s36, s30
	s_mul_i32 s6, s6, s76
	s_sub_i32 s6, s36, s6
	s_sub_i32 s30, s6, s76
	s_cmp_ge_u32 s6, s76
	s_cselect_b32 s6, s30, s6
	s_sub_i32 s30, s6, s76
	s_cmp_ge_u32 s6, s76
	s_cselect_b32 s82, s30, s6
	s_mov_b64 s[30:31], s[82:83]
.LBB135_172:                            ;   in Loop: Header=BB135_43 Depth=1
	s_sub_u32 s36, s36, s30
	s_subb_u32 s37, s7, s31
	v_cmp_gt_u64_e32 vcc, s[36:37], v[0:1]
	s_mov_b64 s[30:31], 0
	s_mov_b64 s[6:7], 0
                                        ; implicit-def: $vgpr58
	s_and_saveexec_b64 s[34:35], vcc
	s_cbranch_execz .LBB135_182
; %bb.173:                              ;   in Loop: Header=BB135_43 Depth=1
	v_mov_b32_e32 v10, v47
	v_mov_b64_e32 v[4:5], v[0:1]
                                        ; implicit-def: $sgpr38_sgpr39
	s_branch .LBB135_177
.LBB135_174:                            ;   in Loop: Header=BB135_177 Depth=2
	s_or_b64 exec, exec, s[40:41]
	s_waitcnt lgkmcnt(0)
	s_barrier
	ds_read_b32 v11, v3 offset:3072
	s_waitcnt lgkmcnt(0)
	s_barrier
	v_cmp_neq_f16_e32 vcc, 0, v11
	s_cbranch_vccnz .LBB135_180
; %bb.175:                              ;   in Loop: Header=BB135_177 Depth=2
	v_lshl_add_u64 v[4:5], v[4:5], 0, s[76:77]
	v_cmp_le_u64_e32 vcc, s[36:37], v[4:5]
	v_add_u32_e32 v10, s87, v10
	s_mov_b64 s[40:41], 0
	s_orn2_b64 s[42:43], vcc, exec
.LBB135_176:                            ;   in Loop: Header=BB135_177 Depth=2
	s_and_b64 s[42:43], exec, s[42:43]
	s_or_b64 s[6:7], s[42:43], s[6:7]
	s_andn2_b64 s[38:39], s[38:39], exec
	s_and_b64 s[40:41], s[40:41], exec
	s_or_b64 s[38:39], s[38:39], s[40:41]
	s_andn2_b64 exec, exec, s[6:7]
	s_cbranch_execz .LBB135_181
.LBB135_177:                            ;   Parent Loop BB135_43 Depth=1
                                        ; =>  This Inner Loop Header: Depth=2
	v_cmp_gt_u64_e32 vcc, s[28:29], v[4:5]
	s_and_saveexec_b64 s[40:41], vcc
	s_cbranch_execz .LBB135_174
; %bb.178:                              ;   in Loop: Header=BB135_177 Depth=2
	ds_read_u16 v11, v10
	s_waitcnt lgkmcnt(0)
	v_cmp_lt_i16_e32 vcc, -1, v11
	s_nop 1
	v_cndmask_b32_e32 v34, v53, v54, vcc
	v_xor_b32_sdwa v34, v34, v11 dst_sel:DWORD dst_unused:UNUSED_PAD src0_sel:DWORD src1_sel:WORD_0
	v_cmp_o_f16_e32 vcc, v11, v11
	s_nop 1
	v_cndmask_b32_e32 v34, v53, v34, vcc
	v_and_b32_e32 v34, v34, v57
	v_cmp_eq_u32_e32 vcc, v34, v52
	s_and_b64 exec, exec, vcc
	s_cbranch_execz .LBB135_174
; %bb.179:                              ;   in Loop: Header=BB135_177 Depth=2
	s_movk_i32 s42, 0x3c00
	v_perm_b32 v11, v11, s42, v56
	ds_write_b32 v3, v11 offset:3072
	s_branch .LBB135_174
.LBB135_180:                            ;   in Loop: Header=BB135_177 Depth=2
	s_mov_b64 s[42:43], -1
                                        ; implicit-def: $vgpr4_vgpr5
                                        ; implicit-def: $vgpr10
	s_mov_b64 s[40:41], -1
	s_branch .LBB135_176
.LBB135_181:                            ;   in Loop: Header=BB135_43 Depth=1
	s_or_b64 exec, exec, s[6:7]
	v_lshrrev_b32_e32 v58, 16, v11
	s_and_b64 s[6:7], s[38:39], exec
.LBB135_182:                            ;   in Loop: Header=BB135_43 Depth=1
	s_or_b64 exec, exec, s[34:35]
.LBB135_183:                            ;   in Loop: Header=BB135_43 Depth=1
	s_and_b64 vcc, exec, s[30:31]
	s_cbranch_vccz .LBB135_201
; %bb.184:                              ;   in Loop: Header=BB135_43 Depth=1
	s_mov_b32 s54, s83
	s_cmp_lg_u64 s[54:55], 0
	s_cbranch_scc0 .LBB135_187
; %bb.185:                              ;   in Loop: Header=BB135_43 Depth=1
	v_cvt_f32_u32_e32 v4, s76
	s_sub_u32 s24, 0, s76
	s_subb_u32 s25, 0, 0
	v_fmac_f32_e32 v4, 0, v55
	v_rcp_f32_e32 v4, v4
	s_nop 0
	v_mul_f32_e32 v4, 0x5f7ffffc, v4
	v_mul_f32_e32 v5, 0x2f800000, v4
	v_trunc_f32_e32 v5, v5
	v_fmac_f32_e32 v4, 0xcf800000, v5
	v_cvt_u32_f32_e32 v5, v5
	v_cvt_u32_f32_e32 v4, v4
	v_readfirstlane_b32 s28, v5
	v_readfirstlane_b32 s0, v4
	s_mul_i32 s1, s24, s28
	s_mul_hi_u32 s30, s24, s0
	s_mul_i32 s29, s25, s0
	s_add_i32 s1, s30, s1
	s_mul_i32 s31, s24, s0
	s_add_i32 s1, s1, s29
	s_mul_hi_u32 s30, s0, s31
	s_mul_i32 s34, s0, s1
	s_mul_hi_u32 s29, s0, s1
	s_add_u32 s30, s30, s34
	s_addc_u32 s29, 0, s29
	s_mul_hi_u32 s35, s28, s31
	s_mul_i32 s31, s28, s31
	s_add_u32 s30, s30, s31
	s_mul_hi_u32 s34, s28, s1
	s_addc_u32 s29, s29, s35
	s_addc_u32 s30, s34, 0
	s_mul_i32 s1, s28, s1
	s_add_u32 s1, s29, s1
	s_addc_u32 s29, 0, s30
	s_add_u32 s30, s0, s1
	s_cselect_b64 s[0:1], -1, 0
	s_cmp_lg_u64 s[0:1], 0
	s_addc_u32 s28, s28, s29
	s_mul_i32 s0, s24, s28
	s_mul_hi_u32 s1, s24, s30
	s_add_i32 s0, s1, s0
	s_mul_i32 s25, s25, s30
	s_add_i32 s0, s0, s25
	s_mul_i32 s24, s24, s30
	s_mul_hi_u32 s25, s28, s24
	s_mul_i32 s29, s28, s24
	s_mul_i32 s34, s30, s0
	s_mul_hi_u32 s24, s30, s24
	s_mul_hi_u32 s31, s30, s0
	s_add_u32 s24, s24, s34
	s_addc_u32 s31, 0, s31
	s_add_u32 s24, s24, s29
	s_mul_hi_u32 s1, s28, s0
	s_addc_u32 s24, s31, s25
	s_addc_u32 s1, s1, 0
	s_mul_i32 s0, s28, s0
	s_add_u32 s0, s24, s0
	s_addc_u32 s24, 0, s1
	s_add_u32 s25, s30, s0
	s_cselect_b64 s[0:1], -1, 0
	s_cmp_lg_u64 s[0:1], 0
	s_addc_u32 s0, s28, s24
	s_mul_i32 s24, s93, s0
	s_mul_hi_u32 s28, s93, s25
	s_mul_hi_u32 s1, s93, s0
	s_add_u32 s24, s28, s24
	s_addc_u32 s1, 0, s1
	s_mul_hi_u32 s29, s55, s25
	s_mul_i32 s25, s55, s25
	s_add_u32 s24, s24, s25
	s_mul_hi_u32 s28, s55, s0
	s_addc_u32 s1, s1, s29
	s_addc_u32 s24, s28, 0
	s_mul_i32 s0, s55, s0
	s_add_u32 s0, s1, s0
	s_addc_u32 s1, 0, s24
	s_mul_i32 s1, s76, s1
	s_mul_hi_u32 s24, s76, s0
	s_add_i32 s24, s24, s1
	s_mul_i32 s0, s76, s0
	s_sub_u32 s25, s93, s0
	s_cselect_b64 s[0:1], -1, 0
	s_cmp_lg_u64 s[0:1], 0
	s_subb_u32 s24, s55, s24
	s_sub_u32 s28, s25, s76
	s_cselect_b64 s[0:1], -1, 0
	s_cmp_lg_u64 s[0:1], 0
	s_subb_u32 s29, s24, 0
	;; [unrolled: 4-line block ×3, first 2 shown]
	s_cmp_ge_u32 s28, s76
	s_cselect_b32 s1, -1, 0
	s_cmp_eq_u32 s29, 0
	s_cselect_b32 s1, s1, -1
	s_cmp_lg_u32 s1, 0
	s_cselect_b32 s0, s0, s29
	s_cselect_b32 s28, s30, s28
	s_cmp_ge_u32 s25, s76
	s_cselect_b32 s1, -1, 0
	s_cmp_eq_u32 s24, 0
	s_cselect_b32 s1, s1, -1
	s_cmp_lg_u32 s1, 0
	s_cselect_b32 s1, s0, s24
	s_cselect_b32 s0, s28, s25
	s_mov_b64 s[24:25], 0
	s_branch .LBB135_188
.LBB135_186:                            ;   in Loop: Header=BB135_43 Depth=1
                                        ; implicit-def: $sgpr30_sgpr31
	s_branch .LBB135_171
.LBB135_187:                            ;   in Loop: Header=BB135_43 Depth=1
	s_mov_b64 s[24:25], -1
                                        ; implicit-def: $sgpr0_sgpr1
.LBB135_188:                            ;   in Loop: Header=BB135_43 Depth=1
	s_andn2_b64 vcc, exec, s[24:25]
	v_readlane_b32 s53, v71, 48
	v_readlane_b32 s54, v71, 49
	s_cbranch_vccnz .LBB135_190
; %bb.189:                              ;   in Loop: Header=BB135_43 Depth=1
	v_cvt_f32_u32_e32 v4, s76
	s_sub_i32 s0, 0, s76
	v_rcp_iflag_f32_e32 v4, v4
	s_nop 0
	v_mul_f32_e32 v4, 0x4f7ffffe, v4
	v_cvt_u32_f32_e32 v4, v4
	s_nop 0
	v_readfirstlane_b32 s1, v4
	s_mul_i32 s0, s0, s1
	s_mul_hi_u32 s0, s1, s0
	s_add_i32 s1, s1, s0
	s_mul_hi_u32 s0, s93, s1
	s_mul_i32 s0, s0, s76
	s_sub_i32 s0, s93, s0
	s_sub_i32 s1, s0, s76
	s_cmp_ge_u32 s0, s76
	s_cselect_b32 s0, s1, s0
	s_sub_i32 s1, s0, s76
	s_cmp_ge_u32 s0, s76
	s_cselect_b32 s82, s1, s0
	s_mov_b64 s[0:1], s[82:83]
.LBB135_190:                            ;   in Loop: Header=BB135_43 Depth=1
	s_sub_u32 s24, s93, s0
	s_subb_u32 s25, s55, s1
	v_cmp_gt_u64_e32 vcc, s[24:25], v[0:1]
                                        ; implicit-def: $vgpr58
	s_and_saveexec_b64 s[0:1], vcc
	s_cbranch_execz .LBB135_200
; %bb.191:                              ;   in Loop: Header=BB135_43 Depth=1
	s_mov_b64 s[28:29], 0
	v_mov_b64_e32 v[4:5], v[16:17]
	v_mov_b64_e32 v[10:11], v[0:1]
                                        ; implicit-def: $sgpr30_sgpr31
	s_branch .LBB135_195
.LBB135_192:                            ;   in Loop: Header=BB135_195 Depth=2
	s_or_b64 exec, exec, s[34:35]
	s_waitcnt lgkmcnt(0)
	s_barrier
	ds_read_b32 v34, v3 offset:3072
	s_waitcnt lgkmcnt(0)
	s_barrier
	v_cmp_eq_f16_e32 vcc, 0, v34
	s_cbranch_vccz .LBB135_198
; %bb.193:                              ;   in Loop: Header=BB135_195 Depth=2
	v_lshl_add_u64 v[10:11], v[10:11], 0, s[76:77]
	v_cmp_le_u64_e32 vcc, s[24:25], v[10:11]
	v_lshl_add_u64 v[4:5], v[4:5], 0, s[90:91]
	s_mov_b64 s[34:35], 0
	s_orn2_b64 s[36:37], vcc, exec
.LBB135_194:                            ;   in Loop: Header=BB135_195 Depth=2
	s_and_b64 s[36:37], exec, s[36:37]
	s_or_b64 s[28:29], s[36:37], s[28:29]
	s_andn2_b64 s[30:31], s[30:31], exec
	s_and_b64 s[34:35], s[34:35], exec
	s_or_b64 s[30:31], s[30:31], s[34:35]
	s_andn2_b64 exec, exec, s[28:29]
	s_cbranch_execz .LBB135_199
.LBB135_195:                            ;   Parent Loop BB135_43 Depth=1
                                        ; =>  This Inner Loop Header: Depth=2
	v_cmp_gt_u64_e32 vcc, s[56:57], v[10:11]
	s_and_saveexec_b64 s[34:35], vcc
	s_cbranch_execz .LBB135_192
; %bb.196:                              ;   in Loop: Header=BB135_195 Depth=2
	global_load_ushort v34, v[4:5], off
	s_waitcnt vmcnt(0)
	v_cmp_lt_i16_e32 vcc, -1, v34
	s_nop 1
	v_cndmask_b32_e32 v35, v53, v54, vcc
	v_xor_b32_sdwa v35, v35, v34 dst_sel:DWORD dst_unused:UNUSED_PAD src0_sel:DWORD src1_sel:WORD_0
	v_cmp_o_f16_e32 vcc, v34, v34
	s_nop 1
	v_cndmask_b32_e32 v35, v53, v35, vcc
	v_and_b32_e32 v35, v35, v57
	v_cmp_eq_u32_e32 vcc, v35, v52
	s_and_b64 exec, exec, vcc
	s_cbranch_execz .LBB135_192
; %bb.197:                              ;   in Loop: Header=BB135_195 Depth=2
	s_movk_i32 s36, 0x3c00
	v_perm_b32 v34, v34, s36, v56
	ds_write_b32 v3, v34 offset:3072
	s_branch .LBB135_192
.LBB135_198:                            ;   in Loop: Header=BB135_195 Depth=2
	s_mov_b64 s[36:37], -1
                                        ; implicit-def: $vgpr10_vgpr11
                                        ; implicit-def: $vgpr4_vgpr5
	s_mov_b64 s[34:35], -1
	s_branch .LBB135_194
.LBB135_199:                            ;   in Loop: Header=BB135_43 Depth=1
	s_or_b64 exec, exec, s[28:29]
	s_andn2_b64 s[6:7], s[6:7], exec
	s_and_b64 s[24:25], s[30:31], exec
	v_lshrrev_b32_e32 v58, 16, v34
	s_or_b64 s[6:7], s[6:7], s[24:25]
.LBB135_200:                            ;   in Loop: Header=BB135_43 Depth=1
	s_or_b64 exec, exec, s[0:1]
	s_mov_b64 s[0:1], 0
	s_mov_b64 s[24:25], -1
.LBB135_201:                            ;   in Loop: Header=BB135_43 Depth=1
	s_orn2_b64 s[6:7], s[6:7], exec
.LBB135_202:                            ;   in Loop: Header=BB135_43 Depth=1
	s_or_b64 exec, exec, s[26:27]
	s_mov_b64 s[28:29], 0
	s_and_saveexec_b64 s[26:27], s[6:7]
	s_cbranch_execz .LBB135_314
; %bb.203:                              ;   in Loop: Header=BB135_43 Depth=1
	s_xor_b64 s[28:29], s[8:9], -1
	v_mov_b32_e32 v2, 1
	s_mov_b64 s[8:9], 0
	v_mov_b64_e32 v[4:5], 1
	s_and_saveexec_b64 s[6:7], s[28:29]
	s_cbranch_execz .LBB135_213
; %bb.204:                              ;   in Loop: Header=BB135_43 Depth=1
	v_cmp_le_u64_e32 vcc, v[8:9], v[6:7]
	s_and_saveexec_b64 s[8:9], vcc
	s_xor_b64 s[8:9], exec, s[8:9]
	s_cbranch_execz .LBB135_210
; %bb.205:                              ;   in Loop: Header=BB135_43 Depth=1
	ds_read_b64 v[4:5], v3 offset:5120
	v_and_b32_e32 v2, s52, v52
	v_lshl_or_b32 v52, 1, s64, v2
	v_or_b32_e32 v57, s72, v57
	s_waitcnt lgkmcnt(0)
	v_cmp_ne_u64_e32 vcc, 0, v[4:5]
	s_cbranch_vccnz .LBB135_209
; %bb.206:                              ;   in Loop: Header=BB135_43 Depth=1
	s_mov_b64 s[28:29], exec
	v_readlane_b32 s30, v71, 12
	v_readlane_b32 s31, v71, 13
	s_and_b64 s[30:31], s[28:29], s[30:31]
	s_mov_b64 exec, s[30:31]
; %bb.207:                              ;   in Loop: Header=BB135_43 Depth=1
	ds_write_b64 v3, v[6:7] offset:5128
; %bb.208:                              ;   in Loop: Header=BB135_43 Depth=1
	s_or_b64 exec, exec, s[28:29]
	s_waitcnt lgkmcnt(0)
	s_barrier
.LBB135_209:                            ;   in Loop: Header=BB135_43 Depth=1
                                        ; implicit-def: $vgpr4_vgpr5_vgpr6_vgpr7
.LBB135_210:                            ;   in Loop: Header=BB135_43 Depth=1
	s_or_saveexec_b64 s[8:9], s[8:9]
	s_mov_b64 s[28:29], 0
	v_mov_b32_e32 v2, 8
	s_xor_b64 exec, exec, s[8:9]
; %bb.211:                              ;   in Loop: Header=BB135_43 Depth=1
	v_sub_co_u32_e32 v8, vcc, v8, v6
	s_mov_b64 s[28:29], exec
	s_nop 0
	v_subb_co_u32_e32 v9, vcc, v9, v7, vcc
	v_mov_b32_e32 v2, 0
; %bb.212:                              ;   in Loop: Header=BB135_43 Depth=1
	s_or_b64 exec, exec, s[8:9]
	s_and_b64 s[8:9], s[28:29], exec
	v_mov_b64_e32 v[4:5], v[8:9]
.LBB135_213:                            ;   in Loop: Header=BB135_43 Depth=1
	s_or_b64 exec, exec, s[6:7]
	s_mov_b64 s[6:7], -1
                                        ; implicit-def: $sgpr34_sgpr35
                                        ; implicit-def: $sgpr36_sgpr37
	s_and_saveexec_b64 s[28:29], s[8:9]
	s_cbranch_execz .LBB135_313
; %bb.214:                              ;   in Loop: Header=BB135_43 Depth=1
	s_cmp_eq_u64 s[22:23], 1
	s_cselect_b64 s[6:7], -1, 0
	v_cmp_eq_u64_e32 vcc, 1, v[4:5]
	s_and_b64 s[8:9], s[6:7], vcc
	s_mov_b64 s[6:7], -1
                                        ; implicit-def: $sgpr36_sgpr37
                                        ; implicit-def: $sgpr34_sgpr35
	s_and_saveexec_b64 s[38:39], s[8:9]
	s_cbranch_execz .LBB135_251
; %bb.215:                              ;   in Loop: Header=BB135_43 Depth=1
	ds_read_b64 v[6:7], v3 offset:5120
	s_waitcnt lgkmcnt(0)
	s_barrier
	v_readfirstlane_b32 s30, v6
	v_readfirstlane_b32 s31, v7
	s_mov_b64 s[6:7], exec
	v_readlane_b32 s34, v71, 14
	v_readlane_b32 s35, v71, 15
	s_and_b64 s[34:35], s[6:7], s[34:35]
	s_mov_b64 exec, s[34:35]
; %bb.216:                              ;   in Loop: Header=BB135_43 Depth=1
	ds_write_b16 v48, v3
; %bb.217:                              ;   in Loop: Header=BB135_43 Depth=1
	s_or_b64 exec, exec, s[6:7]
	v_and_b32_e32 v6, s52, v52
	v_lshl_or_b32 v52, 2, s64, v6
	v_or_b32_e32 v57, s72, v57
	s_mov_b64 s[34:35], -1
	s_mov_b64 s[36:37], 0
	s_cmp_eq_u64 s[30:31], 0
	s_mov_b64 s[6:7], 0
	s_mov_b64 s[40:41], -1
	s_waitcnt lgkmcnt(0)
	s_barrier
                                        ; implicit-def: $vgpr58
	s_cbranch_scc1 .LBB135_232
; %bb.218:                              ;   in Loop: Header=BB135_43 Depth=1
	v_readlane_b32 s6, v71, 20
	s_add_u32 s44, s30, s6
	v_readlane_b32 s6, v71, 21
	s_addc_u32 s7, s31, s6
	s_mov_b32 s6, s83
	s_cmp_lg_u64 s[6:7], 0
	s_cbranch_scc0 .LBB135_235
; %bb.219:                              ;   in Loop: Header=BB135_43 Depth=1
	v_cvt_f32_u32_e32 v6, s76
	s_sub_u32 s6, 0, s76
	s_subb_u32 s42, 0, 0
	v_fmac_f32_e32 v6, 0, v55
	v_rcp_f32_e32 v6, v6
	s_nop 0
	v_mul_f32_e32 v6, 0x5f7ffffc, v6
	v_mul_f32_e32 v7, 0x2f800000, v6
	v_trunc_f32_e32 v7, v7
	v_fmac_f32_e32 v6, 0xcf800000, v7
	v_cvt_u32_f32_e32 v7, v7
	v_cvt_u32_f32_e32 v6, v6
	v_readfirstlane_b32 s43, v7
	v_readfirstlane_b32 s40, v6
	s_mul_i32 s41, s6, s43
	s_mul_hi_u32 s46, s6, s40
	s_mul_i32 s45, s42, s40
	s_add_i32 s41, s46, s41
	s_mul_i32 s47, s6, s40
	s_add_i32 s41, s41, s45
	s_mul_hi_u32 s46, s40, s47
	s_mul_i32 s48, s40, s41
	s_mul_hi_u32 s45, s40, s41
	s_add_u32 s46, s46, s48
	s_addc_u32 s45, 0, s45
	s_mul_hi_u32 s49, s43, s47
	s_mul_i32 s47, s43, s47
	s_add_u32 s46, s46, s47
	s_mul_hi_u32 s48, s43, s41
	s_addc_u32 s45, s45, s49
	s_addc_u32 s46, s48, 0
	s_mul_i32 s41, s43, s41
	s_add_u32 s41, s45, s41
	s_addc_u32 s45, 0, s46
	s_add_u32 s46, s40, s41
	s_cselect_b64 s[40:41], -1, 0
	s_cmp_lg_u64 s[40:41], 0
	s_addc_u32 s43, s43, s45
	s_mul_i32 s40, s6, s43
	s_mul_hi_u32 s41, s6, s46
	s_add_i32 s40, s41, s40
	s_mul_i32 s42, s42, s46
	s_add_i32 s40, s40, s42
	s_mul_i32 s6, s6, s46
	s_mul_hi_u32 s42, s43, s6
	s_mul_i32 s45, s43, s6
	s_mul_i32 s48, s46, s40
	s_mul_hi_u32 s6, s46, s6
	s_mul_hi_u32 s47, s46, s40
	s_add_u32 s6, s6, s48
	s_addc_u32 s47, 0, s47
	s_add_u32 s6, s6, s45
	s_mul_hi_u32 s41, s43, s40
	s_addc_u32 s6, s47, s42
	s_addc_u32 s41, s41, 0
	s_mul_i32 s40, s43, s40
	s_add_u32 s6, s6, s40
	s_addc_u32 s42, 0, s41
	s_add_u32 s6, s46, s6
	s_cselect_b64 s[40:41], -1, 0
	s_cmp_lg_u64 s[40:41], 0
	s_addc_u32 s40, s43, s42
	s_mul_i32 s42, s44, s40
	s_mul_hi_u32 s43, s44, s6
	s_mul_hi_u32 s41, s44, s40
	s_add_u32 s42, s43, s42
	s_addc_u32 s41, 0, s41
	s_mul_hi_u32 s45, s7, s6
	s_mul_i32 s6, s7, s6
	s_add_u32 s6, s42, s6
	s_mul_hi_u32 s43, s7, s40
	s_addc_u32 s6, s41, s45
	s_addc_u32 s41, s43, 0
	s_mul_i32 s40, s7, s40
	s_add_u32 s6, s6, s40
	s_addc_u32 s40, 0, s41
	s_mul_i32 s40, s76, s40
	s_mul_hi_u32 s41, s76, s6
	s_add_i32 s42, s41, s40
	s_mul_i32 s6, s76, s6
	s_sub_u32 s6, s44, s6
	s_cselect_b64 s[40:41], -1, 0
	s_cmp_lg_u64 s[40:41], 0
	s_subb_u32 s42, s7, s42
	s_sub_u32 s43, s6, s76
	s_cselect_b64 s[40:41], -1, 0
	s_cmp_lg_u64 s[40:41], 0
	s_subb_u32 s45, s42, 0
	;; [unrolled: 4-line block ×3, first 2 shown]
	s_cmp_ge_u32 s43, s76
	s_cselect_b32 s41, -1, 0
	s_cmp_eq_u32 s45, 0
	s_cselect_b32 s41, s41, -1
	s_cmp_lg_u32 s41, 0
	s_cselect_b32 s40, s40, s45
	s_cselect_b32 s43, s46, s43
	s_cmp_ge_u32 s6, s76
	s_cselect_b32 s41, -1, 0
	s_cmp_eq_u32 s42, 0
	s_cselect_b32 s41, s41, -1
	s_cmp_lg_u32 s41, 0
	s_cselect_b32 s41, s40, s42
	s_cselect_b32 s40, s43, s6
	s_cbranch_execnz .LBB135_221
.LBB135_220:                            ;   in Loop: Header=BB135_43 Depth=1
	v_cvt_f32_u32_e32 v6, s76
	s_sub_i32 s6, 0, s76
	v_rcp_iflag_f32_e32 v6, v6
	s_nop 0
	v_mul_f32_e32 v6, 0x4f7ffffe, v6
	v_cvt_u32_f32_e32 v6, v6
	s_nop 0
	v_readfirstlane_b32 s40, v6
	s_mul_i32 s6, s6, s40
	s_mul_hi_u32 s6, s40, s6
	s_add_i32 s40, s40, s6
	s_mul_hi_u32 s6, s44, s40
	s_mul_i32 s6, s6, s76
	s_sub_i32 s6, s44, s6
	s_sub_i32 s40, s6, s76
	s_cmp_ge_u32 s6, s76
	s_cselect_b32 s6, s40, s6
	s_sub_i32 s40, s6, s76
	s_cmp_ge_u32 s6, s76
	s_cselect_b32 s82, s40, s6
	s_mov_b64 s[40:41], s[82:83]
.LBB135_221:                            ;   in Loop: Header=BB135_43 Depth=1
	s_sub_u32 s44, s44, s40
	s_subb_u32 s45, s7, s41
	v_cmp_gt_u64_e32 vcc, s[44:45], v[0:1]
	s_mov_b64 s[40:41], 0
	s_mov_b64 s[6:7], 0
                                        ; implicit-def: $vgpr58
	s_and_saveexec_b64 s[42:43], vcc
	s_cbranch_execz .LBB135_231
; %bb.222:                              ;   in Loop: Header=BB135_43 Depth=1
	v_mov_b32_e32 v8, v47
	v_mov_b64_e32 v[6:7], v[0:1]
                                        ; implicit-def: $sgpr46_sgpr47
	s_branch .LBB135_226
.LBB135_223:                            ;   in Loop: Header=BB135_226 Depth=2
	s_or_b64 exec, exec, s[48:49]
	s_waitcnt lgkmcnt(0)
	s_barrier
	ds_read_b32 v9, v3 offset:3072
	s_waitcnt lgkmcnt(0)
	s_barrier
	v_cmp_neq_f16_e32 vcc, 0, v9
	s_cbranch_vccnz .LBB135_229
; %bb.224:                              ;   in Loop: Header=BB135_226 Depth=2
	v_lshl_add_u64 v[6:7], v[6:7], 0, s[76:77]
	v_cmp_le_u64_e32 vcc, s[44:45], v[6:7]
	v_add_u32_e32 v8, s87, v8
	s_mov_b64 s[48:49], 0
	s_orn2_b64 s[50:51], vcc, exec
.LBB135_225:                            ;   in Loop: Header=BB135_226 Depth=2
	s_and_b64 s[50:51], exec, s[50:51]
	s_or_b64 s[6:7], s[50:51], s[6:7]
	s_andn2_b64 s[46:47], s[46:47], exec
	s_and_b64 s[48:49], s[48:49], exec
	s_or_b64 s[46:47], s[46:47], s[48:49]
	s_andn2_b64 exec, exec, s[6:7]
	s_cbranch_execz .LBB135_230
.LBB135_226:                            ;   Parent Loop BB135_43 Depth=1
                                        ; =>  This Inner Loop Header: Depth=2
	v_cmp_gt_u64_e32 vcc, s[30:31], v[6:7]
	s_and_saveexec_b64 s[48:49], vcc
	s_cbranch_execz .LBB135_223
; %bb.227:                              ;   in Loop: Header=BB135_226 Depth=2
	ds_read_u16 v9, v8
	s_waitcnt lgkmcnt(0)
	v_cmp_lt_i16_e32 vcc, -1, v9
	s_nop 1
	v_cndmask_b32_e32 v10, v53, v54, vcc
	v_xor_b32_sdwa v10, v10, v9 dst_sel:DWORD dst_unused:UNUSED_PAD src0_sel:DWORD src1_sel:WORD_0
	v_cmp_o_f16_e32 vcc, v9, v9
	s_nop 1
	v_cndmask_b32_e32 v10, v53, v10, vcc
	v_and_b32_e32 v10, v10, v57
	v_cmp_eq_u32_e32 vcc, v10, v52
	s_and_b64 exec, exec, vcc
	s_cbranch_execz .LBB135_223
; %bb.228:                              ;   in Loop: Header=BB135_226 Depth=2
	s_movk_i32 s50, 0x3c00
	v_perm_b32 v9, v9, s50, v56
	ds_write_b32 v3, v9 offset:3072
	s_branch .LBB135_223
.LBB135_229:                            ;   in Loop: Header=BB135_226 Depth=2
	s_mov_b64 s[50:51], -1
                                        ; implicit-def: $vgpr6_vgpr7
                                        ; implicit-def: $vgpr8
	s_mov_b64 s[48:49], -1
	s_branch .LBB135_225
.LBB135_230:                            ;   in Loop: Header=BB135_43 Depth=1
	s_or_b64 exec, exec, s[6:7]
	v_readlane_b32 s50, v71, 45
	v_lshrrev_b32_e32 v58, 16, v9
	s_and_b64 s[6:7], s[46:47], exec
	v_readlane_b32 s51, v71, 46
.LBB135_231:                            ;   in Loop: Header=BB135_43 Depth=1
	s_or_b64 exec, exec, s[42:43]
.LBB135_232:                            ;   in Loop: Header=BB135_43 Depth=1
	s_and_b64 vcc, exec, s[40:41]
	s_cbranch_vccz .LBB135_250
; %bb.233:                              ;   in Loop: Header=BB135_43 Depth=1
	s_mov_b32 s54, s83
	s_cmp_lg_u64 s[54:55], 0
	s_cbranch_scc0 .LBB135_236
; %bb.234:                              ;   in Loop: Header=BB135_43 Depth=1
	v_cvt_f32_u32_e32 v6, s76
	s_sub_u32 s34, 0, s76
	s_subb_u32 s35, 0, 0
	v_fmac_f32_e32 v6, 0, v55
	v_rcp_f32_e32 v6, v6
	s_nop 0
	v_mul_f32_e32 v6, 0x5f7ffffc, v6
	v_mul_f32_e32 v7, 0x2f800000, v6
	v_trunc_f32_e32 v7, v7
	v_fmac_f32_e32 v6, 0xcf800000, v7
	v_cvt_u32_f32_e32 v7, v7
	v_cvt_u32_f32_e32 v6, v6
	v_readfirstlane_b32 s36, v7
	v_readfirstlane_b32 s30, v6
	s_mul_i32 s31, s34, s36
	s_mul_hi_u32 s40, s34, s30
	s_mul_i32 s37, s35, s30
	s_add_i32 s31, s40, s31
	s_mul_i32 s41, s34, s30
	s_add_i32 s31, s31, s37
	s_mul_hi_u32 s40, s30, s41
	s_mul_i32 s42, s30, s31
	s_mul_hi_u32 s37, s30, s31
	s_add_u32 s40, s40, s42
	s_addc_u32 s37, 0, s37
	s_mul_hi_u32 s43, s36, s41
	s_mul_i32 s41, s36, s41
	s_add_u32 s40, s40, s41
	s_mul_hi_u32 s42, s36, s31
	s_addc_u32 s37, s37, s43
	s_addc_u32 s40, s42, 0
	s_mul_i32 s31, s36, s31
	s_add_u32 s31, s37, s31
	s_addc_u32 s37, 0, s40
	s_add_u32 s40, s30, s31
	s_cselect_b64 s[30:31], -1, 0
	s_cmp_lg_u64 s[30:31], 0
	s_addc_u32 s36, s36, s37
	s_mul_i32 s30, s34, s36
	s_mul_hi_u32 s31, s34, s40
	s_add_i32 s30, s31, s30
	s_mul_i32 s35, s35, s40
	s_add_i32 s30, s30, s35
	s_mul_i32 s34, s34, s40
	s_mul_hi_u32 s35, s36, s34
	s_mul_i32 s37, s36, s34
	s_mul_i32 s42, s40, s30
	s_mul_hi_u32 s34, s40, s34
	s_mul_hi_u32 s41, s40, s30
	s_add_u32 s34, s34, s42
	s_addc_u32 s41, 0, s41
	s_add_u32 s34, s34, s37
	s_mul_hi_u32 s31, s36, s30
	s_addc_u32 s34, s41, s35
	s_addc_u32 s31, s31, 0
	s_mul_i32 s30, s36, s30
	s_add_u32 s30, s34, s30
	s_addc_u32 s34, 0, s31
	s_add_u32 s35, s40, s30
	s_cselect_b64 s[30:31], -1, 0
	s_cmp_lg_u64 s[30:31], 0
	s_addc_u32 s30, s36, s34
	s_mul_i32 s34, s93, s30
	s_mul_hi_u32 s36, s93, s35
	s_mul_hi_u32 s31, s93, s30
	s_add_u32 s34, s36, s34
	s_addc_u32 s31, 0, s31
	s_mul_hi_u32 s37, s55, s35
	s_mul_i32 s35, s55, s35
	s_add_u32 s34, s34, s35
	s_mul_hi_u32 s36, s55, s30
	s_addc_u32 s31, s31, s37
	s_addc_u32 s34, s36, 0
	s_mul_i32 s30, s55, s30
	s_add_u32 s30, s31, s30
	s_addc_u32 s31, 0, s34
	s_mul_i32 s31, s76, s31
	s_mul_hi_u32 s34, s76, s30
	s_add_i32 s34, s34, s31
	s_mul_i32 s30, s76, s30
	s_sub_u32 s35, s93, s30
	s_cselect_b64 s[30:31], -1, 0
	s_cmp_lg_u64 s[30:31], 0
	s_subb_u32 s34, s55, s34
	s_sub_u32 s36, s35, s76
	s_cselect_b64 s[30:31], -1, 0
	s_cmp_lg_u64 s[30:31], 0
	s_subb_u32 s37, s34, 0
	;; [unrolled: 4-line block ×3, first 2 shown]
	s_cmp_ge_u32 s36, s76
	s_cselect_b32 s31, -1, 0
	s_cmp_eq_u32 s37, 0
	s_cselect_b32 s31, s31, -1
	s_cmp_lg_u32 s31, 0
	s_cselect_b32 s30, s30, s37
	s_cselect_b32 s36, s40, s36
	s_cmp_ge_u32 s35, s76
	s_cselect_b32 s31, -1, 0
	s_cmp_eq_u32 s34, 0
	s_cselect_b32 s31, s31, -1
	s_cmp_lg_u32 s31, 0
	s_cselect_b32 s31, s30, s34
	s_cselect_b32 s30, s36, s35
	s_mov_b64 s[34:35], 0
	s_branch .LBB135_237
.LBB135_235:                            ;   in Loop: Header=BB135_43 Depth=1
                                        ; implicit-def: $sgpr40_sgpr41
	s_branch .LBB135_220
.LBB135_236:                            ;   in Loop: Header=BB135_43 Depth=1
	s_mov_b64 s[34:35], -1
                                        ; implicit-def: $sgpr30_sgpr31
.LBB135_237:                            ;   in Loop: Header=BB135_43 Depth=1
	s_andn2_b64 vcc, exec, s[34:35]
	v_readlane_b32 s53, v71, 48
	v_readlane_b32 s54, v71, 49
	s_cbranch_vccnz .LBB135_239
; %bb.238:                              ;   in Loop: Header=BB135_43 Depth=1
	v_cvt_f32_u32_e32 v6, s76
	s_sub_i32 s30, 0, s76
	v_rcp_iflag_f32_e32 v6, v6
	s_nop 0
	v_mul_f32_e32 v6, 0x4f7ffffe, v6
	v_cvt_u32_f32_e32 v6, v6
	s_nop 0
	v_readfirstlane_b32 s31, v6
	s_mul_i32 s30, s30, s31
	s_mul_hi_u32 s30, s31, s30
	s_add_i32 s31, s31, s30
	s_mul_hi_u32 s30, s93, s31
	s_mul_i32 s30, s30, s76
	s_sub_i32 s30, s93, s30
	s_sub_i32 s31, s30, s76
	s_cmp_ge_u32 s30, s76
	s_cselect_b32 s30, s31, s30
	s_sub_i32 s31, s30, s76
	s_cmp_ge_u32 s30, s76
	s_cselect_b32 s82, s31, s30
	s_mov_b64 s[30:31], s[82:83]
.LBB135_239:                            ;   in Loop: Header=BB135_43 Depth=1
	s_sub_u32 s34, s93, s30
	s_subb_u32 s35, s55, s31
	v_cmp_gt_u64_e32 vcc, s[34:35], v[0:1]
                                        ; implicit-def: $vgpr58
	s_and_saveexec_b64 s[30:31], vcc
	s_cbranch_execz .LBB135_249
; %bb.240:                              ;   in Loop: Header=BB135_43 Depth=1
	s_mov_b64 s[36:37], 0
	v_mov_b64_e32 v[6:7], v[16:17]
	v_mov_b64_e32 v[8:9], v[0:1]
                                        ; implicit-def: $sgpr40_sgpr41
	s_branch .LBB135_244
.LBB135_241:                            ;   in Loop: Header=BB135_244 Depth=2
	s_or_b64 exec, exec, s[42:43]
	s_waitcnt lgkmcnt(0)
	s_barrier
	ds_read_b32 v10, v3 offset:3072
	s_waitcnt lgkmcnt(0)
	s_barrier
	v_cmp_eq_f16_e32 vcc, 0, v10
	s_cbranch_vccz .LBB135_247
; %bb.242:                              ;   in Loop: Header=BB135_244 Depth=2
	v_lshl_add_u64 v[8:9], v[8:9], 0, s[76:77]
	v_cmp_le_u64_e32 vcc, s[34:35], v[8:9]
	v_lshl_add_u64 v[6:7], v[6:7], 0, s[90:91]
	s_mov_b64 s[42:43], 0
	s_orn2_b64 s[44:45], vcc, exec
.LBB135_243:                            ;   in Loop: Header=BB135_244 Depth=2
	s_and_b64 s[44:45], exec, s[44:45]
	s_or_b64 s[36:37], s[44:45], s[36:37]
	s_andn2_b64 s[40:41], s[40:41], exec
	s_and_b64 s[42:43], s[42:43], exec
	s_or_b64 s[40:41], s[40:41], s[42:43]
	s_andn2_b64 exec, exec, s[36:37]
	s_cbranch_execz .LBB135_248
.LBB135_244:                            ;   Parent Loop BB135_43 Depth=1
                                        ; =>  This Inner Loop Header: Depth=2
	v_cmp_gt_u64_e32 vcc, s[56:57], v[8:9]
	s_and_saveexec_b64 s[42:43], vcc
	s_cbranch_execz .LBB135_241
; %bb.245:                              ;   in Loop: Header=BB135_244 Depth=2
	global_load_ushort v10, v[6:7], off
	s_waitcnt vmcnt(0)
	v_cmp_lt_i16_e32 vcc, -1, v10
	s_nop 1
	v_cndmask_b32_e32 v11, v53, v54, vcc
	v_xor_b32_sdwa v11, v11, v10 dst_sel:DWORD dst_unused:UNUSED_PAD src0_sel:DWORD src1_sel:WORD_0
	v_cmp_o_f16_e32 vcc, v10, v10
	s_nop 1
	v_cndmask_b32_e32 v11, v53, v11, vcc
	v_and_b32_e32 v11, v11, v57
	v_cmp_eq_u32_e32 vcc, v11, v52
	s_and_b64 exec, exec, vcc
	s_cbranch_execz .LBB135_241
; %bb.246:                              ;   in Loop: Header=BB135_244 Depth=2
	s_movk_i32 s44, 0x3c00
	v_perm_b32 v10, v10, s44, v56
	ds_write_b32 v3, v10 offset:3072
	s_branch .LBB135_241
.LBB135_247:                            ;   in Loop: Header=BB135_244 Depth=2
	s_mov_b64 s[44:45], -1
                                        ; implicit-def: $vgpr8_vgpr9
                                        ; implicit-def: $vgpr6_vgpr7
	s_mov_b64 s[42:43], -1
	s_branch .LBB135_243
.LBB135_248:                            ;   in Loop: Header=BB135_43 Depth=1
	s_or_b64 exec, exec, s[36:37]
	s_andn2_b64 s[6:7], s[6:7], exec
	s_and_b64 s[34:35], s[40:41], exec
	v_lshrrev_b32_e32 v58, 16, v10
	s_or_b64 s[6:7], s[6:7], s[34:35]
.LBB135_249:                            ;   in Loop: Header=BB135_43 Depth=1
	s_or_b64 exec, exec, s[30:31]
	s_mov_b64 s[34:35], 0
	s_mov_b64 s[36:37], -1
.LBB135_250:                            ;   in Loop: Header=BB135_43 Depth=1
	s_orn2_b64 s[6:7], s[6:7], exec
.LBB135_251:                            ;   in Loop: Header=BB135_43 Depth=1
	s_or_b64 exec, exec, s[38:39]
	s_mov_b64 s[30:31], 0
	s_and_saveexec_b64 s[38:39], s[6:7]
	s_cbranch_execz .LBB135_312
; %bb.252:                              ;   in Loop: Header=BB135_43 Depth=1
	s_xor_b64 s[30:31], s[8:9], -1
	v_mov_b32_e32 v2, 1
	s_mov_b64 s[8:9], 0
	v_mov_b64_e32 v[6:7], 1
	s_and_saveexec_b64 s[6:7], s[30:31]
	s_cbranch_execz .LBB135_261
; %bb.253:                              ;   in Loop: Header=BB135_43 Depth=1
	v_cmp_ge_u64_e32 vcc, s[22:23], v[4:5]
	s_and_saveexec_b64 s[8:9], vcc
	s_xor_b64 s[8:9], exec, s[8:9]
	s_cbranch_execz .LBB135_258
; %bb.254:                              ;   in Loop: Header=BB135_43 Depth=1
	ds_read_b64 v[6:7], v3 offset:5120
	v_and_b32_e32 v2, s52, v52
	v_lshl_or_b32 v52, 2, s64, v2
	v_or_b32_e32 v57, s72, v57
	s_waitcnt lgkmcnt(0)
	v_cmp_ne_u64_e32 vcc, 0, v[6:7]
	s_cbranch_vccnz .LBB135_258
; %bb.255:                              ;   in Loop: Header=BB135_43 Depth=1
	s_mov_b64 s[30:31], exec
	v_readlane_b32 s40, v71, 12
	v_readlane_b32 s41, v71, 13
	s_and_b64 s[40:41], s[30:31], s[40:41]
	s_mov_b64 exec, s[40:41]
; %bb.256:                              ;   in Loop: Header=BB135_43 Depth=1
	v_mov_b64_e32 v[6:7], s[22:23]
	ds_write_b64 v3, v[6:7] offset:5128
; %bb.257:                              ;   in Loop: Header=BB135_43 Depth=1
	s_or_b64 exec, exec, s[30:31]
	s_waitcnt lgkmcnt(0)
	s_barrier
.LBB135_258:                            ;   in Loop: Header=BB135_43 Depth=1
	s_or_saveexec_b64 s[8:9], s[8:9]
	s_mov_b64 s[30:31], 0
	v_mov_b32_e32 v2, 8
	s_xor_b64 exec, exec, s[8:9]
; %bb.259:                              ;   in Loop: Header=BB135_43 Depth=1
	v_mov_b32_e32 v2, s23
	v_subrev_co_u32_e32 v4, vcc, s22, v4
	s_mov_b64 s[30:31], exec
	s_nop 0
	v_subb_co_u32_e32 v5, vcc, v5, v2, vcc
	v_mov_b32_e32 v2, 0
; %bb.260:                              ;   in Loop: Header=BB135_43 Depth=1
	s_or_b64 exec, exec, s[8:9]
	s_and_b64 s[8:9], s[30:31], exec
	v_mov_b64_e32 v[6:7], v[4:5]
.LBB135_261:                            ;   in Loop: Header=BB135_43 Depth=1
	s_or_b64 exec, exec, s[6:7]
	s_mov_b64 s[6:7], -1
                                        ; implicit-def: $sgpr44_sgpr45
                                        ; implicit-def: $sgpr42_sgpr43
	s_and_saveexec_b64 s[22:23], s[8:9]
	s_cbranch_execz .LBB135_311
; %bb.262:                              ;   in Loop: Header=BB135_43 Depth=1
	s_cmp_eq_u64 s[2:3], 1
	s_cselect_b64 s[6:7], -1, 0
	v_cmp_eq_u64_e32 vcc, 1, v[6:7]
	s_and_b64 s[8:9], s[6:7], vcc
	s_mov_b64 s[30:31], -1
                                        ; implicit-def: $sgpr44_sgpr45
                                        ; implicit-def: $sgpr42_sgpr43
	s_and_saveexec_b64 s[40:41], s[8:9]
	s_cbranch_execz .LBB135_299
; %bb.263:                              ;   in Loop: Header=BB135_43 Depth=1
	ds_read_b64 v[4:5], v3 offset:5120
	s_waitcnt lgkmcnt(0)
	s_barrier
	v_readfirstlane_b32 s30, v4
	v_readfirstlane_b32 s31, v5
	s_mov_b64 s[6:7], exec
	v_readlane_b32 s42, v71, 14
	v_readlane_b32 s43, v71, 15
	s_and_b64 s[42:43], s[6:7], s[42:43]
	s_mov_b64 exec, s[42:43]
; %bb.264:                              ;   in Loop: Header=BB135_43 Depth=1
	ds_write_b16 v48, v3
; %bb.265:                              ;   in Loop: Header=BB135_43 Depth=1
	s_or_b64 exec, exec, s[6:7]
	v_or_b32_e32 v52, s72, v52
	v_or_b32_e32 v57, s72, v57
	s_mov_b64 s[42:43], -1
	s_mov_b64 s[44:45], 0
	s_cmp_eq_u64 s[30:31], 0
	s_mov_b64 s[6:7], 0
	s_mov_b64 s[46:47], -1
	s_waitcnt lgkmcnt(0)
	s_barrier
                                        ; implicit-def: $vgpr58
	s_cbranch_scc1 .LBB135_280
; %bb.266:                              ;   in Loop: Header=BB135_43 Depth=1
	v_readlane_b32 s6, v71, 20
	s_add_u32 s50, s30, s6
	v_readlane_b32 s6, v71, 21
	s_addc_u32 s7, s31, s6
	s_mov_b32 s6, s83
	s_mov_b32 s69, s55
	s_cmp_lg_u64 s[6:7], 0
	s_cbranch_scc0 .LBB135_283
; %bb.267:                              ;   in Loop: Header=BB135_43 Depth=1
	v_cvt_f32_u32_e32 v4, s76
	s_sub_u32 s6, 0, s76
	s_subb_u32 s48, 0, 0
	v_fmac_f32_e32 v4, 0, v55
	v_rcp_f32_e32 v4, v4
	s_nop 0
	v_mul_f32_e32 v4, 0x5f7ffffc, v4
	v_mul_f32_e32 v5, 0x2f800000, v4
	v_trunc_f32_e32 v5, v5
	v_fmac_f32_e32 v4, 0xcf800000, v5
	v_cvt_u32_f32_e32 v5, v5
	v_cvt_u32_f32_e32 v4, v4
	v_readfirstlane_b32 s49, v5
	v_readfirstlane_b32 s46, v4
	s_mul_i32 s47, s6, s49
	s_mul_hi_u32 s52, s6, s46
	s_mul_i32 s51, s48, s46
	s_add_i32 s47, s52, s47
	s_mul_i32 s53, s6, s46
	s_add_i32 s47, s47, s51
	s_mul_hi_u32 s52, s46, s53
	s_mul_i32 s54, s46, s47
	s_mul_hi_u32 s51, s46, s47
	s_add_u32 s52, s52, s54
	s_addc_u32 s51, 0, s51
	s_mul_hi_u32 s55, s49, s53
	s_mul_i32 s53, s49, s53
	s_add_u32 s52, s52, s53
	s_mul_hi_u32 s54, s49, s47
	s_addc_u32 s51, s51, s55
	s_addc_u32 s52, s54, 0
	s_mul_i32 s47, s49, s47
	s_add_u32 s47, s51, s47
	s_addc_u32 s51, 0, s52
	s_add_u32 s52, s46, s47
	s_cselect_b64 s[46:47], -1, 0
	s_cmp_lg_u64 s[46:47], 0
	s_addc_u32 s49, s49, s51
	s_mul_i32 s46, s6, s49
	s_mul_hi_u32 s47, s6, s52
	s_add_i32 s46, s47, s46
	s_mul_i32 s48, s48, s52
	s_add_i32 s46, s46, s48
	s_mul_i32 s6, s6, s52
	s_mul_hi_u32 s48, s49, s6
	s_mul_i32 s51, s49, s6
	s_mul_i32 s54, s52, s46
	s_mul_hi_u32 s6, s52, s6
	s_mul_hi_u32 s53, s52, s46
	s_add_u32 s6, s6, s54
	s_addc_u32 s53, 0, s53
	s_add_u32 s6, s6, s51
	s_mul_hi_u32 s47, s49, s46
	s_addc_u32 s6, s53, s48
	s_addc_u32 s47, s47, 0
	s_mul_i32 s46, s49, s46
	s_add_u32 s6, s6, s46
	s_addc_u32 s48, 0, s47
	s_add_u32 s6, s52, s6
	s_cselect_b64 s[46:47], -1, 0
	s_cmp_lg_u64 s[46:47], 0
	s_addc_u32 s46, s49, s48
	s_mul_i32 s48, s50, s46
	s_mul_hi_u32 s49, s50, s6
	s_mul_hi_u32 s47, s50, s46
	s_add_u32 s48, s49, s48
	s_addc_u32 s47, 0, s47
	s_mul_hi_u32 s51, s7, s6
	s_mul_i32 s6, s7, s6
	s_add_u32 s6, s48, s6
	s_mul_hi_u32 s49, s7, s46
	s_addc_u32 s6, s47, s51
	s_addc_u32 s47, s49, 0
	s_mul_i32 s46, s7, s46
	s_add_u32 s6, s6, s46
	s_addc_u32 s46, 0, s47
	s_mul_i32 s46, s76, s46
	s_mul_hi_u32 s47, s76, s6
	s_add_i32 s48, s47, s46
	s_mul_i32 s6, s76, s6
	s_sub_u32 s6, s50, s6
	s_cselect_b64 s[46:47], -1, 0
	s_cmp_lg_u64 s[46:47], 0
	s_subb_u32 s48, s7, s48
	s_sub_u32 s49, s6, s76
	s_cselect_b64 s[46:47], -1, 0
	s_cmp_lg_u64 s[46:47], 0
	s_subb_u32 s51, s48, 0
	s_sub_u32 s52, s49, s76
	s_cselect_b64 s[46:47], -1, 0
	s_cmp_lg_u64 s[46:47], 0
	s_subb_u32 s46, s51, 0
	s_cmp_ge_u32 s49, s76
	s_cselect_b32 s47, -1, 0
	s_cmp_eq_u32 s51, 0
	s_cselect_b32 s47, s47, -1
	s_cmp_lg_u32 s47, 0
	s_cselect_b32 s46, s46, s51
	s_cselect_b32 s49, s52, s49
	s_cmp_ge_u32 s6, s76
	s_cselect_b32 s47, -1, 0
	s_cmp_eq_u32 s48, 0
	s_cselect_b32 s47, s47, -1
	s_cmp_lg_u32 s47, 0
	s_cselect_b32 s47, s46, s48
	s_cselect_b32 s46, s49, s6
	s_cbranch_execnz .LBB135_269
.LBB135_268:                            ;   in Loop: Header=BB135_43 Depth=1
	v_cvt_f32_u32_e32 v4, s76
	s_sub_i32 s6, 0, s76
	v_rcp_iflag_f32_e32 v4, v4
	s_nop 0
	v_mul_f32_e32 v4, 0x4f7ffffe, v4
	v_cvt_u32_f32_e32 v4, v4
	s_nop 0
	v_readfirstlane_b32 s46, v4
	s_mul_i32 s6, s6, s46
	s_mul_hi_u32 s6, s46, s6
	s_add_i32 s46, s46, s6
	s_mul_hi_u32 s6, s50, s46
	s_mul_i32 s6, s6, s76
	s_sub_i32 s6, s50, s6
	s_sub_i32 s46, s6, s76
	s_cmp_ge_u32 s6, s76
	s_cselect_b32 s6, s46, s6
	s_sub_i32 s46, s6, s76
	s_cmp_ge_u32 s6, s76
	s_cselect_b32 s82, s46, s6
	s_mov_b64 s[46:47], s[82:83]
.LBB135_269:                            ;   in Loop: Header=BB135_43 Depth=1
	s_sub_u32 s50, s50, s46
	s_subb_u32 s51, s7, s47
	v_cmp_gt_u64_e32 vcc, s[50:51], v[0:1]
	s_mov_b64 s[46:47], 0
	s_mov_b64 s[6:7], 0
                                        ; implicit-def: $vgpr58
	s_and_saveexec_b64 s[48:49], vcc
	s_cbranch_execz .LBB135_279
; %bb.270:                              ;   in Loop: Header=BB135_43 Depth=1
	v_mov_b32_e32 v8, v47
	v_mov_b64_e32 v[4:5], v[0:1]
                                        ; implicit-def: $sgpr52_sgpr53
	s_branch .LBB135_274
.LBB135_271:                            ;   in Loop: Header=BB135_274 Depth=2
	s_or_b64 exec, exec, s[54:55]
	s_waitcnt lgkmcnt(0)
	s_barrier
	ds_read_b32 v9, v3 offset:3072
	s_waitcnt lgkmcnt(0)
	s_barrier
	v_cmp_neq_f16_e32 vcc, 0, v9
	s_cbranch_vccnz .LBB135_277
; %bb.272:                              ;   in Loop: Header=BB135_274 Depth=2
	v_lshl_add_u64 v[4:5], v[4:5], 0, s[76:77]
	v_cmp_le_u64_e32 vcc, s[50:51], v[4:5]
	v_add_u32_e32 v8, s87, v8
	s_mov_b64 s[54:55], 0
	s_orn2_b64 s[70:71], vcc, exec
.LBB135_273:                            ;   in Loop: Header=BB135_274 Depth=2
	s_and_b64 s[70:71], exec, s[70:71]
	s_or_b64 s[6:7], s[70:71], s[6:7]
	s_andn2_b64 s[52:53], s[52:53], exec
	s_and_b64 s[54:55], s[54:55], exec
	s_or_b64 s[52:53], s[52:53], s[54:55]
	s_andn2_b64 exec, exec, s[6:7]
	s_cbranch_execz .LBB135_278
.LBB135_274:                            ;   Parent Loop BB135_43 Depth=1
                                        ; =>  This Inner Loop Header: Depth=2
	v_cmp_gt_u64_e32 vcc, s[30:31], v[4:5]
	s_and_saveexec_b64 s[54:55], vcc
	s_cbranch_execz .LBB135_271
; %bb.275:                              ;   in Loop: Header=BB135_274 Depth=2
	ds_read_u16 v9, v8
	s_waitcnt lgkmcnt(0)
	v_cmp_lt_i16_e32 vcc, -1, v9
	s_nop 1
	v_cndmask_b32_e32 v10, v53, v54, vcc
	v_xor_b32_sdwa v10, v10, v9 dst_sel:DWORD dst_unused:UNUSED_PAD src0_sel:DWORD src1_sel:WORD_0
	v_cmp_o_f16_e32 vcc, v9, v9
	s_nop 1
	v_cndmask_b32_e32 v10, v53, v10, vcc
	v_and_b32_e32 v10, v10, v57
	v_cmp_eq_u32_e32 vcc, v10, v52
	s_and_b64 exec, exec, vcc
	s_cbranch_execz .LBB135_271
; %bb.276:                              ;   in Loop: Header=BB135_274 Depth=2
	s_movk_i32 s70, 0x3c00
	v_perm_b32 v9, v9, s70, v56
	ds_write_b32 v3, v9 offset:3072
	s_branch .LBB135_271
.LBB135_277:                            ;   in Loop: Header=BB135_274 Depth=2
	s_mov_b64 s[70:71], -1
                                        ; implicit-def: $vgpr4_vgpr5
                                        ; implicit-def: $vgpr8
	s_mov_b64 s[54:55], -1
	s_branch .LBB135_273
.LBB135_278:                            ;   in Loop: Header=BB135_43 Depth=1
	s_or_b64 exec, exec, s[6:7]
	v_lshrrev_b32_e32 v58, 16, v9
	s_and_b64 s[6:7], s[52:53], exec
.LBB135_279:                            ;   in Loop: Header=BB135_43 Depth=1
	s_or_b64 exec, exec, s[48:49]
	v_readlane_b32 s50, v71, 45
	s_mov_b32 s55, s69
	v_readlane_b32 s51, v71, 46
	v_readlane_b32 s53, v71, 48
	;; [unrolled: 1-line block ×3, first 2 shown]
.LBB135_280:                            ;   in Loop: Header=BB135_43 Depth=1
	s_and_b64 vcc, exec, s[46:47]
	s_cbranch_vccz .LBB135_298
; %bb.281:                              ;   in Loop: Header=BB135_43 Depth=1
	s_mov_b32 s54, s83
	s_cmp_lg_u64 s[54:55], 0
	s_cbranch_scc0 .LBB135_284
; %bb.282:                              ;   in Loop: Header=BB135_43 Depth=1
	v_cvt_f32_u32_e32 v4, s76
	s_sub_u32 s42, 0, s76
	s_subb_u32 s43, 0, 0
	v_fmac_f32_e32 v4, 0, v55
	v_rcp_f32_e32 v4, v4
	s_nop 0
	v_mul_f32_e32 v4, 0x5f7ffffc, v4
	v_mul_f32_e32 v5, 0x2f800000, v4
	v_trunc_f32_e32 v5, v5
	v_fmac_f32_e32 v4, 0xcf800000, v5
	v_cvt_u32_f32_e32 v5, v5
	v_cvt_u32_f32_e32 v4, v4
	v_readfirstlane_b32 s44, v5
	v_readfirstlane_b32 s30, v4
	s_mul_i32 s31, s42, s44
	s_mul_hi_u32 s46, s42, s30
	s_mul_i32 s45, s43, s30
	s_add_i32 s31, s46, s31
	s_mul_i32 s47, s42, s30
	s_add_i32 s31, s31, s45
	s_mul_hi_u32 s46, s30, s47
	s_mul_i32 s48, s30, s31
	s_mul_hi_u32 s45, s30, s31
	s_add_u32 s46, s46, s48
	s_addc_u32 s45, 0, s45
	s_mul_hi_u32 s49, s44, s47
	s_mul_i32 s47, s44, s47
	s_add_u32 s46, s46, s47
	s_mul_hi_u32 s48, s44, s31
	s_addc_u32 s45, s45, s49
	s_addc_u32 s46, s48, 0
	s_mul_i32 s31, s44, s31
	s_add_u32 s31, s45, s31
	s_addc_u32 s45, 0, s46
	s_add_u32 s46, s30, s31
	s_cselect_b64 s[30:31], -1, 0
	s_cmp_lg_u64 s[30:31], 0
	s_addc_u32 s44, s44, s45
	s_mul_i32 s30, s42, s44
	s_mul_hi_u32 s31, s42, s46
	s_add_i32 s30, s31, s30
	s_mul_i32 s43, s43, s46
	s_add_i32 s30, s30, s43
	s_mul_i32 s42, s42, s46
	s_mul_hi_u32 s43, s44, s42
	s_mul_i32 s45, s44, s42
	s_mul_i32 s48, s46, s30
	s_mul_hi_u32 s42, s46, s42
	s_mul_hi_u32 s47, s46, s30
	s_add_u32 s42, s42, s48
	s_addc_u32 s47, 0, s47
	s_add_u32 s42, s42, s45
	s_mul_hi_u32 s31, s44, s30
	s_addc_u32 s42, s47, s43
	s_addc_u32 s31, s31, 0
	s_mul_i32 s30, s44, s30
	s_add_u32 s30, s42, s30
	s_addc_u32 s42, 0, s31
	s_add_u32 s43, s46, s30
	s_cselect_b64 s[30:31], -1, 0
	s_cmp_lg_u64 s[30:31], 0
	s_addc_u32 s30, s44, s42
	s_mul_i32 s42, s93, s30
	s_mul_hi_u32 s44, s93, s43
	s_mul_hi_u32 s31, s93, s30
	s_add_u32 s42, s44, s42
	s_addc_u32 s31, 0, s31
	s_mul_hi_u32 s45, s55, s43
	s_mul_i32 s43, s55, s43
	s_add_u32 s42, s42, s43
	s_mul_hi_u32 s44, s55, s30
	s_addc_u32 s31, s31, s45
	s_addc_u32 s42, s44, 0
	s_mul_i32 s30, s55, s30
	s_add_u32 s30, s31, s30
	s_addc_u32 s31, 0, s42
	s_mul_i32 s31, s76, s31
	s_mul_hi_u32 s42, s76, s30
	s_add_i32 s42, s42, s31
	s_mul_i32 s30, s76, s30
	s_sub_u32 s43, s93, s30
	s_cselect_b64 s[30:31], -1, 0
	s_cmp_lg_u64 s[30:31], 0
	s_subb_u32 s42, s55, s42
	s_sub_u32 s44, s43, s76
	s_cselect_b64 s[30:31], -1, 0
	s_cmp_lg_u64 s[30:31], 0
	s_subb_u32 s45, s42, 0
	;; [unrolled: 4-line block ×3, first 2 shown]
	s_cmp_ge_u32 s44, s76
	s_cselect_b32 s31, -1, 0
	s_cmp_eq_u32 s45, 0
	s_cselect_b32 s31, s31, -1
	s_cmp_lg_u32 s31, 0
	s_cselect_b32 s30, s30, s45
	s_cselect_b32 s44, s46, s44
	s_cmp_ge_u32 s43, s76
	s_cselect_b32 s31, -1, 0
	s_cmp_eq_u32 s42, 0
	s_cselect_b32 s31, s31, -1
	s_cmp_lg_u32 s31, 0
	s_cselect_b32 s31, s30, s42
	s_cselect_b32 s30, s44, s43
	s_mov_b64 s[42:43], 0
	s_branch .LBB135_285
.LBB135_283:                            ;   in Loop: Header=BB135_43 Depth=1
                                        ; implicit-def: $sgpr46_sgpr47
	s_branch .LBB135_268
.LBB135_284:                            ;   in Loop: Header=BB135_43 Depth=1
	s_mov_b64 s[42:43], -1
                                        ; implicit-def: $sgpr30_sgpr31
.LBB135_285:                            ;   in Loop: Header=BB135_43 Depth=1
	s_andn2_b64 vcc, exec, s[42:43]
	v_readlane_b32 s53, v71, 48
	v_readlane_b32 s54, v71, 49
	s_cbranch_vccnz .LBB135_287
; %bb.286:                              ;   in Loop: Header=BB135_43 Depth=1
	v_cvt_f32_u32_e32 v4, s76
	s_sub_i32 s30, 0, s76
	v_rcp_iflag_f32_e32 v4, v4
	s_nop 0
	v_mul_f32_e32 v4, 0x4f7ffffe, v4
	v_cvt_u32_f32_e32 v4, v4
	s_nop 0
	v_readfirstlane_b32 s31, v4
	s_mul_i32 s30, s30, s31
	s_mul_hi_u32 s30, s31, s30
	s_add_i32 s31, s31, s30
	s_mul_hi_u32 s30, s93, s31
	s_mul_i32 s30, s30, s76
	s_sub_i32 s30, s93, s30
	s_sub_i32 s31, s30, s76
	s_cmp_ge_u32 s30, s76
	s_cselect_b32 s30, s31, s30
	s_sub_i32 s31, s30, s76
	s_cmp_ge_u32 s30, s76
	s_cselect_b32 s82, s31, s30
	s_mov_b64 s[30:31], s[82:83]
.LBB135_287:                            ;   in Loop: Header=BB135_43 Depth=1
	s_sub_u32 s42, s93, s30
	s_subb_u32 s43, s55, s31
	v_cmp_gt_u64_e32 vcc, s[42:43], v[0:1]
                                        ; implicit-def: $vgpr58
	s_and_saveexec_b64 s[30:31], vcc
	s_cbranch_execz .LBB135_297
; %bb.288:                              ;   in Loop: Header=BB135_43 Depth=1
	s_mov_b64 s[44:45], 0
	v_mov_b64_e32 v[4:5], v[16:17]
	v_mov_b64_e32 v[8:9], v[0:1]
                                        ; implicit-def: $sgpr46_sgpr47
	s_branch .LBB135_292
.LBB135_289:                            ;   in Loop: Header=BB135_292 Depth=2
	s_or_b64 exec, exec, s[48:49]
	s_waitcnt lgkmcnt(0)
	s_barrier
	ds_read_b32 v10, v3 offset:3072
	s_waitcnt lgkmcnt(0)
	s_barrier
	v_cmp_eq_f16_e32 vcc, 0, v10
	s_cbranch_vccz .LBB135_295
; %bb.290:                              ;   in Loop: Header=BB135_292 Depth=2
	v_lshl_add_u64 v[8:9], v[8:9], 0, s[76:77]
	v_cmp_le_u64_e32 vcc, s[42:43], v[8:9]
	v_lshl_add_u64 v[4:5], v[4:5], 0, s[90:91]
	s_mov_b64 s[48:49], 0
	s_orn2_b64 s[50:51], vcc, exec
.LBB135_291:                            ;   in Loop: Header=BB135_292 Depth=2
	s_and_b64 s[50:51], exec, s[50:51]
	s_or_b64 s[44:45], s[50:51], s[44:45]
	s_andn2_b64 s[46:47], s[46:47], exec
	s_and_b64 s[48:49], s[48:49], exec
	s_or_b64 s[46:47], s[46:47], s[48:49]
	s_andn2_b64 exec, exec, s[44:45]
	s_cbranch_execz .LBB135_296
.LBB135_292:                            ;   Parent Loop BB135_43 Depth=1
                                        ; =>  This Inner Loop Header: Depth=2
	v_cmp_gt_u64_e32 vcc, s[56:57], v[8:9]
	s_and_saveexec_b64 s[48:49], vcc
	s_cbranch_execz .LBB135_289
; %bb.293:                              ;   in Loop: Header=BB135_292 Depth=2
	global_load_ushort v10, v[4:5], off
	s_waitcnt vmcnt(0)
	v_cmp_lt_i16_e32 vcc, -1, v10
	s_nop 1
	v_cndmask_b32_e32 v11, v53, v54, vcc
	v_xor_b32_sdwa v11, v11, v10 dst_sel:DWORD dst_unused:UNUSED_PAD src0_sel:DWORD src1_sel:WORD_0
	v_cmp_o_f16_e32 vcc, v10, v10
	s_nop 1
	v_cndmask_b32_e32 v11, v53, v11, vcc
	v_and_b32_e32 v11, v11, v57
	v_cmp_eq_u32_e32 vcc, v11, v52
	s_and_b64 exec, exec, vcc
	s_cbranch_execz .LBB135_289
; %bb.294:                              ;   in Loop: Header=BB135_292 Depth=2
	s_movk_i32 s50, 0x3c00
	v_perm_b32 v10, v10, s50, v56
	ds_write_b32 v3, v10 offset:3072
	s_branch .LBB135_289
.LBB135_295:                            ;   in Loop: Header=BB135_292 Depth=2
	s_mov_b64 s[50:51], -1
                                        ; implicit-def: $vgpr8_vgpr9
                                        ; implicit-def: $vgpr4_vgpr5
	s_mov_b64 s[48:49], -1
	s_branch .LBB135_291
.LBB135_296:                            ;   in Loop: Header=BB135_43 Depth=1
	s_or_b64 exec, exec, s[44:45]
	s_andn2_b64 s[6:7], s[6:7], exec
	s_and_b64 s[42:43], s[46:47], exec
	v_readlane_b32 s50, v71, 45
	v_lshrrev_b32_e32 v58, 16, v10
	s_or_b64 s[6:7], s[6:7], s[42:43]
	v_readlane_b32 s51, v71, 46
.LBB135_297:                            ;   in Loop: Header=BB135_43 Depth=1
	s_or_b64 exec, exec, s[30:31]
	s_mov_b64 s[42:43], 0
	s_mov_b64 s[44:45], -1
.LBB135_298:                            ;   in Loop: Header=BB135_43 Depth=1
	s_orn2_b64 s[30:31], s[6:7], exec
.LBB135_299:                            ;   in Loop: Header=BB135_43 Depth=1
	s_or_b64 exec, exec, s[40:41]
	s_mov_b64 s[40:41], 0
	s_and_saveexec_b64 s[6:7], s[30:31]
	s_cbranch_execz .LBB135_310
; %bb.300:                              ;   in Loop: Header=BB135_43 Depth=1
	s_xor_b64 s[30:31], s[8:9], -1
	v_mov_b64_e32 v[4:5], 1
	v_mov_b32_e32 v2, 1
	s_and_saveexec_b64 s[8:9], s[30:31]
	s_cbranch_execz .LBB135_309
; %bb.301:                              ;   in Loop: Header=BB135_43 Depth=1
	v_cmp_ge_u64_e32 vcc, s[2:3], v[6:7]
	s_and_saveexec_b64 s[30:31], vcc
	s_xor_b64 s[30:31], exec, s[30:31]
	s_cbranch_execz .LBB135_306
; %bb.302:                              ;   in Loop: Header=BB135_43 Depth=1
	ds_read_b64 v[4:5], v3 offset:5120
	v_or_b32_e32 v52, s72, v52
	v_or_b32_e32 v57, s72, v57
	s_waitcnt lgkmcnt(0)
	v_cmp_ne_u64_e32 vcc, 0, v[4:5]
	s_cbranch_vccnz .LBB135_306
; %bb.303:                              ;   in Loop: Header=BB135_43 Depth=1
	s_mov_b64 s[40:41], exec
	v_readlane_b32 s46, v71, 12
	v_readlane_b32 s47, v71, 13
	s_and_b64 s[46:47], s[40:41], s[46:47]
	s_mov_b64 exec, s[46:47]
; %bb.304:                              ;   in Loop: Header=BB135_43 Depth=1
	v_mov_b64_e32 v[4:5], s[2:3]
	ds_write_b64 v3, v[4:5] offset:5128
; %bb.305:                              ;   in Loop: Header=BB135_43 Depth=1
	s_or_b64 exec, exec, s[40:41]
	s_waitcnt lgkmcnt(0)
	s_barrier
.LBB135_306:                            ;   in Loop: Header=BB135_43 Depth=1
	s_andn2_saveexec_b64 s[30:31], s[30:31]
; %bb.307:                              ;   in Loop: Header=BB135_43 Depth=1
	v_mov_b32_e32 v2, s3
	v_subrev_co_u32_e32 v6, vcc, s2, v6
	s_nop 1
	v_subb_co_u32_e32 v7, vcc, v7, v2, vcc
; %bb.308:                              ;   in Loop: Header=BB135_43 Depth=1
	s_or_b64 exec, exec, s[30:31]
	v_mov_b32_e32 v2, 8
	v_mov_b64_e32 v[4:5], v[6:7]
.LBB135_309:                            ;   in Loop: Header=BB135_43 Depth=1
	s_or_b64 exec, exec, s[8:9]
	s_mov_b64 s[40:41], exec
	v_mov_b64_e32 v[6:7], v[4:5]
.LBB135_310:                            ;   in Loop: Header=BB135_43 Depth=1
	s_or_b64 exec, exec, s[6:7]
	s_orn2_b64 s[6:7], s[40:41], exec
.LBB135_311:                            ;   in Loop: Header=BB135_43 Depth=1
	s_or_b64 exec, exec, s[22:23]
	s_andn2_b64 s[2:3], s[36:37], exec
	s_and_b64 s[8:9], s[44:45], exec
	s_or_b64 s[36:37], s[2:3], s[8:9]
	s_andn2_b64 s[2:3], s[34:35], exec
	s_and_b64 s[8:9], s[42:43], exec
	s_or_b64 s[34:35], s[2:3], s[8:9]
	s_and_b64 s[30:31], s[6:7], exec
	v_mov_b64_e32 v[4:5], v[6:7]
.LBB135_312:                            ;   in Loop: Header=BB135_43 Depth=1
	s_or_b64 exec, exec, s[38:39]
	s_orn2_b64 s[6:7], s[30:31], exec
.LBB135_313:                            ;   in Loop: Header=BB135_43 Depth=1
	s_or_b64 exec, exec, s[28:29]
	s_andn2_b64 s[2:3], s[24:25], exec
	s_and_b64 s[8:9], s[36:37], exec
	s_or_b64 s[24:25], s[2:3], s[8:9]
	s_andn2_b64 s[0:1], s[0:1], exec
	s_and_b64 s[2:3], s[34:35], exec
	s_or_b64 s[0:1], s[0:1], s[2:3]
	s_and_b64 s[28:29], s[6:7], exec
	v_mov_b64_e32 v[8:9], v[4:5]
.LBB135_314:                            ;   in Loop: Header=BB135_43 Depth=1
	s_or_b64 exec, exec, s[26:27]
	s_orn2_b64 s[6:7], s[28:29], exec
.LBB135_315:                            ;   in Loop: Header=BB135_43 Depth=1
	s_or_b64 exec, exec, s[20:21]
	s_mov_b64 s[8:9], 0
	s_and_saveexec_b64 s[2:3], s[6:7]
	s_xor_b64 s[2:3], exec, s[2:3]
	s_cbranch_execz .LBB135_41
; %bb.316:                              ;   in Loop: Header=BB135_43 Depth=1
	v_and_b32_e32 v2, 7, v2
	v_cmp_eq_u32_e32 vcc, 0, v2
	s_mov_b64 s[6:7], -1
	s_mov_b64 s[8:9], -1
	s_and_saveexec_b64 s[18:19], vcc
	s_cbranch_execz .LBB135_40
; %bb.317:                              ;   in Loop: Header=BB135_43 Depth=1
	s_xor_b32 s65, s65, 1
	s_add_i32 s20, s64, -2
	s_cmp_eq_u32 s64, 0
	s_cselect_b64 s[6:7], -1, 0
	s_xor_b64 s[8:9], exec, -1
	s_orn2_b64 s[6:7], s[6:7], exec
	s_mov_b32 s64, s20
	s_branch .LBB135_40
.LBB135_318:
	s_or_b64 exec, exec, s[74:75]
	s_xor_b64 s[4:5], s[10:11], -1
	s_xor_b64 s[2:3], s[66:67], -1
	;; [unrolled: 1-line block ×3, first 2 shown]
	s_mov_b64 s[0:1], 0
	s_and_saveexec_b64 s[8:9], s[2:3]
	s_xor_b64 s[2:3], exec, s[8:9]
	s_cbranch_execnz .LBB135_323
; %bb.319:
	s_andn2_saveexec_b64 s[2:3], s[2:3]
	s_cbranch_execnz .LBB135_336
.LBB135_320:
	s_or_b64 exec, exec, s[2:3]
	s_and_saveexec_b64 s[2:3], s[0:1]
.LBB135_321:
	; divergent unreachable
.LBB135_322:
	s_endpgm
.LBB135_323:
	s_and_saveexec_b64 s[0:1], s[4:5]
	s_xor_b64 s[4:5], exec, s[0:1]
	s_cbranch_execz .LBB135_334
; %bb.324:
	s_and_saveexec_b64 s[0:1], s[6:7]
	s_xor_b64 s[0:1], exec, s[0:1]
; %bb.325:
	v_and_b32_e32 v2, 0x8000, v52
	v_mov_b32_e32 v3, 0x8000
	v_mov_b32_e32 v4, 0xffff
	v_cmp_eq_u32_e32 vcc, 0, v2
	s_nop 1
	v_cndmask_b32_e32 v2, v3, v4, vcc
	v_xor_b32_e32 v58, v2, v52
; %bb.326:
	s_or_b64 exec, exec, s[0:1]
	v_readlane_b32 s6, v71, 0
	v_readlane_b32 s7, v71, 1
	;; [unrolled: 1-line block ×4, first 2 shown]
	s_mul_i32 s0, s8, s7
	s_mul_hi_u32 s1, s8, s6
	s_add_i32 s0, s1, s0
	s_mul_i32 s1, s9, s6
	s_add_i32 s1, s0, s1
	s_mul_i32 s0, s8, s6
	s_lshl_b64 s[0:1], s[0:1], 1
	v_readlane_b32 s6, v71, 6
	v_readlane_b32 s7, v71, 7
	s_add_u32 s6, s6, s0
	s_addc_u32 s7, s7, s1
	s_lshl_b64 s[0:1], s[58:59], 1
	s_add_u32 s0, s6, s0
	s_addc_u32 s1, s7, s1
	v_mov_b32_e32 v2, 0
	global_store_short v2, v58, s[0:1]
	s_mov_b64 s[6:7], exec
	v_readlane_b32 s0, v71, 10
	v_readlane_b32 s1, v71, 11
	s_and_b64 s[0:1], s[6:7], s[0:1]
	s_mov_b64 exec, s[0:1]
	s_cbranch_execz .LBB135_333
; %bb.327:
	v_cmp_u_f16_e32 vcc, v58, v58
	s_mov_b64 s[8:9], 0
	s_xor_b64 s[12:13], vcc, -1
                                        ; implicit-def: $sgpr10_sgpr11
                                        ; implicit-def: $sgpr16_sgpr17
                                        ; implicit-def: $sgpr14_sgpr15
	s_branch .LBB135_329
.LBB135_328:                            ;   in Loop: Header=BB135_329 Depth=1
	s_or_b64 exec, exec, s[0:1]
	s_and_b64 s[0:1], exec, s[16:17]
	s_or_b64 s[8:9], s[0:1], s[8:9]
	s_andn2_b64 s[0:1], s[10:11], exec
	s_and_b64 s[10:11], s[14:15], exec
	s_or_b64 s[10:11], s[0:1], s[10:11]
	s_andn2_b64 exec, exec, s[8:9]
	s_cbranch_execz .LBB135_331
.LBB135_329:                            ; =>This Inner Loop Header: Depth=1
	global_load_ushort v4, v[16:17], off
	v_mov_b64_e32 v[2:3], v[0:1]
	s_or_b64 s[14:15], s[14:15], exec
	s_or_b64 s[16:17], s[16:17], exec
                                        ; implicit-def: $vgpr0_vgpr1
	s_waitcnt vmcnt(0)
	v_cmp_o_f16_e64 s[0:1], v4, v4
	v_cmp_neq_f16_e32 vcc, v4, v58
	s_or_b64 s[0:1], s[12:13], s[0:1]
	s_and_b64 s[18:19], vcc, s[0:1]
	s_and_saveexec_b64 s[0:1], s[18:19]
	s_cbranch_execz .LBB135_328
; %bb.330:                              ;   in Loop: Header=BB135_329 Depth=1
	v_lshl_add_u64 v[0:1], v[2:3], 0, s[76:77]
	v_cmp_le_u64_e32 vcc, s[56:57], v[0:1]
	s_andn2_b64 s[16:17], s[16:17], exec
	s_and_b64 s[18:19], vcc, exec
	v_lshl_add_u64 v[16:17], v[16:17], 0, s[90:91]
	s_andn2_b64 s[14:15], s[14:15], exec
	s_or_b64 s[16:17], s[16:17], s[18:19]
	s_branch .LBB135_328
.LBB135_331:
	s_or_b64 exec, exec, s[8:9]
	s_and_saveexec_b64 s[0:1], s[10:11]
	s_xor_b64 s[0:1], exec, s[0:1]
	s_cbranch_execz .LBB135_333
; %bb.332:
	v_readlane_b32 s8, v71, 4
	v_readlane_b32 s9, v71, 5
	s_mul_i32 s0, s8, s51
	s_mul_hi_u32 s1, s8, s50
	s_add_i32 s0, s1, s0
	s_mul_i32 s1, s9, s50
	s_add_i32 s1, s0, s1
	s_mul_i32 s0, s8, s50
	s_lshl_b64 s[0:1], s[0:1], 3
	v_readlane_b32 s8, v71, 8
	v_readlane_b32 s9, v71, 9
	s_add_u32 s8, s8, s0
	s_addc_u32 s9, s9, s1
	s_lshl_b64 s[0:1], s[62:63], 3
	s_add_u32 s0, s8, s0
	s_addc_u32 s1, s9, s1
	v_mov_b32_e32 v0, 0
	global_store_dwordx2 v0, v[2:3], s[0:1]
.LBB135_333:
	s_or_b64 exec, exec, s[6:7]
.LBB135_334:
	s_or_saveexec_b64 s[0:1], s[4:5]
	s_mov_b64 s[4:5], 0
	s_xor_b64 exec, exec, s[0:1]
	s_cbranch_execnz .LBB135_337
.LBB135_335:
	s_or_b64 exec, exec, s[0:1]
	s_and_b64 s[0:1], s[4:5], exec
	s_andn2_saveexec_b64 s[2:3], s[2:3]
	s_cbranch_execz .LBB135_320
.LBB135_336:
	s_or_b64 s[0:1], s[0:1], exec
	s_trap 2
	s_or_b64 exec, exec, s[2:3]
	s_and_saveexec_b64 s[2:3], s[0:1]
	s_cbranch_execnz .LBB135_321
	s_branch .LBB135_322
.LBB135_337:
	s_mov_b64 s[4:5], exec
	s_trap 2
	s_branch .LBB135_335
	.section	.rodata,"a",@progbits
	.p2align	6, 0x0
	.amdhsa_kernel _ZN2at6native12_GLOBAL__N_112gatherMedianIN3c104HalfEmLin1EEEvNS_4cuda6detail10TensorInfoIT_T0_EENS7_IlS9_EENS7_IKS8_S9_EES9_S9_S9_b
		.amdhsa_group_segment_fixed_size 5152
		.amdhsa_private_segment_fixed_size 0
		.amdhsa_kernarg_size 1536
		.amdhsa_user_sgpr_count 2
		.amdhsa_user_sgpr_dispatch_ptr 0
		.amdhsa_user_sgpr_queue_ptr 0
		.amdhsa_user_sgpr_kernarg_segment_ptr 1
		.amdhsa_user_sgpr_dispatch_id 0
		.amdhsa_user_sgpr_kernarg_preload_length 0
		.amdhsa_user_sgpr_kernarg_preload_offset 0
		.amdhsa_user_sgpr_private_segment_size 0
		.amdhsa_uses_dynamic_stack 0
		.amdhsa_enable_private_segment 0
		.amdhsa_system_sgpr_workgroup_id_x 1
		.amdhsa_system_sgpr_workgroup_id_y 1
		.amdhsa_system_sgpr_workgroup_id_z 1
		.amdhsa_system_sgpr_workgroup_info 0
		.amdhsa_system_vgpr_workitem_id 0
		.amdhsa_next_free_vgpr 72
		.amdhsa_next_free_sgpr 100
		.amdhsa_accum_offset 72
		.amdhsa_reserve_vcc 1
		.amdhsa_float_round_mode_32 0
		.amdhsa_float_round_mode_16_64 0
		.amdhsa_float_denorm_mode_32 3
		.amdhsa_float_denorm_mode_16_64 3
		.amdhsa_dx10_clamp 1
		.amdhsa_ieee_mode 1
		.amdhsa_fp16_overflow 0
		.amdhsa_tg_split 0
		.amdhsa_exception_fp_ieee_invalid_op 0
		.amdhsa_exception_fp_denorm_src 0
		.amdhsa_exception_fp_ieee_div_zero 0
		.amdhsa_exception_fp_ieee_overflow 0
		.amdhsa_exception_fp_ieee_underflow 0
		.amdhsa_exception_fp_ieee_inexact 0
		.amdhsa_exception_int_div_zero 0
	.end_amdhsa_kernel
	.section	.text._ZN2at6native12_GLOBAL__N_112gatherMedianIN3c104HalfEmLin1EEEvNS_4cuda6detail10TensorInfoIT_T0_EENS7_IlS9_EENS7_IKS8_S9_EES9_S9_S9_b,"axG",@progbits,_ZN2at6native12_GLOBAL__N_112gatherMedianIN3c104HalfEmLin1EEEvNS_4cuda6detail10TensorInfoIT_T0_EENS7_IlS9_EENS7_IKS8_S9_EES9_S9_S9_b,comdat
.Lfunc_end135:
	.size	_ZN2at6native12_GLOBAL__N_112gatherMedianIN3c104HalfEmLin1EEEvNS_4cuda6detail10TensorInfoIT_T0_EENS7_IlS9_EENS7_IKS8_S9_EES9_S9_S9_b, .Lfunc_end135-_ZN2at6native12_GLOBAL__N_112gatherMedianIN3c104HalfEmLin1EEEvNS_4cuda6detail10TensorInfoIT_T0_EENS7_IlS9_EENS7_IKS8_S9_EES9_S9_S9_b
                                        ; -- End function
	.set _ZN2at6native12_GLOBAL__N_112gatherMedianIN3c104HalfEmLin1EEEvNS_4cuda6detail10TensorInfoIT_T0_EENS7_IlS9_EENS7_IKS8_S9_EES9_S9_S9_b.num_vgpr, 72
	.set _ZN2at6native12_GLOBAL__N_112gatherMedianIN3c104HalfEmLin1EEEvNS_4cuda6detail10TensorInfoIT_T0_EENS7_IlS9_EENS7_IKS8_S9_EES9_S9_S9_b.num_agpr, 0
	.set _ZN2at6native12_GLOBAL__N_112gatherMedianIN3c104HalfEmLin1EEEvNS_4cuda6detail10TensorInfoIT_T0_EENS7_IlS9_EENS7_IKS8_S9_EES9_S9_S9_b.numbered_sgpr, 100
	.set _ZN2at6native12_GLOBAL__N_112gatherMedianIN3c104HalfEmLin1EEEvNS_4cuda6detail10TensorInfoIT_T0_EENS7_IlS9_EENS7_IKS8_S9_EES9_S9_S9_b.num_named_barrier, 0
	.set _ZN2at6native12_GLOBAL__N_112gatherMedianIN3c104HalfEmLin1EEEvNS_4cuda6detail10TensorInfoIT_T0_EENS7_IlS9_EENS7_IKS8_S9_EES9_S9_S9_b.private_seg_size, 0
	.set _ZN2at6native12_GLOBAL__N_112gatherMedianIN3c104HalfEmLin1EEEvNS_4cuda6detail10TensorInfoIT_T0_EENS7_IlS9_EENS7_IKS8_S9_EES9_S9_S9_b.uses_vcc, 1
	.set _ZN2at6native12_GLOBAL__N_112gatherMedianIN3c104HalfEmLin1EEEvNS_4cuda6detail10TensorInfoIT_T0_EENS7_IlS9_EENS7_IKS8_S9_EES9_S9_S9_b.uses_flat_scratch, 0
	.set _ZN2at6native12_GLOBAL__N_112gatherMedianIN3c104HalfEmLin1EEEvNS_4cuda6detail10TensorInfoIT_T0_EENS7_IlS9_EENS7_IKS8_S9_EES9_S9_S9_b.has_dyn_sized_stack, 0
	.set _ZN2at6native12_GLOBAL__N_112gatherMedianIN3c104HalfEmLin1EEEvNS_4cuda6detail10TensorInfoIT_T0_EENS7_IlS9_EENS7_IKS8_S9_EES9_S9_S9_b.has_recursion, 0
	.set _ZN2at6native12_GLOBAL__N_112gatherMedianIN3c104HalfEmLin1EEEvNS_4cuda6detail10TensorInfoIT_T0_EENS7_IlS9_EENS7_IKS8_S9_EES9_S9_S9_b.has_indirect_call, 0
	.section	.AMDGPU.csdata,"",@progbits
; Kernel info:
; codeLenInByte = 19064
; TotalNumSgprs: 106
; NumVgprs: 72
; NumAgprs: 0
; TotalNumVgprs: 72
; ScratchSize: 0
; MemoryBound: 0
; FloatMode: 240
; IeeeMode: 1
; LDSByteSize: 5152 bytes/workgroup (compile time only)
; SGPRBlocks: 13
; VGPRBlocks: 8
; NumSGPRsForWavesPerEU: 106
; NumVGPRsForWavesPerEU: 72
; AccumOffset: 72
; Occupancy: 7
; WaveLimiterHint : 1
; COMPUTE_PGM_RSRC2:SCRATCH_EN: 0
; COMPUTE_PGM_RSRC2:USER_SGPR: 2
; COMPUTE_PGM_RSRC2:TRAP_HANDLER: 0
; COMPUTE_PGM_RSRC2:TGID_X_EN: 1
; COMPUTE_PGM_RSRC2:TGID_Y_EN: 1
; COMPUTE_PGM_RSRC2:TGID_Z_EN: 1
; COMPUTE_PGM_RSRC2:TIDIG_COMP_CNT: 0
; COMPUTE_PGM_RSRC3_GFX90A:ACCUM_OFFSET: 17
; COMPUTE_PGM_RSRC3_GFX90A:TG_SPLIT: 0
	.section	.text._ZN2at6native12_GLOBAL__N_112gatherMedianIN3c108BFloat16EjLi1EEEvNS_4cuda6detail10TensorInfoIT_T0_EENS7_IlS9_EENS7_IKS8_S9_EES9_S9_S9_b,"axG",@progbits,_ZN2at6native12_GLOBAL__N_112gatherMedianIN3c108BFloat16EjLi1EEEvNS_4cuda6detail10TensorInfoIT_T0_EENS7_IlS9_EENS7_IKS8_S9_EES9_S9_S9_b,comdat
	.globl	_ZN2at6native12_GLOBAL__N_112gatherMedianIN3c108BFloat16EjLi1EEEvNS_4cuda6detail10TensorInfoIT_T0_EENS7_IlS9_EENS7_IKS8_S9_EES9_S9_S9_b ; -- Begin function _ZN2at6native12_GLOBAL__N_112gatherMedianIN3c108BFloat16EjLi1EEEvNS_4cuda6detail10TensorInfoIT_T0_EENS7_IlS9_EENS7_IKS8_S9_EES9_S9_S9_b
	.p2align	8
	.type	_ZN2at6native12_GLOBAL__N_112gatherMedianIN3c108BFloat16EjLi1EEEvNS_4cuda6detail10TensorInfoIT_T0_EENS7_IlS9_EENS7_IKS8_S9_EES9_S9_S9_b,@function
_ZN2at6native12_GLOBAL__N_112gatherMedianIN3c108BFloat16EjLi1EEEvNS_4cuda6detail10TensorInfoIT_T0_EENS7_IlS9_EENS7_IKS8_S9_EES9_S9_S9_b: ; @_ZN2at6native12_GLOBAL__N_112gatherMedianIN3c108BFloat16EjLi1EEEvNS_4cuda6detail10TensorInfoIT_T0_EENS7_IlS9_EENS7_IKS8_S9_EES9_S9_S9_b
; %bb.0:
	s_load_dwordx2 s[10:11], s[0:1], 0x298
	s_load_dwordx4 s[64:67], s[0:1], 0x288
	s_add_u32 s8, s0, 0x298
	s_addc_u32 s9, s1, 0
	s_waitcnt lgkmcnt(0)
	s_mul_i32 s4, s11, s4
	s_add_i32 s3, s4, s3
	s_mul_i32 s3, s3, s10
	s_add_i32 s6, s3, s2
	s_cmp_ge_u32 s6, s65
	s_cbranch_scc1 .LBB136_263
; %bb.1:
	s_load_dword s3, s[0:1], 0x21c
	s_load_dwordx2 s[4:5], s[0:1], 0x1b0
	s_load_dwordx2 s[12:13], s[0:1], 0xd8
                                        ; implicit-def: $vgpr80 : SGPR spill to VGPR lane
	s_mov_b32 s7, 0
	v_mov_b32_e32 v2, 0
	s_waitcnt lgkmcnt(0)
	v_writelane_b32 v80, s12, 0
	s_nop 1
	v_writelane_b32 v80, s13, 1
	s_load_dwordx2 s[12:13], s[0:1], 0x0
	s_waitcnt lgkmcnt(0)
	v_writelane_b32 v80, s12, 2
	s_nop 1
	v_writelane_b32 v80, s13, 3
	v_writelane_b32 v80, s6, 4
	s_mul_i32 s6, s3, s6
	s_lshl_b64 s[6:7], s[6:7], 1
	s_add_u32 s70, s4, s6
	s_addc_u32 s71, s5, s7
	v_cmp_gt_u32_e64 s[6:7], s64, v0
	s_mov_b64 s[4:5], exec
	s_nop 0
	v_writelane_b32 v80, s6, 5
	s_nop 1
	v_writelane_b32 v80, s7, 6
	s_and_b64 s[6:7], s[4:5], s[6:7]
	s_mov_b64 exec, s[6:7]
	s_cbranch_execz .LBB136_5
; %bb.2:
	s_load_dword s3, s[8:9], 0xc
	v_mov_b32_e32 v5, 0
	v_mul_lo_u32 v4, v0, s66
	s_mov_b64 s[6:7], 0
	v_mov_b32_e32 v2, v5
	s_waitcnt lgkmcnt(0)
	s_and_b32 s3, s3, 0xffff
	s_mul_i32 s11, s66, s3
	v_mov_b32_e32 v1, v0
.LBB136_3:                              ; =>This Inner Loop Header: Depth=1
	v_lshl_add_u64 v[6:7], v[4:5], 1, s[70:71]
	global_load_ushort v3, v[6:7], off
	v_add_u32_e32 v1, s3, v1
	v_cmp_le_u32_e32 vcc, s64, v1
	s_or_b64 s[6:7], vcc, s[6:7]
	v_add_u32_e32 v4, s11, v4
	s_waitcnt vmcnt(0)
	v_lshlrev_b32_e32 v3, 16, v3
	v_cmp_u_f32_e32 vcc, v3, v3
	s_nop 1
	v_addc_co_u32_e32 v2, vcc, 0, v2, vcc
	s_andn2_b64 exec, exec, s[6:7]
	s_cbranch_execnz .LBB136_3
; %bb.4:
	s_or_b64 exec, exec, s[6:7]
.LBB136_5:
	s_or_b64 exec, exec, s[4:5]
	s_load_dword s3, s[0:1], 0x144
                                        ; kill: killed $sgpr0 killed $sgpr1
	v_cmp_eq_u32_e64 s[4:5], 0, v0
	s_waitcnt lgkmcnt(0)
	v_writelane_b32 v80, s3, 9
	s_load_dword s3, s[0:1], 0x6c
	s_waitcnt lgkmcnt(0)
	v_writelane_b32 v80, s3, 10
	s_mov_b64 s[0:1], exec
	v_writelane_b32 v80, s4, 7
	s_nop 1
	v_writelane_b32 v80, s5, 8
	s_and_b64 s[4:5], s[0:1], s[4:5]
	s_mov_b64 exec, s[4:5]
; %bb.6:
	v_mov_b32_e32 v4, 0
	v_mov_b32_e32 v5, v4
	ds_write_b64 v4, v[4:5] offset:4096
; %bb.7:
	s_or_b64 exec, exec, s[0:1]
	v_cmp_ne_u32_e32 vcc, 0, v2
	s_waitcnt lgkmcnt(0)
	s_barrier
	s_and_saveexec_b64 s[0:1], vcc
	s_cbranch_execz .LBB136_12
; %bb.8:
	s_mov_b64 s[6:7], exec
	v_mov_b32_e32 v1, 0
	s_mov_b64 s[4:5], 0
.LBB136_9:                              ; =>This Inner Loop Header: Depth=1
	s_ff1_i32_b64 s3, s[6:7]
	v_readlane_b32 s12, v2, s3
	v_readlane_b32 s11, v1, s3
	s_add_u32 s4, s4, s12
	s_addc_u32 s5, s5, s11
	s_lshl_b64 s[12:13], 1, s3
	s_andn2_b64 s[6:7], s[6:7], s[12:13]
	s_cmp_lg_u64 s[6:7], 0
	s_cbranch_scc1 .LBB136_9
; %bb.10:
	v_mbcnt_lo_u32_b32 v1, exec_lo, 0
	v_mbcnt_hi_u32_b32 v1, exec_hi, v1
	v_cmp_eq_u32_e32 vcc, 0, v1
	s_and_saveexec_b64 s[6:7], vcc
	s_xor_b64 s[6:7], exec, s[6:7]
; %bb.11:
	v_mov_b32_e32 v1, 0
	v_mov_b64_e32 v[2:3], s[4:5]
	ds_add_u64 v1, v[2:3] offset:4096
.LBB136_12:
	s_or_b64 exec, exec, s[0:1]
	v_mov_b32_e32 v1, 0
	s_waitcnt lgkmcnt(0)
	s_barrier
	ds_read_b64 v[2:3], v1 offset:4096
	s_bitcmp1_b32 s67, 0
	s_cselect_b64 s[4:5], -1, 0
	s_mov_b32 s3, s64
	s_waitcnt lgkmcnt(0)
	v_readfirstlane_b32 s0, v2
	v_readfirstlane_b32 s1, v3
	s_nop 1
	v_cmp_lt_i64_e64 s[6:7], s[0:1], 1
	s_or_b64 s[4:5], s[4:5], s[6:7]
	s_andn2_b64 vcc, exec, s[4:5]
	s_cbranch_vccnz .LBB136_14
; %bb.13:
	s_not_b64 s[0:1], s[0:1]
	s_add_u32 s0, s0, s64
	s_addc_u32 s1, s1, 0
	s_lshr_b32 s3, s1, 31
	s_add_u32 s0, s0, s3
	s_addc_u32 s1, s1, 0
	s_lshr_b64 s[0:1], s[0:1], 1
	s_add_i32 s3, s0, 1
.LBB136_14:
	s_mov_b64 s[0:1], exec
	v_readlane_b32 s4, v80, 7
	v_readlane_b32 s5, v80, 8
	s_and_b64 s[4:5], s[0:1], s[4:5]
	s_mov_b64 exec, s[4:5]
	s_cbranch_execz .LBB136_16
; %bb.15:
	v_mov_b32_e32 v2, 0
	v_mov_b32_e32 v3, s64
	ds_write_b32 v2, v2 offset:4112
	ds_write_b64 v2, v[2:3] offset:4104
.LBB136_16:
	s_or_b64 exec, exec, s[0:1]
	s_waitcnt lgkmcnt(0)
	s_barrier
	s_load_dword s11, s[8:9], 0xc
	v_mbcnt_lo_u32_b32 v1, -1, 0
	v_mbcnt_hi_u32_b32 v20, -1, v1
	v_cmp_gt_u32_e32 vcc, 64, v0
	v_cmp_gt_i32_e64 s[0:1], 4, v20
	s_waitcnt lgkmcnt(0)
	s_and_b32 s67, s11, 0xffff
	s_add_i32 s87, s67, -1
	s_lshl_b32 s33, s67, 2
	s_and_b64 s[76:77], vcc, s[0:1]
	s_add_i32 s0, s87, s64
	s_cmpk_gt_u32 s64, 0x600
	s_cselect_b64 s[14:15], -1, 0
	s_cmp_gt_u32 s67, 63
	v_lshlrev_b64 v[2:3], v20, -1
	s_cselect_b64 s[80:81], -1, 0
	v_not_b32_e32 v16, v2
	v_lshrrev_b32_e32 v2, 2, v0
	s_cmp_lt_u32 s2, s10
	v_and_b32_e32 v2, 0xf0, v2
	s_cselect_b32 s1, 12, 18
	v_writelane_b32 v80, s14, 11
	v_or_b32_e32 v23, 0xc00, v2
	s_add_u32 s8, s8, s1
	v_add_u32_e32 v2, 2, v0
	v_writelane_b32 v80, s15, 12
	s_addc_u32 s9, s9, 0
	v_max_u32_e32 v2, s64, v2
	v_writelane_b32 v80, s8, 13
	v_xad_u32 v2, v0, -1, v2
	v_not_b32_e32 v1, v3
	v_writelane_b32 v80, s9, 14
	v_add_u32_e32 v3, -4, v2
	s_bfe_u32 s8, s11, 0xa0006
	v_cmp_lt_u32_e64 s[10:11], 31, v2
	v_lshrrev_b32_e32 v5, 2, v3
	v_add_u32_e32 v5, 1, v5
	v_writelane_b32 v80, s10, 15
	v_and_b32_e32 v6, 3, v5
	s_add_i32 s1, s8, -2
	v_writelane_b32 v80, s11, 16
	v_cmp_lt_u32_e64 s[10:11], 11, v3
	s_lshr_b32 s2, s1, 1
	v_and_b32_e32 v24, -4, v2
	v_writelane_b32 v80, s10, 17
	s_add_i32 s2, s2, 1
	s_cmpk_gt_u32 s67, 0x7f
	v_writelane_b32 v80, s11, 18
	v_cmp_ne_u32_e64 s[10:11], 0, v6
	v_lshlrev_b32_e32 v17, 2, v0
	v_mov_b32_e32 v13, 0
	v_writelane_b32 v80, s10, 19
	s_mov_b32 s12, 0
	v_lshlrev_b32_e32 v21, 1, v0
	v_writelane_b32 v80, s11, 20
	v_cmp_ne_u32_e64 s[10:11], v2, v24
	v_cvt_f32_u32_e32 v2, s33
	v_mul_lo_u32 v10, s66, v0
	v_writelane_b32 v80, s10, 21
	v_mov_b32_e32 v11, v13
	v_rcp_iflag_f32_e32 v2, v2
	v_writelane_b32 v80, s11, 22
	s_cselect_b64 s[10:11], -1, 0
	v_writelane_b32 v80, s10, 23
	s_and_b32 s9, s8, 0x3fe
	v_mul_f32_e32 v2, 0x4f7ffffe, v2
	v_writelane_b32 v80, s11, 24
	s_and_b32 s10, s2, 7
	s_cmp_gt_u32 s1, 13
	s_cselect_b64 s[14:15], -1, 0
	v_writelane_b32 v80, s14, 25
	s_and_b32 s1, s2, -8
	s_cmp_lg_u32 s10, 0
	v_writelane_b32 v80, s15, 26
	v_writelane_b32 v80, s1, 27
	v_cvt_u32_f32_e32 v2, v2
	v_writelane_b32 v80, s10, 28
	s_cselect_b64 s[10:11], -1, 0
	v_writelane_b32 v80, s10, 29
	s_cmp_lg_u32 s9, s8
	v_readfirstlane_b32 s2, v2
	v_writelane_b32 v80, s11, 30
	v_writelane_b32 v80, s8, 31
	v_cvt_f32_u32_e32 v2, s67
	v_writelane_b32 v80, s9, 32
	s_cselect_b64 s[8:9], -1, 0
	s_sub_i32 s1, 0, s33
	s_mul_i32 s1, s1, s2
	s_mul_hi_u32 s1, s2, s1
	s_add_i32 s23, s2, s1
	v_rcp_iflag_f32_e32 v2, v2
	s_mul_hi_u32 s1, s64, s23
	s_mul_i32 s1, s1, s33
	s_sub_i32 s1, s64, s1
	s_sub_i32 s2, s1, s33
	v_mul_f32_e32 v2, 0x4f7ffffe, v2
	s_cmp_ge_u32 s1, s33
	v_cvt_u32_f32_e32 v2, v2
	s_cselect_b32 s1, s2, s1
	s_sub_i32 s2, s1, s33
	v_writelane_b32 v80, s8, 33
	s_cmp_ge_u32 s1, s33
	s_cselect_b32 s1, s2, s1
	v_writelane_b32 v80, s9, 34
	s_sub_i32 s2, 0, s67
	v_readfirstlane_b32 s8, v2
	s_mul_i32 s2, s2, s8
	s_mul_hi_u32 s2, s8, s2
	s_add_i32 s82, s8, s2
	s_mul_hi_u32 s2, s0, s82
	s_mul_i32 s2, s2, s67
	s_sub_i32 s2, s0, s2
	s_sub_i32 s88, s64, s1
	;; [unrolled: 1-line block ×3, first 2 shown]
	s_cmp_ge_u32 s2, s67
	s_cselect_b32 s2, s8, s2
	s_sub_i32 s8, s2, s67
	s_cmp_ge_u32 s2, s67
	v_mul_lo_u32 v2, s66, v17
	s_cselect_b32 s2, s8, s2
	v_add_u32_e32 v29, s66, v2
	v_or_b32_e32 v2, 2, v17
	s_sub_i32 s83, s0, s2
	v_mul_lo_u32 v30, s66, v2
	v_or_b32_e32 v2, 3, v17
	s_add_i32 s0, s67, s64
	v_add_u32_e32 v27, s88, v0
	v_mul_lo_u32 v31, s66, v2
	v_add_u32_e32 v2, s0, v0
	v_lshlrev_b32_e32 v4, 2, v20
	v_mul_lo_u32 v12, v27, s66
	v_cmp_gt_u32_e64 s[8:9], s83, v0
	s_mul_i32 s86, s66, s67
	v_subrev_u32_e32 v2, s1, v2
	s_mov_b32 s65, 0xffff
	s_mov_b32 s13, 1
	v_cmp_eq_u32_e64 s[4:5], 0, v20
	v_cmp_gt_u32_e64 s[6:7], 2, v0
	v_add_u32_e32 v22, 0xc00, v21
	v_lshl_add_u64 v[14:15], v[10:11], 1, s[70:71]
	v_and_b32_e32 v11, 0x100, v4
	v_add_u32_e32 v25, v0, v24
	s_mov_b32 s89, s66
	s_mov_b32 s90, s66
	;; [unrolled: 1-line block ×4, first 2 shown]
	v_and_b32_e32 v26, 0x7ffffffc, v5
	v_cmp_gt_u32_e64 s[16:17], s88, v17
	v_cmp_gt_u32_e64 s[18:19], s64, v27
	v_lshl_add_u64 v[18:19], v[12:13], 1, s[70:71]
	v_writelane_b32 v80, s8, 35
	v_lshlrev_b32_e32 v28, 3, v6
	s_lshl_b32 s84, s86, 2
	v_lshlrev_b32_e32 v32, 2, v10
	v_mul_lo_u32 v34, s66, v2
	v_lshlrev_b32_e32 v35, 3, v0
	s_lshl_b32 s85, s67, 3
	s_lshl_b32 s20, s67, 1
	v_or_b32_e32 v36, 0xc00, v4
	s_mov_b64 s[92:93], 0
	v_mov_b32_e32 v37, 14
	v_mov_b32_e32 v45, s3
	s_mov_b32 s21, 0x5040100
	v_mov_b32_e32 v50, s64
	s_movk_i32 s78, 0x3f80
	v_mov_b32_e32 v38, 0xffff
	v_mov_b32_e32 v39, 0x8000
	v_mov_b32_e32 v40, -1
	v_mov_b32_e32 v41, 0xc00
	v_mov_b32_e32 v42, 0x5040100
	;; [unrolled: 1-line block ×3, first 2 shown]
	s_mov_b32 s79, s12
	v_mov_b32_e32 v33, 0
	v_mov_b32_e32 v43, 0
	v_writelane_b32 v80, s9, 36
                                        ; implicit-def: $sgpr94_sgpr95
                                        ; implicit-def: $sgpr98_sgpr99
                                        ; implicit-def: $sgpr96_sgpr97
                                        ; implicit-def: $sgpr68_sgpr69
                                        ; implicit-def: $sgpr12_sgpr13
                                        ; implicit-def: $sgpr10_sgpr11
	s_branch .LBB136_20
.LBB136_17:                             ;   in Loop: Header=BB136_20 Depth=1
	s_or_b64 exec, exec, s[26:27]
	s_and_b64 s[14:15], s[14:15], exec
	s_andn2_b64 s[30:31], s[30:31], exec
	s_andn2_b64 s[28:29], s[28:29], exec
	s_orn2_b64 s[2:3], s[2:3], exec
.LBB136_18:                             ;   in Loop: Header=BB136_20 Depth=1
	s_or_b64 exec, exec, s[8:9]
	s_andn2_b64 s[8:9], s[10:11], exec
	s_and_b64 s[10:11], s[14:15], exec
	s_or_b64 s[10:11], s[8:9], s[10:11]
	s_andn2_b64 s[8:9], s[12:13], exec
	s_and_b64 s[12:13], s[30:31], exec
	s_or_b64 s[12:13], s[8:9], s[12:13]
	;; [unrolled: 3-line block ×3, first 2 shown]
	s_orn2_b64 s[2:3], s[2:3], exec
.LBB136_19:                             ;   in Loop: Header=BB136_20 Depth=1
	s_or_b64 exec, exec, s[0:1]
	s_and_b64 s[0:1], exec, s[2:3]
	s_or_b64 s[92:93], s[0:1], s[92:93]
	s_andn2_b64 s[0:1], s[96:97], exec
	s_and_b64 s[2:3], s[10:11], exec
	s_or_b64 s[96:97], s[0:1], s[2:3]
	s_andn2_b64 s[0:1], s[98:99], exec
	s_and_b64 s[2:3], s[12:13], exec
	;; [unrolled: 3-line block ×3, first 2 shown]
	s_or_b64 s[94:95], s[0:1], s[2:3]
	s_mov_b32 s79, s34
	v_mov_b32_e32 v45, v5
	s_andn2_b64 exec, exec, s[92:93]
	s_cbranch_execz .LBB136_259
.LBB136_20:                             ; =>This Loop Header: Depth=1
                                        ;     Child Loop BB136_25 Depth 2
                                        ;     Child Loop BB136_46 Depth 2
	;; [unrolled: 1-line block ×19, first 2 shown]
	ds_read_b64 v[2:3], v13 offset:4104
	s_waitcnt lgkmcnt(0)
	v_readfirstlane_b32 s24, v2
	s_cmp_lg_u32 s24, 0
	s_cbranch_scc1 .LBB136_65
; %bb.21:                               ;   in Loop: Header=BB136_20 Depth=1
	v_readlane_b32 s0, v80, 11
	v_readlane_b32 s1, v80, 12
	s_and_b64 vcc, exec, s[0:1]
	s_cbranch_vccz .LBB136_33
; %bb.22:                               ;   in Loop: Header=BB136_20 Depth=1
	s_movk_i32 s0, 0x601
	v_cmp_gt_u32_e32 vcc, s0, v3
	s_mov_b64 s[8:9], 0
	s_mov_b64 s[0:1], 0
	s_cbranch_vccz .LBB136_34
; %bb.23:                               ;   in Loop: Header=BB136_20 Depth=1
	v_readlane_b32 s0, v80, 13
	v_readlane_b32 s1, v80, 14
	s_nop 4
	global_load_ushort v2, v13, s[0:1]
	global_load_ushort v4, v[14:15], off
	s_mov_b64 s[14:15], 0
	s_waitcnt vmcnt(1)
	v_add_u32_e32 v5, v0, v2
	v_mul_lo_u32 v3, s66, v2
	v_mul_lo_u32 v12, s66, v5
	v_mov_b32_e32 v5, v0
	s_branch .LBB136_25
.LBB136_24:                             ;   in Loop: Header=BB136_25 Depth=2
	s_or_b64 exec, exec, s[2:3]
	v_add_u32_e32 v12, v12, v3
	v_mov_b32_e32 v4, v6
	s_andn2_b64 exec, exec, s[14:15]
	s_cbranch_execz .LBB136_40
.LBB136_25:                             ;   Parent Loop BB136_20 Depth=1
                                        ; =>  This Inner Loop Header: Depth=2
	v_add_u32_e32 v5, v5, v2
	v_cmp_gt_u32_e64 s[0:1], s64, v5
	v_cmp_le_u32_e32 vcc, s64, v5
	s_waitcnt lgkmcnt(0)
	v_mov_b32_e32 v7, 0
	v_mov_b32_e32 v6, 0
	s_and_saveexec_b64 s[2:3], s[0:1]
	s_cbranch_execz .LBB136_27
; %bb.26:                               ;   in Loop: Header=BB136_25 Depth=2
	v_lshl_add_u64 v[8:9], v[12:13], 1, s[70:71]
	global_load_ushort v6, v[8:9], off
.LBB136_27:                             ;   in Loop: Header=BB136_25 Depth=2
	s_or_b64 exec, exec, s[2:3]
	s_waitcnt vmcnt(0)
	v_cmp_lt_i16_e64 s[0:1], -1, v4
	v_lshlrev_b32_e32 v9, 16, v4
	s_nop 0
	v_cndmask_b32_e64 v8, v38, v39, s[0:1]
	v_xor_b32_sdwa v8, v8, v4 dst_sel:DWORD dst_unused:UNUSED_PAD src0_sel:DWORD src1_sel:WORD_0
	v_cmp_o_f32_e64 s[0:1], v9, v9
	s_nop 1
	v_cndmask_b32_e64 v8, v38, v8, s[0:1]
	v_and_b32_e32 v8, v8, v43
	v_cmp_eq_u32_e64 s[0:1], v8, v33
	s_cmp_lg_u64 s[0:1], 0
	s_cselect_b64 s[2:3], -1, 0
	s_and_b64 s[2:3], s[4:5], s[2:3]
	s_and_saveexec_b64 s[26:27], s[2:3]
	s_cbranch_execz .LBB136_31
; %bb.28:                               ;   in Loop: Header=BB136_25 Depth=2
	s_mov_b64 s[30:31], exec
	v_mbcnt_lo_u32_b32 v7, s30, 0
	v_mbcnt_hi_u32_b32 v7, s31, v7
	s_bcnt1_i32_b64 s24, s[0:1]
	v_cmp_eq_u32_e64 s[2:3], 0, v7
                                        ; implicit-def: $vgpr8
	s_and_saveexec_b64 s[28:29], s[2:3]
; %bb.29:                               ;   in Loop: Header=BB136_25 Depth=2
	s_bcnt1_i32_b64 s2, s[30:31]
	s_mul_i32 s2, s24, s2
	v_mov_b32_e32 v8, s2
	ds_add_rtn_u32 v8, v13, v8 offset:4112
; %bb.30:                               ;   in Loop: Header=BB136_25 Depth=2
	s_or_b64 exec, exec, s[28:29]
	s_waitcnt lgkmcnt(0)
	v_readfirstlane_b32 s2, v8
	s_nop 1
	v_mov_b32_e32 v8, s2
	v_mad_u32_u24 v7, s24, v7, v8
.LBB136_31:                             ;   in Loop: Header=BB136_25 Depth=2
	s_or_b64 exec, exec, s[26:27]
	ds_bpermute_b32 v7, v11, v7
	s_and_b64 s[2:3], exec, vcc
	s_or_b64 s[14:15], s[2:3], s[14:15]
	s_and_saveexec_b64 s[2:3], s[0:1]
	s_cbranch_execz .LBB136_24
; %bb.32:                               ;   in Loop: Header=BB136_25 Depth=2
	v_and_b32_e32 v9, s0, v16
	v_and_b32_e32 v8, s1, v1
	v_bcnt_u32_b32 v9, v9, 0
	v_bcnt_u32_b32 v8, v8, v9
	v_lshlrev_b32_e32 v8, 1, v8
	s_waitcnt lgkmcnt(0)
	v_lshl_add_u32 v7, v7, 1, v8
	ds_write_b16 v7, v4
	s_branch .LBB136_24
.LBB136_33:                             ;   in Loop: Header=BB136_20 Depth=1
	s_mov_b64 s[8:9], -1
	s_mov_b64 s[0:1], 0
.LBB136_34:                             ;   in Loop: Header=BB136_20 Depth=1
	s_and_b64 vcc, exec, s[8:9]
	s_cbranch_vccz .LBB136_63
.LBB136_35:                             ;   in Loop: Header=BB136_20 Depth=1
	s_mov_b64 s[2:3], exec
	v_readlane_b32 s0, v80, 5
	v_readlane_b32 s1, v80, 6
	s_and_b64 s[0:1], s[2:3], s[0:1]
	s_mov_b64 exec, s[0:1]
	s_cbranch_execz .LBB136_60
; %bb.36:                               ;   in Loop: Header=BB136_20 Depth=1
	v_readlane_b32 s0, v80, 13
	v_readlane_b32 s1, v80, 14
	s_nop 4
	global_load_ushort v2, v13, s[0:1]
	global_load_ushort v46, v[14:15], off
	v_mov_b32_e32 v3, v0
	s_waitcnt vmcnt(1)
	v_readfirstlane_b32 s24, v2
	v_add_u32_e32 v2, v0, v2
	v_cmp_gt_u32_e32 vcc, s64, v2
	s_and_saveexec_b64 s[26:27], vcc
	s_cbranch_execz .LBB136_59
; %bb.37:                               ;   in Loop: Header=BB136_20 Depth=1
	s_mov_b64 s[0:1], 0
	s_mul_i32 s25, s66, s24
                                        ; implicit-def: $vgpr3
                                        ; implicit-def: $vgpr4
                                        ; implicit-def: $vgpr5
	s_mov_b64 s[8:9], exec
	v_readlane_b32 s14, v80, 15
	v_readlane_b32 s15, v80, 16
	s_and_b64 s[14:15], s[8:9], s[14:15]
	s_xor_b64 s[28:29], s[14:15], s[8:9]
	s_mov_b64 exec, s[14:15]
	s_cbranch_execnz .LBB136_43
; %bb.38:                               ;   in Loop: Header=BB136_20 Depth=1
	s_andn2_saveexec_b64 s[8:9], s[28:29]
	s_cbranch_execnz .LBB136_54
.LBB136_39:                             ;   in Loop: Header=BB136_20 Depth=1
	s_or_b64 exec, exec, s[8:9]
	s_and_saveexec_b64 s[8:9], s[0:1]
	s_cbranch_execnz .LBB136_55
	s_branch .LBB136_58
.LBB136_40:                             ;   in Loop: Header=BB136_20 Depth=1
	s_or_b64 exec, exec, s[14:15]
	s_waitcnt lgkmcnt(0)
	s_barrier
	s_mov_b64 s[0:1], exec
	v_readlane_b32 s2, v80, 7
	v_readlane_b32 s3, v80, 8
	s_and_b64 s[2:3], s[0:1], s[2:3]
	s_mov_b64 exec, s[2:3]
	s_cbranch_execz .LBB136_42
; %bb.41:                               ;   in Loop: Header=BB136_20 Depth=1
	ds_read_b32 v2, v13 offset:4112
	s_waitcnt lgkmcnt(0)
	ds_write_b32 v13, v2 offset:4104
.LBB136_42:                             ;   in Loop: Header=BB136_20 Depth=1
	s_or_b64 exec, exec, s[0:1]
	s_waitcnt lgkmcnt(0)
	s_barrier
	s_mov_b64 s[0:1], -1
	s_and_b64 vcc, exec, s[8:9]
	s_cbranch_vccnz .LBB136_35
	s_branch .LBB136_63
.LBB136_43:                             ;   in Loop: Header=BB136_20 Depth=1
	v_cvt_f32_u32_e32 v3, s24
	v_add_u32_e32 v4, s24, v2
	v_max_u32_e32 v4, s64, v4
	s_lshl_b32 s0, s24, 1
	v_rcp_iflag_f32_e32 v3, v3
	v_sub_u32_e32 v4, v4, v0
	v_cmp_ne_u32_e32 vcc, s0, v4
	s_sub_i32 s1, 0, s24
	v_mul_f32_e32 v3, 0x4f7ffffe, v3
	v_cvt_u32_f32_e32 v3, v3
	v_cndmask_b32_e64 v5, 0, 1, vcc
	v_or_b32_e32 v5, s0, v5
	v_sub_u32_e32 v4, v4, v5
	v_mul_lo_u32 v5, s1, v3
	v_mul_hi_u32 v5, v3, v5
	v_add_u32_e32 v3, v3, v5
	v_mul_hi_u32 v3, v4, v3
	v_mul_lo_u32 v5, v3, s24
	v_sub_u32_e32 v4, v4, v5
	v_add_u32_e32 v5, 1, v3
	v_cmp_le_u32_e64 s[0:1], s24, v4
	s_nop 1
	v_cndmask_b32_e64 v3, v3, v5, s[0:1]
	v_subrev_u32_e32 v5, s24, v4
	v_cndmask_b32_e64 v4, v4, v5, s[0:1]
	v_add_u32_e32 v5, 1, v3
	v_cmp_le_u32_e64 s[0:1], s24, v4
	v_mul_lo_u32 v4, s66, v2
	s_nop 0
	v_cndmask_b32_e64 v3, v3, v5, s[0:1]
	v_addc_co_u32_e32 v3, vcc, 0, v3, vcc
	s_abs_i32 s0, s25
	v_mul_hi_u32 v5, s0, v3
	v_mul_lo_u32 v3, s0, v3
	s_not_b32 s0, s25
	s_ashr_i32 s0, s0, 31
	s_cmp_eq_u32 s24, 1
	v_cmp_eq_u32_e32 vcc, 0, v5
	v_xor_b32_e32 v4, s0, v4
	s_cselect_b64 s[8:9], -1, 0
	v_cmp_le_u32_e64 s[0:1], v3, v4
	s_and_b64 s[8:9], vcc, s[8:9]
	s_and_b64 s[14:15], s[8:9], s[0:1]
	s_mov_b64 s[8:9], -1
	v_mov_b32_e32 v4, v0
                                        ; implicit-def: $vgpr3
	s_and_saveexec_b64 s[0:1], s[14:15]
	s_cbranch_execz .LBB136_53
; %bb.44:                               ;   in Loop: Header=BB136_20 Depth=1
	v_add_u32_e32 v5, 3, v2
	v_add_u32_e32 v4, 2, v2
	;; [unrolled: 1-line block ×3, first 2 shown]
	v_mov_b64_e32 v[8:9], v[4:5]
	s_waitcnt vmcnt(0)
	v_lshlrev_b32_e32 v47, 16, v46
	v_mov_b32_e32 v12, 0
	v_mov_b64_e32 v[6:7], v[2:3]
                                        ; implicit-def: $vgpr46
	s_mov_b64 s[8:9], exec
	v_readlane_b32 s14, v80, 17
	v_readlane_b32 s15, v80, 18
	s_and_b64 s[14:15], s[8:9], s[14:15]
	s_mov_b64 exec, s[14:15]
	s_cbranch_execz .LBB136_48
; %bb.45:                               ;   in Loop: Header=BB136_20 Depth=1
	v_mov_b64_e32 v[8:9], v[4:5]
	s_mov_b32 s30, 0
	s_mov_b64 s[14:15], 0
	v_mov_b32_e32 v48, v26
	v_mov_b32_e32 v49, v21
	v_mov_b64_e32 v[6:7], v[2:3]
.LBB136_46:                             ;   Parent Loop BB136_20 Depth=1
                                        ; =>  This Inner Loop Header: Depth=2
	v_mul_lo_u32 v12, v6, s89
	v_add_u32_e32 v3, 4, v6
	v_add_u32_e32 v46, 4, v7
	;; [unrolled: 1-line block ×4, first 2 shown]
	v_mul_lo_u32 v4, v9, s22
	v_mul_lo_u32 v54, v7, s90
	v_mov_b32_e32 v55, v13
	v_mov_b32_e32 v5, v13
	v_mov_b32_e32 v57, v13
	v_mov_b32_e32 v59, v13
	v_add_u32_e32 v78, 8, v6
	v_lshl_add_u64 v[74:75], v[12:13], 1, s[70:71]
	v_mul_lo_u32 v60, v56, s22
	v_mul_lo_u32 v58, v51, s91
	;; [unrolled: 1-line block ×5, first 2 shown]
	v_mov_b32_e32 v53, v13
	v_mov_b32_e32 v61, v13
	v_add_u32_e32 v62, 8, v7
	v_add_u32_e32 v79, 12, v6
	v_lshl_add_u64 v[54:55], v[54:55], 1, s[70:71]
	v_lshl_add_u64 v[4:5], v[4:5], 1, s[70:71]
	;; [unrolled: 1-line block ×5, first 2 shown]
	v_mul_lo_u32 v12, v78, s89
	v_add_u32_e32 v64, 8, v8
	v_add_u32_e32 v66, 8, v9
	v_mov_b32_e32 v63, v13
	v_add_u32_e32 v68, 12, v7
	v_add_u32_e32 v70, 12, v8
	;; [unrolled: 1-line block ×3, first 2 shown]
	v_lshl_add_u64 v[52:53], v[52:53], 1, s[70:71]
	v_mul_lo_u32 v62, v62, s90
	v_lshl_add_u64 v[60:61], v[60:61], 1, s[70:71]
	global_load_ushort v3, v[74:75], off
	global_load_ushort v51, v[54:55], off
	s_nop 0
	global_load_ushort v54, v[52:53], off
	global_load_ushort v74, v[4:5], off
	;; [unrolled: 1-line block ×4, first 2 shown]
	s_nop 0
	global_load_ushort v56, v[58:59], off
	s_nop 0
	global_load_ushort v58, v[60:61], off
	v_lshl_add_u64 v[4:5], v[12:13], 1, s[70:71]
	v_mul_lo_u32 v12, v79, s89
	v_mov_b32_e32 v65, v13
	v_mov_b32_e32 v67, v13
	;; [unrolled: 1-line block ×5, first 2 shown]
	v_mul_lo_u32 v66, v66, s22
	v_mul_lo_u32 v64, v64, s91
	;; [unrolled: 1-line block ×5, first 2 shown]
	v_lshl_add_u64 v[62:63], v[62:63], 1, s[70:71]
	v_lshl_add_u64 v[52:53], v[12:13], 1, s[70:71]
	v_lshl_add_u64 v[64:65], v[64:65], 1, s[70:71]
	v_lshl_add_u64 v[66:67], v[66:67], 1, s[70:71]
	v_lshl_add_u64 v[68:69], v[68:69], 1, s[70:71]
	v_lshl_add_u64 v[70:71], v[70:71], 1, s[70:71]
	v_lshl_add_u64 v[72:73], v[72:73], 1, s[70:71]
	global_load_ushort v57, v[62:63], off
	global_load_ushort v59, v[64:65], off
	;; [unrolled: 1-line block ×4, first 2 shown]
	s_nop 0
	global_load_ushort v62, v[70:71], off
	global_load_ushort v46, v[72:73], off
	;; [unrolled: 1-line block ×3, first 2 shown]
	s_nop 0
	global_load_ushort v4, v[4:5], off
	v_add_u32_e32 v48, -4, v48
	s_add_i32 s30, s30, 16
	v_cmp_eq_u32_e32 vcc, 0, v48
	v_add_u32_e32 v9, 16, v9
	v_add_u32_e32 v8, 16, v8
	;; [unrolled: 1-line block ×4, first 2 shown]
	v_mov_b32_e32 v12, s30
	s_or_b64 s[14:15], vcc, s[14:15]
	s_waitcnt vmcnt(15)
	v_alignbit_b32 v52, v3, v47, 16
	s_waitcnt vmcnt(13)
	v_perm_b32 v53, v54, v51, s21
	s_waitcnt vmcnt(11)
	v_perm_b32 v54, v75, v74, s21
	;; [unrolled: 2-line block ×3, first 2 shown]
	ds_write_b128 v49, v[52:55]
	s_waitcnt vmcnt(6)
	v_perm_b32 v57, v59, v57, s21
	s_waitcnt vmcnt(3)
	v_perm_b32 v59, v62, v61, s21
	;; [unrolled: 2-line block ×4, first 2 shown]
	v_perm_b32 v58, v63, v60, s21
	ds_write_b128 v49, v[56:59] offset:16
	v_add_u32_e32 v49, 32, v49
	s_andn2_b64 exec, exec, s[14:15]
	s_cbranch_execnz .LBB136_46
; %bb.47:                               ;   in Loop: Header=BB136_20 Depth=1
	s_or_b64 exec, exec, s[14:15]
.LBB136_48:                             ;   in Loop: Header=BB136_20 Depth=1
	s_or_b64 exec, exec, s[8:9]
	s_mov_b64 s[8:9], exec
	v_readlane_b32 s14, v80, 19
	v_readlane_b32 s15, v80, 20
	s_and_b64 s[14:15], s[8:9], s[14:15]
	s_mov_b64 exec, s[14:15]
	s_cbranch_execz .LBB136_52
; %bb.49:                               ;   in Loop: Header=BB136_20 Depth=1
	v_lshl_add_u32 v3, v12, 1, v21
	s_mov_b64 s[14:15], 0
	v_mov_b32_e32 v4, v28
.LBB136_50:                             ;   Parent Loop BB136_20 Depth=1
                                        ; =>  This Inner Loop Header: Depth=2
	v_mul_lo_u32 v48, v9, s22
	v_mul_lo_u32 v52, v8, s91
	v_mov_b32_e32 v53, v13
	v_mov_b32_e32 v49, v13
	v_mul_lo_u32 v54, v7, s90
	v_mul_lo_u32 v12, v6, s89
	v_mov_b32_e32 v55, v13
	v_lshl_add_u64 v[52:53], v[52:53], 1, s[70:71]
	v_lshl_add_u64 v[48:49], v[48:49], 1, s[70:71]
	;; [unrolled: 1-line block ×4, first 2 shown]
	global_load_ushort v5, v[52:53], off
	global_load_ushort v46, v[48:49], off
	;; [unrolled: 1-line block ×3, first 2 shown]
	s_nop 0
	global_load_ushort v48, v[56:57], off
	v_add_u32_e32 v4, -8, v4
	v_cmp_eq_u32_e32 vcc, 0, v4
	v_add_u32_e32 v9, 4, v9
	v_add_u32_e32 v8, 4, v8
	;; [unrolled: 1-line block ×4, first 2 shown]
	s_or_b64 s[14:15], vcc, s[14:15]
	s_waitcnt vmcnt(2)
	v_perm_b32 v51, v46, v5, s21
	s_waitcnt vmcnt(1)
	v_perm_b32 v49, v5, v12, s21
	s_waitcnt vmcnt(0)
	v_alignbit_b32 v48, v48, v47, 16
	ds_write_b64 v3, v[48:49]
	v_add_u32_e32 v3, 8, v3
	v_mov_b32_e32 v47, v51
	s_andn2_b64 exec, exec, s[14:15]
	s_cbranch_execnz .LBB136_50
; %bb.51:                               ;   in Loop: Header=BB136_20 Depth=1
	s_or_b64 exec, exec, s[14:15]
.LBB136_52:                             ;   in Loop: Header=BB136_20 Depth=1
	s_or_b64 exec, exec, s[8:9]
	v_readlane_b32 s8, v80, 21
	v_add_u32_e32 v2, v2, v24
	v_readlane_b32 s9, v80, 22
	v_add_u32_e32 v3, -1, v2
	s_orn2_b64 s[8:9], s[8:9], exec
	v_mov_b32_e32 v4, v25
.LBB136_53:                             ;   in Loop: Header=BB136_20 Depth=1
	s_or_b64 exec, exec, s[0:1]
	v_mov_b32_e32 v5, s25
	s_and_b64 s[0:1], s[8:9], exec
	s_andn2_saveexec_b64 s[8:9], s[28:29]
	s_cbranch_execz .LBB136_39
.LBB136_54:                             ;   in Loop: Header=BB136_20 Depth=1
	v_mov_b32_e32 v5, s25
	s_or_b64 s[0:1], s[0:1], exec
	v_mov_b32_e32 v4, v0
	s_or_b64 exec, exec, s[8:9]
	s_and_saveexec_b64 s[8:9], s[0:1]
	s_cbranch_execz .LBB136_58
.LBB136_55:                             ;   in Loop: Header=BB136_20 Depth=1
	s_sub_i32 s14, 0, s24
	v_mul_lo_u32 v12, s66, v2
	s_mov_b64 s[0:1], 0
.LBB136_56:                             ;   Parent Loop BB136_20 Depth=1
                                        ; =>  This Inner Loop Header: Depth=2
	v_lshl_add_u64 v[6:7], v[12:13], 1, s[70:71]
	s_waitcnt vmcnt(0)
	v_mov_b32_e32 v3, v46
	global_load_ushort v46, v[6:7], off
	v_mov_b32_e32 v6, v2
	v_lshlrev_b32_e32 v2, 1, v4
	ds_write_b16 v2, v3
	v_add_u32_e32 v2, s24, v6
	v_cmp_le_u32_e32 vcc, s64, v2
	v_add_u32_e32 v12, v12, v5
	s_or_b64 s[0:1], vcc, s[0:1]
	v_mov_b32_e32 v4, v6
	s_andn2_b64 exec, exec, s[0:1]
	s_cbranch_execnz .LBB136_56
; %bb.57:                               ;   in Loop: Header=BB136_20 Depth=1
	s_or_b64 exec, exec, s[0:1]
	v_add_u32_e32 v3, s14, v2
.LBB136_58:                             ;   in Loop: Header=BB136_20 Depth=1
	s_or_b64 exec, exec, s[8:9]
.LBB136_59:                             ;   in Loop: Header=BB136_20 Depth=1
	s_or_b64 exec, exec, s[26:27]
	v_lshlrev_b32_e32 v2, 1, v3
	s_waitcnt vmcnt(0)
	ds_write_b16 v2, v46
.LBB136_60:                             ;   in Loop: Header=BB136_20 Depth=1
	s_or_b64 exec, exec, s[2:3]
	s_waitcnt lgkmcnt(0)
	s_barrier
	s_mov_b64 s[0:1], exec
	v_readlane_b32 s2, v80, 7
	v_readlane_b32 s3, v80, 8
	s_and_b64 s[2:3], s[0:1], s[2:3]
	s_mov_b64 exec, s[2:3]
; %bb.61:                               ;   in Loop: Header=BB136_20 Depth=1
	ds_write_b32 v13, v50 offset:4104
; %bb.62:                               ;   in Loop: Header=BB136_20 Depth=1
	s_or_b64 exec, exec, s[0:1]
	s_mov_b64 s[0:1], -1
	s_waitcnt lgkmcnt(0)
	s_barrier
.LBB136_63:                             ;   in Loop: Header=BB136_20 Depth=1
	s_mov_b32 s24, 0
	s_and_b64 vcc, exec, s[0:1]
	s_cbranch_vccz .LBB136_65
; %bb.64:                               ;   in Loop: Header=BB136_20 Depth=1
	ds_read_b32 v2, v13 offset:4104
	s_waitcnt lgkmcnt(0)
	v_readfirstlane_b32 s24, v2
.LBB136_65:                             ;   in Loop: Header=BB136_20 Depth=1
	s_cmp_lt_i32 s24, 1
	s_mov_b64 s[0:1], -1
                                        ; implicit-def: $vgpr4_vgpr5
	s_cbranch_scc1 .LBB136_75
; %bb.66:                               ;   in Loop: Header=BB136_20 Depth=1
	s_and_b64 vcc, exec, s[0:1]
	s_cbranch_vccnz .LBB136_86
.LBB136_67:                             ;   in Loop: Header=BB136_20 Depth=1
	s_lshl_b32 s8, s79, 6
	s_and_saveexec_b64 s[0:1], s[4:5]
.LBB136_68:                             ;   in Loop: Header=BB136_20 Depth=1
	v_lshl_add_u32 v6, s8, 2, v23
	ds_write_b128 v6, v[2:5]
.LBB136_69:                             ;   in Loop: Header=BB136_20 Depth=1
	s_or_b64 exec, exec, s[0:1]
	s_waitcnt lgkmcnt(0)
	s_barrier
	s_and_saveexec_b64 s[0:1], s[76:77]
	s_cbranch_execz .LBB136_103
; %bb.70:                               ;   in Loop: Header=BB136_20 Depth=1
	v_add_u32_e32 v4, s8, v20
	s_andn2_b64 vcc, exec, s[80:81]
	v_mov_b32_e32 v2, 0
	s_cbranch_vccnz .LBB136_102
; %bb.71:                               ;   in Loop: Header=BB136_20 Depth=1
	v_readlane_b32 s2, v80, 23
	v_readlane_b32 s3, v80, 24
	s_andn2_b64 vcc, exec, s[2:3]
	s_cbranch_vccnz .LBB136_95
; %bb.72:                               ;   in Loop: Header=BB136_20 Depth=1
	v_readlane_b32 s2, v80, 25
	v_readlane_b32 s3, v80, 26
	s_andn2_b64 vcc, exec, s[2:3]
	v_lshl_add_u32 v5, v4, 2, v41
	s_cbranch_vccnz .LBB136_96
; %bb.73:                               ;   in Loop: Header=BB136_20 Depth=1
	s_mov_b32 s3, 1
	s_mov_b32 s2, 0
	v_mov_b32_e32 v2, 0
	v_mov_b32_e32 v3, 0
	v_readlane_b32 s9, v80, 27
.LBB136_74:                             ;   Parent Loop BB136_20 Depth=1
                                        ; =>  This Inner Loop Header: Depth=2
	v_lshl_add_u32 v12, s2, 4, v5
	v_lshl_add_u32 v51, s3, 4, v5
	ds_read2_b32 v[6:7], v12 offset1:8
	ds_read2_b32 v[8:9], v51 offset1:8
	ds_read2_b32 v[46:47], v12 offset0:16 offset1:24
	ds_read2_b32 v[48:49], v51 offset0:16 offset1:24
	;; [unrolled: 1-line block ×6, first 2 shown]
	s_waitcnt lgkmcnt(7)
	v_add3_u32 v2, v6, v2, v7
	s_waitcnt lgkmcnt(6)
	v_add3_u32 v3, v8, v3, v9
	;; [unrolled: 2-line block ×3, first 2 shown]
	v_add3_u32 v2, v46, v2, v47
	s_add_i32 s3, s3, 16
	s_add_i32 s2, s2, 16
	s_add_i32 s9, s9, -8
	s_waitcnt lgkmcnt(3)
	v_add3_u32 v2, v52, v2, v53
	s_waitcnt lgkmcnt(2)
	v_add3_u32 v3, v54, v3, v55
	s_cmp_lg_u32 s9, 0
	s_waitcnt lgkmcnt(0)
	v_add3_u32 v3, v58, v3, v59
	v_add3_u32 v2, v56, v2, v57
	s_cbranch_scc1 .LBB136_74
	s_branch .LBB136_97
.LBB136_75:                             ;   in Loop: Header=BB136_20 Depth=1
	v_mov_b32_e32 v12, v13
	v_mov_b64_e32 v[4:5], v[12:13]
	v_mov_b64_e32 v[2:3], v[12:13]
	s_and_saveexec_b64 s[52:53], s[16:17]
	s_cbranch_execz .LBB136_79
; %bb.76:                               ;   in Loop: Header=BB136_20 Depth=1
	s_mov_b32 s8, 0
	s_mov_b64 s[54:55], 0
	v_mov_b32_e32 v6, v17
	s_mov_b32 s58, 0
	s_mov_b32 s59, s8
	s_mov_b32 s56, 0
	s_mov_b32 s57, s8
.LBB136_77:                             ;   Parent Loop BB136_20 Depth=1
                                        ; =>  This Inner Loop Header: Depth=2
	v_add_u32_e32 v12, s8, v32
	v_lshl_add_u64 v[2:3], v[12:13], 1, s[70:71]
	v_add_u32_e32 v12, s8, v29
	global_load_ushort v4, v[2:3], off
	v_lshl_add_u64 v[2:3], v[12:13], 1, s[70:71]
	v_add_u32_e32 v12, s8, v30
	global_load_ushort v5, v[2:3], off
	;; [unrolled: 3-line block ×3, first 2 shown]
	v_lshl_add_u64 v[2:3], v[12:13], 1, s[70:71]
	global_load_ushort v2, v[2:3], off
	v_add_u32_e32 v6, s33, v6
	v_cmp_le_u32_e32 vcc, s88, v6
	s_add_i32 s8, s8, s84
	s_waitcnt vmcnt(3)
	v_cmp_lt_i16_e64 s[0:1], -1, v4
	v_lshlrev_b32_e32 v3, 16, v4
	s_nop 0
	v_cndmask_b32_e64 v8, v38, v39, s[0:1]
	v_xor_b32_sdwa v4, v8, v4 dst_sel:DWORD dst_unused:UNUSED_PAD src0_sel:DWORD src1_sel:WORD_0
	v_cmp_o_f32_e64 s[0:1], v3, v3
	s_waitcnt vmcnt(2)
	v_cmp_lt_i16_e64 s[2:3], -1, v5
	v_lshlrev_b32_e32 v9, 16, v5
	v_cndmask_b32_e64 v4, v38, v4, s[0:1]
	v_cndmask_b32_e64 v3, v38, v39, s[2:3]
	s_waitcnt vmcnt(1)
	v_cmp_lt_i16_e64 s[0:1], -1, v7
	v_lshlrev_b32_e32 v8, 16, v7
	v_xor_b32_sdwa v3, v3, v5 dst_sel:DWORD dst_unused:UNUSED_PAD src0_sel:DWORD src1_sel:WORD_0
	v_cmp_o_f32_e64 s[2:3], v9, v9
	v_cndmask_b32_e64 v5, v38, v39, s[0:1]
	s_waitcnt vmcnt(0)
	v_cmp_lt_i16_e64 s[0:1], -1, v2
	v_lshlrev_b32_e32 v9, 16, v2
	v_cndmask_b32_e64 v3, v38, v3, s[2:3]
	v_xor_b32_sdwa v5, v5, v7 dst_sel:DWORD dst_unused:UNUSED_PAD src0_sel:DWORD src1_sel:WORD_0
	v_cndmask_b32_e64 v7, v38, v39, s[0:1]
	v_and_b32_e32 v12, v4, v43
	v_bfe_u32 v4, v4, v37, 2
	v_cmp_o_f32_e64 s[0:1], v8, v8
	v_xor_b32_sdwa v2, v7, v2 dst_sel:DWORD dst_unused:UNUSED_PAD src0_sel:DWORD src1_sel:WORD_0
	v_and_b32_e32 v7, v3, v43
	v_cndmask_b32_e64 v5, v38, v5, s[0:1]
	v_cmp_eq_u32_e64 s[0:1], v12, v33
	v_bfe_u32 v3, v3, v37, 2
	v_cmp_eq_u32_e64 s[2:3], 0, v4
	v_cmp_o_f32_e64 s[34:35], v9, v9
	v_cmp_eq_u32_e64 s[26:27], 1, v4
	v_cmp_eq_u32_e64 s[36:37], 0, v3
	v_cndmask_b32_e64 v2, v38, v2, s[34:35]
	v_cmp_eq_u32_e64 s[34:35], v7, v33
	s_and_b64 s[2:3], s[0:1], s[2:3]
	v_cmp_eq_u32_e64 s[28:29], 2, v4
	v_cmp_eq_u32_e64 s[38:39], 1, v3
	;; [unrolled: 1-line block ×4, first 2 shown]
	v_cndmask_b32_e64 v3, 0, 1, s[2:3]
	s_and_b64 s[2:3], s[0:1], s[26:27]
	s_and_b64 s[14:15], s[34:35], s[36:37]
	v_cmp_eq_u32_e64 s[30:31], 3, v4
	v_and_b32_e32 v4, v5, v43
	v_bfe_u32 v5, v5, v37, 2
	v_cndmask_b32_e64 v7, 0, 1, s[2:3]
	s_and_b64 s[2:3], s[0:1], s[28:29]
	v_cmp_ne_u32_e64 s[44:45], 0, v3
	v_cndmask_b32_e64 v3, 0, 1, s[14:15]
	s_and_b64 s[14:15], s[34:35], s[38:39]
	v_cndmask_b32_e64 v8, 0, 1, s[2:3]
	s_and_b64 s[0:1], s[0:1], s[30:31]
	v_cmp_eq_u32_e64 s[2:3], 0, v5
	v_cmp_eq_u32_e64 s[26:27], 1, v5
	;; [unrolled: 1-line block ×4, first 2 shown]
	v_cndmask_b32_e64 v5, 0, 1, s[14:15]
	s_and_b64 s[14:15], s[34:35], s[40:41]
	v_cndmask_b32_e64 v9, 0, 1, s[0:1]
	v_cmp_eq_u32_e64 s[0:1], v4, v33
	v_cmp_ne_u32_e64 s[36:37], 0, v7
	v_cndmask_b32_e64 v7, 0, 1, s[14:15]
	s_and_b64 s[14:15], s[34:35], s[42:43]
	v_and_b32_e32 v4, v2, v43
	v_bfe_u32 v2, v2, v37, 2
	v_cmp_ne_u32_e64 s[38:39], 0, v8
	v_cndmask_b32_e64 v8, 0, 1, s[14:15]
	s_and_b64 s[14:15], s[0:1], s[26:27]
	v_cmp_eq_u32_e64 s[34:35], v4, v33
	v_cmp_eq_u32_e64 s[42:43], 0, v2
	s_bcnt1_i32_b64 s9, s[44:45]
	v_cmp_ne_u32_e64 s[44:45], 0, v3
	s_and_b64 s[2:3], s[0:1], s[2:3]
	v_cndmask_b32_e64 v3, 0, 1, s[14:15]
	s_and_b64 s[14:15], s[0:1], s[28:29]
	v_cmp_eq_u32_e64 s[46:47], 1, v2
	v_cmp_eq_u32_e64 s[48:49], 2, v2
	;; [unrolled: 1-line block ×3, first 2 shown]
	v_cndmask_b32_e64 v2, 0, 1, s[2:3]
	v_cndmask_b32_e64 v4, 0, 1, s[14:15]
	s_and_b64 s[0:1], s[0:1], s[30:31]
	s_and_b64 s[14:15], s[34:35], s[42:43]
	v_cmp_ne_u32_e64 s[2:3], 0, v5
	v_cndmask_b32_e64 v5, 0, 1, s[0:1]
	v_cmp_ne_u32_e64 s[0:1], 0, v2
	v_cndmask_b32_e64 v2, 0, 1, s[14:15]
	s_and_b64 s[14:15], s[34:35], s[46:47]
	v_cmp_ne_u32_e64 s[40:41], 0, v9
	v_cmp_ne_u32_e64 s[26:27], 0, v7
	s_bcnt1_i32_b64 s31, s[2:3]
	v_cmp_ne_u32_e64 s[2:3], 0, v3
	v_cndmask_b32_e64 v3, 0, 1, s[14:15]
	s_and_b64 s[14:15], s[34:35], s[48:49]
	s_bcnt1_i32_b64 s25, s[36:37]
	s_bcnt1_i32_b64 s36, s[38:39]
	;; [unrolled: 1-line block ×3, first 2 shown]
	v_cmp_ne_u32_e64 s[28:29], 0, v8
	s_bcnt1_i32_b64 s38, s[26:27]
	v_cmp_ne_u32_e64 s[26:27], 0, v4
	v_cndmask_b32_e64 v4, 0, 1, s[14:15]
	s_and_b64 s[14:15], s[34:35], s[50:51]
	s_bcnt1_i32_b64 s30, s[44:45]
	s_add_i32 s9, s58, s9
	s_add_i32 s25, s59, s25
	s_bcnt1_i32_b64 s39, s[28:29]
	v_cmp_ne_u32_e64 s[28:29], 0, v5
	v_cndmask_b32_e64 v5, 0, 1, s[14:15]
	s_add_i32 s14, s56, s36
	s_add_i32 s15, s57, s37
	s_bcnt1_i32_b64 s34, s[0:1]
	v_cmp_ne_u32_e64 s[0:1], 0, v2
	s_bcnt1_i32_b64 s35, s[2:3]
	v_cmp_ne_u32_e64 s[2:3], 0, v3
	s_add_i32 s25, s25, s31
	s_add_i32 s9, s9, s30
	s_bcnt1_i32_b64 s30, s[26:27]
	v_cmp_ne_u32_e64 s[26:27], 0, v4
	s_bcnt1_i32_b64 s31, s[28:29]
	v_cmp_ne_u32_e64 s[28:29], 0, v5
	s_add_i32 s15, s15, s39
	s_add_i32 s14, s14, s38
	s_bcnt1_i32_b64 s0, s[0:1]
	s_bcnt1_i32_b64 s1, s[2:3]
	s_add_i32 s2, s9, s34
	s_add_i32 s3, s25, s35
	s_bcnt1_i32_b64 s9, s[26:27]
	s_bcnt1_i32_b64 s25, s[28:29]
	s_add_i32 s14, s14, s30
	s_add_i32 s15, s15, s31
	;; [unrolled: 1-line block ×6, first 2 shown]
	s_or_b64 s[54:55], vcc, s[54:55]
	v_mov_b64_e32 v[2:3], s[58:59]
	v_mov_b64_e32 v[4:5], s[56:57]
	s_andn2_b64 exec, exec, s[54:55]
	s_cbranch_execnz .LBB136_77
; %bb.78:                               ;   in Loop: Header=BB136_20 Depth=1
	s_or_b64 exec, exec, s[54:55]
.LBB136_79:                             ;   in Loop: Header=BB136_20 Depth=1
	s_or_b64 exec, exec, s[52:53]
	s_and_saveexec_b64 s[2:3], s[18:19]
	s_cbranch_execz .LBB136_85
; %bb.80:                               ;   in Loop: Header=BB136_20 Depth=1
	global_load_ushort v8, v[18:19], off
	s_mov_b64 s[8:9], 0
	v_mov_b32_e32 v12, v34
	v_mov_b32_e32 v6, v27
	s_branch .LBB136_82
.LBB136_81:                             ;   in Loop: Header=BB136_82 Depth=2
	s_or_b64 exec, exec, s[14:15]
	s_and_b64 s[0:1], exec, vcc
	s_waitcnt vmcnt(0)
	v_cmp_lt_i16_e32 vcc, -1, v8
	v_lshlrev_b32_e32 v46, 16, v8
	s_or_b64 s[8:9], s[0:1], s[8:9]
	v_cndmask_b32_e32 v9, v38, v39, vcc
	v_xor_b32_sdwa v8, v9, v8 dst_sel:DWORD dst_unused:UNUSED_PAD src0_sel:DWORD src1_sel:WORD_0
	v_cmp_o_f32_e32 vcc, v46, v46
	v_add_u32_e32 v12, s86, v12
	s_nop 0
	v_cndmask_b32_e32 v8, v38, v8, vcc
	v_and_b32_e32 v9, v8, v43
	v_bfe_u32 v8, v8, v37, 2
	v_cmp_eq_u32_e32 vcc, v9, v33
	v_cmp_eq_u32_e64 s[0:1], 0, v8
	s_and_b64 s[0:1], vcc, s[0:1]
	s_nop 0
	v_cndmask_b32_e64 v9, 0, 1, s[0:1]
	v_cmp_ne_u32_e64 s[0:1], 0, v9
	s_bcnt1_i32_b64 s14, s[0:1]
	v_cmp_eq_u32_e64 s[0:1], 1, v8
	s_and_b64 s[0:1], vcc, s[0:1]
	v_add_u32_e32 v2, s14, v2
	v_cndmask_b32_e64 v9, 0, 1, s[0:1]
	v_cmp_ne_u32_e64 s[0:1], 0, v9
	s_bcnt1_i32_b64 s0, s[0:1]
	s_nop 0
	v_add_u32_e32 v3, s0, v3
	v_cmp_eq_u32_e64 s[0:1], 2, v8
	s_and_b64 s[0:1], vcc, s[0:1]
	s_nop 0
	v_cndmask_b32_e64 v9, 0, 1, s[0:1]
	v_cmp_ne_u32_e64 s[0:1], 0, v9
	s_bcnt1_i32_b64 s14, s[0:1]
	v_cmp_eq_u32_e64 s[0:1], 3, v8
	s_and_b64 s[0:1], vcc, s[0:1]
	v_add_u32_e32 v4, s14, v4
	v_cndmask_b32_e64 v8, 0, 1, s[0:1]
	v_cmp_ne_u32_e32 vcc, 0, v8
	s_bcnt1_i32_b64 s0, vcc
	v_add_u32_e32 v5, s0, v5
	v_mov_b32_e32 v8, v7
	s_andn2_b64 exec, exec, s[8:9]
	s_cbranch_execz .LBB136_84
.LBB136_82:                             ;   Parent Loop BB136_20 Depth=1
                                        ; =>  This Inner Loop Header: Depth=2
	v_add_u32_e32 v6, s67, v6
	v_cmp_gt_u32_e64 s[0:1], s64, v6
	v_cmp_le_u32_e32 vcc, s64, v6
	v_mov_b32_e32 v7, 0
	s_and_saveexec_b64 s[14:15], s[0:1]
	s_cbranch_execz .LBB136_81
; %bb.83:                               ;   in Loop: Header=BB136_82 Depth=2
	v_lshl_add_u64 v[46:47], v[12:13], 1, s[70:71]
	global_load_ushort v7, v[46:47], off
	s_branch .LBB136_81
.LBB136_84:                             ;   in Loop: Header=BB136_20 Depth=1
	s_or_b64 exec, exec, s[8:9]
.LBB136_85:                             ;   in Loop: Header=BB136_20 Depth=1
	s_or_b64 exec, exec, s[2:3]
	s_branch .LBB136_67
.LBB136_86:                             ;   in Loop: Header=BB136_20 Depth=1
	s_mul_hi_u32 s0, s24, s23
	s_mul_i32 s0, s0, s33
	s_sub_i32 s0, s24, s0
	s_sub_i32 s1, s0, s33
	s_cmp_ge_u32 s0, s33
	s_cselect_b32 s0, s1, s0
	s_sub_i32 s1, s0, s33
	s_cmp_ge_u32 s0, s33
	s_cselect_b32 s0, s1, s0
	s_sub_i32 s25, s24, s0
	v_mov_b32_e32 v12, v13
	v_cmp_gt_u32_e32 vcc, s25, v17
	v_mov_b64_e32 v[4:5], v[12:13]
	v_mov_b64_e32 v[2:3], v[12:13]
	s_and_saveexec_b64 s[14:15], vcc
	s_cbranch_execz .LBB136_90
; %bb.87:                               ;   in Loop: Header=BB136_20 Depth=1
	s_mov_b32 s8, 0
	s_mov_b64 s[72:73], 0
	v_mov_b32_e32 v6, v35
	v_mov_b32_e32 v7, v17
	s_mov_b32 s9, s8
	s_mov_b32 s74, s8
	;; [unrolled: 1-line block ×3, first 2 shown]
.LBB136_88:                             ;   Parent Loop BB136_20 Depth=1
                                        ; =>  This Inner Loop Header: Depth=2
	ds_read_b64 v[2:3], v6
	v_add_u32_e32 v7, s33, v7
	v_cmp_le_u32_e32 vcc, s25, v7
	v_add_u32_e32 v6, s85, v6
	s_waitcnt lgkmcnt(0)
	v_cmp_lt_i16_e64 s[0:1], -1, v2
	v_lshlrev_b32_e32 v4, 16, v2
	s_nop 0
	v_cndmask_b32_e64 v12, v38, v39, s[0:1]
	v_cmp_gt_i16_sdwa s[0:1], v2, v40 src0_sel:WORD_1 src1_sel:DWORD
	v_and_b32_e32 v5, 0xffff0000, v2
	v_cmp_o_f32_e64 s[28:29], v4, v4
	v_cndmask_b32_e64 v46, v38, v39, s[0:1]
	v_cmp_lt_i16_e64 s[0:1], -1, v3
	v_xor_b32_sdwa v46, v46, v2 dst_sel:DWORD dst_unused:UNUSED_PAD src0_sel:DWORD src1_sel:WORD_1
	v_bitop3_b32 v2, v12, v2, s65 bitop3:0x78
	v_cndmask_b32_e64 v47, v38, v39, s[0:1]
	v_cmp_gt_i16_sdwa s[0:1], v3, v40 src0_sel:WORD_1 src1_sel:DWORD
	v_lshlrev_b32_e32 v8, 16, v3
	v_cndmask_b32_e64 v2, v38, v2, s[28:29]
	v_cndmask_b32_e64 v48, v38, v39, s[0:1]
	v_cmp_o_f32_e64 s[0:1], v5, v5
	v_and_b32_e32 v9, 0xffff0000, v3
	v_bitop3_b32 v5, v47, v3, s65 bitop3:0x78
	v_cmp_o_f32_e64 s[2:3], v8, v8
	v_cndmask_b32_e64 v4, v38, v46, s[0:1]
	v_and_b32_e32 v8, v2, v43
	v_bfe_u32 v2, v2, v37, 2
	v_xor_b32_sdwa v3, v48, v3 dst_sel:DWORD dst_unused:UNUSED_PAD src0_sel:DWORD src1_sel:WORD_1
	v_cmp_o_f32_e64 s[26:27], v9, v9
	v_cndmask_b32_e64 v5, v38, v5, s[2:3]
	v_and_b32_e32 v9, v4, v43
	v_bfe_u32 v4, v4, v37, 2
	v_cmp_eq_u32_e64 s[0:1], v8, v33
	v_cmp_eq_u32_e64 s[30:31], 0, v2
	v_cndmask_b32_e64 v3, v38, v3, s[26:27]
	v_and_b32_e32 v12, v5, v43
	v_bfe_u32 v5, v5, v37, 2
	v_cmp_eq_u32_e64 s[2:3], v9, v33
	v_cmp_eq_u32_e64 s[34:35], 0, v4
	s_and_b64 s[30:31], s[0:1], s[30:31]
	v_and_b32_e32 v46, v3, v43
	v_bfe_u32 v3, v3, v37, 2
	v_cmp_eq_u32_e64 s[26:27], v12, v33
	v_cmp_eq_u32_e64 s[36:37], 0, v5
	;; [unrolled: 1-line block ×5, first 2 shown]
	v_cndmask_b32_e64 v2, 0, 1, s[30:31]
	s_and_b64 s[30:31], s[2:3], s[34:35]
	v_cmp_eq_u32_e64 s[28:29], v46, v33
	v_cmp_eq_u32_e64 s[38:39], 0, v3
	;; [unrolled: 1-line block ×5, first 2 shown]
	v_cndmask_b32_e64 v3, 0, 1, s[30:31]
	s_and_b64 s[30:31], s[26:27], s[36:37]
	v_cmp_eq_u32_e64 s[42:43], 1, v4
	v_cmp_eq_u32_e64 s[50:51], 2, v4
	;; [unrolled: 1-line block ×3, first 2 shown]
	v_cndmask_b32_e64 v4, 0, 1, s[30:31]
	s_and_b64 s[30:31], s[28:29], s[38:39]
	v_cmp_eq_u32_e64 s[44:45], 1, v5
	v_cmp_eq_u32_e64 s[52:53], 2, v5
	;; [unrolled: 1-line block ×3, first 2 shown]
	v_cndmask_b32_e64 v5, 0, 1, s[30:31]
	s_and_b64 s[30:31], s[0:1], s[40:41]
	v_cndmask_b32_e64 v8, 0, 1, s[30:31]
	s_and_b64 s[30:31], s[2:3], s[42:43]
	;; [unrolled: 2-line block ×5, first 2 shown]
	s_and_b64 s[0:1], s[0:1], s[56:57]
	v_cndmask_b32_e64 v47, 0, 1, s[30:31]
	s_and_b64 s[30:31], s[2:3], s[50:51]
	v_cndmask_b32_e64 v52, 0, 1, s[0:1]
	;; [unrolled: 2-line block ×7, first 2 shown]
	v_cndmask_b32_e64 v55, 0, 1, s[0:1]
	v_cmp_ne_u32_e64 s[0:1], 0, v2
	v_cmp_ne_u32_e64 s[2:3], 0, v3
	;; [unrolled: 1-line block ×11, first 2 shown]
	s_bcnt1_i32_b64 s0, s[0:1]
	s_bcnt1_i32_b64 s1, s[2:3]
	;; [unrolled: 1-line block ×8, first 2 shown]
	v_cmp_ne_u32_e64 s[38:39], 0, v46
	v_cmp_ne_u32_e64 s[44:45], 0, v49
	;; [unrolled: 1-line block ×3, first 2 shown]
	s_bcnt1_i32_b64 s27, s[34:35]
	s_bcnt1_i32_b64 s31, s[42:43]
	;; [unrolled: 1-line block ×3, first 2 shown]
	s_add_i32 s0, s8, s0
	s_add_i32 s8, s9, s26
	;; [unrolled: 1-line block ×4, first 2 shown]
	v_cmp_ne_u32_e64 s[46:47], 0, v51
	v_cmp_ne_u32_e64 s[54:55], 0, v55
	s_bcnt1_i32_b64 s29, s[38:39]
	s_bcnt1_i32_b64 s34, s[44:45]
	;; [unrolled: 1-line block ×3, first 2 shown]
	s_add_i32 s8, s8, s27
	s_add_i32 s0, s0, s1
	;; [unrolled: 1-line block ×4, first 2 shown]
	s_bcnt1_i32_b64 s35, s[46:47]
	s_bcnt1_i32_b64 s39, s[54:55]
	s_add_i32 s0, s0, s2
	s_add_i32 s2, s8, s28
	;; [unrolled: 1-line block ×8, first 2 shown]
	s_or_b64 s[72:73], vcc, s[72:73]
	v_mov_b64_e32 v[2:3], s[8:9]
	v_mov_b64_e32 v[4:5], s[74:75]
	s_andn2_b64 exec, exec, s[72:73]
	s_cbranch_execnz .LBB136_88
; %bb.89:                               ;   in Loop: Header=BB136_20 Depth=1
	s_or_b64 exec, exec, s[72:73]
.LBB136_90:                             ;   in Loop: Header=BB136_20 Depth=1
	s_or_b64 exec, exec, s[14:15]
	v_add_u32_e32 v6, s25, v0
	v_cmp_gt_u32_e32 vcc, s24, v6
	s_and_saveexec_b64 s[8:9], vcc
	s_cbranch_execz .LBB136_94
; %bb.91:                               ;   in Loop: Header=BB136_20 Depth=1
	v_lshlrev_b32_e32 v7, 1, v6
	s_mov_b64 s[14:15], 0
.LBB136_92:                             ;   Parent Loop BB136_20 Depth=1
                                        ; =>  This Inner Loop Header: Depth=2
	ds_read_u16 v8, v7
	v_add_u32_e32 v6, s67, v6
	v_cmp_le_u32_e32 vcc, s24, v6
	v_add_u32_e32 v7, s20, v7
	s_waitcnt lgkmcnt(0)
	v_cmp_lt_i16_e64 s[0:1], -1, v8
	v_lshlrev_b32_e32 v9, 16, v8
	s_nop 0
	v_cndmask_b32_e64 v12, v38, v39, s[0:1]
	v_xor_b32_sdwa v8, v12, v8 dst_sel:DWORD dst_unused:UNUSED_PAD src0_sel:DWORD src1_sel:WORD_0
	v_cmp_o_f32_e64 s[0:1], v9, v9
	s_nop 1
	v_cndmask_b32_e64 v8, v38, v8, s[0:1]
	v_and_b32_e32 v9, v8, v43
	v_bfe_u32 v8, v8, v37, 2
	v_cmp_eq_u32_e64 s[0:1], v9, v33
	v_cmp_eq_u32_e64 s[2:3], 0, v8
	;; [unrolled: 1-line block ×3, first 2 shown]
	s_and_b64 s[2:3], s[0:1], s[2:3]
	v_cmp_eq_u32_e64 s[28:29], 2, v8
	v_cmp_eq_u32_e64 s[30:31], 3, v8
	v_cndmask_b32_e64 v8, 0, 1, s[2:3]
	s_and_b64 s[2:3], s[0:1], s[26:27]
	v_cndmask_b32_e64 v9, 0, 1, s[2:3]
	s_and_b64 s[2:3], s[0:1], s[28:29]
	s_and_b64 s[0:1], s[0:1], s[30:31]
	v_cndmask_b32_e64 v12, 0, 1, s[2:3]
	v_cndmask_b32_e64 v46, 0, 1, s[0:1]
	v_cmp_ne_u32_e64 s[0:1], 0, v8
	v_cmp_ne_u32_e64 s[2:3], 0, v9
	;; [unrolled: 1-line block ×4, first 2 shown]
	s_bcnt1_i32_b64 s0, s[0:1]
	s_bcnt1_i32_b64 s1, s[2:3]
	;; [unrolled: 1-line block ×4, first 2 shown]
	v_add_u32_e32 v3, s1, v3
	v_add_u32_e32 v2, s0, v2
	;; [unrolled: 1-line block ×3, first 2 shown]
	s_or_b64 s[14:15], vcc, s[14:15]
	v_add_u32_e32 v4, s2, v4
	s_andn2_b64 exec, exec, s[14:15]
	s_cbranch_execnz .LBB136_92
; %bb.93:                               ;   in Loop: Header=BB136_20 Depth=1
	s_or_b64 exec, exec, s[14:15]
.LBB136_94:                             ;   in Loop: Header=BB136_20 Depth=1
	s_or_b64 exec, exec, s[8:9]
	s_lshl_b32 s8, s79, 6
	s_and_saveexec_b64 s[0:1], s[4:5]
	s_cbranch_execnz .LBB136_68
	s_branch .LBB136_69
.LBB136_95:                             ;   in Loop: Header=BB136_20 Depth=1
	v_mov_b32_e32 v2, 0
	s_mov_b32 s9, 0
	s_cbranch_execnz .LBB136_100
	s_branch .LBB136_102
.LBB136_96:                             ;   in Loop: Header=BB136_20 Depth=1
	v_mov_b32_e32 v12, v13
	s_mov_b32 s2, 0
	v_mov_b64_e32 v[2:3], v[12:13]
	s_mov_b32 s3, 1
.LBB136_97:                             ;   in Loop: Header=BB136_20 Depth=1
	v_readlane_b32 s14, v80, 29
	v_readlane_b32 s15, v80, 30
	s_andn2_b64 vcc, exec, s[14:15]
	v_readlane_b32 s9, v80, 28
	s_cbranch_vccnz .LBB136_99
.LBB136_98:                             ;   Parent Loop BB136_20 Depth=1
                                        ; =>  This Inner Loop Header: Depth=2
	v_lshl_add_u32 v6, s2, 4, v5
	v_lshl_add_u32 v7, s3, 4, v5
	ds_read_b32 v7, v7
	ds_read_b32 v6, v6
	s_add_i32 s3, s3, 2
	s_add_i32 s2, s2, 2
	s_add_i32 s9, s9, -1
	s_cmp_lg_u32 s9, 0
	s_waitcnt lgkmcnt(1)
	v_add_u32_e32 v3, v7, v3
	s_waitcnt lgkmcnt(0)
	v_add_u32_e32 v2, v6, v2
	s_cbranch_scc1 .LBB136_98
.LBB136_99:                             ;   in Loop: Header=BB136_20 Depth=1
	v_readlane_b32 s2, v80, 33
	v_add_u32_e32 v2, v2, v3
	v_readlane_b32 s9, v80, 32
	v_readlane_b32 s3, v80, 34
	s_and_b64 vcc, exec, s[2:3]
	s_cbranch_vccz .LBB136_102
.LBB136_100:                            ;   in Loop: Header=BB136_20 Depth=1
	s_lshl_b32 s2, s79, 8
	s_lshl_b32 s3, s9, 4
	s_add_i32 s2, s2, s3
	v_add_u32_e32 v3, s2, v36
	v_readlane_b32 s2, v80, 31
	s_sub_i32 s2, s2, s9
.LBB136_101:                            ;   Parent Loop BB136_20 Depth=1
                                        ; =>  This Inner Loop Header: Depth=2
	ds_read_b32 v5, v3
	s_add_i32 s2, s2, -1
	v_add_u32_e32 v3, 16, v3
	s_cmp_eq_u32 s2, 0
	s_waitcnt lgkmcnt(0)
	v_add_u32_e32 v2, v5, v2
	s_cbranch_scc0 .LBB136_101
.LBB136_102:                            ;   in Loop: Header=BB136_20 Depth=1
	v_lshlrev_b32_e32 v3, 2, v4
	ds_write_b32 v3, v2 offset:3072
.LBB136_103:                            ;   in Loop: Header=BB136_20 Depth=1
	s_or_b64 exec, exec, s[0:1]
	s_lshl_b32 s0, s8, 2
	v_mov_b32_e32 v2, s0
	s_waitcnt lgkmcnt(0)
	s_barrier
	ds_read_b128 v[2:5], v2 offset:3072
	v_cmp_eq_u32_e32 vcc, 1, v45
	s_mov_b64 s[2:3], -1
	s_mov_b64 s[28:29], -1
                                        ; implicit-def: $sgpr26_sgpr27
                                        ; implicit-def: $sgpr8_sgpr9
	s_waitcnt lgkmcnt(0)
	v_readfirstlane_b32 s25, v2
	s_cmp_eq_u32 s25, 1
	v_lshlrev_b32_e64 v2, v37, 3
	s_cselect_b64 s[0:1], -1, 0
	v_readfirstlane_b32 s24, v3
	v_readfirstlane_b32 s54, v4
	v_readfirstlane_b32 s62, v5
	v_not_b32_e32 v4, v2
	s_and_b64 s[14:15], s[0:1], vcc
	s_and_saveexec_b64 s[0:1], s[14:15]
	s_cbranch_execz .LBB136_129
; %bb.104:                              ;   in Loop: Header=BB136_20 Depth=1
	ds_read_b32 v3, v13 offset:4104
	s_waitcnt lgkmcnt(0)
	s_barrier
	v_readfirstlane_b32 s42, v3
	s_and_saveexec_b64 s[8:9], s[6:7]
; %bb.105:                              ;   in Loop: Header=BB136_20 Depth=1
	ds_write_b16 v22, v13
; %bb.106:                              ;   in Loop: Header=BB136_20 Depth=1
	s_or_b64 exec, exec, s[8:9]
	v_and_b32_e32 v33, v33, v4
	v_or_b32_e32 v43, v43, v2
	s_mov_b64 s[8:9], -1
	s_mov_b64 s[26:27], 0
	s_cmp_eq_u32 s42, 0
	s_mov_b64 s[28:29], 0
	s_mov_b64 s[30:31], -1
	s_waitcnt lgkmcnt(0)
	s_barrier
                                        ; implicit-def: $vgpr44
	s_cbranch_scc1 .LBB136_117
; %bb.107:                              ;   in Loop: Header=BB136_20 Depth=1
	s_add_i32 s28, s42, s87
	s_mul_hi_u32 s29, s28, s82
	s_mul_i32 s29, s29, s67
	s_sub_i32 s29, s28, s29
	s_sub_i32 s30, s29, s67
	s_cmp_ge_u32 s29, s67
	s_cselect_b32 s29, s30, s29
	s_sub_i32 s30, s29, s67
	s_cmp_ge_u32 s29, s67
	s_cselect_b32 s29, s30, s29
	s_sub_i32 s43, s28, s29
	v_cmp_gt_u32_e32 vcc, s43, v0
	s_mov_b64 s[30:31], 0
	s_mov_b64 s[28:29], 0
                                        ; implicit-def: $vgpr44
	s_and_saveexec_b64 s[34:35], vcc
	s_cbranch_execz .LBB136_116
; %bb.108:                              ;   in Loop: Header=BB136_20 Depth=1
	v_mov_b32_e32 v3, v21
	v_mov_b32_e32 v5, v0
                                        ; implicit-def: $sgpr36_sgpr37
	s_branch .LBB136_111
.LBB136_109:                            ;   in Loop: Header=BB136_111 Depth=2
	s_or_b64 exec, exec, s[38:39]
	s_waitcnt lgkmcnt(0)
	s_barrier
	ds_read_b32 v6, v13 offset:3072
	s_mov_b64 s[38:39], -1
	s_mov_b64 s[40:41], -1
	s_waitcnt lgkmcnt(0)
	s_barrier
	v_and_b32_e32 v7, 0x7fff, v6
	v_cmp_ne_u32_e32 vcc, 0, v7
	s_cbranch_vccz .LBB136_114
.LBB136_110:                            ;   in Loop: Header=BB136_111 Depth=2
	s_and_b64 s[38:39], exec, s[38:39]
	s_or_b64 s[28:29], s[38:39], s[28:29]
	s_andn2_b64 s[36:37], s[36:37], exec
	s_and_b64 s[38:39], s[40:41], exec
	s_or_b64 s[36:37], s[36:37], s[38:39]
	s_andn2_b64 exec, exec, s[28:29]
	s_cbranch_execz .LBB136_115
.LBB136_111:                            ;   Parent Loop BB136_20 Depth=1
                                        ; =>  This Inner Loop Header: Depth=2
	v_cmp_gt_u32_e32 vcc, s42, v5
	s_and_saveexec_b64 s[38:39], vcc
	s_cbranch_execz .LBB136_109
; %bb.112:                              ;   in Loop: Header=BB136_111 Depth=2
	ds_read_u16 v6, v3
	s_waitcnt lgkmcnt(0)
	v_cmp_lt_i16_e32 vcc, -1, v6
	v_lshlrev_b32_e32 v7, 16, v6
	s_nop 0
	v_cndmask_b32_e32 v8, v38, v39, vcc
	v_xor_b32_sdwa v8, v8, v6 dst_sel:DWORD dst_unused:UNUSED_PAD src0_sel:DWORD src1_sel:WORD_0
	v_cmp_o_f32_e32 vcc, v7, v7
	s_nop 1
	v_cndmask_b32_e32 v7, v38, v8, vcc
	v_and_b32_e32 v7, v7, v43
	v_cmp_eq_u32_e32 vcc, v7, v33
	s_and_b64 exec, exec, vcc
	s_cbranch_execz .LBB136_109
; %bb.113:                              ;   in Loop: Header=BB136_111 Depth=2
	v_perm_b32 v6, v6, s78, v42
	ds_write_b32 v13, v6 offset:3072
	s_branch .LBB136_109
.LBB136_114:                            ;   in Loop: Header=BB136_111 Depth=2
	v_add_u32_e32 v5, s67, v5
	v_cmp_le_u32_e32 vcc, s43, v5
	v_add_u32_e32 v3, s20, v3
	s_mov_b64 s[40:41], 0
	s_orn2_b64 s[38:39], vcc, exec
	s_branch .LBB136_110
.LBB136_115:                            ;   in Loop: Header=BB136_20 Depth=1
	s_or_b64 exec, exec, s[28:29]
	v_lshrrev_b32_e32 v44, 16, v6
	s_and_b64 s[28:29], s[36:37], exec
.LBB136_116:                            ;   in Loop: Header=BB136_20 Depth=1
	s_or_b64 exec, exec, s[34:35]
.LBB136_117:                            ;   in Loop: Header=BB136_20 Depth=1
	s_and_b64 vcc, exec, s[30:31]
	s_cbranch_vccz .LBB136_128
; %bb.118:                              ;   in Loop: Header=BB136_20 Depth=1
                                        ; implicit-def: $vgpr44
	s_mov_b64 s[8:9], exec
	v_readlane_b32 s26, v80, 35
	v_readlane_b32 s27, v80, 36
	s_and_b64 s[26:27], s[8:9], s[26:27]
	s_mov_b64 exec, s[26:27]
	s_cbranch_execz .LBB136_127
; %bb.119:                              ;   in Loop: Header=BB136_20 Depth=1
	s_mov_b64 s[26:27], 0
	v_mov_b32_e32 v12, v10
	v_mov_b32_e32 v3, v0
                                        ; implicit-def: $sgpr30_sgpr31
	s_branch .LBB136_122
.LBB136_120:                            ;   in Loop: Header=BB136_122 Depth=2
	s_or_b64 exec, exec, s[34:35]
	s_waitcnt lgkmcnt(0)
	s_barrier
	ds_read_b32 v5, v13 offset:3072
	s_mov_b64 s[34:35], -1
	s_mov_b64 s[36:37], -1
	s_waitcnt lgkmcnt(0)
	s_barrier
	v_and_b32_e32 v6, 0x7fff, v5
	v_cmp_ne_u32_e32 vcc, 0, v6
	s_cbranch_vccz .LBB136_125
.LBB136_121:                            ;   in Loop: Header=BB136_122 Depth=2
	s_and_b64 s[34:35], exec, s[34:35]
	s_or_b64 s[26:27], s[34:35], s[26:27]
	s_andn2_b64 s[30:31], s[30:31], exec
	s_and_b64 s[34:35], s[36:37], exec
	s_or_b64 s[30:31], s[30:31], s[34:35]
	s_andn2_b64 exec, exec, s[26:27]
	s_cbranch_execz .LBB136_126
.LBB136_122:                            ;   Parent Loop BB136_20 Depth=1
                                        ; =>  This Inner Loop Header: Depth=2
	v_cmp_gt_u32_e32 vcc, s64, v3
	s_and_saveexec_b64 s[34:35], vcc
	s_cbranch_execz .LBB136_120
; %bb.123:                              ;   in Loop: Header=BB136_122 Depth=2
	v_lshl_add_u64 v[6:7], v[12:13], 1, s[70:71]
	global_load_ushort v5, v[6:7], off
	s_waitcnt vmcnt(0)
	v_cmp_lt_i16_e32 vcc, -1, v5
	v_lshlrev_b32_e32 v6, 16, v5
	s_nop 0
	v_cndmask_b32_e32 v7, v38, v39, vcc
	v_xor_b32_sdwa v7, v7, v5 dst_sel:DWORD dst_unused:UNUSED_PAD src0_sel:DWORD src1_sel:WORD_0
	v_cmp_o_f32_e32 vcc, v6, v6
	s_nop 1
	v_cndmask_b32_e32 v6, v38, v7, vcc
	v_and_b32_e32 v6, v6, v43
	v_cmp_eq_u32_e32 vcc, v6, v33
	s_and_b64 exec, exec, vcc
	s_cbranch_execz .LBB136_120
; %bb.124:                              ;   in Loop: Header=BB136_122 Depth=2
	v_perm_b32 v5, v5, s78, v42
	ds_write_b32 v13, v5 offset:3072
	s_branch .LBB136_120
.LBB136_125:                            ;   in Loop: Header=BB136_122 Depth=2
	v_add_u32_e32 v3, s67, v3
	v_cmp_le_u32_e32 vcc, s83, v3
	v_add_u32_e32 v12, s86, v12
	s_mov_b64 s[36:37], 0
	s_orn2_b64 s[34:35], vcc, exec
	s_branch .LBB136_121
.LBB136_126:                            ;   in Loop: Header=BB136_20 Depth=1
	s_or_b64 exec, exec, s[26:27]
	s_andn2_b64 s[26:27], s[28:29], exec
	s_and_b64 s[28:29], s[30:31], exec
	v_lshrrev_b32_e32 v44, 16, v5
	s_or_b64 s[28:29], s[26:27], s[28:29]
.LBB136_127:                            ;   in Loop: Header=BB136_20 Depth=1
	s_or_b64 exec, exec, s[8:9]
	s_mov_b64 s[8:9], 0
	s_mov_b64 s[26:27], -1
.LBB136_128:                            ;   in Loop: Header=BB136_20 Depth=1
	s_orn2_b64 s[28:29], s[28:29], exec
.LBB136_129:                            ;   in Loop: Header=BB136_20 Depth=1
	s_or_b64 exec, exec, s[0:1]
	s_andn2_b64 s[0:1], s[12:13], exec
	s_and_b64 s[12:13], s[26:27], exec
	s_or_b64 s[12:13], s[0:1], s[12:13]
	s_andn2_b64 s[0:1], s[68:69], exec
	s_and_b64 s[8:9], s[8:9], exec
	v_readfirstlane_b32 s34, v0
	s_andn2_b64 s[10:11], s[10:11], exec
	s_or_b64 s[68:69], s[0:1], s[8:9]
                                        ; implicit-def: $vgpr5
	s_and_saveexec_b64 s[0:1], s[28:29]
	s_cbranch_execz .LBB136_19
; %bb.130:                              ;   in Loop: Header=BB136_20 Depth=1
	s_xor_b64 s[8:9], s[14:15], -1
	s_mov_b64 s[14:15], 0
	v_mov_b32_e32 v5, 1
	v_mov_b32_e32 v3, 1
	s_and_saveexec_b64 s[2:3], s[8:9]
	s_cbranch_execz .LBB136_139
; %bb.131:                              ;   in Loop: Header=BB136_20 Depth=1
	v_cmp_ge_u32_e32 vcc, s25, v45
	s_and_saveexec_b64 s[8:9], vcc
	s_xor_b64 s[8:9], exec, s[8:9]
	s_cbranch_execz .LBB136_136
; %bb.132:                              ;   in Loop: Header=BB136_20 Depth=1
	ds_read_b32 v3, v13 offset:4104
	v_and_b32_e32 v33, v33, v4
	v_or_b32_e32 v43, v43, v2
	s_waitcnt lgkmcnt(0)
	v_cmp_ne_u32_e32 vcc, 0, v3
	s_cbranch_vccnz .LBB136_136
; %bb.133:                              ;   in Loop: Header=BB136_20 Depth=1
	s_mov_b64 s[14:15], exec
	v_readlane_b32 s26, v80, 7
	v_readlane_b32 s27, v80, 8
	s_and_b64 s[26:27], s[14:15], s[26:27]
	s_mov_b64 exec, s[26:27]
; %bb.134:                              ;   in Loop: Header=BB136_20 Depth=1
	v_mov_b32_e32 v3, s25
	ds_write_b32 v13, v3 offset:4108
; %bb.135:                              ;   in Loop: Header=BB136_20 Depth=1
	s_or_b64 exec, exec, s[14:15]
	s_waitcnt lgkmcnt(0)
	s_barrier
.LBB136_136:                            ;   in Loop: Header=BB136_20 Depth=1
	s_or_saveexec_b64 s[8:9], s[8:9]
	s_mov_b64 s[14:15], 0
	v_mov_b32_e32 v3, 8
	s_xor_b64 exec, exec, s[8:9]
; %bb.137:                              ;   in Loop: Header=BB136_20 Depth=1
	s_mov_b64 s[14:15], exec
	v_subrev_u32_e32 v45, s25, v45
	v_mov_b32_e32 v3, 0
; %bb.138:                              ;   in Loop: Header=BB136_20 Depth=1
	s_or_b64 exec, exec, s[8:9]
	s_and_b64 s[14:15], s[14:15], exec
	v_mov_b32_e32 v5, v45
.LBB136_139:                            ;   in Loop: Header=BB136_20 Depth=1
	s_or_b64 exec, exec, s[2:3]
	s_mov_b64 s[2:3], -1
	s_mov_b64 s[8:9], -1
                                        ; implicit-def: $sgpr28_sgpr29
                                        ; implicit-def: $sgpr30_sgpr31
	s_and_saveexec_b64 s[26:27], s[14:15]
	s_xor_b64 s[26:27], exec, s[26:27]
	s_cbranch_execz .LBB136_256
; %bb.140:                              ;   in Loop: Header=BB136_20 Depth=1
	s_cmp_eq_u32 s24, 1
	s_cselect_b64 s[8:9], -1, 0
	v_cmp_eq_u32_e32 vcc, 1, v5
	s_and_b64 s[14:15], s[8:9], vcc
	s_mov_b64 s[36:37], -1
                                        ; implicit-def: $sgpr30_sgpr31
                                        ; implicit-def: $sgpr28_sgpr29
	s_and_saveexec_b64 s[8:9], s[14:15]
	s_cbranch_execz .LBB136_166
; %bb.141:                              ;   in Loop: Header=BB136_20 Depth=1
	ds_read_b32 v6, v13 offset:4104
	s_waitcnt lgkmcnt(0)
	s_barrier
	v_readfirstlane_b32 s25, v6
	s_and_saveexec_b64 s[28:29], s[6:7]
; %bb.142:                              ;   in Loop: Header=BB136_20 Depth=1
	ds_write_b16 v22, v13
; %bb.143:                              ;   in Loop: Header=BB136_20 Depth=1
	s_or_b64 exec, exec, s[28:29]
	v_and_b32_e32 v6, v33, v4
	v_lshl_or_b32 v33, 1, v37, v6
	v_or_b32_e32 v43, v43, v2
	s_mov_b64 s[28:29], -1
	s_mov_b64 s[30:31], 0
	s_cmp_eq_u32 s25, 0
	s_mov_b64 s[34:35], 0
	s_waitcnt lgkmcnt(0)
	s_barrier
                                        ; implicit-def: $vgpr44
	s_cbranch_scc1 .LBB136_154
; %bb.144:                              ;   in Loop: Header=BB136_20 Depth=1
	s_add_i32 s34, s25, s87
	s_mul_hi_u32 s35, s34, s82
	s_mul_i32 s35, s35, s67
	s_sub_i32 s35, s34, s35
	s_sub_i32 s36, s35, s67
	s_cmp_ge_u32 s35, s67
	s_cselect_b32 s35, s36, s35
	s_sub_i32 s36, s35, s67
	s_cmp_ge_u32 s35, s67
	s_cselect_b32 s35, s36, s35
	s_sub_i32 s46, s34, s35
	v_cmp_gt_u32_e32 vcc, s46, v0
	s_mov_b64 s[36:37], 0
	s_mov_b64 s[34:35], 0
                                        ; implicit-def: $vgpr44
	s_and_saveexec_b64 s[38:39], vcc
	s_cbranch_execz .LBB136_153
; %bb.145:                              ;   in Loop: Header=BB136_20 Depth=1
	v_mov_b32_e32 v6, v21
	v_mov_b32_e32 v7, v0
                                        ; implicit-def: $sgpr40_sgpr41
	s_branch .LBB136_148
.LBB136_146:                            ;   in Loop: Header=BB136_148 Depth=2
	s_or_b64 exec, exec, s[42:43]
	s_waitcnt lgkmcnt(0)
	s_barrier
	ds_read_b32 v8, v13 offset:3072
	s_mov_b64 s[42:43], -1
	s_mov_b64 s[44:45], -1
	s_waitcnt lgkmcnt(0)
	s_barrier
	v_and_b32_e32 v9, 0x7fff, v8
	v_cmp_ne_u32_e32 vcc, 0, v9
	s_cbranch_vccz .LBB136_151
.LBB136_147:                            ;   in Loop: Header=BB136_148 Depth=2
	s_and_b64 s[42:43], exec, s[42:43]
	s_or_b64 s[34:35], s[42:43], s[34:35]
	s_andn2_b64 s[40:41], s[40:41], exec
	s_and_b64 s[42:43], s[44:45], exec
	s_or_b64 s[40:41], s[40:41], s[42:43]
	s_andn2_b64 exec, exec, s[34:35]
	s_cbranch_execz .LBB136_152
.LBB136_148:                            ;   Parent Loop BB136_20 Depth=1
                                        ; =>  This Inner Loop Header: Depth=2
	v_cmp_gt_u32_e32 vcc, s25, v7
	s_and_saveexec_b64 s[42:43], vcc
	s_cbranch_execz .LBB136_146
; %bb.149:                              ;   in Loop: Header=BB136_148 Depth=2
	ds_read_u16 v8, v6
	s_waitcnt lgkmcnt(0)
	v_cmp_lt_i16_e32 vcc, -1, v8
	v_lshlrev_b32_e32 v9, 16, v8
	s_nop 0
	v_cndmask_b32_e32 v12, v38, v39, vcc
	v_xor_b32_sdwa v12, v12, v8 dst_sel:DWORD dst_unused:UNUSED_PAD src0_sel:DWORD src1_sel:WORD_0
	v_cmp_o_f32_e32 vcc, v9, v9
	s_nop 1
	v_cndmask_b32_e32 v9, v38, v12, vcc
	v_and_b32_e32 v9, v9, v43
	v_cmp_eq_u32_e32 vcc, v9, v33
	s_and_b64 exec, exec, vcc
	s_cbranch_execz .LBB136_146
; %bb.150:                              ;   in Loop: Header=BB136_148 Depth=2
	v_perm_b32 v8, v8, s78, v42
	ds_write_b32 v13, v8 offset:3072
	s_branch .LBB136_146
.LBB136_151:                            ;   in Loop: Header=BB136_148 Depth=2
	v_add_u32_e32 v7, s67, v7
	v_cmp_le_u32_e32 vcc, s46, v7
	v_add_u32_e32 v6, s20, v6
	s_mov_b64 s[44:45], 0
	s_orn2_b64 s[42:43], vcc, exec
	s_branch .LBB136_147
.LBB136_152:                            ;   in Loop: Header=BB136_20 Depth=1
	s_or_b64 exec, exec, s[34:35]
	v_lshrrev_b32_e32 v44, 16, v8
	s_and_b64 s[34:35], s[40:41], exec
.LBB136_153:                            ;   in Loop: Header=BB136_20 Depth=1
	s_or_b64 exec, exec, s[38:39]
.LBB136_154:                            ;   in Loop: Header=BB136_20 Depth=1
	s_and_b64 vcc, exec, s[36:37]
	s_cbranch_vccz .LBB136_165
; %bb.155:                              ;   in Loop: Header=BB136_20 Depth=1
                                        ; implicit-def: $vgpr44
	s_mov_b64 s[28:29], exec
	v_readlane_b32 s30, v80, 35
	v_readlane_b32 s31, v80, 36
	s_and_b64 s[30:31], s[28:29], s[30:31]
	s_mov_b64 exec, s[30:31]
	s_cbranch_execz .LBB136_164
; %bb.156:                              ;   in Loop: Header=BB136_20 Depth=1
	s_mov_b64 s[30:31], 0
	v_mov_b32_e32 v12, v10
	v_mov_b32_e32 v6, v0
                                        ; implicit-def: $sgpr36_sgpr37
	s_branch .LBB136_159
.LBB136_157:                            ;   in Loop: Header=BB136_159 Depth=2
	s_or_b64 exec, exec, s[38:39]
	s_waitcnt lgkmcnt(0)
	s_barrier
	ds_read_b32 v7, v13 offset:3072
	s_mov_b64 s[38:39], -1
	s_mov_b64 s[40:41], -1
	s_waitcnt lgkmcnt(0)
	s_barrier
	v_and_b32_e32 v8, 0x7fff, v7
	v_cmp_eq_u32_e32 vcc, 0, v8
	s_cbranch_vccnz .LBB136_162
.LBB136_158:                            ;   in Loop: Header=BB136_159 Depth=2
	s_and_b64 s[38:39], exec, s[38:39]
	s_or_b64 s[30:31], s[38:39], s[30:31]
	s_andn2_b64 s[36:37], s[36:37], exec
	s_and_b64 s[38:39], s[40:41], exec
	s_or_b64 s[36:37], s[36:37], s[38:39]
	s_andn2_b64 exec, exec, s[30:31]
	s_cbranch_execz .LBB136_163
.LBB136_159:                            ;   Parent Loop BB136_20 Depth=1
                                        ; =>  This Inner Loop Header: Depth=2
	v_cmp_gt_u32_e32 vcc, s64, v6
	s_and_saveexec_b64 s[38:39], vcc
	s_cbranch_execz .LBB136_157
; %bb.160:                              ;   in Loop: Header=BB136_159 Depth=2
	v_lshl_add_u64 v[8:9], v[12:13], 1, s[70:71]
	global_load_ushort v7, v[8:9], off
	s_waitcnt vmcnt(0)
	v_cmp_lt_i16_e32 vcc, -1, v7
	v_lshlrev_b32_e32 v8, 16, v7
	s_nop 0
	v_cndmask_b32_e32 v9, v38, v39, vcc
	v_xor_b32_sdwa v9, v9, v7 dst_sel:DWORD dst_unused:UNUSED_PAD src0_sel:DWORD src1_sel:WORD_0
	v_cmp_o_f32_e32 vcc, v8, v8
	s_nop 1
	v_cndmask_b32_e32 v8, v38, v9, vcc
	v_and_b32_e32 v8, v8, v43
	v_cmp_eq_u32_e32 vcc, v8, v33
	s_and_b64 exec, exec, vcc
	s_cbranch_execz .LBB136_157
; %bb.161:                              ;   in Loop: Header=BB136_159 Depth=2
	v_perm_b32 v7, v7, s78, v42
	ds_write_b32 v13, v7 offset:3072
	s_branch .LBB136_157
.LBB136_162:                            ;   in Loop: Header=BB136_159 Depth=2
	v_add_u32_e32 v6, s67, v6
	v_cmp_le_u32_e32 vcc, s83, v6
	v_add_u32_e32 v12, s86, v12
	s_mov_b64 s[40:41], 0
	s_orn2_b64 s[38:39], vcc, exec
	s_branch .LBB136_158
.LBB136_163:                            ;   in Loop: Header=BB136_20 Depth=1
	s_or_b64 exec, exec, s[30:31]
	s_andn2_b64 s[30:31], s[34:35], exec
	s_and_b64 s[34:35], s[36:37], exec
	v_lshrrev_b32_e32 v44, 16, v7
	s_or_b64 s[34:35], s[30:31], s[34:35]
.LBB136_164:                            ;   in Loop: Header=BB136_20 Depth=1
	s_or_b64 exec, exec, s[28:29]
	s_mov_b64 s[28:29], 0
	s_mov_b64 s[30:31], -1
.LBB136_165:                            ;   in Loop: Header=BB136_20 Depth=1
	s_orn2_b64 s[36:37], s[34:35], exec
.LBB136_166:                            ;   in Loop: Header=BB136_20 Depth=1
	s_or_b64 exec, exec, s[8:9]
	s_mov_b64 s[8:9], 0
	s_and_saveexec_b64 s[34:35], s[36:37]
	s_cbranch_execz .LBB136_255
; %bb.167:                              ;   in Loop: Header=BB136_20 Depth=1
	s_xor_b64 s[36:37], s[14:15], -1
	s_mov_b64 s[14:15], 0
	v_mov_b32_e32 v6, 1
	v_mov_b32_e32 v3, 1
	s_and_saveexec_b64 s[8:9], s[36:37]
	s_cbranch_execz .LBB136_176
; %bb.168:                              ;   in Loop: Header=BB136_20 Depth=1
	v_cmp_ge_u32_e32 vcc, s24, v5
	s_and_saveexec_b64 s[14:15], vcc
	s_xor_b64 s[14:15], exec, s[14:15]
	s_cbranch_execz .LBB136_173
; %bb.169:                              ;   in Loop: Header=BB136_20 Depth=1
	ds_read_b32 v3, v13 offset:4104
	v_and_b32_e32 v6, v33, v4
	v_lshl_or_b32 v33, 1, v37, v6
	v_or_b32_e32 v43, v43, v2
	s_waitcnt lgkmcnt(0)
	v_cmp_ne_u32_e32 vcc, 0, v3
	s_cbranch_vccnz .LBB136_173
; %bb.170:                              ;   in Loop: Header=BB136_20 Depth=1
	s_mov_b64 s[36:37], exec
	v_readlane_b32 s38, v80, 7
	v_readlane_b32 s39, v80, 8
	s_and_b64 s[38:39], s[36:37], s[38:39]
	s_mov_b64 exec, s[38:39]
; %bb.171:                              ;   in Loop: Header=BB136_20 Depth=1
	v_mov_b32_e32 v3, s24
	ds_write_b32 v13, v3 offset:4108
; %bb.172:                              ;   in Loop: Header=BB136_20 Depth=1
	s_or_b64 exec, exec, s[36:37]
	s_waitcnt lgkmcnt(0)
	s_barrier
.LBB136_173:                            ;   in Loop: Header=BB136_20 Depth=1
	s_or_saveexec_b64 s[14:15], s[14:15]
	s_mov_b64 s[36:37], 0
	v_mov_b32_e32 v3, 8
	s_xor_b64 exec, exec, s[14:15]
; %bb.174:                              ;   in Loop: Header=BB136_20 Depth=1
	s_mov_b64 s[36:37], exec
	v_subrev_u32_e32 v5, s24, v5
	v_mov_b32_e32 v3, 0
; %bb.175:                              ;   in Loop: Header=BB136_20 Depth=1
	s_or_b64 exec, exec, s[14:15]
	s_and_b64 s[14:15], s[36:37], exec
	v_mov_b32_e32 v6, v5
.LBB136_176:                            ;   in Loop: Header=BB136_20 Depth=1
	s_or_b64 exec, exec, s[8:9]
	s_mov_b64 s[8:9], -1
                                        ; implicit-def: $sgpr38_sgpr39
                                        ; implicit-def: $sgpr40_sgpr41
	s_and_saveexec_b64 s[36:37], s[14:15]
	s_cbranch_execz .LBB136_254
; %bb.177:                              ;   in Loop: Header=BB136_20 Depth=1
	s_cmp_eq_u32 s54, 1
	s_cselect_b64 s[8:9], -1, 0
	v_cmp_eq_u32_e32 vcc, 1, v6
	s_and_b64 s[14:15], s[8:9], vcc
	s_mov_b64 s[44:45], -1
                                        ; implicit-def: $sgpr40_sgpr41
                                        ; implicit-def: $sgpr38_sgpr39
	s_and_saveexec_b64 s[8:9], s[14:15]
	s_cbranch_execz .LBB136_203
; %bb.178:                              ;   in Loop: Header=BB136_20 Depth=1
	ds_read_b32 v5, v13 offset:4104
	s_waitcnt lgkmcnt(0)
	s_barrier
	v_readfirstlane_b32 s24, v5
	s_and_saveexec_b64 s[38:39], s[6:7]
; %bb.179:                              ;   in Loop: Header=BB136_20 Depth=1
	ds_write_b16 v22, v13
; %bb.180:                              ;   in Loop: Header=BB136_20 Depth=1
	s_or_b64 exec, exec, s[38:39]
	v_and_b32_e32 v5, v33, v4
	v_lshl_or_b32 v33, 2, v37, v5
	v_or_b32_e32 v43, v43, v2
	s_mov_b64 s[38:39], -1
	s_mov_b64 s[40:41], 0
	s_cmp_eq_u32 s24, 0
	s_mov_b64 s[42:43], 0
	s_waitcnt lgkmcnt(0)
	s_barrier
                                        ; implicit-def: $vgpr44
	s_cbranch_scc1 .LBB136_191
; %bb.181:                              ;   in Loop: Header=BB136_20 Depth=1
	s_add_i32 s25, s24, s87
	s_mul_hi_u32 s42, s25, s82
	s_mul_i32 s42, s42, s67
	s_sub_i32 s42, s25, s42
	s_sub_i32 s43, s42, s67
	s_cmp_ge_u32 s42, s67
	s_cselect_b32 s42, s43, s42
	s_sub_i32 s43, s42, s67
	s_cmp_ge_u32 s42, s67
	s_cselect_b32 s42, s43, s42
	s_sub_i32 s25, s25, s42
	v_cmp_gt_u32_e32 vcc, s25, v0
	s_mov_b64 s[44:45], 0
	s_mov_b64 s[42:43], 0
                                        ; implicit-def: $vgpr44
	s_and_saveexec_b64 s[46:47], vcc
	s_cbranch_execz .LBB136_190
; %bb.182:                              ;   in Loop: Header=BB136_20 Depth=1
	v_mov_b32_e32 v5, v21
	v_mov_b32_e32 v7, v0
                                        ; implicit-def: $sgpr48_sgpr49
	s_branch .LBB136_185
.LBB136_183:                            ;   in Loop: Header=BB136_185 Depth=2
	s_or_b64 exec, exec, s[50:51]
	s_waitcnt lgkmcnt(0)
	s_barrier
	ds_read_b32 v8, v13 offset:3072
	s_mov_b64 s[50:51], -1
	s_mov_b64 s[52:53], -1
	s_waitcnt lgkmcnt(0)
	s_barrier
	v_and_b32_e32 v9, 0x7fff, v8
	v_cmp_ne_u32_e32 vcc, 0, v9
	s_cbranch_vccz .LBB136_188
.LBB136_184:                            ;   in Loop: Header=BB136_185 Depth=2
	s_and_b64 s[50:51], exec, s[50:51]
	s_or_b64 s[42:43], s[50:51], s[42:43]
	s_andn2_b64 s[48:49], s[48:49], exec
	s_and_b64 s[50:51], s[52:53], exec
	s_or_b64 s[48:49], s[48:49], s[50:51]
	s_andn2_b64 exec, exec, s[42:43]
	s_cbranch_execz .LBB136_189
.LBB136_185:                            ;   Parent Loop BB136_20 Depth=1
                                        ; =>  This Inner Loop Header: Depth=2
	v_cmp_gt_u32_e32 vcc, s24, v7
	s_and_saveexec_b64 s[50:51], vcc
	s_cbranch_execz .LBB136_183
; %bb.186:                              ;   in Loop: Header=BB136_185 Depth=2
	ds_read_u16 v8, v5
	s_waitcnt lgkmcnt(0)
	v_cmp_lt_i16_e32 vcc, -1, v8
	v_lshlrev_b32_e32 v9, 16, v8
	s_nop 0
	v_cndmask_b32_e32 v12, v38, v39, vcc
	v_xor_b32_sdwa v12, v12, v8 dst_sel:DWORD dst_unused:UNUSED_PAD src0_sel:DWORD src1_sel:WORD_0
	v_cmp_o_f32_e32 vcc, v9, v9
	s_nop 1
	v_cndmask_b32_e32 v9, v38, v12, vcc
	v_and_b32_e32 v9, v9, v43
	v_cmp_eq_u32_e32 vcc, v9, v33
	s_and_b64 exec, exec, vcc
	s_cbranch_execz .LBB136_183
; %bb.187:                              ;   in Loop: Header=BB136_185 Depth=2
	v_perm_b32 v8, v8, s78, v42
	ds_write_b32 v13, v8 offset:3072
	s_branch .LBB136_183
.LBB136_188:                            ;   in Loop: Header=BB136_185 Depth=2
	v_add_u32_e32 v7, s67, v7
	v_cmp_le_u32_e32 vcc, s25, v7
	v_add_u32_e32 v5, s20, v5
	s_mov_b64 s[52:53], 0
	s_orn2_b64 s[50:51], vcc, exec
	s_branch .LBB136_184
.LBB136_189:                            ;   in Loop: Header=BB136_20 Depth=1
	s_or_b64 exec, exec, s[42:43]
	v_lshrrev_b32_e32 v44, 16, v8
	s_and_b64 s[42:43], s[48:49], exec
.LBB136_190:                            ;   in Loop: Header=BB136_20 Depth=1
	s_or_b64 exec, exec, s[46:47]
.LBB136_191:                            ;   in Loop: Header=BB136_20 Depth=1
	s_and_b64 vcc, exec, s[44:45]
	s_cbranch_vccz .LBB136_202
; %bb.192:                              ;   in Loop: Header=BB136_20 Depth=1
                                        ; implicit-def: $vgpr44
	s_mov_b64 s[38:39], exec
	v_readlane_b32 s24, v80, 35
	v_readlane_b32 s25, v80, 36
	s_and_b64 s[24:25], s[38:39], s[24:25]
	s_mov_b64 exec, s[24:25]
	s_cbranch_execz .LBB136_201
; %bb.193:                              ;   in Loop: Header=BB136_20 Depth=1
	s_mov_b64 s[40:41], 0
	v_mov_b32_e32 v12, v10
	v_mov_b32_e32 v5, v0
                                        ; implicit-def: $sgpr44_sgpr45
	s_branch .LBB136_196
.LBB136_194:                            ;   in Loop: Header=BB136_196 Depth=2
	s_or_b64 exec, exec, s[46:47]
	s_waitcnt lgkmcnt(0)
	s_barrier
	ds_read_b32 v7, v13 offset:3072
	s_mov_b64 s[46:47], -1
	s_mov_b64 s[48:49], -1
	s_waitcnt lgkmcnt(0)
	s_barrier
	v_and_b32_e32 v8, 0x7fff, v7
	v_cmp_eq_u32_e32 vcc, 0, v8
	s_cbranch_vccnz .LBB136_199
.LBB136_195:                            ;   in Loop: Header=BB136_196 Depth=2
	s_and_b64 s[24:25], exec, s[46:47]
	s_or_b64 s[40:41], s[24:25], s[40:41]
	s_andn2_b64 s[24:25], s[44:45], exec
	s_and_b64 s[44:45], s[48:49], exec
	s_or_b64 s[44:45], s[24:25], s[44:45]
	s_andn2_b64 exec, exec, s[40:41]
	s_cbranch_execz .LBB136_200
.LBB136_196:                            ;   Parent Loop BB136_20 Depth=1
                                        ; =>  This Inner Loop Header: Depth=2
	v_cmp_gt_u32_e32 vcc, s64, v5
	s_and_saveexec_b64 s[46:47], vcc
	s_cbranch_execz .LBB136_194
; %bb.197:                              ;   in Loop: Header=BB136_196 Depth=2
	v_lshl_add_u64 v[8:9], v[12:13], 1, s[70:71]
	global_load_ushort v7, v[8:9], off
	s_waitcnt vmcnt(0)
	v_cmp_lt_i16_e32 vcc, -1, v7
	v_lshlrev_b32_e32 v8, 16, v7
	s_nop 0
	v_cndmask_b32_e32 v9, v38, v39, vcc
	v_xor_b32_sdwa v9, v9, v7 dst_sel:DWORD dst_unused:UNUSED_PAD src0_sel:DWORD src1_sel:WORD_0
	v_cmp_o_f32_e32 vcc, v8, v8
	s_nop 1
	v_cndmask_b32_e32 v8, v38, v9, vcc
	v_and_b32_e32 v8, v8, v43
	v_cmp_eq_u32_e32 vcc, v8, v33
	s_and_b64 exec, exec, vcc
	s_cbranch_execz .LBB136_194
; %bb.198:                              ;   in Loop: Header=BB136_196 Depth=2
	v_perm_b32 v7, v7, s78, v42
	ds_write_b32 v13, v7 offset:3072
	s_branch .LBB136_194
.LBB136_199:                            ;   in Loop: Header=BB136_196 Depth=2
	v_add_u32_e32 v5, s67, v5
	v_cmp_le_u32_e32 vcc, s83, v5
	v_add_u32_e32 v12, s86, v12
	s_mov_b64 s[48:49], 0
	s_orn2_b64 s[46:47], vcc, exec
	s_branch .LBB136_195
.LBB136_200:                            ;   in Loop: Header=BB136_20 Depth=1
	s_or_b64 exec, exec, s[40:41]
	s_andn2_b64 s[24:25], s[42:43], exec
	s_and_b64 s[40:41], s[44:45], exec
	v_lshrrev_b32_e32 v44, 16, v7
	s_or_b64 s[42:43], s[24:25], s[40:41]
.LBB136_201:                            ;   in Loop: Header=BB136_20 Depth=1
	s_or_b64 exec, exec, s[38:39]
	s_mov_b64 s[38:39], 0
	s_mov_b64 s[40:41], -1
.LBB136_202:                            ;   in Loop: Header=BB136_20 Depth=1
	s_orn2_b64 s[44:45], s[42:43], exec
.LBB136_203:                            ;   in Loop: Header=BB136_20 Depth=1
	s_or_b64 exec, exec, s[8:9]
	s_mov_b64 s[8:9], 0
	s_and_saveexec_b64 s[42:43], s[44:45]
	s_cbranch_execz .LBB136_253
; %bb.204:                              ;   in Loop: Header=BB136_20 Depth=1
	s_xor_b64 s[14:15], s[14:15], -1
	s_mov_b64 s[48:49], 0
	v_mov_b32_e32 v5, 1
	v_mov_b32_e32 v3, 1
	s_and_saveexec_b64 s[8:9], s[14:15]
	s_cbranch_execz .LBB136_213
; %bb.205:                              ;   in Loop: Header=BB136_20 Depth=1
	v_cmp_ge_u32_e32 vcc, s54, v6
	s_and_saveexec_b64 s[14:15], vcc
	s_xor_b64 s[14:15], exec, s[14:15]
	s_cbranch_execz .LBB136_210
; %bb.206:                              ;   in Loop: Header=BB136_20 Depth=1
	ds_read_b32 v3, v13 offset:4104
	v_and_b32_e32 v4, v33, v4
	v_lshl_or_b32 v33, 2, v37, v4
	v_or_b32_e32 v43, v43, v2
	s_waitcnt lgkmcnt(0)
	v_cmp_ne_u32_e32 vcc, 0, v3
	s_cbranch_vccnz .LBB136_210
; %bb.207:                              ;   in Loop: Header=BB136_20 Depth=1
	s_mov_b64 s[44:45], exec
	v_readlane_b32 s24, v80, 7
	v_readlane_b32 s25, v80, 8
	s_and_b64 s[24:25], s[44:45], s[24:25]
	s_mov_b64 exec, s[24:25]
; %bb.208:                              ;   in Loop: Header=BB136_20 Depth=1
	v_mov_b32_e32 v3, s54
	ds_write_b32 v13, v3 offset:4108
; %bb.209:                              ;   in Loop: Header=BB136_20 Depth=1
	s_or_b64 exec, exec, s[44:45]
	s_waitcnt lgkmcnt(0)
	s_barrier
.LBB136_210:                            ;   in Loop: Header=BB136_20 Depth=1
	s_or_saveexec_b64 s[14:15], s[14:15]
	s_mov_b64 s[44:45], 0
	v_mov_b32_e32 v3, 8
	s_xor_b64 exec, exec, s[14:15]
; %bb.211:                              ;   in Loop: Header=BB136_20 Depth=1
	s_mov_b64 s[44:45], exec
	v_subrev_u32_e32 v6, s54, v6
	v_mov_b32_e32 v3, 0
; %bb.212:                              ;   in Loop: Header=BB136_20 Depth=1
	s_or_b64 exec, exec, s[14:15]
	s_and_b64 s[48:49], s[44:45], exec
	v_mov_b32_e32 v5, v6
.LBB136_213:                            ;   in Loop: Header=BB136_20 Depth=1
	s_or_b64 exec, exec, s[8:9]
	s_mov_b64 s[46:47], -1
                                        ; implicit-def: $sgpr8_sgpr9
                                        ; implicit-def: $sgpr14_sgpr15
	s_and_saveexec_b64 s[44:45], s[48:49]
	s_cbranch_execz .LBB136_252
; %bb.214:                              ;   in Loop: Header=BB136_20 Depth=1
	s_cmp_eq_u32 s62, 1
	s_cselect_b64 s[8:9], -1, 0
	v_cmp_eq_u32_e32 vcc, 1, v5
	s_and_b64 s[46:47], s[8:9], vcc
	s_mov_b64 s[50:51], -1
                                        ; implicit-def: $sgpr8_sgpr9
                                        ; implicit-def: $sgpr14_sgpr15
	s_and_saveexec_b64 s[48:49], s[46:47]
	s_cbranch_execz .LBB136_240
; %bb.215:                              ;   in Loop: Header=BB136_20 Depth=1
	ds_read_b32 v4, v13 offset:4104
	s_waitcnt lgkmcnt(0)
	s_barrier
	v_readfirstlane_b32 s24, v4
	s_and_saveexec_b64 s[8:9], s[6:7]
; %bb.216:                              ;   in Loop: Header=BB136_20 Depth=1
	ds_write_b16 v22, v13
; %bb.217:                              ;   in Loop: Header=BB136_20 Depth=1
	s_or_b64 exec, exec, s[8:9]
	v_or_b32_e32 v33, v33, v2
	v_or_b32_e32 v43, v43, v2
	s_mov_b64 s[14:15], -1
	s_mov_b64 s[8:9], 0
	s_cmp_eq_u32 s24, 0
	s_mov_b64 s[50:51], 0
	s_mov_b64 s[52:53], -1
	s_waitcnt lgkmcnt(0)
	s_barrier
                                        ; implicit-def: $vgpr44
	s_cbranch_scc1 .LBB136_228
; %bb.218:                              ;   in Loop: Header=BB136_20 Depth=1
	s_add_i32 s25, s24, s87
	s_mul_hi_u32 s50, s25, s82
	s_mul_i32 s50, s50, s67
	s_sub_i32 s50, s25, s50
	s_sub_i32 s51, s50, s67
	s_cmp_ge_u32 s50, s67
	s_cselect_b32 s50, s51, s50
	s_sub_i32 s51, s50, s67
	s_cmp_ge_u32 s50, s67
	s_cselect_b32 s50, s51, s50
	s_sub_i32 s25, s25, s50
	v_cmp_gt_u32_e32 vcc, s25, v0
	s_mov_b64 s[52:53], 0
	s_mov_b64 s[50:51], 0
                                        ; implicit-def: $vgpr44
	s_and_saveexec_b64 s[54:55], vcc
	s_cbranch_execz .LBB136_227
; %bb.219:                              ;   in Loop: Header=BB136_20 Depth=1
	v_mov_b32_e32 v4, v21
	v_mov_b32_e32 v6, v0
                                        ; implicit-def: $sgpr56_sgpr57
	s_branch .LBB136_222
.LBB136_220:                            ;   in Loop: Header=BB136_222 Depth=2
	s_or_b64 exec, exec, s[58:59]
	s_waitcnt lgkmcnt(0)
	s_barrier
	ds_read_b32 v7, v13 offset:3072
	s_mov_b64 s[58:59], -1
	s_mov_b64 s[60:61], -1
	s_waitcnt lgkmcnt(0)
	s_barrier
	v_and_b32_e32 v8, 0x7fff, v7
	v_cmp_ne_u32_e32 vcc, 0, v8
	s_cbranch_vccz .LBB136_225
.LBB136_221:                            ;   in Loop: Header=BB136_222 Depth=2
	s_and_b64 s[58:59], exec, s[58:59]
	s_or_b64 s[50:51], s[58:59], s[50:51]
	s_andn2_b64 s[56:57], s[56:57], exec
	s_and_b64 s[58:59], s[60:61], exec
	s_or_b64 s[56:57], s[56:57], s[58:59]
	s_andn2_b64 exec, exec, s[50:51]
	s_cbranch_execz .LBB136_226
.LBB136_222:                            ;   Parent Loop BB136_20 Depth=1
                                        ; =>  This Inner Loop Header: Depth=2
	v_cmp_gt_u32_e32 vcc, s24, v6
	s_and_saveexec_b64 s[58:59], vcc
	s_cbranch_execz .LBB136_220
; %bb.223:                              ;   in Loop: Header=BB136_222 Depth=2
	ds_read_u16 v7, v4
	s_waitcnt lgkmcnt(0)
	v_cmp_lt_i16_e32 vcc, -1, v7
	v_lshlrev_b32_e32 v8, 16, v7
	s_nop 0
	v_cndmask_b32_e32 v9, v38, v39, vcc
	v_xor_b32_sdwa v9, v9, v7 dst_sel:DWORD dst_unused:UNUSED_PAD src0_sel:DWORD src1_sel:WORD_0
	v_cmp_o_f32_e32 vcc, v8, v8
	s_nop 1
	v_cndmask_b32_e32 v8, v38, v9, vcc
	v_and_b32_e32 v8, v8, v43
	v_cmp_eq_u32_e32 vcc, v8, v33
	s_and_b64 exec, exec, vcc
	s_cbranch_execz .LBB136_220
; %bb.224:                              ;   in Loop: Header=BB136_222 Depth=2
	v_perm_b32 v7, v7, s78, v42
	ds_write_b32 v13, v7 offset:3072
	s_branch .LBB136_220
.LBB136_225:                            ;   in Loop: Header=BB136_222 Depth=2
	v_add_u32_e32 v6, s67, v6
	v_cmp_le_u32_e32 vcc, s25, v6
	v_add_u32_e32 v4, s20, v4
	s_mov_b64 s[60:61], 0
	s_orn2_b64 s[58:59], vcc, exec
	s_branch .LBB136_221
.LBB136_226:                            ;   in Loop: Header=BB136_20 Depth=1
	s_or_b64 exec, exec, s[50:51]
	v_lshrrev_b32_e32 v44, 16, v7
	s_and_b64 s[50:51], s[56:57], exec
.LBB136_227:                            ;   in Loop: Header=BB136_20 Depth=1
	s_or_b64 exec, exec, s[54:55]
.LBB136_228:                            ;   in Loop: Header=BB136_20 Depth=1
	s_and_b64 vcc, exec, s[52:53]
	s_cbranch_vccz .LBB136_239
; %bb.229:                              ;   in Loop: Header=BB136_20 Depth=1
                                        ; implicit-def: $vgpr44
	s_mov_b64 s[8:9], exec
	v_readlane_b32 s14, v80, 35
	v_readlane_b32 s15, v80, 36
	s_and_b64 s[14:15], s[8:9], s[14:15]
	s_mov_b64 exec, s[14:15]
	s_cbranch_execz .LBB136_238
; %bb.230:                              ;   in Loop: Header=BB136_20 Depth=1
	s_mov_b64 s[14:15], 0
	v_mov_b32_e32 v12, v10
	v_mov_b32_e32 v4, v0
                                        ; implicit-def: $sgpr52_sgpr53
	s_branch .LBB136_233
.LBB136_231:                            ;   in Loop: Header=BB136_233 Depth=2
	s_or_b64 exec, exec, s[54:55]
	s_waitcnt lgkmcnt(0)
	s_barrier
	ds_read_b32 v6, v13 offset:3072
	s_mov_b64 s[54:55], -1
	s_mov_b64 s[56:57], -1
	s_waitcnt lgkmcnt(0)
	s_barrier
	v_and_b32_e32 v7, 0x7fff, v6
	v_cmp_eq_u32_e32 vcc, 0, v7
	s_cbranch_vccnz .LBB136_236
.LBB136_232:                            ;   in Loop: Header=BB136_233 Depth=2
	s_and_b64 s[24:25], exec, s[54:55]
	s_or_b64 s[14:15], s[24:25], s[14:15]
	s_andn2_b64 s[24:25], s[52:53], exec
	s_and_b64 s[52:53], s[56:57], exec
	s_or_b64 s[52:53], s[24:25], s[52:53]
	s_andn2_b64 exec, exec, s[14:15]
	s_cbranch_execz .LBB136_237
.LBB136_233:                            ;   Parent Loop BB136_20 Depth=1
                                        ; =>  This Inner Loop Header: Depth=2
	v_cmp_gt_u32_e32 vcc, s64, v4
	s_and_saveexec_b64 s[54:55], vcc
	s_cbranch_execz .LBB136_231
; %bb.234:                              ;   in Loop: Header=BB136_233 Depth=2
	v_lshl_add_u64 v[6:7], v[12:13], 1, s[70:71]
	global_load_ushort v6, v[6:7], off
	s_waitcnt vmcnt(0)
	v_cmp_lt_i16_e32 vcc, -1, v6
	v_lshlrev_b32_e32 v7, 16, v6
	s_nop 0
	v_cndmask_b32_e32 v8, v38, v39, vcc
	v_xor_b32_sdwa v8, v8, v6 dst_sel:DWORD dst_unused:UNUSED_PAD src0_sel:DWORD src1_sel:WORD_0
	v_cmp_o_f32_e32 vcc, v7, v7
	s_nop 1
	v_cndmask_b32_e32 v7, v38, v8, vcc
	v_and_b32_e32 v7, v7, v43
	v_cmp_eq_u32_e32 vcc, v7, v33
	s_and_b64 exec, exec, vcc
	s_cbranch_execz .LBB136_231
; %bb.235:                              ;   in Loop: Header=BB136_233 Depth=2
	v_perm_b32 v6, v6, s78, v42
	ds_write_b32 v13, v6 offset:3072
	s_branch .LBB136_231
.LBB136_236:                            ;   in Loop: Header=BB136_233 Depth=2
	v_add_u32_e32 v4, s67, v4
	v_cmp_le_u32_e32 vcc, s83, v4
	v_add_u32_e32 v12, s86, v12
	s_mov_b64 s[56:57], 0
	s_orn2_b64 s[54:55], vcc, exec
	s_branch .LBB136_232
.LBB136_237:                            ;   in Loop: Header=BB136_20 Depth=1
	s_or_b64 exec, exec, s[14:15]
	s_andn2_b64 s[14:15], s[50:51], exec
	s_and_b64 s[24:25], s[52:53], exec
	v_lshrrev_b32_e32 v44, 16, v6
	s_or_b64 s[50:51], s[14:15], s[24:25]
.LBB136_238:                            ;   in Loop: Header=BB136_20 Depth=1
	s_or_b64 exec, exec, s[8:9]
	s_mov_b64 s[14:15], 0
	s_mov_b64 s[8:9], -1
.LBB136_239:                            ;   in Loop: Header=BB136_20 Depth=1
	s_orn2_b64 s[50:51], s[50:51], exec
.LBB136_240:                            ;   in Loop: Header=BB136_20 Depth=1
	s_or_b64 exec, exec, s[48:49]
	s_mov_b64 s[52:53], 0
	s_and_saveexec_b64 s[48:49], s[50:51]
	s_cbranch_execz .LBB136_251
; %bb.241:                              ;   in Loop: Header=BB136_20 Depth=1
	s_xor_b64 s[24:25], s[46:47], -1
	v_mov_b32_e32 v3, 1
	v_mov_b32_e32 v4, 1
	s_and_saveexec_b64 s[46:47], s[24:25]
	s_cbranch_execz .LBB136_250
; %bb.242:                              ;   in Loop: Header=BB136_20 Depth=1
	v_cmp_ge_u32_e32 vcc, s62, v5
	s_and_saveexec_b64 s[24:25], vcc
	s_xor_b64 s[50:51], exec, s[24:25]
	s_cbranch_execz .LBB136_247
; %bb.243:                              ;   in Loop: Header=BB136_20 Depth=1
	ds_read_b32 v3, v13 offset:4104
	v_or_b32_e32 v33, v33, v2
	v_or_b32_e32 v43, v43, v2
	s_waitcnt lgkmcnt(0)
	v_cmp_ne_u32_e32 vcc, 0, v3
	s_cbranch_vccnz .LBB136_247
; %bb.244:                              ;   in Loop: Header=BB136_20 Depth=1
	s_mov_b64 s[52:53], exec
	v_readlane_b32 s24, v80, 7
	v_readlane_b32 s25, v80, 8
	s_and_b64 s[24:25], s[52:53], s[24:25]
	s_mov_b64 exec, s[24:25]
; %bb.245:                              ;   in Loop: Header=BB136_20 Depth=1
	v_mov_b32_e32 v2, s62
	ds_write_b32 v13, v2 offset:4108
; %bb.246:                              ;   in Loop: Header=BB136_20 Depth=1
	s_or_b64 exec, exec, s[52:53]
	s_waitcnt lgkmcnt(0)
	s_barrier
.LBB136_247:                            ;   in Loop: Header=BB136_20 Depth=1
	s_andn2_saveexec_b64 s[50:51], s[50:51]
; %bb.248:                              ;   in Loop: Header=BB136_20 Depth=1
	v_subrev_u32_e32 v5, s62, v5
; %bb.249:                              ;   in Loop: Header=BB136_20 Depth=1
	s_or_b64 exec, exec, s[50:51]
	v_mov_b32_e32 v3, 8
	v_mov_b32_e32 v4, v5
.LBB136_250:                            ;   in Loop: Header=BB136_20 Depth=1
	s_or_b64 exec, exec, s[46:47]
	s_mov_b64 s[52:53], exec
	v_mov_b32_e32 v5, v4
.LBB136_251:                            ;   in Loop: Header=BB136_20 Depth=1
	s_or_b64 exec, exec, s[48:49]
	s_orn2_b64 s[46:47], s[52:53], exec
.LBB136_252:                            ;   in Loop: Header=BB136_20 Depth=1
	s_or_b64 exec, exec, s[44:45]
	s_andn2_b64 s[24:25], s[40:41], exec
	s_and_b64 s[8:9], s[8:9], exec
	s_or_b64 s[40:41], s[24:25], s[8:9]
	s_andn2_b64 s[8:9], s[38:39], exec
	s_and_b64 s[14:15], s[14:15], exec
	s_or_b64 s[38:39], s[8:9], s[14:15]
	s_and_b64 s[8:9], s[46:47], exec
	v_mov_b32_e32 v6, v5
.LBB136_253:                            ;   in Loop: Header=BB136_20 Depth=1
	s_or_b64 exec, exec, s[42:43]
	s_orn2_b64 s[8:9], s[8:9], exec
.LBB136_254:                            ;   in Loop: Header=BB136_20 Depth=1
	s_or_b64 exec, exec, s[36:37]
	s_andn2_b64 s[14:15], s[30:31], exec
	s_and_b64 s[24:25], s[40:41], exec
	s_or_b64 s[30:31], s[14:15], s[24:25]
	s_andn2_b64 s[14:15], s[28:29], exec
	s_and_b64 s[24:25], s[38:39], exec
	s_or_b64 s[28:29], s[14:15], s[24:25]
	s_and_b64 s[8:9], s[8:9], exec
	v_mov_b32_e32 v5, v6
.LBB136_255:                            ;   in Loop: Header=BB136_20 Depth=1
	s_or_b64 exec, exec, s[34:35]
	s_orn2_b64 s[8:9], s[8:9], exec
.LBB136_256:                            ;   in Loop: Header=BB136_20 Depth=1
	s_or_b64 exec, exec, s[26:27]
	s_mov_b64 s[14:15], 0
                                        ; implicit-def: $sgpr34
	s_and_saveexec_b64 s[24:25], s[8:9]
	s_xor_b64 s[8:9], exec, s[24:25]
	s_cbranch_execz .LBB136_18
; %bb.257:                              ;   in Loop: Header=BB136_20 Depth=1
	v_and_b32_e32 v2, 7, v3
	v_cmp_eq_u32_e32 vcc, 0, v2
	s_mov_b64 s[2:3], -1
	s_mov_b64 s[14:15], -1
                                        ; implicit-def: $sgpr34
	s_and_saveexec_b64 s[26:27], vcc
	s_cbranch_execz .LBB136_17
; %bb.258:                              ;   in Loop: Header=BB136_20 Depth=1
	v_add_u32_e32 v2, -2, v37
	v_cmp_eq_u32_e32 vcc, 0, v37
	s_xor_b32 s34, s79, 1
	s_xor_b64 s[14:15], exec, -1
	s_orn2_b64 s[2:3], vcc, exec
	v_mov_b32_e32 v37, v2
	s_branch .LBB136_17
.LBB136_259:
	s_or_b64 exec, exec, s[92:93]
	s_xor_b64 s[4:5], s[98:99], -1
	s_xor_b64 s[2:3], s[94:95], -1
	;; [unrolled: 1-line block ×3, first 2 shown]
	s_mov_b64 s[0:1], 0
	s_and_saveexec_b64 s[8:9], s[2:3]
	s_xor_b64 s[2:3], exec, s[8:9]
	s_cbranch_execnz .LBB136_264
; %bb.260:
	s_andn2_saveexec_b64 s[2:3], s[2:3]
	s_cbranch_execnz .LBB136_277
.LBB136_261:
	s_or_b64 exec, exec, s[2:3]
	s_and_saveexec_b64 s[2:3], s[0:1]
.LBB136_262:
	; divergent unreachable
.LBB136_263:
	s_endpgm
.LBB136_264:
	s_and_saveexec_b64 s[0:1], s[4:5]
	s_xor_b64 s[4:5], exec, s[0:1]
	s_cbranch_execz .LBB136_275
; %bb.265:
	s_and_saveexec_b64 s[0:1], s[6:7]
	s_xor_b64 s[0:1], exec, s[0:1]
; %bb.266:
	v_and_b32_e32 v1, 0x8000, v33
	v_mov_b32_e32 v2, 0x8000
	v_mov_b32_e32 v3, 0xffff
	v_cmp_eq_u32_e32 vcc, 0, v1
	s_nop 1
	v_cndmask_b32_e32 v1, v2, v3, vcc
	v_xor_b32_e32 v44, v1, v33
; %bb.267:
	s_or_b64 exec, exec, s[0:1]
	v_readlane_b32 s0, v80, 4
	v_readlane_b32 s1, v80, 10
	s_mul_i32 s0, s1, s0
	s_mov_b32 s1, 0
	s_lshl_b64 s[0:1], s[0:1], 1
	v_readlane_b32 s6, v80, 2
	v_readlane_b32 s7, v80, 3
	s_add_u32 s0, s6, s0
	s_addc_u32 s1, s7, s1
	v_mov_b32_e32 v11, 0
	global_store_short v11, v44, s[0:1]
	s_mov_b64 s[6:7], exec
	v_readlane_b32 s0, v80, 5
	v_readlane_b32 s1, v80, 6
	s_and_b64 s[0:1], s[6:7], s[0:1]
	s_mov_b64 exec, s[0:1]
	s_cbranch_execz .LBB136_274
; %bb.268:
	v_lshlrev_b32_e32 v1, 16, v44
	v_cmp_u_f32_e32 vcc, v1, v1
	s_mov_b64 s[8:9], 0
	s_xor_b64 s[12:13], vcc, -1
                                        ; implicit-def: $sgpr10_sgpr11
                                        ; implicit-def: $sgpr16_sgpr17
                                        ; implicit-def: $sgpr14_sgpr15
	s_branch .LBB136_270
.LBB136_269:                            ;   in Loop: Header=BB136_270 Depth=1
	s_or_b64 exec, exec, s[0:1]
	s_and_b64 s[0:1], exec, s[16:17]
	s_or_b64 s[8:9], s[0:1], s[8:9]
	s_andn2_b64 s[0:1], s[10:11], exec
	s_and_b64 s[10:11], s[14:15], exec
	s_or_b64 s[10:11], s[0:1], s[10:11]
	s_andn2_b64 exec, exec, s[8:9]
	s_cbranch_execz .LBB136_272
.LBB136_270:                            ; =>This Inner Loop Header: Depth=1
	v_lshl_add_u64 v[2:3], v[10:11], 1, s[70:71]
	global_load_ushort v3, v[2:3], off
	v_mov_b32_e32 v2, v0
	s_or_b64 s[14:15], s[14:15], exec
	s_or_b64 s[16:17], s[16:17], exec
	s_waitcnt vmcnt(0)
	v_lshlrev_b32_e32 v0, 16, v3
	v_cmp_o_f32_e64 s[0:1], v0, v0
	v_cmp_neq_f32_e32 vcc, v0, v1
	s_or_b64 s[0:1], s[12:13], s[0:1]
	s_and_b64 s[18:19], vcc, s[0:1]
                                        ; implicit-def: $vgpr0
	s_and_saveexec_b64 s[0:1], s[18:19]
	s_cbranch_execz .LBB136_269
; %bb.271:                              ;   in Loop: Header=BB136_270 Depth=1
	v_add_u32_e32 v0, s67, v2
	v_cmp_le_u32_e32 vcc, s64, v0
	s_andn2_b64 s[16:17], s[16:17], exec
	s_and_b64 s[18:19], vcc, exec
	v_add_u32_e32 v10, s86, v10
	s_andn2_b64 s[14:15], s[14:15], exec
	s_or_b64 s[16:17], s[16:17], s[18:19]
	s_branch .LBB136_269
.LBB136_272:
	s_or_b64 exec, exec, s[8:9]
	s_and_saveexec_b64 s[0:1], s[10:11]
	s_xor_b64 s[0:1], exec, s[0:1]
	s_cbranch_execz .LBB136_274
; %bb.273:
	v_readlane_b32 s0, v80, 4
	v_readlane_b32 s1, v80, 9
	s_mul_i32 s0, s1, s0
	s_mov_b32 s1, 0
	s_lshl_b64 s[0:1], s[0:1], 3
	v_readlane_b32 s8, v80, 0
	v_readlane_b32 s9, v80, 1
	s_add_u32 s0, s8, s0
	s_addc_u32 s1, s9, s1
	v_mov_b32_e32 v3, 0
	global_store_dwordx2 v3, v[2:3], s[0:1]
.LBB136_274:
	s_or_b64 exec, exec, s[6:7]
.LBB136_275:
	s_or_saveexec_b64 s[0:1], s[4:5]
	s_mov_b64 s[4:5], 0
	s_xor_b64 exec, exec, s[0:1]
	s_cbranch_execnz .LBB136_278
.LBB136_276:
	s_or_b64 exec, exec, s[0:1]
	s_and_b64 s[0:1], s[4:5], exec
	s_andn2_saveexec_b64 s[2:3], s[2:3]
	s_cbranch_execz .LBB136_261
.LBB136_277:
	s_or_b64 s[0:1], s[0:1], exec
	s_trap 2
	s_or_b64 exec, exec, s[2:3]
	s_and_saveexec_b64 s[2:3], s[0:1]
	s_cbranch_execnz .LBB136_262
	s_branch .LBB136_263
.LBB136_278:
	s_mov_b64 s[4:5], exec
	s_trap 2
	s_branch .LBB136_276
	.section	.rodata,"a",@progbits
	.p2align	6, 0x0
	.amdhsa_kernel _ZN2at6native12_GLOBAL__N_112gatherMedianIN3c108BFloat16EjLi1EEEvNS_4cuda6detail10TensorInfoIT_T0_EENS7_IlS9_EENS7_IKS8_S9_EES9_S9_S9_b
		.amdhsa_group_segment_fixed_size 4120
		.amdhsa_private_segment_fixed_size 0
		.amdhsa_kernarg_size 920
		.amdhsa_user_sgpr_count 2
		.amdhsa_user_sgpr_dispatch_ptr 0
		.amdhsa_user_sgpr_queue_ptr 0
		.amdhsa_user_sgpr_kernarg_segment_ptr 1
		.amdhsa_user_sgpr_dispatch_id 0
		.amdhsa_user_sgpr_kernarg_preload_length 0
		.amdhsa_user_sgpr_kernarg_preload_offset 0
		.amdhsa_user_sgpr_private_segment_size 0
		.amdhsa_uses_dynamic_stack 0
		.amdhsa_enable_private_segment 0
		.amdhsa_system_sgpr_workgroup_id_x 1
		.amdhsa_system_sgpr_workgroup_id_y 1
		.amdhsa_system_sgpr_workgroup_id_z 1
		.amdhsa_system_sgpr_workgroup_info 0
		.amdhsa_system_vgpr_workitem_id 0
		.amdhsa_next_free_vgpr 81
		.amdhsa_next_free_sgpr 100
		.amdhsa_accum_offset 84
		.amdhsa_reserve_vcc 1
		.amdhsa_float_round_mode_32 0
		.amdhsa_float_round_mode_16_64 0
		.amdhsa_float_denorm_mode_32 3
		.amdhsa_float_denorm_mode_16_64 3
		.amdhsa_dx10_clamp 1
		.amdhsa_ieee_mode 1
		.amdhsa_fp16_overflow 0
		.amdhsa_tg_split 0
		.amdhsa_exception_fp_ieee_invalid_op 0
		.amdhsa_exception_fp_denorm_src 0
		.amdhsa_exception_fp_ieee_div_zero 0
		.amdhsa_exception_fp_ieee_overflow 0
		.amdhsa_exception_fp_ieee_underflow 0
		.amdhsa_exception_fp_ieee_inexact 0
		.amdhsa_exception_int_div_zero 0
	.end_amdhsa_kernel
	.section	.text._ZN2at6native12_GLOBAL__N_112gatherMedianIN3c108BFloat16EjLi1EEEvNS_4cuda6detail10TensorInfoIT_T0_EENS7_IlS9_EENS7_IKS8_S9_EES9_S9_S9_b,"axG",@progbits,_ZN2at6native12_GLOBAL__N_112gatherMedianIN3c108BFloat16EjLi1EEEvNS_4cuda6detail10TensorInfoIT_T0_EENS7_IlS9_EENS7_IKS8_S9_EES9_S9_S9_b,comdat
.Lfunc_end136:
	.size	_ZN2at6native12_GLOBAL__N_112gatherMedianIN3c108BFloat16EjLi1EEEvNS_4cuda6detail10TensorInfoIT_T0_EENS7_IlS9_EENS7_IKS8_S9_EES9_S9_S9_b, .Lfunc_end136-_ZN2at6native12_GLOBAL__N_112gatherMedianIN3c108BFloat16EjLi1EEEvNS_4cuda6detail10TensorInfoIT_T0_EENS7_IlS9_EENS7_IKS8_S9_EES9_S9_S9_b
                                        ; -- End function
	.set _ZN2at6native12_GLOBAL__N_112gatherMedianIN3c108BFloat16EjLi1EEEvNS_4cuda6detail10TensorInfoIT_T0_EENS7_IlS9_EENS7_IKS8_S9_EES9_S9_S9_b.num_vgpr, 81
	.set _ZN2at6native12_GLOBAL__N_112gatherMedianIN3c108BFloat16EjLi1EEEvNS_4cuda6detail10TensorInfoIT_T0_EENS7_IlS9_EENS7_IKS8_S9_EES9_S9_S9_b.num_agpr, 0
	.set _ZN2at6native12_GLOBAL__N_112gatherMedianIN3c108BFloat16EjLi1EEEvNS_4cuda6detail10TensorInfoIT_T0_EENS7_IlS9_EENS7_IKS8_S9_EES9_S9_S9_b.numbered_sgpr, 100
	.set _ZN2at6native12_GLOBAL__N_112gatherMedianIN3c108BFloat16EjLi1EEEvNS_4cuda6detail10TensorInfoIT_T0_EENS7_IlS9_EENS7_IKS8_S9_EES9_S9_S9_b.num_named_barrier, 0
	.set _ZN2at6native12_GLOBAL__N_112gatherMedianIN3c108BFloat16EjLi1EEEvNS_4cuda6detail10TensorInfoIT_T0_EENS7_IlS9_EENS7_IKS8_S9_EES9_S9_S9_b.private_seg_size, 0
	.set _ZN2at6native12_GLOBAL__N_112gatherMedianIN3c108BFloat16EjLi1EEEvNS_4cuda6detail10TensorInfoIT_T0_EENS7_IlS9_EENS7_IKS8_S9_EES9_S9_S9_b.uses_vcc, 1
	.set _ZN2at6native12_GLOBAL__N_112gatherMedianIN3c108BFloat16EjLi1EEEvNS_4cuda6detail10TensorInfoIT_T0_EENS7_IlS9_EENS7_IKS8_S9_EES9_S9_S9_b.uses_flat_scratch, 0
	.set _ZN2at6native12_GLOBAL__N_112gatherMedianIN3c108BFloat16EjLi1EEEvNS_4cuda6detail10TensorInfoIT_T0_EENS7_IlS9_EENS7_IKS8_S9_EES9_S9_S9_b.has_dyn_sized_stack, 0
	.set _ZN2at6native12_GLOBAL__N_112gatherMedianIN3c108BFloat16EjLi1EEEvNS_4cuda6detail10TensorInfoIT_T0_EENS7_IlS9_EENS7_IKS8_S9_EES9_S9_S9_b.has_recursion, 0
	.set _ZN2at6native12_GLOBAL__N_112gatherMedianIN3c108BFloat16EjLi1EEEvNS_4cuda6detail10TensorInfoIT_T0_EENS7_IlS9_EENS7_IKS8_S9_EES9_S9_S9_b.has_indirect_call, 0
	.section	.AMDGPU.csdata,"",@progbits
; Kernel info:
; codeLenInByte = 11664
; TotalNumSgprs: 106
; NumVgprs: 81
; NumAgprs: 0
; TotalNumVgprs: 81
; ScratchSize: 0
; MemoryBound: 0
; FloatMode: 240
; IeeeMode: 1
; LDSByteSize: 4120 bytes/workgroup (compile time only)
; SGPRBlocks: 13
; VGPRBlocks: 10
; NumSGPRsForWavesPerEU: 106
; NumVGPRsForWavesPerEU: 81
; AccumOffset: 84
; Occupancy: 5
; WaveLimiterHint : 1
; COMPUTE_PGM_RSRC2:SCRATCH_EN: 0
; COMPUTE_PGM_RSRC2:USER_SGPR: 2
; COMPUTE_PGM_RSRC2:TRAP_HANDLER: 0
; COMPUTE_PGM_RSRC2:TGID_X_EN: 1
; COMPUTE_PGM_RSRC2:TGID_Y_EN: 1
; COMPUTE_PGM_RSRC2:TGID_Z_EN: 1
; COMPUTE_PGM_RSRC2:TIDIG_COMP_CNT: 0
; COMPUTE_PGM_RSRC3_GFX90A:ACCUM_OFFSET: 20
; COMPUTE_PGM_RSRC3_GFX90A:TG_SPLIT: 0
	.section	.text._ZN2at6native12_GLOBAL__N_112gatherMedianIN3c108BFloat16EjLi2EEEvNS_4cuda6detail10TensorInfoIT_T0_EENS7_IlS9_EENS7_IKS8_S9_EES9_S9_S9_b,"axG",@progbits,_ZN2at6native12_GLOBAL__N_112gatherMedianIN3c108BFloat16EjLi2EEEvNS_4cuda6detail10TensorInfoIT_T0_EENS7_IlS9_EENS7_IKS8_S9_EES9_S9_S9_b,comdat
	.globl	_ZN2at6native12_GLOBAL__N_112gatherMedianIN3c108BFloat16EjLi2EEEvNS_4cuda6detail10TensorInfoIT_T0_EENS7_IlS9_EENS7_IKS8_S9_EES9_S9_S9_b ; -- Begin function _ZN2at6native12_GLOBAL__N_112gatherMedianIN3c108BFloat16EjLi2EEEvNS_4cuda6detail10TensorInfoIT_T0_EENS7_IlS9_EENS7_IKS8_S9_EES9_S9_S9_b
	.p2align	8
	.type	_ZN2at6native12_GLOBAL__N_112gatherMedianIN3c108BFloat16EjLi2EEEvNS_4cuda6detail10TensorInfoIT_T0_EENS7_IlS9_EENS7_IKS8_S9_EES9_S9_S9_b,@function
_ZN2at6native12_GLOBAL__N_112gatherMedianIN3c108BFloat16EjLi2EEEvNS_4cuda6detail10TensorInfoIT_T0_EENS7_IlS9_EENS7_IKS8_S9_EES9_S9_S9_b: ; @_ZN2at6native12_GLOBAL__N_112gatherMedianIN3c108BFloat16EjLi2EEEvNS_4cuda6detail10TensorInfoIT_T0_EENS7_IlS9_EENS7_IKS8_S9_EES9_S9_S9_b
; %bb.0:
	s_load_dwordx2 s[10:11], s[0:1], 0x298
	s_load_dwordx4 s[64:67], s[0:1], 0x288
	s_add_u32 s8, s0, 0x298
	s_addc_u32 s9, s1, 0
	s_waitcnt lgkmcnt(0)
	s_mul_i32 s4, s11, s4
	s_add_i32 s3, s4, s3
	s_mul_i32 s3, s3, s10
	s_add_i32 s4, s3, s2
	s_cmp_ge_u32 s4, s65
	s_cbranch_scc1 .LBB137_263
; %bb.1:
	s_load_dword s13, s[0:1], 0xc
	s_load_dword s12, s[0:1], 0xe4
	s_mov_b32 s11, s4
	s_load_dwordx2 s[4:5], s[0:1], 0x1b0
	s_load_dwordx2 s[6:7], s[0:1], 0x144
                                        ; implicit-def: $vgpr82 : SGPR spill to VGPR lane
	s_load_dword s3, s[0:1], 0x1bc
	s_waitcnt lgkmcnt(0)
	v_cvt_f32_u32_e32 v1, s13
	v_cvt_f32_u32_e32 v2, s12
                                        ; kill: killed $sgpr0 killed $sgpr1
	v_writelane_b32 v82, s6, 0
	v_rcp_iflag_f32_e32 v1, v1
	s_nop 0
	v_writelane_b32 v82, s7, 1
	s_load_dwordx2 s[6:7], s[0:1], 0xd8
	v_rcp_iflag_f32_e32 v2, v2
	v_mul_f32_e32 v1, 0x4f7ffffe, v1
	v_cvt_u32_f32_e32 v1, v1
	s_waitcnt lgkmcnt(0)
	v_writelane_b32 v82, s6, 2
	v_mul_f32_e32 v2, 0x4f7ffffe, v2
	s_nop 0
	v_writelane_b32 v82, s7, 3
	s_load_dwordx2 s[6:7], s[0:1], 0x6c
	s_waitcnt lgkmcnt(0)
	v_writelane_b32 v82, s6, 4
	s_nop 1
	v_writelane_b32 v82, s7, 5
	s_load_dwordx2 s[6:7], s[0:1], 0x0
	v_cvt_f32_u32_e32 v3, s3
	s_waitcnt lgkmcnt(0)
	v_writelane_b32 v82, s6, 6
	s_nop 1
	v_writelane_b32 v82, s7, 7
	s_load_dwordx2 s[6:7], s[0:1], 0x21c
	s_sub_i32 s0, 0, s13
	v_readfirstlane_b32 s1, v1
	s_mul_i32 s0, s0, s1
	v_cvt_u32_f32_e32 v1, v2
	s_mul_hi_u32 s0, s1, s0
	v_rcp_iflag_f32_e32 v2, v3
	s_add_i32 s1, s1, s0
	v_writelane_b32 v82, s13, 8
	s_mul_hi_u32 s0, s11, s1
	v_writelane_b32 v82, s0, 9
	s_sub_i32 s0, 0, s12
	v_readfirstlane_b32 s1, v1
	s_mul_i32 s0, s0, s1
	v_mul_f32_e32 v1, 0x4f7ffffe, v2
	s_mul_hi_u32 s0, s1, s0
	v_cvt_u32_f32_e32 v1, v1
	s_add_i32 s1, s1, s0
	v_writelane_b32 v82, s12, 10
	s_mul_hi_u32 s0, s11, s1
	v_writelane_b32 v82, s0, 11
	s_sub_i32 s0, 0, s3
	v_mul_lo_u32 v2, s0, v1
	v_mul_hi_u32 v2, v1, v2
	v_add_u32_e32 v1, v1, v2
	v_mul_hi_u32 v1, s11, v1
	v_mul_lo_u32 v2, v1, s3
	v_sub_u32_e32 v2, s11, v2
	v_add_u32_e32 v3, 1, v1
	v_subrev_u32_e32 v4, s3, v2
	v_cmp_le_u32_e32 vcc, s3, v2
	v_writelane_b32 v82, s11, 12
	v_cmp_gt_u32_e64 s[0:1], s64, v0
	v_cndmask_b32_e32 v1, v1, v3, vcc
	v_cndmask_b32_e32 v2, v2, v4, vcc
	v_add_u32_e32 v3, 1, v1
	v_cmp_le_u32_e32 vcc, s3, v2
	s_nop 1
	v_cndmask_b32_e32 v1, v1, v3, vcc
	v_mul_lo_u32 v2, v1, s3
	v_sub_u32_e32 v2, s11, v2
	s_waitcnt lgkmcnt(0)
	v_mul_lo_u32 v2, v2, s7
	v_mul_lo_u32 v1, v1, s6
	v_add_u32_e32 v2, v1, v2
	v_mov_b32_e32 v3, 0
	v_lshlrev_b64 v[4:5], 1, v[2:3]
	v_lshl_add_u64 v[10:11], s[4:5], 0, v[4:5]
	s_mov_b64 s[4:5], exec
	v_writelane_b32 v82, s0, 13
	s_nop 1
	v_writelane_b32 v82, s1, 14
	s_and_b64 s[0:1], s[4:5], s[0:1]
	s_mov_b64 exec, s[0:1]
	s_cbranch_execz .LBB137_5
; %bb.2:
	s_load_dword s0, s[8:9], 0xc
	v_mul_lo_u32 v2, v0, s66
	s_mov_b64 s[6:7], 0
	v_mov_b32_e32 v1, v3
	v_mov_b32_e32 v4, v0
	s_waitcnt lgkmcnt(0)
	s_and_b32 s0, s0, 0xffff
	s_mul_i32 s1, s66, s0
.LBB137_3:                              ; =>This Inner Loop Header: Depth=1
	v_lshl_add_u64 v[6:7], v[2:3], 1, v[10:11]
	global_load_ushort v5, v[6:7], off
	v_add_u32_e32 v4, s0, v4
	v_cmp_le_u32_e32 vcc, s64, v4
	s_or_b64 s[6:7], vcc, s[6:7]
	v_add_u32_e32 v2, s1, v2
	s_waitcnt vmcnt(0)
	v_lshlrev_b32_e32 v5, 16, v5
	v_cmp_u_f32_e32 vcc, v5, v5
	s_nop 1
	v_addc_co_u32_e32 v1, vcc, 0, v1, vcc
	s_andn2_b64 exec, exec, s[6:7]
	s_cbranch_execnz .LBB137_3
; %bb.4:
	s_or_b64 exec, exec, s[6:7]
	v_mov_b32_e32 v3, v1
.LBB137_5:
	s_or_b64 exec, exec, s[4:5]
	v_cmp_eq_u32_e64 s[24:25], 0, v0
	s_and_saveexec_b64 s[4:5], s[24:25]
; %bb.6:
	v_mov_b32_e32 v4, 0
	v_mov_b32_e32 v5, v4
	ds_write_b64 v4, v[4:5] offset:4096
; %bb.7:
	s_or_b64 exec, exec, s[4:5]
	v_cmp_ne_u32_e32 vcc, 0, v3
	s_waitcnt lgkmcnt(0)
	s_barrier
	s_and_saveexec_b64 s[4:5], vcc
	s_cbranch_execz .LBB137_12
; %bb.8:
	s_mov_b64 s[12:13], exec
	v_mov_b32_e32 v1, 0
	v_mov_b32_e32 v2, v3
	s_mov_b64 s[6:7], 0
.LBB137_9:                              ; =>This Inner Loop Header: Depth=1
	s_ff1_i32_b64 s0, s[12:13]
	v_readlane_b32 s3, v2, s0
	v_readlane_b32 s1, v1, s0
	s_add_u32 s6, s6, s3
	s_addc_u32 s7, s7, s1
	s_lshl_b64 s[0:1], 1, s0
	s_andn2_b64 s[12:13], s[12:13], s[0:1]
	s_cmp_lg_u64 s[12:13], 0
	s_cbranch_scc1 .LBB137_9
; %bb.10:
	v_mbcnt_lo_u32_b32 v1, exec_lo, 0
	v_mbcnt_hi_u32_b32 v1, exec_hi, v1
	v_cmp_eq_u32_e32 vcc, 0, v1
	s_and_saveexec_b64 s[0:1], vcc
	s_xor_b64 s[0:1], exec, s[0:1]
; %bb.11:
	v_mov_b32_e32 v1, 0
	v_mov_b64_e32 v[2:3], s[6:7]
	ds_add_u64 v1, v[2:3] offset:4096
.LBB137_12:
	s_or_b64 exec, exec, s[4:5]
	v_mov_b32_e32 v1, 0
	s_waitcnt lgkmcnt(0)
	s_barrier
	ds_read_b64 v[2:3], v1 offset:4096
	s_bitcmp1_b32 s67, 0
	s_cselect_b64 s[0:1], -1, 0
	s_mov_b32 s3, s64
	s_waitcnt lgkmcnt(0)
	v_readfirstlane_b32 s4, v2
	v_readfirstlane_b32 s5, v3
	s_nop 1
	v_cmp_lt_i64_e64 s[6:7], s[4:5], 1
	s_or_b64 s[0:1], s[0:1], s[6:7]
	s_andn2_b64 vcc, exec, s[0:1]
	s_cbranch_vccnz .LBB137_14
; %bb.13:
	s_not_b64 s[0:1], s[4:5]
	s_add_u32 s0, s0, s64
	s_addc_u32 s1, s1, 0
	s_lshr_b32 s3, s1, 31
	s_add_u32 s0, s0, s3
	s_addc_u32 s1, s1, 0
	s_lshr_b64 s[0:1], s[0:1], 1
	s_add_i32 s3, s0, 1
.LBB137_14:
	s_and_saveexec_b64 s[4:5], s[24:25]
	s_cbranch_execz .LBB137_16
; %bb.15:
	v_mov_b32_e32 v2, 0
	v_mov_b32_e32 v3, s64
	ds_write_b32 v2, v2 offset:4112
	ds_write_b64 v2, v[2:3] offset:4104
.LBB137_16:
	s_or_b64 exec, exec, s[4:5]
	s_waitcnt lgkmcnt(0)
	s_barrier
	s_load_dword s0, s[8:9], 0xc
	v_mbcnt_lo_u32_b32 v1, -1, 0
	v_mbcnt_hi_u32_b32 v22, -1, v1
	v_cmp_gt_u32_e32 vcc, 64, v0
	v_cmp_gt_i32_e64 s[6:7], 4, v22
	s_waitcnt lgkmcnt(0)
	s_and_b32 s67, s0, 0xffff
	s_add_i32 s90, s67, -1
	s_lshl_b32 s89, s67, 2
	s_and_b64 s[78:79], vcc, s[6:7]
	s_add_i32 s11, s90, s64
	s_cmpk_gt_u32 s64, 0x600
	s_cselect_b64 s[12:13], -1, 0
	s_cmp_gt_u32 s67, 63
	v_lshlrev_b64 v[2:3], v22, -1
	s_cselect_b64 s[82:83], -1, 0
	v_not_b32_e32 v18, v2
	v_lshrrev_b32_e32 v2, 2, v0
	s_cmp_lt_u32 s2, s10
	v_and_b32_e32 v2, 0xf0, v2
	s_cselect_b32 s1, 12, 18
	v_writelane_b32 v82, s12, 15
	v_or_b32_e32 v25, 0xc00, v2
	s_add_u32 s8, s8, s1
	v_add_u32_e32 v2, 2, v0
	v_writelane_b32 v82, s13, 16
	s_addc_u32 s9, s9, 0
	v_max_u32_e32 v2, s64, v2
	v_writelane_b32 v82, s8, 17
	v_xad_u32 v2, v0, -1, v2
	v_not_b32_e32 v1, v3
	v_writelane_b32 v82, s9, 18
	v_add_u32_e32 v3, -4, v2
	v_cmp_lt_u32_e64 s[8:9], 31, v2
	v_lshrrev_b32_e32 v5, 2, v3
	v_add_u32_e32 v5, 1, v5
	v_writelane_b32 v82, s8, 19
	v_cmp_lt_u32_e64 s[12:13], 11, v3
	s_bfe_u32 s2, s0, 0xa0006
	v_writelane_b32 v82, s9, 20
	v_and_b32_e32 v6, 3, v5
	v_writelane_b32 v82, s12, 21
	s_add_i32 s0, s2, -2
	s_lshr_b32 s1, s0, 1
	v_writelane_b32 v82, s13, 22
	v_cmp_ne_u32_e64 s[12:13], 0, v6
	v_and_b32_e32 v26, -4, v2
	s_add_i32 s1, s1, 1
	v_writelane_b32 v82, s12, 23
	s_cmpk_gt_u32 s67, 0x7f
	v_lshlrev_b32_e32 v19, 2, v0
	v_writelane_b32 v82, s13, 24
	v_cmp_ne_u32_e64 s[12:13], v2, v26
	v_cvt_f32_u32_e32 v2, s89
	v_mov_b32_e32 v15, 0
	v_writelane_b32 v82, s12, 25
	s_mov_b32 s14, 0
	v_rcp_iflag_f32_e32 v2, v2
	v_writelane_b32 v82, s13, 26
	s_cselect_b64 s[12:13], -1, 0
	v_writelane_b32 v82, s12, 27
	s_and_b32 s10, s2, 0x3fe
	v_mul_f32_e32 v2, 0x4f7ffffe, v2
	v_writelane_b32 v82, s13, 28
	s_and_b32 s12, s1, 7
	s_cmp_gt_u32 s0, 13
	s_cselect_b64 s[16:17], -1, 0
	v_writelane_b32 v82, s16, 29
	s_and_b32 s0, s1, -8
	s_cmp_lg_u32 s12, 0
	v_writelane_b32 v82, s17, 30
	v_writelane_b32 v82, s0, 31
	v_writelane_b32 v82, s12, 32
	s_cselect_b64 s[0:1], -1, 0
	v_writelane_b32 v82, s0, 33
	v_cvt_u32_f32_e32 v2, v2
	s_cmp_lg_u32 s10, s2
	v_writelane_b32 v82, s1, 34
	v_writelane_b32 v82, s2, 35
	;; [unrolled: 1-line block ×3, first 2 shown]
	s_cselect_b64 s[0:1], -1, 0
	v_writelane_b32 v82, s0, 37
	v_lshlrev_b32_e32 v23, 1, v0
	v_mul_lo_u32 v12, s66, v0
	v_writelane_b32 v82, s1, 38
	v_readfirstlane_b32 s1, v2
	v_cvt_f32_u32_e32 v2, s67
	s_sub_i32 s0, 0, s89
	s_mul_i32 s0, s0, s1
	s_mul_hi_u32 s0, s1, s0
	s_add_i32 s0, s1, s0
	v_rcp_iflag_f32_e32 v2, v2
	s_mul_hi_u32 s1, s64, s0
	s_mul_i32 s1, s1, s89
	s_sub_i32 s1, s64, s1
	s_sub_i32 s2, s1, s89
	v_mul_f32_e32 v2, 0x4f7ffffe, v2
	s_cmp_ge_u32 s1, s89
	v_cvt_u32_f32_e32 v2, v2
	s_cselect_b32 s1, s2, s1
	s_sub_i32 s2, s1, s89
	s_cmp_ge_u32 s1, s89
	s_cselect_b32 s2, s2, s1
	s_sub_i32 s10, 0, s67
	v_readfirstlane_b32 s12, v2
	s_mul_i32 s10, s10, s12
	s_mul_hi_u32 s10, s12, s10
	s_add_i32 s91, s12, s10
	s_mul_hi_u32 s10, s11, s91
	s_mul_i32 s10, s10, s67
	s_sub_i32 s10, s11, s10
	s_sub_i32 s1, s64, s2
	;; [unrolled: 1-line block ×3, first 2 shown]
	s_cmp_ge_u32 s10, s67
	s_cselect_b32 s10, s12, s10
	s_sub_i32 s12, s10, s67
	s_cmp_ge_u32 s10, s67
	s_cselect_b32 s10, s12, s10
	s_sub_i32 s33, s11, s10
	v_cmp_gt_u32_e64 s[10:11], s33, v0
	v_mul_lo_u32 v2, s66, v19
	v_add_u32_e32 v31, s66, v2
	v_writelane_b32 v82, s10, 39
	v_or_b32_e32 v2, 2, v19
	v_mul_lo_u32 v32, s66, v2
	v_writelane_b32 v82, s11, 40
	v_or_b32_e32 v2, 3, v19
	s_add_i32 s10, s67, s64
	v_add_u32_e32 v29, s1, v0
	v_mul_lo_u32 v33, s66, v2
	v_add_u32_e32 v2, s10, v0
	v_mov_b32_e32 v13, v15
	v_lshlrev_b32_e32 v4, 2, v22
	v_mul_lo_u32 v14, v29, s66
	s_mul_i32 s65, s66, s67
	v_subrev_u32_e32 v2, s2, v2
	s_mov_b32 s88, 0xffff
	s_mov_b32 s15, 1
	v_cmp_eq_u32_e64 s[4:5], 0, v22
	v_cmp_gt_u32_e64 s[6:7], 2, v0
	v_add_u32_e32 v24, 0xc00, v23
	v_lshl_add_u64 v[16:17], v[12:13], 1, v[10:11]
	v_and_b32_e32 v13, 0x100, v4
	v_add_u32_e32 v27, v0, v26
	s_mov_b32 s8, s66
	s_mov_b32 s9, s66
	;; [unrolled: 1-line block ×4, first 2 shown]
	v_and_b32_e32 v28, 0x7ffffffc, v5
	v_cmp_gt_u32_e64 s[16:17], s1, v19
	v_cmp_gt_u32_e64 s[18:19], s64, v29
	v_lshl_add_u64 v[20:21], v[14:15], 1, v[10:11]
	v_lshlrev_b32_e32 v30, 3, v6
	s_lshl_b32 s84, s65, 2
	v_lshlrev_b32_e32 v34, 2, v12
	v_mul_lo_u32 v36, s66, v2
	v_lshlrev_b32_e32 v37, 3, v0
	s_lshl_b32 s85, s67, 3
	s_lshl_b32 s86, s67, 1
	v_or_b32_e32 v38, 0xc00, v4
	s_mov_b64 s[94:95], 0
	v_mov_b32_e32 v39, 14
	v_mov_b32_e32 v47, s3
	s_mov_b32 s87, 0x5040100
	v_mov_b32_e32 v52, s64
	s_movk_i32 s20, 0x3f80
	v_mov_b32_e32 v40, 0xffff
	v_mov_b32_e32 v41, 0x8000
	v_mov_b32_e32 v42, -1
	v_mov_b32_e32 v43, 0xc00
	v_mov_b32_e32 v44, 0x5040100
	;; [unrolled: 1-line block ×3, first 2 shown]
	s_mov_b32 s21, s14
	v_mov_b32_e32 v35, 0
	v_mov_b32_e32 v45, 0
                                        ; implicit-def: $sgpr96_sgpr97
                                        ; implicit-def: $sgpr68_sgpr69
                                        ; implicit-def: $sgpr98_sgpr99
                                        ; implicit-def: $sgpr70_sgpr71
                                        ; implicit-def: $sgpr10_sgpr11
                                        ; implicit-def: $sgpr12_sgpr13
	s_branch .LBB137_20
.LBB137_17:                             ;   in Loop: Header=BB137_20 Depth=1
	s_or_b64 exec, exec, s[34:35]
	s_and_b64 s[26:27], s[26:27], exec
	s_andn2_b64 s[30:31], s[30:31], exec
	s_andn2_b64 s[28:29], s[28:29], exec
	s_orn2_b64 s[22:23], s[22:23], exec
.LBB137_18:                             ;   in Loop: Header=BB137_20 Depth=1
	s_or_b64 exec, exec, s[14:15]
	s_andn2_b64 s[12:13], s[12:13], exec
	s_and_b64 s[14:15], s[26:27], exec
	s_or_b64 s[12:13], s[12:13], s[14:15]
	s_andn2_b64 s[10:11], s[10:11], exec
	s_and_b64 s[14:15], s[30:31], exec
	s_or_b64 s[10:11], s[10:11], s[14:15]
	;; [unrolled: 3-line block ×3, first 2 shown]
	s_orn2_b64 s[22:23], s[22:23], exec
.LBB137_19:                             ;   in Loop: Header=BB137_20 Depth=1
	s_or_b64 exec, exec, s[2:3]
	s_and_b64 s[2:3], exec, s[22:23]
	s_or_b64 s[94:95], s[2:3], s[94:95]
	s_andn2_b64 s[2:3], s[98:99], exec
	s_and_b64 s[14:15], s[12:13], exec
	s_or_b64 s[98:99], s[2:3], s[14:15]
	s_andn2_b64 s[2:3], s[68:69], exec
	s_and_b64 s[14:15], s[10:11], exec
	;; [unrolled: 3-line block ×3, first 2 shown]
	s_or_b64 s[96:97], s[2:3], s[14:15]
	s_mov_b32 s21, s36
	v_mov_b32_e32 v47, v5
	s_andn2_b64 exec, exec, s[94:95]
	s_cbranch_execz .LBB137_259
.LBB137_20:                             ; =>This Loop Header: Depth=1
                                        ;     Child Loop BB137_25 Depth 2
                                        ;     Child Loop BB137_46 Depth 2
                                        ;     Child Loop BB137_50 Depth 2
                                        ;     Child Loop BB137_56 Depth 2
                                        ;     Child Loop BB137_88 Depth 2
                                        ;     Child Loop BB137_92 Depth 2
                                        ;     Child Loop BB137_77 Depth 2
                                        ;     Child Loop BB137_82 Depth 2
                                        ;     Child Loop BB137_74 Depth 2
                                        ;     Child Loop BB137_98 Depth 2
                                        ;     Child Loop BB137_101 Depth 2
                                        ;     Child Loop BB137_111 Depth 2
                                        ;     Child Loop BB137_122 Depth 2
                                        ;     Child Loop BB137_148 Depth 2
                                        ;     Child Loop BB137_159 Depth 2
                                        ;     Child Loop BB137_185 Depth 2
                                        ;     Child Loop BB137_196 Depth 2
                                        ;     Child Loop BB137_222 Depth 2
                                        ;     Child Loop BB137_233 Depth 2
	ds_read_b64 v[2:3], v15 offset:4104
	s_waitcnt lgkmcnt(0)
	v_readfirstlane_b32 s80, v2
	s_cmp_lg_u32 s80, 0
	s_cbranch_scc1 .LBB137_65
; %bb.21:                               ;   in Loop: Header=BB137_20 Depth=1
	v_readlane_b32 s2, v82, 15
	v_readlane_b32 s3, v82, 16
	s_and_b64 vcc, exec, s[2:3]
	s_cbranch_vccz .LBB137_33
; %bb.22:                               ;   in Loop: Header=BB137_20 Depth=1
	s_movk_i32 s2, 0x601
	v_cmp_gt_u32_e32 vcc, s2, v3
	s_mov_b64 s[14:15], 0
	s_mov_b64 s[2:3], 0
	s_cbranch_vccz .LBB137_34
; %bb.23:                               ;   in Loop: Header=BB137_20 Depth=1
	v_readlane_b32 s2, v82, 17
	v_readlane_b32 s3, v82, 18
	s_nop 4
	global_load_ushort v2, v15, s[2:3]
	global_load_ushort v4, v[16:17], off
	s_mov_b64 s[26:27], 0
	s_waitcnt vmcnt(1)
	v_add_u32_e32 v5, v0, v2
	v_mul_lo_u32 v3, s66, v2
	v_mul_lo_u32 v14, s66, v5
	v_mov_b32_e32 v5, v0
	s_branch .LBB137_25
.LBB137_24:                             ;   in Loop: Header=BB137_25 Depth=2
	s_or_b64 exec, exec, s[2:3]
	v_add_u32_e32 v14, v14, v3
	v_mov_b32_e32 v4, v6
	s_andn2_b64 exec, exec, s[26:27]
	s_cbranch_execz .LBB137_40
.LBB137_25:                             ;   Parent Loop BB137_20 Depth=1
                                        ; =>  This Inner Loop Header: Depth=2
	v_add_u32_e32 v5, v5, v2
	v_cmp_gt_u32_e64 s[2:3], s64, v5
	v_cmp_le_u32_e32 vcc, s64, v5
	s_waitcnt lgkmcnt(0)
	v_mov_b32_e32 v7, 0
	v_mov_b32_e32 v6, 0
	s_and_saveexec_b64 s[22:23], s[2:3]
	s_cbranch_execz .LBB137_27
; %bb.26:                               ;   in Loop: Header=BB137_25 Depth=2
	v_lshl_add_u64 v[8:9], v[14:15], 1, v[10:11]
	global_load_ushort v6, v[8:9], off
.LBB137_27:                             ;   in Loop: Header=BB137_25 Depth=2
	s_or_b64 exec, exec, s[22:23]
	s_waitcnt vmcnt(0)
	v_cmp_lt_i16_e64 s[2:3], -1, v4
	v_lshlrev_b32_e32 v9, 16, v4
	s_nop 0
	v_cndmask_b32_e64 v8, v40, v41, s[2:3]
	v_xor_b32_sdwa v8, v8, v4 dst_sel:DWORD dst_unused:UNUSED_PAD src0_sel:DWORD src1_sel:WORD_0
	v_cmp_o_f32_e64 s[2:3], v9, v9
	s_nop 1
	v_cndmask_b32_e64 v8, v40, v8, s[2:3]
	v_and_b32_e32 v8, v8, v45
	v_cmp_eq_u32_e64 s[22:23], v8, v35
	s_cmp_lg_u64 s[22:23], 0
	s_cselect_b64 s[2:3], -1, 0
	s_and_b64 s[2:3], s[4:5], s[2:3]
	s_and_saveexec_b64 s[28:29], s[2:3]
	s_cbranch_execz .LBB137_31
; %bb.28:                               ;   in Loop: Header=BB137_25 Depth=2
	s_mov_b64 s[34:35], exec
	v_mbcnt_lo_u32_b32 v7, s34, 0
	v_mbcnt_hi_u32_b32 v7, s35, v7
	s_bcnt1_i32_b64 s36, s[22:23]
	v_cmp_eq_u32_e64 s[2:3], 0, v7
                                        ; implicit-def: $vgpr8
	s_and_saveexec_b64 s[30:31], s[2:3]
; %bb.29:                               ;   in Loop: Header=BB137_25 Depth=2
	s_bcnt1_i32_b64 s2, s[34:35]
	s_mul_i32 s2, s36, s2
	v_mov_b32_e32 v8, s2
	ds_add_rtn_u32 v8, v15, v8 offset:4112
; %bb.30:                               ;   in Loop: Header=BB137_25 Depth=2
	s_or_b64 exec, exec, s[30:31]
	s_waitcnt lgkmcnt(0)
	v_readfirstlane_b32 s2, v8
	s_nop 1
	v_mov_b32_e32 v8, s2
	v_mad_u32_u24 v7, s36, v7, v8
.LBB137_31:                             ;   in Loop: Header=BB137_25 Depth=2
	s_or_b64 exec, exec, s[28:29]
	ds_bpermute_b32 v7, v13, v7
	s_and_b64 s[2:3], exec, vcc
	s_or_b64 s[26:27], s[2:3], s[26:27]
	s_and_saveexec_b64 s[2:3], s[22:23]
	s_cbranch_execz .LBB137_24
; %bb.32:                               ;   in Loop: Header=BB137_25 Depth=2
	v_and_b32_e32 v9, s22, v18
	v_and_b32_e32 v8, s23, v1
	v_bcnt_u32_b32 v9, v9, 0
	v_bcnt_u32_b32 v8, v8, v9
	v_lshlrev_b32_e32 v8, 1, v8
	s_waitcnt lgkmcnt(0)
	v_lshl_add_u32 v7, v7, 1, v8
	ds_write_b16 v7, v4
	s_branch .LBB137_24
.LBB137_33:                             ;   in Loop: Header=BB137_20 Depth=1
	s_mov_b64 s[14:15], -1
	s_mov_b64 s[2:3], 0
.LBB137_34:                             ;   in Loop: Header=BB137_20 Depth=1
	s_and_b64 vcc, exec, s[14:15]
	s_cbranch_vccz .LBB137_63
.LBB137_35:                             ;   in Loop: Header=BB137_20 Depth=1
	s_mov_b64 s[22:23], exec
	v_readlane_b32 s2, v82, 13
	v_readlane_b32 s3, v82, 14
	s_and_b64 s[2:3], s[22:23], s[2:3]
	s_mov_b64 exec, s[2:3]
	s_cbranch_execz .LBB137_60
; %bb.36:                               ;   in Loop: Header=BB137_20 Depth=1
	v_readlane_b32 s2, v82, 17
	v_readlane_b32 s3, v82, 18
	s_nop 4
	global_load_ushort v2, v15, s[2:3]
	global_load_ushort v48, v[16:17], off
	v_mov_b32_e32 v3, v0
	s_waitcnt vmcnt(1)
	v_readfirstlane_b32 s34, v2
	v_add_u32_e32 v2, v0, v2
	v_cmp_gt_u32_e32 vcc, s64, v2
	s_and_saveexec_b64 s[26:27], vcc
	s_cbranch_execz .LBB137_59
; %bb.37:                               ;   in Loop: Header=BB137_20 Depth=1
	v_readlane_b32 s28, v82, 19
	s_mov_b64 s[2:3], 0
	s_mul_i32 s35, s66, s34
	v_readlane_b32 s29, v82, 20
                                        ; implicit-def: $vgpr3
                                        ; implicit-def: $vgpr4
                                        ; implicit-def: $vgpr5
	s_and_saveexec_b64 s[14:15], s[28:29]
	s_xor_b64 s[28:29], exec, s[14:15]
	s_cbranch_execnz .LBB137_43
; %bb.38:                               ;   in Loop: Header=BB137_20 Depth=1
	s_andn2_saveexec_b64 s[14:15], s[28:29]
	s_cbranch_execnz .LBB137_54
.LBB137_39:                             ;   in Loop: Header=BB137_20 Depth=1
	s_or_b64 exec, exec, s[14:15]
	s_and_saveexec_b64 s[14:15], s[2:3]
	s_cbranch_execnz .LBB137_55
	s_branch .LBB137_58
.LBB137_40:                             ;   in Loop: Header=BB137_20 Depth=1
	s_or_b64 exec, exec, s[26:27]
	s_waitcnt lgkmcnt(0)
	s_barrier
	s_and_saveexec_b64 s[2:3], s[24:25]
	s_cbranch_execz .LBB137_42
; %bb.41:                               ;   in Loop: Header=BB137_20 Depth=1
	ds_read_b32 v2, v15 offset:4112
	s_waitcnt lgkmcnt(0)
	ds_write_b32 v15, v2 offset:4104
.LBB137_42:                             ;   in Loop: Header=BB137_20 Depth=1
	s_or_b64 exec, exec, s[2:3]
	s_waitcnt lgkmcnt(0)
	s_barrier
	s_mov_b64 s[2:3], -1
	s_and_b64 vcc, exec, s[14:15]
	s_cbranch_vccnz .LBB137_35
	s_branch .LBB137_63
.LBB137_43:                             ;   in Loop: Header=BB137_20 Depth=1
	v_cvt_f32_u32_e32 v3, s34
	v_add_u32_e32 v4, s34, v2
	v_max_u32_e32 v4, s64, v4
	s_lshl_b32 s2, s34, 1
	v_rcp_iflag_f32_e32 v3, v3
	v_sub_u32_e32 v4, v4, v0
	v_cmp_ne_u32_e32 vcc, s2, v4
	s_sub_i32 s3, 0, s34
	v_mul_f32_e32 v3, 0x4f7ffffe, v3
	v_cvt_u32_f32_e32 v3, v3
	v_cndmask_b32_e64 v5, 0, 1, vcc
	v_or_b32_e32 v5, s2, v5
	v_sub_u32_e32 v4, v4, v5
	v_mul_lo_u32 v5, s3, v3
	v_mul_hi_u32 v5, v3, v5
	v_add_u32_e32 v3, v3, v5
	v_mul_hi_u32 v3, v4, v3
	v_mul_lo_u32 v5, v3, s34
	v_sub_u32_e32 v4, v4, v5
	v_add_u32_e32 v5, 1, v3
	v_cmp_le_u32_e64 s[2:3], s34, v4
	s_nop 1
	v_cndmask_b32_e64 v3, v3, v5, s[2:3]
	v_subrev_u32_e32 v5, s34, v4
	v_cndmask_b32_e64 v4, v4, v5, s[2:3]
	v_add_u32_e32 v5, 1, v3
	v_cmp_le_u32_e64 s[2:3], s34, v4
	v_mul_lo_u32 v4, s66, v2
	s_nop 0
	v_cndmask_b32_e64 v3, v3, v5, s[2:3]
	v_addc_co_u32_e32 v3, vcc, 0, v3, vcc
	s_abs_i32 s2, s35
	v_mul_hi_u32 v5, s2, v3
	v_mul_lo_u32 v3, s2, v3
	s_not_b32 s2, s35
	s_ashr_i32 s2, s2, 31
	s_cmp_eq_u32 s34, 1
	v_cmp_eq_u32_e32 vcc, 0, v5
	v_xor_b32_e32 v4, s2, v4
	s_cselect_b64 s[14:15], -1, 0
	v_cmp_le_u32_e64 s[2:3], v3, v4
	s_and_b64 s[14:15], vcc, s[14:15]
	s_and_b64 s[30:31], s[14:15], s[2:3]
	s_mov_b64 s[14:15], -1
	v_mov_b32_e32 v4, v0
                                        ; implicit-def: $vgpr3
	s_and_saveexec_b64 s[2:3], s[30:31]
	s_cbranch_execz .LBB137_53
; %bb.44:                               ;   in Loop: Header=BB137_20 Depth=1
	v_add_u32_e32 v5, 3, v2
	v_add_u32_e32 v4, 2, v2
	;; [unrolled: 1-line block ×3, first 2 shown]
	v_mov_b64_e32 v[8:9], v[4:5]
	s_waitcnt vmcnt(0)
	v_lshlrev_b32_e32 v49, 16, v48
	v_mov_b32_e32 v14, 0
	v_mov_b64_e32 v[6:7], v[2:3]
                                        ; implicit-def: $vgpr48
	s_mov_b64 s[14:15], exec
	v_readlane_b32 s30, v82, 21
	v_readlane_b32 s31, v82, 22
	s_and_b64 s[30:31], s[14:15], s[30:31]
	s_mov_b64 exec, s[30:31]
	s_cbranch_execz .LBB137_48
; %bb.45:                               ;   in Loop: Header=BB137_20 Depth=1
	v_mov_b64_e32 v[8:9], v[4:5]
	s_mov_b32 s36, 0
	s_mov_b64 s[30:31], 0
	v_mov_b32_e32 v50, v28
	v_mov_b32_e32 v51, v23
	v_mov_b64_e32 v[6:7], v[2:3]
.LBB137_46:                             ;   Parent Loop BB137_20 Depth=1
                                        ; =>  This Inner Loop Header: Depth=2
	v_mul_lo_u32 v14, v6, s8
	v_add_u32_e32 v3, 4, v6
	v_add_u32_e32 v48, 4, v7
	;; [unrolled: 1-line block ×4, first 2 shown]
	v_mul_lo_u32 v4, v9, s93
	v_mul_lo_u32 v56, v7, s9
	v_mov_b32_e32 v57, v15
	v_mov_b32_e32 v5, v15
	;; [unrolled: 1-line block ×4, first 2 shown]
	v_add_u32_e32 v80, 8, v6
	v_lshl_add_u64 v[76:77], v[14:15], 1, v[10:11]
	v_mul_lo_u32 v62, v58, s93
	v_mul_lo_u32 v60, v53, s92
	;; [unrolled: 1-line block ×5, first 2 shown]
	v_mov_b32_e32 v55, v15
	v_mov_b32_e32 v63, v15
	v_add_u32_e32 v64, 8, v7
	v_add_u32_e32 v81, 12, v6
	v_lshl_add_u64 v[56:57], v[56:57], 1, v[10:11]
	v_lshl_add_u64 v[4:5], v[4:5], 1, v[10:11]
	;; [unrolled: 1-line block ×5, first 2 shown]
	v_mul_lo_u32 v14, v80, s8
	v_add_u32_e32 v66, 8, v8
	v_add_u32_e32 v68, 8, v9
	v_mov_b32_e32 v65, v15
	v_add_u32_e32 v70, 12, v7
	v_add_u32_e32 v72, 12, v8
	;; [unrolled: 1-line block ×3, first 2 shown]
	v_lshl_add_u64 v[54:55], v[54:55], 1, v[10:11]
	v_mul_lo_u32 v64, v64, s9
	v_lshl_add_u64 v[62:63], v[62:63], 1, v[10:11]
	global_load_ushort v3, v[76:77], off
	global_load_ushort v53, v[56:57], off
	s_nop 0
	global_load_ushort v56, v[54:55], off
	global_load_ushort v76, v[4:5], off
	;; [unrolled: 1-line block ×4, first 2 shown]
	s_nop 0
	global_load_ushort v58, v[60:61], off
	s_nop 0
	global_load_ushort v60, v[62:63], off
	v_lshl_add_u64 v[4:5], v[14:15], 1, v[10:11]
	v_mul_lo_u32 v14, v81, s8
	v_mov_b32_e32 v67, v15
	v_mov_b32_e32 v69, v15
	;; [unrolled: 1-line block ×5, first 2 shown]
	v_mul_lo_u32 v68, v68, s93
	v_mul_lo_u32 v66, v66, s92
	;; [unrolled: 1-line block ×5, first 2 shown]
	v_lshl_add_u64 v[64:65], v[64:65], 1, v[10:11]
	v_lshl_add_u64 v[54:55], v[14:15], 1, v[10:11]
	;; [unrolled: 1-line block ×7, first 2 shown]
	global_load_ushort v59, v[64:65], off
	global_load_ushort v61, v[66:67], off
	;; [unrolled: 1-line block ×4, first 2 shown]
	s_nop 0
	global_load_ushort v64, v[72:73], off
	global_load_ushort v48, v[74:75], off
	;; [unrolled: 1-line block ×3, first 2 shown]
	s_nop 0
	global_load_ushort v4, v[4:5], off
	v_add_u32_e32 v50, -4, v50
	s_add_i32 s36, s36, 16
	v_cmp_eq_u32_e32 vcc, 0, v50
	v_add_u32_e32 v9, 16, v9
	v_add_u32_e32 v8, 16, v8
	;; [unrolled: 1-line block ×4, first 2 shown]
	v_mov_b32_e32 v14, s36
	s_or_b64 s[30:31], vcc, s[30:31]
	s_waitcnt vmcnt(15)
	v_alignbit_b32 v54, v3, v49, 16
	s_waitcnt vmcnt(13)
	v_perm_b32 v55, v56, v53, s87
	s_waitcnt vmcnt(11)
	v_perm_b32 v56, v77, v76, s87
	;; [unrolled: 2-line block ×3, first 2 shown]
	ds_write_b128 v51, v[54:57]
	s_waitcnt vmcnt(6)
	v_perm_b32 v59, v61, v59, s87
	s_waitcnt vmcnt(3)
	v_perm_b32 v61, v64, v63, s87
	;; [unrolled: 2-line block ×4, first 2 shown]
	v_perm_b32 v60, v65, v62, s87
	ds_write_b128 v51, v[58:61] offset:16
	v_add_u32_e32 v51, 32, v51
	s_andn2_b64 exec, exec, s[30:31]
	s_cbranch_execnz .LBB137_46
; %bb.47:                               ;   in Loop: Header=BB137_20 Depth=1
	s_or_b64 exec, exec, s[30:31]
.LBB137_48:                             ;   in Loop: Header=BB137_20 Depth=1
	s_or_b64 exec, exec, s[14:15]
	s_mov_b64 s[14:15], exec
	v_readlane_b32 s30, v82, 23
	v_readlane_b32 s31, v82, 24
	s_and_b64 s[30:31], s[14:15], s[30:31]
	s_mov_b64 exec, s[30:31]
	s_cbranch_execz .LBB137_52
; %bb.49:                               ;   in Loop: Header=BB137_20 Depth=1
	v_lshl_add_u32 v3, v14, 1, v23
	s_mov_b64 s[30:31], 0
	v_mov_b32_e32 v4, v30
.LBB137_50:                             ;   Parent Loop BB137_20 Depth=1
                                        ; =>  This Inner Loop Header: Depth=2
	v_mul_lo_u32 v50, v9, s93
	v_mul_lo_u32 v54, v8, s92
	v_mov_b32_e32 v55, v15
	v_mov_b32_e32 v51, v15
	v_mul_lo_u32 v56, v7, s9
	v_mul_lo_u32 v14, v6, s8
	v_mov_b32_e32 v57, v15
	v_lshl_add_u64 v[54:55], v[54:55], 1, v[10:11]
	v_lshl_add_u64 v[50:51], v[50:51], 1, v[10:11]
	;; [unrolled: 1-line block ×4, first 2 shown]
	global_load_ushort v5, v[54:55], off
	global_load_ushort v48, v[50:51], off
	;; [unrolled: 1-line block ×3, first 2 shown]
	s_nop 0
	global_load_ushort v50, v[58:59], off
	v_add_u32_e32 v4, -8, v4
	v_cmp_eq_u32_e32 vcc, 0, v4
	v_add_u32_e32 v9, 4, v9
	v_add_u32_e32 v8, 4, v8
	;; [unrolled: 1-line block ×4, first 2 shown]
	s_or_b64 s[30:31], vcc, s[30:31]
	s_waitcnt vmcnt(2)
	v_perm_b32 v53, v48, v5, s87
	s_waitcnt vmcnt(1)
	v_perm_b32 v51, v5, v14, s87
	s_waitcnt vmcnt(0)
	v_alignbit_b32 v50, v50, v49, 16
	ds_write_b64 v3, v[50:51]
	v_add_u32_e32 v3, 8, v3
	v_mov_b32_e32 v49, v53
	s_andn2_b64 exec, exec, s[30:31]
	s_cbranch_execnz .LBB137_50
; %bb.51:                               ;   in Loop: Header=BB137_20 Depth=1
	s_or_b64 exec, exec, s[30:31]
.LBB137_52:                             ;   in Loop: Header=BB137_20 Depth=1
	s_or_b64 exec, exec, s[14:15]
	v_readlane_b32 s14, v82, 25
	v_add_u32_e32 v2, v2, v26
	v_readlane_b32 s15, v82, 26
	v_add_u32_e32 v3, -1, v2
	s_orn2_b64 s[14:15], s[14:15], exec
	v_mov_b32_e32 v4, v27
.LBB137_53:                             ;   in Loop: Header=BB137_20 Depth=1
	s_or_b64 exec, exec, s[2:3]
	v_mov_b32_e32 v5, s35
	s_and_b64 s[2:3], s[14:15], exec
	s_andn2_saveexec_b64 s[14:15], s[28:29]
	s_cbranch_execz .LBB137_39
.LBB137_54:                             ;   in Loop: Header=BB137_20 Depth=1
	v_mov_b32_e32 v5, s35
	s_or_b64 s[2:3], s[2:3], exec
	v_mov_b32_e32 v4, v0
	s_or_b64 exec, exec, s[14:15]
	s_and_saveexec_b64 s[14:15], s[2:3]
	s_cbranch_execz .LBB137_58
.LBB137_55:                             ;   in Loop: Header=BB137_20 Depth=1
	s_sub_i32 s28, 0, s34
	v_mul_lo_u32 v14, s66, v2
	s_mov_b64 s[2:3], 0
.LBB137_56:                             ;   Parent Loop BB137_20 Depth=1
                                        ; =>  This Inner Loop Header: Depth=2
	v_lshl_add_u64 v[6:7], v[14:15], 1, v[10:11]
	s_waitcnt vmcnt(0)
	v_mov_b32_e32 v3, v48
	global_load_ushort v48, v[6:7], off
	v_mov_b32_e32 v6, v2
	v_lshlrev_b32_e32 v2, 1, v4
	ds_write_b16 v2, v3
	v_add_u32_e32 v2, s34, v6
	v_cmp_le_u32_e32 vcc, s64, v2
	v_add_u32_e32 v14, v14, v5
	s_or_b64 s[2:3], vcc, s[2:3]
	v_mov_b32_e32 v4, v6
	s_andn2_b64 exec, exec, s[2:3]
	s_cbranch_execnz .LBB137_56
; %bb.57:                               ;   in Loop: Header=BB137_20 Depth=1
	s_or_b64 exec, exec, s[2:3]
	v_add_u32_e32 v3, s28, v2
.LBB137_58:                             ;   in Loop: Header=BB137_20 Depth=1
	s_or_b64 exec, exec, s[14:15]
.LBB137_59:                             ;   in Loop: Header=BB137_20 Depth=1
	s_or_b64 exec, exec, s[26:27]
	v_lshlrev_b32_e32 v2, 1, v3
	s_waitcnt vmcnt(0)
	ds_write_b16 v2, v48
.LBB137_60:                             ;   in Loop: Header=BB137_20 Depth=1
	s_or_b64 exec, exec, s[22:23]
	s_waitcnt lgkmcnt(0)
	s_barrier
	s_and_saveexec_b64 s[2:3], s[24:25]
; %bb.61:                               ;   in Loop: Header=BB137_20 Depth=1
	ds_write_b32 v15, v52 offset:4104
; %bb.62:                               ;   in Loop: Header=BB137_20 Depth=1
	s_or_b64 exec, exec, s[2:3]
	s_mov_b64 s[2:3], -1
	s_waitcnt lgkmcnt(0)
	s_barrier
.LBB137_63:                             ;   in Loop: Header=BB137_20 Depth=1
	s_mov_b32 s80, 0
	s_and_b64 vcc, exec, s[2:3]
	s_cbranch_vccz .LBB137_65
; %bb.64:                               ;   in Loop: Header=BB137_20 Depth=1
	ds_read_b32 v2, v15 offset:4104
	s_waitcnt lgkmcnt(0)
	v_readfirstlane_b32 s80, v2
.LBB137_65:                             ;   in Loop: Header=BB137_20 Depth=1
	s_cmp_lt_i32 s80, 1
	s_mov_b64 s[2:3], -1
                                        ; implicit-def: $vgpr4_vgpr5
	s_cbranch_scc1 .LBB137_75
; %bb.66:                               ;   in Loop: Header=BB137_20 Depth=1
	s_and_b64 vcc, exec, s[2:3]
	s_cbranch_vccnz .LBB137_86
.LBB137_67:                             ;   in Loop: Header=BB137_20 Depth=1
	s_lshl_b32 s22, s21, 6
	s_and_saveexec_b64 s[2:3], s[4:5]
.LBB137_68:                             ;   in Loop: Header=BB137_20 Depth=1
	v_lshl_add_u32 v6, s22, 2, v25
	ds_write_b128 v6, v[2:5]
.LBB137_69:                             ;   in Loop: Header=BB137_20 Depth=1
	s_or_b64 exec, exec, s[2:3]
	s_waitcnt lgkmcnt(0)
	s_barrier
	s_and_saveexec_b64 s[2:3], s[78:79]
	s_cbranch_execz .LBB137_103
; %bb.70:                               ;   in Loop: Header=BB137_20 Depth=1
	v_add_u32_e32 v4, s22, v22
	s_andn2_b64 vcc, exec, s[82:83]
	v_mov_b32_e32 v2, 0
	s_cbranch_vccnz .LBB137_102
; %bb.71:                               ;   in Loop: Header=BB137_20 Depth=1
	v_readlane_b32 s14, v82, 27
	v_readlane_b32 s15, v82, 28
	s_andn2_b64 vcc, exec, s[14:15]
	s_cbranch_vccnz .LBB137_95
; %bb.72:                               ;   in Loop: Header=BB137_20 Depth=1
	v_readlane_b32 s14, v82, 29
	v_readlane_b32 s15, v82, 30
	s_andn2_b64 vcc, exec, s[14:15]
	v_lshl_add_u32 v5, v4, 2, v43
	s_cbranch_vccnz .LBB137_96
; %bb.73:                               ;   in Loop: Header=BB137_20 Depth=1
	s_mov_b32 s15, 1
	s_mov_b32 s14, 0
	v_mov_b32_e32 v2, 0
	v_mov_b32_e32 v3, 0
	v_readlane_b32 s23, v82, 31
.LBB137_74:                             ;   Parent Loop BB137_20 Depth=1
                                        ; =>  This Inner Loop Header: Depth=2
	v_lshl_add_u32 v14, s14, 4, v5
	v_lshl_add_u32 v53, s15, 4, v5
	ds_read2_b32 v[6:7], v14 offset1:8
	ds_read2_b32 v[8:9], v53 offset1:8
	ds_read2_b32 v[48:49], v14 offset0:16 offset1:24
	ds_read2_b32 v[50:51], v53 offset0:16 offset1:24
	;; [unrolled: 1-line block ×6, first 2 shown]
	s_waitcnt lgkmcnt(7)
	v_add3_u32 v2, v6, v2, v7
	s_waitcnt lgkmcnt(6)
	v_add3_u32 v3, v8, v3, v9
	s_waitcnt lgkmcnt(4)
	v_add3_u32 v3, v50, v3, v51
	v_add3_u32 v2, v48, v2, v49
	s_add_i32 s15, s15, 16
	s_add_i32 s14, s14, 16
	s_add_i32 s23, s23, -8
	s_waitcnt lgkmcnt(3)
	v_add3_u32 v2, v54, v2, v55
	s_waitcnt lgkmcnt(2)
	v_add3_u32 v3, v56, v3, v57
	s_cmp_lg_u32 s23, 0
	s_waitcnt lgkmcnt(0)
	v_add3_u32 v3, v60, v3, v61
	v_add3_u32 v2, v58, v2, v59
	s_cbranch_scc1 .LBB137_74
	s_branch .LBB137_97
.LBB137_75:                             ;   in Loop: Header=BB137_20 Depth=1
	v_mov_b32_e32 v14, v15
	v_mov_b64_e32 v[4:5], v[14:15]
	v_mov_b64_e32 v[2:3], v[14:15]
	s_and_saveexec_b64 s[52:53], s[16:17]
	s_cbranch_execz .LBB137_79
; %bb.76:                               ;   in Loop: Header=BB137_20 Depth=1
	s_mov_b32 s14, 0
	s_mov_b64 s[54:55], 0
	v_mov_b32_e32 v6, v19
	s_mov_b32 s58, 0
	s_mov_b32 s59, s14
	;; [unrolled: 1-line block ×4, first 2 shown]
.LBB137_77:                             ;   Parent Loop BB137_20 Depth=1
                                        ; =>  This Inner Loop Header: Depth=2
	v_add_u32_e32 v14, s14, v34
	v_lshl_add_u64 v[2:3], v[14:15], 1, v[10:11]
	v_add_u32_e32 v14, s14, v31
	global_load_ushort v4, v[2:3], off
	v_lshl_add_u64 v[2:3], v[14:15], 1, v[10:11]
	v_add_u32_e32 v14, s14, v32
	global_load_ushort v5, v[2:3], off
	;; [unrolled: 3-line block ×3, first 2 shown]
	v_lshl_add_u64 v[2:3], v[14:15], 1, v[10:11]
	global_load_ushort v2, v[2:3], off
	v_add_u32_e32 v6, s89, v6
	v_cmp_le_u32_e32 vcc, s1, v6
	s_add_i32 s14, s14, s84
	s_waitcnt vmcnt(3)
	v_cmp_lt_i16_e64 s[2:3], -1, v4
	v_lshlrev_b32_e32 v3, 16, v4
	s_nop 0
	v_cndmask_b32_e64 v8, v40, v41, s[2:3]
	v_xor_b32_sdwa v4, v8, v4 dst_sel:DWORD dst_unused:UNUSED_PAD src0_sel:DWORD src1_sel:WORD_0
	v_cmp_o_f32_e64 s[2:3], v3, v3
	s_waitcnt vmcnt(2)
	v_cmp_lt_i16_e64 s[22:23], -1, v5
	v_lshlrev_b32_e32 v9, 16, v5
	v_cndmask_b32_e64 v4, v40, v4, s[2:3]
	v_cndmask_b32_e64 v3, v40, v41, s[22:23]
	s_waitcnt vmcnt(1)
	v_cmp_lt_i16_e64 s[2:3], -1, v7
	v_lshlrev_b32_e32 v8, 16, v7
	v_xor_b32_sdwa v3, v3, v5 dst_sel:DWORD dst_unused:UNUSED_PAD src0_sel:DWORD src1_sel:WORD_0
	v_cndmask_b32_e64 v5, v40, v41, s[2:3]
	s_waitcnt vmcnt(0)
	v_cmp_lt_i16_e64 s[2:3], -1, v2
	v_cmp_o_f32_e64 s[22:23], v9, v9
	v_xor_b32_sdwa v5, v5, v7 dst_sel:DWORD dst_unused:UNUSED_PAD src0_sel:DWORD src1_sel:WORD_0
	v_cndmask_b32_e64 v7, v40, v41, s[2:3]
	v_and_b32_e32 v14, v4, v45
	v_bfe_u32 v4, v4, v39, 2
	v_cmp_o_f32_e64 s[2:3], v8, v8
	v_cndmask_b32_e64 v3, v40, v3, s[22:23]
	v_cmp_eq_u32_e64 s[22:23], 0, v4
	v_cndmask_b32_e64 v5, v40, v5, s[2:3]
	v_cmp_eq_u32_e64 s[2:3], v14, v35
	v_lshlrev_b32_e32 v9, 16, v2
	v_xor_b32_sdwa v2, v7, v2 dst_sel:DWORD dst_unused:UNUSED_PAD src0_sel:DWORD src1_sel:WORD_0
	v_and_b32_e32 v7, v3, v45
	v_bfe_u32 v3, v3, v39, 2
	v_cmp_eq_u32_e64 s[26:27], 1, v4
	s_and_b64 s[22:23], s[2:3], s[22:23]
	v_cmp_eq_u32_e64 s[28:29], 2, v4
	v_cmp_eq_u32_e64 s[30:31], 3, v4
	v_cmp_o_f32_e64 s[34:35], v9, v9
	v_cmp_eq_u32_e64 s[36:37], 0, v3
	v_cmp_eq_u32_e64 s[38:39], 1, v3
	;; [unrolled: 1-line block ×4, first 2 shown]
	v_cndmask_b32_e64 v3, 0, 1, s[22:23]
	s_and_b64 s[22:23], s[2:3], s[26:27]
	v_cndmask_b32_e64 v2, v40, v2, s[34:35]
	v_cmp_eq_u32_e64 s[34:35], v7, v35
	v_and_b32_e32 v4, v5, v45
	v_bfe_u32 v5, v5, v39, 2
	v_cndmask_b32_e64 v7, 0, 1, s[22:23]
	s_and_b64 s[22:23], s[2:3], s[28:29]
	s_and_b64 s[2:3], s[2:3], s[30:31]
	v_cndmask_b32_e64 v8, 0, 1, s[22:23]
	v_cndmask_b32_e64 v9, 0, 1, s[2:3]
	v_cmp_eq_u32_e64 s[2:3], v4, v35
	v_and_b32_e32 v4, v2, v45
	v_bfe_u32 v2, v2, v39, 2
	v_cmp_eq_u32_e64 s[22:23], 0, v5
	s_and_b64 s[36:37], s[34:35], s[36:37]
	s_and_b64 s[38:39], s[34:35], s[38:39]
	;; [unrolled: 1-line block ×4, first 2 shown]
	v_cmp_eq_u32_e64 s[26:27], 1, v5
	v_cmp_eq_u32_e64 s[28:29], 2, v5
	;; [unrolled: 1-line block ×3, first 2 shown]
	v_cndmask_b32_e64 v5, 0, 1, s[38:39]
	v_cmp_ne_u32_e64 s[38:39], 0, v8
	v_cndmask_b32_e64 v8, 0, 1, s[34:35]
	v_cmp_eq_u32_e64 s[34:35], v4, v35
	v_cmp_eq_u32_e64 s[42:43], 0, v2
	s_and_b64 s[22:23], s[2:3], s[22:23]
	v_cmp_ne_u32_e64 s[44:45], 0, v3
	v_cndmask_b32_e64 v3, 0, 1, s[36:37]
	v_cmp_eq_u32_e64 s[46:47], 1, v2
	v_cmp_eq_u32_e64 s[48:49], 2, v2
	;; [unrolled: 1-line block ×3, first 2 shown]
	v_cndmask_b32_e64 v2, 0, 1, s[22:23]
	s_and_b64 s[26:27], s[2:3], s[26:27]
	s_and_b64 s[28:29], s[2:3], s[28:29]
	;; [unrolled: 1-line block ×4, first 2 shown]
	v_cmp_ne_u32_e64 s[36:37], 0, v7
	v_cndmask_b32_e64 v7, 0, 1, s[40:41]
	v_cmp_ne_u32_e64 s[40:41], 0, v9
	s_bcnt1_i32_b64 s15, s[44:45]
	v_cmp_ne_u32_e64 s[44:45], 0, v3
	v_cmp_ne_u32_e64 s[22:23], 0, v5
	v_cndmask_b32_e64 v3, 0, 1, s[26:27]
	v_cndmask_b32_e64 v5, 0, 1, s[2:3]
	v_cmp_ne_u32_e64 s[2:3], 0, v2
	v_cndmask_b32_e64 v2, 0, 1, s[30:31]
	s_and_b64 s[30:31], s[34:35], s[46:47]
	s_bcnt1_i32_b64 s36, s[36:37]
	s_bcnt1_i32_b64 s37, s[38:39]
	v_cmp_ne_u32_e64 s[26:27], 0, v7
	v_cndmask_b32_e64 v4, 0, 1, s[28:29]
	s_bcnt1_i32_b64 s38, s[40:41]
	s_bcnt1_i32_b64 s40, s[22:23]
	v_cmp_ne_u32_e64 s[22:23], 0, v3
	v_cndmask_b32_e64 v3, 0, 1, s[30:31]
	s_and_b64 s[30:31], s[34:35], s[48:49]
	v_cmp_ne_u32_e64 s[28:29], 0, v8
	s_bcnt1_i32_b64 s41, s[26:27]
	v_cmp_ne_u32_e64 s[26:27], 0, v4
	v_cndmask_b32_e64 v4, 0, 1, s[30:31]
	s_and_b64 s[30:31], s[34:35], s[50:51]
	s_bcnt1_i32_b64 s39, s[44:45]
	s_add_i32 s15, s58, s15
	s_add_i32 s36, s59, s36
	s_bcnt1_i32_b64 s42, s[28:29]
	v_cmp_ne_u32_e64 s[28:29], 0, v5
	v_cndmask_b32_e64 v5, 0, 1, s[30:31]
	s_add_i32 s30, s56, s37
	s_add_i32 s31, s57, s38
	s_bcnt1_i32_b64 s34, s[2:3]
	v_cmp_ne_u32_e64 s[2:3], 0, v2
	s_bcnt1_i32_b64 s35, s[22:23]
	v_cmp_ne_u32_e64 s[22:23], 0, v3
	s_add_i32 s36, s36, s40
	s_add_i32 s15, s15, s39
	s_bcnt1_i32_b64 s37, s[26:27]
	v_cmp_ne_u32_e64 s[26:27], 0, v4
	s_bcnt1_i32_b64 s38, s[28:29]
	v_cmp_ne_u32_e64 s[28:29], 0, v5
	s_add_i32 s31, s31, s42
	s_add_i32 s30, s30, s41
	s_bcnt1_i32_b64 s2, s[2:3]
	s_bcnt1_i32_b64 s3, s[22:23]
	s_add_i32 s15, s15, s34
	s_add_i32 s22, s36, s35
	s_bcnt1_i32_b64 s23, s[26:27]
	s_bcnt1_i32_b64 s26, s[28:29]
	s_add_i32 s27, s30, s37
	s_add_i32 s28, s31, s38
	;; [unrolled: 1-line block ×6, first 2 shown]
	s_or_b64 s[54:55], vcc, s[54:55]
	v_mov_b64_e32 v[2:3], s[58:59]
	v_mov_b64_e32 v[4:5], s[56:57]
	s_andn2_b64 exec, exec, s[54:55]
	s_cbranch_execnz .LBB137_77
; %bb.78:                               ;   in Loop: Header=BB137_20 Depth=1
	s_or_b64 exec, exec, s[54:55]
.LBB137_79:                             ;   in Loop: Header=BB137_20 Depth=1
	s_or_b64 exec, exec, s[52:53]
	s_and_saveexec_b64 s[14:15], s[18:19]
	s_cbranch_execz .LBB137_85
; %bb.80:                               ;   in Loop: Header=BB137_20 Depth=1
	global_load_ushort v8, v[20:21], off
	s_mov_b64 s[22:23], 0
	v_mov_b32_e32 v14, v36
	v_mov_b32_e32 v6, v29
	s_branch .LBB137_82
.LBB137_81:                             ;   in Loop: Header=BB137_82 Depth=2
	s_or_b64 exec, exec, s[26:27]
	s_and_b64 s[2:3], exec, vcc
	s_waitcnt vmcnt(0)
	v_cmp_lt_i16_e32 vcc, -1, v8
	v_lshlrev_b32_e32 v48, 16, v8
	s_or_b64 s[22:23], s[2:3], s[22:23]
	v_cndmask_b32_e32 v9, v40, v41, vcc
	v_xor_b32_sdwa v8, v9, v8 dst_sel:DWORD dst_unused:UNUSED_PAD src0_sel:DWORD src1_sel:WORD_0
	v_cmp_o_f32_e32 vcc, v48, v48
	v_add_u32_e32 v14, s65, v14
	s_nop 0
	v_cndmask_b32_e32 v8, v40, v8, vcc
	v_and_b32_e32 v9, v8, v45
	v_bfe_u32 v8, v8, v39, 2
	v_cmp_eq_u32_e32 vcc, v9, v35
	v_cmp_eq_u32_e64 s[2:3], 0, v8
	s_and_b64 s[2:3], vcc, s[2:3]
	s_nop 0
	v_cndmask_b32_e64 v9, 0, 1, s[2:3]
	v_cmp_ne_u32_e64 s[2:3], 0, v9
	s_bcnt1_i32_b64 s26, s[2:3]
	v_cmp_eq_u32_e64 s[2:3], 1, v8
	s_and_b64 s[2:3], vcc, s[2:3]
	v_add_u32_e32 v2, s26, v2
	v_cndmask_b32_e64 v9, 0, 1, s[2:3]
	v_cmp_ne_u32_e64 s[2:3], 0, v9
	s_bcnt1_i32_b64 s2, s[2:3]
	s_nop 0
	v_add_u32_e32 v3, s2, v3
	v_cmp_eq_u32_e64 s[2:3], 2, v8
	s_and_b64 s[2:3], vcc, s[2:3]
	s_nop 0
	v_cndmask_b32_e64 v9, 0, 1, s[2:3]
	v_cmp_ne_u32_e64 s[2:3], 0, v9
	s_bcnt1_i32_b64 s26, s[2:3]
	v_cmp_eq_u32_e64 s[2:3], 3, v8
	s_and_b64 s[2:3], vcc, s[2:3]
	v_add_u32_e32 v4, s26, v4
	v_cndmask_b32_e64 v8, 0, 1, s[2:3]
	v_cmp_ne_u32_e32 vcc, 0, v8
	s_bcnt1_i32_b64 s2, vcc
	v_add_u32_e32 v5, s2, v5
	v_mov_b32_e32 v8, v7
	s_andn2_b64 exec, exec, s[22:23]
	s_cbranch_execz .LBB137_84
.LBB137_82:                             ;   Parent Loop BB137_20 Depth=1
                                        ; =>  This Inner Loop Header: Depth=2
	v_add_u32_e32 v6, s67, v6
	v_cmp_gt_u32_e64 s[2:3], s64, v6
	v_cmp_le_u32_e32 vcc, s64, v6
	v_mov_b32_e32 v7, 0
	s_and_saveexec_b64 s[26:27], s[2:3]
	s_cbranch_execz .LBB137_81
; %bb.83:                               ;   in Loop: Header=BB137_82 Depth=2
	v_lshl_add_u64 v[48:49], v[14:15], 1, v[10:11]
	global_load_ushort v7, v[48:49], off
	s_branch .LBB137_81
.LBB137_84:                             ;   in Loop: Header=BB137_20 Depth=1
	s_or_b64 exec, exec, s[22:23]
.LBB137_85:                             ;   in Loop: Header=BB137_20 Depth=1
	s_or_b64 exec, exec, s[14:15]
	s_branch .LBB137_67
.LBB137_86:                             ;   in Loop: Header=BB137_20 Depth=1
	s_mul_hi_u32 s2, s80, s0
	s_mul_i32 s2, s2, s89
	s_sub_i32 s2, s80, s2
	s_sub_i32 s3, s2, s89
	s_cmp_ge_u32 s2, s89
	s_cselect_b32 s2, s3, s2
	s_sub_i32 s3, s2, s89
	s_cmp_ge_u32 s2, s89
	s_cselect_b32 s2, s3, s2
	s_sub_i32 s81, s80, s2
	v_mov_b32_e32 v14, v15
	v_cmp_gt_u32_e32 vcc, s81, v19
	v_mov_b64_e32 v[4:5], v[14:15]
	v_mov_b64_e32 v[2:3], v[14:15]
	s_and_saveexec_b64 s[14:15], vcc
	s_cbranch_execz .LBB137_90
; %bb.87:                               ;   in Loop: Header=BB137_20 Depth=1
	s_mov_b32 s76, 0
	s_mov_b64 s[72:73], 0
	v_mov_b32_e32 v6, v37
	v_mov_b32_e32 v7, v19
	s_mov_b32 s77, s76
	s_mov_b32 s74, s76
	;; [unrolled: 1-line block ×3, first 2 shown]
.LBB137_88:                             ;   Parent Loop BB137_20 Depth=1
                                        ; =>  This Inner Loop Header: Depth=2
	ds_read_b64 v[2:3], v6
	v_add_u32_e32 v7, s89, v7
	v_cmp_le_u32_e32 vcc, s81, v7
	v_add_u32_e32 v6, s85, v6
	s_waitcnt lgkmcnt(0)
	v_cmp_lt_i16_e64 s[2:3], -1, v2
	v_lshlrev_b32_e32 v4, 16, v2
	s_nop 0
	v_cndmask_b32_e64 v14, v40, v41, s[2:3]
	v_cmp_gt_i16_sdwa s[2:3], v2, v42 src0_sel:WORD_1 src1_sel:DWORD
	v_and_b32_e32 v5, 0xffff0000, v2
	v_cmp_o_f32_e64 s[28:29], v4, v4
	v_cndmask_b32_e64 v48, v40, v41, s[2:3]
	v_cmp_lt_i16_e64 s[2:3], -1, v3
	v_xor_b32_sdwa v48, v48, v2 dst_sel:DWORD dst_unused:UNUSED_PAD src0_sel:DWORD src1_sel:WORD_1
	v_bitop3_b32 v2, v14, v2, s88 bitop3:0x78
	v_cndmask_b32_e64 v49, v40, v41, s[2:3]
	v_cmp_gt_i16_sdwa s[2:3], v3, v42 src0_sel:WORD_1 src1_sel:DWORD
	v_lshlrev_b32_e32 v8, 16, v3
	v_cndmask_b32_e64 v2, v40, v2, s[28:29]
	v_cndmask_b32_e64 v50, v40, v41, s[2:3]
	v_cmp_o_f32_e64 s[2:3], v5, v5
	v_and_b32_e32 v9, 0xffff0000, v3
	v_bitop3_b32 v5, v49, v3, s88 bitop3:0x78
	v_cmp_o_f32_e64 s[22:23], v8, v8
	v_cndmask_b32_e64 v4, v40, v48, s[2:3]
	v_and_b32_e32 v8, v2, v45
	v_bfe_u32 v2, v2, v39, 2
	v_xor_b32_sdwa v3, v50, v3 dst_sel:DWORD dst_unused:UNUSED_PAD src0_sel:DWORD src1_sel:WORD_1
	v_cmp_o_f32_e64 s[26:27], v9, v9
	v_cndmask_b32_e64 v5, v40, v5, s[22:23]
	v_and_b32_e32 v9, v4, v45
	v_bfe_u32 v4, v4, v39, 2
	v_cmp_eq_u32_e64 s[2:3], v8, v35
	v_cmp_eq_u32_e64 s[30:31], 0, v2
	v_cndmask_b32_e64 v3, v40, v3, s[26:27]
	v_and_b32_e32 v14, v5, v45
	v_bfe_u32 v5, v5, v39, 2
	v_cmp_eq_u32_e64 s[22:23], v9, v35
	v_cmp_eq_u32_e64 s[34:35], 0, v4
	s_and_b64 s[30:31], s[2:3], s[30:31]
	v_and_b32_e32 v48, v3, v45
	v_bfe_u32 v3, v3, v39, 2
	v_cmp_eq_u32_e64 s[26:27], v14, v35
	v_cmp_eq_u32_e64 s[36:37], 0, v5
	;; [unrolled: 1-line block ×5, first 2 shown]
	v_cndmask_b32_e64 v2, 0, 1, s[30:31]
	s_and_b64 s[30:31], s[22:23], s[34:35]
	v_cmp_eq_u32_e64 s[28:29], v48, v35
	v_cmp_eq_u32_e64 s[38:39], 0, v3
	;; [unrolled: 1-line block ×5, first 2 shown]
	v_cndmask_b32_e64 v3, 0, 1, s[30:31]
	s_and_b64 s[30:31], s[26:27], s[36:37]
	v_cmp_eq_u32_e64 s[42:43], 1, v4
	v_cmp_eq_u32_e64 s[50:51], 2, v4
	;; [unrolled: 1-line block ×3, first 2 shown]
	v_cndmask_b32_e64 v4, 0, 1, s[30:31]
	s_and_b64 s[30:31], s[28:29], s[38:39]
	v_cmp_eq_u32_e64 s[44:45], 1, v5
	v_cmp_eq_u32_e64 s[52:53], 2, v5
	;; [unrolled: 1-line block ×3, first 2 shown]
	v_cndmask_b32_e64 v5, 0, 1, s[30:31]
	s_and_b64 s[30:31], s[2:3], s[40:41]
	v_cndmask_b32_e64 v8, 0, 1, s[30:31]
	s_and_b64 s[30:31], s[22:23], s[42:43]
	;; [unrolled: 2-line block ×5, first 2 shown]
	s_and_b64 s[2:3], s[2:3], s[56:57]
	v_cndmask_b32_e64 v49, 0, 1, s[30:31]
	s_and_b64 s[30:31], s[22:23], s[50:51]
	v_cndmask_b32_e64 v54, 0, 1, s[2:3]
	;; [unrolled: 2-line block ×7, first 2 shown]
	v_cndmask_b32_e64 v57, 0, 1, s[2:3]
	v_cmp_ne_u32_e64 s[2:3], 0, v2
	v_cmp_ne_u32_e64 s[22:23], 0, v3
	;; [unrolled: 1-line block ×11, first 2 shown]
	s_bcnt1_i32_b64 s2, s[2:3]
	s_bcnt1_i32_b64 s3, s[22:23]
	;; [unrolled: 1-line block ×8, first 2 shown]
	v_cmp_ne_u32_e64 s[38:39], 0, v48
	v_cmp_ne_u32_e64 s[44:45], 0, v51
	;; [unrolled: 1-line block ×3, first 2 shown]
	s_bcnt1_i32_b64 s27, s[34:35]
	s_bcnt1_i32_b64 s31, s[42:43]
	;; [unrolled: 1-line block ×3, first 2 shown]
	s_add_i32 s2, s76, s2
	s_add_i32 s26, s77, s26
	;; [unrolled: 1-line block ×4, first 2 shown]
	v_cmp_ne_u32_e64 s[46:47], 0, v53
	v_cmp_ne_u32_e64 s[54:55], 0, v57
	s_bcnt1_i32_b64 s29, s[38:39]
	s_bcnt1_i32_b64 s34, s[44:45]
	;; [unrolled: 1-line block ×3, first 2 shown]
	s_add_i32 s26, s26, s27
	s_add_i32 s2, s2, s3
	;; [unrolled: 1-line block ×4, first 2 shown]
	s_bcnt1_i32_b64 s35, s[46:47]
	s_bcnt1_i32_b64 s39, s[54:55]
	s_add_i32 s2, s2, s22
	s_add_i32 s22, s26, s28
	;; [unrolled: 1-line block ×8, first 2 shown]
	s_or_b64 s[72:73], vcc, s[72:73]
	v_mov_b64_e32 v[2:3], s[76:77]
	v_mov_b64_e32 v[4:5], s[74:75]
	s_andn2_b64 exec, exec, s[72:73]
	s_cbranch_execnz .LBB137_88
; %bb.89:                               ;   in Loop: Header=BB137_20 Depth=1
	s_or_b64 exec, exec, s[72:73]
.LBB137_90:                             ;   in Loop: Header=BB137_20 Depth=1
	s_or_b64 exec, exec, s[14:15]
	v_add_u32_e32 v6, s81, v0
	v_cmp_gt_u32_e32 vcc, s80, v6
	s_and_saveexec_b64 s[14:15], vcc
	s_cbranch_execz .LBB137_94
; %bb.91:                               ;   in Loop: Header=BB137_20 Depth=1
	v_lshlrev_b32_e32 v7, 1, v6
	s_mov_b64 s[34:35], 0
.LBB137_92:                             ;   Parent Loop BB137_20 Depth=1
                                        ; =>  This Inner Loop Header: Depth=2
	ds_read_u16 v8, v7
	v_add_u32_e32 v6, s67, v6
	v_cmp_le_u32_e32 vcc, s80, v6
	v_add_u32_e32 v7, s86, v7
	s_waitcnt lgkmcnt(0)
	v_cmp_lt_i16_e64 s[2:3], -1, v8
	v_lshlrev_b32_e32 v9, 16, v8
	s_nop 0
	v_cndmask_b32_e64 v14, v40, v41, s[2:3]
	v_xor_b32_sdwa v8, v14, v8 dst_sel:DWORD dst_unused:UNUSED_PAD src0_sel:DWORD src1_sel:WORD_0
	v_cmp_o_f32_e64 s[2:3], v9, v9
	s_nop 1
	v_cndmask_b32_e64 v8, v40, v8, s[2:3]
	v_and_b32_e32 v9, v8, v45
	v_bfe_u32 v8, v8, v39, 2
	v_cmp_eq_u32_e64 s[2:3], v9, v35
	v_cmp_eq_u32_e64 s[22:23], 0, v8
	;; [unrolled: 1-line block ×3, first 2 shown]
	s_and_b64 s[22:23], s[2:3], s[22:23]
	v_cmp_eq_u32_e64 s[28:29], 2, v8
	v_cmp_eq_u32_e64 s[30:31], 3, v8
	v_cndmask_b32_e64 v8, 0, 1, s[22:23]
	s_and_b64 s[22:23], s[2:3], s[26:27]
	v_cndmask_b32_e64 v9, 0, 1, s[22:23]
	s_and_b64 s[22:23], s[2:3], s[28:29]
	s_and_b64 s[2:3], s[2:3], s[30:31]
	v_cndmask_b32_e64 v14, 0, 1, s[22:23]
	v_cndmask_b32_e64 v48, 0, 1, s[2:3]
	v_cmp_ne_u32_e64 s[2:3], 0, v8
	v_cmp_ne_u32_e64 s[22:23], 0, v9
	;; [unrolled: 1-line block ×4, first 2 shown]
	s_bcnt1_i32_b64 s2, s[2:3]
	s_bcnt1_i32_b64 s3, s[22:23]
	;; [unrolled: 1-line block ×4, first 2 shown]
	v_add_u32_e32 v3, s3, v3
	v_add_u32_e32 v2, s2, v2
	;; [unrolled: 1-line block ×3, first 2 shown]
	s_or_b64 s[34:35], vcc, s[34:35]
	v_add_u32_e32 v4, s22, v4
	s_andn2_b64 exec, exec, s[34:35]
	s_cbranch_execnz .LBB137_92
; %bb.93:                               ;   in Loop: Header=BB137_20 Depth=1
	s_or_b64 exec, exec, s[34:35]
.LBB137_94:                             ;   in Loop: Header=BB137_20 Depth=1
	s_or_b64 exec, exec, s[14:15]
	s_lshl_b32 s22, s21, 6
	s_and_saveexec_b64 s[2:3], s[4:5]
	s_cbranch_execnz .LBB137_68
	s_branch .LBB137_69
.LBB137_95:                             ;   in Loop: Header=BB137_20 Depth=1
	v_mov_b32_e32 v2, 0
	s_mov_b32 s23, 0
	s_cbranch_execnz .LBB137_100
	s_branch .LBB137_102
.LBB137_96:                             ;   in Loop: Header=BB137_20 Depth=1
	v_mov_b32_e32 v14, v15
	s_mov_b32 s14, 0
	v_mov_b64_e32 v[2:3], v[14:15]
	s_mov_b32 s15, 1
.LBB137_97:                             ;   in Loop: Header=BB137_20 Depth=1
	v_readlane_b32 s26, v82, 33
	v_readlane_b32 s27, v82, 34
	s_andn2_b64 vcc, exec, s[26:27]
	v_readlane_b32 s23, v82, 32
	s_cbranch_vccnz .LBB137_99
.LBB137_98:                             ;   Parent Loop BB137_20 Depth=1
                                        ; =>  This Inner Loop Header: Depth=2
	v_lshl_add_u32 v6, s14, 4, v5
	v_lshl_add_u32 v7, s15, 4, v5
	ds_read_b32 v7, v7
	ds_read_b32 v6, v6
	s_add_i32 s15, s15, 2
	s_add_i32 s14, s14, 2
	s_add_i32 s23, s23, -1
	s_cmp_lg_u32 s23, 0
	s_waitcnt lgkmcnt(1)
	v_add_u32_e32 v3, v7, v3
	s_waitcnt lgkmcnt(0)
	v_add_u32_e32 v2, v6, v2
	s_cbranch_scc1 .LBB137_98
.LBB137_99:                             ;   in Loop: Header=BB137_20 Depth=1
	v_readlane_b32 s14, v82, 37
	v_add_u32_e32 v2, v2, v3
	v_readlane_b32 s23, v82, 36
	v_readlane_b32 s15, v82, 38
	s_and_b64 vcc, exec, s[14:15]
	s_cbranch_vccz .LBB137_102
.LBB137_100:                            ;   in Loop: Header=BB137_20 Depth=1
	s_lshl_b32 s14, s21, 8
	s_lshl_b32 s15, s23, 4
	s_add_i32 s14, s14, s15
	v_add_u32_e32 v3, s14, v38
	v_readlane_b32 s14, v82, 35
	s_sub_i32 s14, s14, s23
.LBB137_101:                            ;   Parent Loop BB137_20 Depth=1
                                        ; =>  This Inner Loop Header: Depth=2
	ds_read_b32 v5, v3
	s_add_i32 s14, s14, -1
	v_add_u32_e32 v3, 16, v3
	s_cmp_eq_u32 s14, 0
	s_waitcnt lgkmcnt(0)
	v_add_u32_e32 v2, v5, v2
	s_cbranch_scc0 .LBB137_101
.LBB137_102:                            ;   in Loop: Header=BB137_20 Depth=1
	v_lshlrev_b32_e32 v3, 2, v4
	ds_write_b32 v3, v2 offset:3072
.LBB137_103:                            ;   in Loop: Header=BB137_20 Depth=1
	s_or_b64 exec, exec, s[2:3]
	s_lshl_b32 s2, s22, 2
	v_mov_b32_e32 v2, s2
	s_waitcnt lgkmcnt(0)
	s_barrier
	ds_read_b128 v[2:5], v2 offset:3072
	v_cmp_eq_u32_e32 vcc, 1, v47
	s_mov_b64 s[22:23], -1
	s_mov_b64 s[30:31], -1
                                        ; implicit-def: $sgpr28_sgpr29
                                        ; implicit-def: $sgpr26_sgpr27
	s_waitcnt lgkmcnt(0)
	v_readfirstlane_b32 s44, v2
	s_cmp_eq_u32 s44, 1
	v_lshlrev_b32_e64 v2, v39, 3
	s_cselect_b64 s[2:3], -1, 0
	v_readfirstlane_b32 s48, v3
	v_readfirstlane_b32 s56, v4
	;; [unrolled: 1-line block ×3, first 2 shown]
	v_not_b32_e32 v4, v2
	s_and_b64 s[14:15], s[2:3], vcc
	s_and_saveexec_b64 s[2:3], s[14:15]
	s_cbranch_execz .LBB137_129
; %bb.104:                              ;   in Loop: Header=BB137_20 Depth=1
	ds_read_b32 v3, v15 offset:4104
	s_waitcnt lgkmcnt(0)
	s_barrier
	v_readfirstlane_b32 s45, v3
	s_and_saveexec_b64 s[26:27], s[6:7]
; %bb.105:                              ;   in Loop: Header=BB137_20 Depth=1
	ds_write_b16 v24, v15
; %bb.106:                              ;   in Loop: Header=BB137_20 Depth=1
	s_or_b64 exec, exec, s[26:27]
	v_and_b32_e32 v35, v35, v4
	v_or_b32_e32 v45, v45, v2
	s_mov_b64 s[26:27], -1
	s_mov_b64 s[28:29], 0
	s_cmp_eq_u32 s45, 0
	s_mov_b64 s[30:31], 0
	s_mov_b64 s[34:35], -1
	s_waitcnt lgkmcnt(0)
	s_barrier
                                        ; implicit-def: $vgpr46
	s_cbranch_scc1 .LBB137_117
; %bb.107:                              ;   in Loop: Header=BB137_20 Depth=1
	s_add_i32 s30, s45, s90
	s_mul_hi_u32 s31, s30, s91
	s_mul_i32 s31, s31, s67
	s_sub_i32 s31, s30, s31
	s_sub_i32 s34, s31, s67
	s_cmp_ge_u32 s31, s67
	s_cselect_b32 s31, s34, s31
	s_sub_i32 s34, s31, s67
	s_cmp_ge_u32 s31, s67
	s_cselect_b32 s31, s34, s31
	s_sub_i32 s46, s30, s31
	v_cmp_gt_u32_e32 vcc, s46, v0
	s_mov_b64 s[34:35], 0
	s_mov_b64 s[30:31], 0
                                        ; implicit-def: $vgpr46
	s_and_saveexec_b64 s[36:37], vcc
	s_cbranch_execz .LBB137_116
; %bb.108:                              ;   in Loop: Header=BB137_20 Depth=1
	v_mov_b32_e32 v3, v23
	v_mov_b32_e32 v5, v0
                                        ; implicit-def: $sgpr38_sgpr39
	s_branch .LBB137_111
.LBB137_109:                            ;   in Loop: Header=BB137_111 Depth=2
	s_or_b64 exec, exec, s[40:41]
	s_waitcnt lgkmcnt(0)
	s_barrier
	ds_read_b32 v6, v15 offset:3072
	s_mov_b64 s[40:41], -1
	s_mov_b64 s[42:43], -1
	s_waitcnt lgkmcnt(0)
	s_barrier
	v_and_b32_e32 v7, 0x7fff, v6
	v_cmp_ne_u32_e32 vcc, 0, v7
	s_cbranch_vccz .LBB137_114
.LBB137_110:                            ;   in Loop: Header=BB137_111 Depth=2
	s_and_b64 s[40:41], exec, s[40:41]
	s_or_b64 s[30:31], s[40:41], s[30:31]
	s_andn2_b64 s[38:39], s[38:39], exec
	s_and_b64 s[40:41], s[42:43], exec
	s_or_b64 s[38:39], s[38:39], s[40:41]
	s_andn2_b64 exec, exec, s[30:31]
	s_cbranch_execz .LBB137_115
.LBB137_111:                            ;   Parent Loop BB137_20 Depth=1
                                        ; =>  This Inner Loop Header: Depth=2
	v_cmp_gt_u32_e32 vcc, s45, v5
	s_and_saveexec_b64 s[40:41], vcc
	s_cbranch_execz .LBB137_109
; %bb.112:                              ;   in Loop: Header=BB137_111 Depth=2
	ds_read_u16 v6, v3
	s_waitcnt lgkmcnt(0)
	v_cmp_lt_i16_e32 vcc, -1, v6
	v_lshlrev_b32_e32 v7, 16, v6
	s_nop 0
	v_cndmask_b32_e32 v8, v40, v41, vcc
	v_xor_b32_sdwa v8, v8, v6 dst_sel:DWORD dst_unused:UNUSED_PAD src0_sel:DWORD src1_sel:WORD_0
	v_cmp_o_f32_e32 vcc, v7, v7
	s_nop 1
	v_cndmask_b32_e32 v7, v40, v8, vcc
	v_and_b32_e32 v7, v7, v45
	v_cmp_eq_u32_e32 vcc, v7, v35
	s_and_b64 exec, exec, vcc
	s_cbranch_execz .LBB137_109
; %bb.113:                              ;   in Loop: Header=BB137_111 Depth=2
	v_perm_b32 v6, v6, s20, v44
	ds_write_b32 v15, v6 offset:3072
	s_branch .LBB137_109
.LBB137_114:                            ;   in Loop: Header=BB137_111 Depth=2
	v_add_u32_e32 v5, s67, v5
	v_cmp_le_u32_e32 vcc, s46, v5
	v_add_u32_e32 v3, s86, v3
	s_mov_b64 s[42:43], 0
	s_orn2_b64 s[40:41], vcc, exec
	s_branch .LBB137_110
.LBB137_115:                            ;   in Loop: Header=BB137_20 Depth=1
	s_or_b64 exec, exec, s[30:31]
	v_lshrrev_b32_e32 v46, 16, v6
	s_and_b64 s[30:31], s[38:39], exec
.LBB137_116:                            ;   in Loop: Header=BB137_20 Depth=1
	s_or_b64 exec, exec, s[36:37]
.LBB137_117:                            ;   in Loop: Header=BB137_20 Depth=1
	s_and_b64 vcc, exec, s[34:35]
	s_cbranch_vccz .LBB137_128
; %bb.118:                              ;   in Loop: Header=BB137_20 Depth=1
                                        ; implicit-def: $vgpr46
	s_mov_b64 s[26:27], exec
	v_readlane_b32 s28, v82, 39
	v_readlane_b32 s29, v82, 40
	s_and_b64 s[28:29], s[26:27], s[28:29]
	s_mov_b64 exec, s[28:29]
	s_cbranch_execz .LBB137_127
; %bb.119:                              ;   in Loop: Header=BB137_20 Depth=1
	s_mov_b64 s[28:29], 0
	v_mov_b32_e32 v14, v12
	v_mov_b32_e32 v3, v0
                                        ; implicit-def: $sgpr34_sgpr35
	s_branch .LBB137_122
.LBB137_120:                            ;   in Loop: Header=BB137_122 Depth=2
	s_or_b64 exec, exec, s[36:37]
	s_waitcnt lgkmcnt(0)
	s_barrier
	ds_read_b32 v5, v15 offset:3072
	s_mov_b64 s[36:37], -1
	s_mov_b64 s[38:39], -1
	s_waitcnt lgkmcnt(0)
	s_barrier
	v_and_b32_e32 v6, 0x7fff, v5
	v_cmp_ne_u32_e32 vcc, 0, v6
	s_cbranch_vccz .LBB137_125
.LBB137_121:                            ;   in Loop: Header=BB137_122 Depth=2
	s_and_b64 s[36:37], exec, s[36:37]
	s_or_b64 s[28:29], s[36:37], s[28:29]
	s_andn2_b64 s[34:35], s[34:35], exec
	s_and_b64 s[36:37], s[38:39], exec
	s_or_b64 s[34:35], s[34:35], s[36:37]
	s_andn2_b64 exec, exec, s[28:29]
	s_cbranch_execz .LBB137_126
.LBB137_122:                            ;   Parent Loop BB137_20 Depth=1
                                        ; =>  This Inner Loop Header: Depth=2
	v_cmp_gt_u32_e32 vcc, s64, v3
	s_and_saveexec_b64 s[36:37], vcc
	s_cbranch_execz .LBB137_120
; %bb.123:                              ;   in Loop: Header=BB137_122 Depth=2
	v_lshl_add_u64 v[6:7], v[14:15], 1, v[10:11]
	global_load_ushort v5, v[6:7], off
	s_waitcnt vmcnt(0)
	v_cmp_lt_i16_e32 vcc, -1, v5
	v_lshlrev_b32_e32 v6, 16, v5
	s_nop 0
	v_cndmask_b32_e32 v7, v40, v41, vcc
	v_xor_b32_sdwa v7, v7, v5 dst_sel:DWORD dst_unused:UNUSED_PAD src0_sel:DWORD src1_sel:WORD_0
	v_cmp_o_f32_e32 vcc, v6, v6
	s_nop 1
	v_cndmask_b32_e32 v6, v40, v7, vcc
	v_and_b32_e32 v6, v6, v45
	v_cmp_eq_u32_e32 vcc, v6, v35
	s_and_b64 exec, exec, vcc
	s_cbranch_execz .LBB137_120
; %bb.124:                              ;   in Loop: Header=BB137_122 Depth=2
	v_perm_b32 v5, v5, s20, v44
	ds_write_b32 v15, v5 offset:3072
	s_branch .LBB137_120
.LBB137_125:                            ;   in Loop: Header=BB137_122 Depth=2
	v_add_u32_e32 v3, s67, v3
	v_cmp_le_u32_e32 vcc, s33, v3
	v_add_u32_e32 v14, s65, v14
	s_mov_b64 s[38:39], 0
	s_orn2_b64 s[36:37], vcc, exec
	s_branch .LBB137_121
.LBB137_126:                            ;   in Loop: Header=BB137_20 Depth=1
	s_or_b64 exec, exec, s[28:29]
	s_andn2_b64 s[28:29], s[30:31], exec
	s_and_b64 s[30:31], s[34:35], exec
	v_lshrrev_b32_e32 v46, 16, v5
	s_or_b64 s[30:31], s[28:29], s[30:31]
.LBB137_127:                            ;   in Loop: Header=BB137_20 Depth=1
	s_or_b64 exec, exec, s[26:27]
	s_mov_b64 s[26:27], 0
	s_mov_b64 s[28:29], -1
.LBB137_128:                            ;   in Loop: Header=BB137_20 Depth=1
	s_orn2_b64 s[30:31], s[30:31], exec
.LBB137_129:                            ;   in Loop: Header=BB137_20 Depth=1
	s_or_b64 exec, exec, s[2:3]
	s_andn2_b64 s[2:3], s[10:11], exec
	s_and_b64 s[10:11], s[28:29], exec
	s_or_b64 s[10:11], s[2:3], s[10:11]
	s_andn2_b64 s[2:3], s[70:71], exec
	s_and_b64 s[26:27], s[26:27], exec
	v_readfirstlane_b32 s36, v0
	s_andn2_b64 s[12:13], s[12:13], exec
	s_or_b64 s[70:71], s[2:3], s[26:27]
                                        ; implicit-def: $vgpr5
	s_and_saveexec_b64 s[2:3], s[30:31]
	s_cbranch_execz .LBB137_19
; %bb.130:                              ;   in Loop: Header=BB137_20 Depth=1
	s_xor_b64 s[22:23], s[14:15], -1
	s_mov_b64 s[26:27], 0
	v_mov_b32_e32 v5, 1
	v_mov_b32_e32 v3, 1
	s_and_saveexec_b64 s[14:15], s[22:23]
	s_cbranch_execz .LBB137_139
; %bb.131:                              ;   in Loop: Header=BB137_20 Depth=1
	v_cmp_ge_u32_e32 vcc, s44, v47
	s_and_saveexec_b64 s[22:23], vcc
	s_xor_b64 s[22:23], exec, s[22:23]
	s_cbranch_execz .LBB137_136
; %bb.132:                              ;   in Loop: Header=BB137_20 Depth=1
	ds_read_b32 v3, v15 offset:4104
	v_and_b32_e32 v35, v35, v4
	v_or_b32_e32 v45, v45, v2
	s_waitcnt lgkmcnt(0)
	v_cmp_ne_u32_e32 vcc, 0, v3
	s_cbranch_vccnz .LBB137_136
; %bb.133:                              ;   in Loop: Header=BB137_20 Depth=1
	s_and_saveexec_b64 s[26:27], s[24:25]
; %bb.134:                              ;   in Loop: Header=BB137_20 Depth=1
	v_mov_b32_e32 v3, s44
	ds_write_b32 v15, v3 offset:4108
; %bb.135:                              ;   in Loop: Header=BB137_20 Depth=1
	s_or_b64 exec, exec, s[26:27]
	s_waitcnt lgkmcnt(0)
	s_barrier
.LBB137_136:                            ;   in Loop: Header=BB137_20 Depth=1
	s_or_saveexec_b64 s[22:23], s[22:23]
	s_mov_b64 s[26:27], 0
	v_mov_b32_e32 v3, 8
	s_xor_b64 exec, exec, s[22:23]
; %bb.137:                              ;   in Loop: Header=BB137_20 Depth=1
	s_mov_b64 s[26:27], exec
	v_subrev_u32_e32 v47, s44, v47
	v_mov_b32_e32 v3, 0
; %bb.138:                              ;   in Loop: Header=BB137_20 Depth=1
	s_or_b64 exec, exec, s[22:23]
	s_and_b64 s[26:27], s[26:27], exec
	v_mov_b32_e32 v5, v47
.LBB137_139:                            ;   in Loop: Header=BB137_20 Depth=1
	s_or_b64 exec, exec, s[14:15]
	s_mov_b64 s[22:23], -1
	s_mov_b64 s[14:15], -1
                                        ; implicit-def: $sgpr28_sgpr29
                                        ; implicit-def: $sgpr30_sgpr31
	s_and_saveexec_b64 s[34:35], s[26:27]
	s_xor_b64 s[26:27], exec, s[34:35]
	s_cbranch_execz .LBB137_256
; %bb.140:                              ;   in Loop: Header=BB137_20 Depth=1
	s_cmp_eq_u32 s48, 1
	s_cselect_b64 s[14:15], -1, 0
	v_cmp_eq_u32_e32 vcc, 1, v5
	s_and_b64 s[14:15], s[14:15], vcc
	s_mov_b64 s[36:37], -1
                                        ; implicit-def: $sgpr30_sgpr31
                                        ; implicit-def: $sgpr28_sgpr29
	s_and_saveexec_b64 s[34:35], s[14:15]
	s_cbranch_execz .LBB137_166
; %bb.141:                              ;   in Loop: Header=BB137_20 Depth=1
	ds_read_b32 v6, v15 offset:4104
	s_waitcnt lgkmcnt(0)
	s_barrier
	v_readfirstlane_b32 s49, v6
	s_and_saveexec_b64 s[28:29], s[6:7]
; %bb.142:                              ;   in Loop: Header=BB137_20 Depth=1
	ds_write_b16 v24, v15
; %bb.143:                              ;   in Loop: Header=BB137_20 Depth=1
	s_or_b64 exec, exec, s[28:29]
	v_and_b32_e32 v6, v35, v4
	v_lshl_or_b32 v35, 1, v39, v6
	v_or_b32_e32 v45, v45, v2
	s_mov_b64 s[28:29], -1
	s_mov_b64 s[30:31], 0
	s_cmp_eq_u32 s49, 0
	s_mov_b64 s[36:37], 0
	s_mov_b64 s[38:39], -1
	s_waitcnt lgkmcnt(0)
	s_barrier
                                        ; implicit-def: $vgpr46
	s_cbranch_scc1 .LBB137_154
; %bb.144:                              ;   in Loop: Header=BB137_20 Depth=1
	s_add_i32 s36, s49, s90
	s_mul_hi_u32 s37, s36, s91
	s_mul_i32 s37, s37, s67
	s_sub_i32 s37, s36, s37
	s_sub_i32 s38, s37, s67
	s_cmp_ge_u32 s37, s67
	s_cselect_b32 s37, s38, s37
	s_sub_i32 s38, s37, s67
	s_cmp_ge_u32 s37, s67
	s_cselect_b32 s37, s38, s37
	s_sub_i32 s50, s36, s37
	v_cmp_gt_u32_e32 vcc, s50, v0
	s_mov_b64 s[38:39], 0
	s_mov_b64 s[36:37], 0
                                        ; implicit-def: $vgpr46
	s_and_saveexec_b64 s[40:41], vcc
	s_cbranch_execz .LBB137_153
; %bb.145:                              ;   in Loop: Header=BB137_20 Depth=1
	v_mov_b32_e32 v6, v23
	v_mov_b32_e32 v7, v0
                                        ; implicit-def: $sgpr42_sgpr43
	s_branch .LBB137_148
.LBB137_146:                            ;   in Loop: Header=BB137_148 Depth=2
	s_or_b64 exec, exec, s[44:45]
	s_waitcnt lgkmcnt(0)
	s_barrier
	ds_read_b32 v8, v15 offset:3072
	s_mov_b64 s[44:45], -1
	s_mov_b64 s[46:47], -1
	s_waitcnt lgkmcnt(0)
	s_barrier
	v_and_b32_e32 v9, 0x7fff, v8
	v_cmp_ne_u32_e32 vcc, 0, v9
	s_cbranch_vccz .LBB137_151
.LBB137_147:                            ;   in Loop: Header=BB137_148 Depth=2
	s_and_b64 s[44:45], exec, s[44:45]
	s_or_b64 s[36:37], s[44:45], s[36:37]
	s_andn2_b64 s[42:43], s[42:43], exec
	s_and_b64 s[44:45], s[46:47], exec
	s_or_b64 s[42:43], s[42:43], s[44:45]
	s_andn2_b64 exec, exec, s[36:37]
	s_cbranch_execz .LBB137_152
.LBB137_148:                            ;   Parent Loop BB137_20 Depth=1
                                        ; =>  This Inner Loop Header: Depth=2
	v_cmp_gt_u32_e32 vcc, s49, v7
	s_and_saveexec_b64 s[44:45], vcc
	s_cbranch_execz .LBB137_146
; %bb.149:                              ;   in Loop: Header=BB137_148 Depth=2
	ds_read_u16 v8, v6
	s_waitcnt lgkmcnt(0)
	v_cmp_lt_i16_e32 vcc, -1, v8
	v_lshlrev_b32_e32 v9, 16, v8
	s_nop 0
	v_cndmask_b32_e32 v14, v40, v41, vcc
	v_xor_b32_sdwa v14, v14, v8 dst_sel:DWORD dst_unused:UNUSED_PAD src0_sel:DWORD src1_sel:WORD_0
	v_cmp_o_f32_e32 vcc, v9, v9
	s_nop 1
	v_cndmask_b32_e32 v9, v40, v14, vcc
	v_and_b32_e32 v9, v9, v45
	v_cmp_eq_u32_e32 vcc, v9, v35
	s_and_b64 exec, exec, vcc
	s_cbranch_execz .LBB137_146
; %bb.150:                              ;   in Loop: Header=BB137_148 Depth=2
	v_perm_b32 v8, v8, s20, v44
	ds_write_b32 v15, v8 offset:3072
	s_branch .LBB137_146
.LBB137_151:                            ;   in Loop: Header=BB137_148 Depth=2
	v_add_u32_e32 v7, s67, v7
	v_cmp_le_u32_e32 vcc, s50, v7
	v_add_u32_e32 v6, s86, v6
	s_mov_b64 s[46:47], 0
	s_orn2_b64 s[44:45], vcc, exec
	s_branch .LBB137_147
.LBB137_152:                            ;   in Loop: Header=BB137_20 Depth=1
	s_or_b64 exec, exec, s[36:37]
	v_lshrrev_b32_e32 v46, 16, v8
	s_and_b64 s[36:37], s[42:43], exec
.LBB137_153:                            ;   in Loop: Header=BB137_20 Depth=1
	s_or_b64 exec, exec, s[40:41]
.LBB137_154:                            ;   in Loop: Header=BB137_20 Depth=1
	s_and_b64 vcc, exec, s[38:39]
	s_cbranch_vccz .LBB137_165
; %bb.155:                              ;   in Loop: Header=BB137_20 Depth=1
                                        ; implicit-def: $vgpr46
	s_mov_b64 s[28:29], exec
	v_readlane_b32 s30, v82, 39
	v_readlane_b32 s31, v82, 40
	s_and_b64 s[30:31], s[28:29], s[30:31]
	s_mov_b64 exec, s[30:31]
	s_cbranch_execz .LBB137_164
; %bb.156:                              ;   in Loop: Header=BB137_20 Depth=1
	s_mov_b64 s[30:31], 0
	v_mov_b32_e32 v14, v12
	v_mov_b32_e32 v6, v0
                                        ; implicit-def: $sgpr38_sgpr39
	s_branch .LBB137_159
.LBB137_157:                            ;   in Loop: Header=BB137_159 Depth=2
	s_or_b64 exec, exec, s[40:41]
	s_waitcnt lgkmcnt(0)
	s_barrier
	ds_read_b32 v7, v15 offset:3072
	s_mov_b64 s[40:41], -1
	s_mov_b64 s[42:43], -1
	s_waitcnt lgkmcnt(0)
	s_barrier
	v_and_b32_e32 v8, 0x7fff, v7
	v_cmp_eq_u32_e32 vcc, 0, v8
	s_cbranch_vccnz .LBB137_162
.LBB137_158:                            ;   in Loop: Header=BB137_159 Depth=2
	s_and_b64 s[40:41], exec, s[40:41]
	s_or_b64 s[30:31], s[40:41], s[30:31]
	s_andn2_b64 s[38:39], s[38:39], exec
	s_and_b64 s[40:41], s[42:43], exec
	s_or_b64 s[38:39], s[38:39], s[40:41]
	s_andn2_b64 exec, exec, s[30:31]
	s_cbranch_execz .LBB137_163
.LBB137_159:                            ;   Parent Loop BB137_20 Depth=1
                                        ; =>  This Inner Loop Header: Depth=2
	v_cmp_gt_u32_e32 vcc, s64, v6
	s_and_saveexec_b64 s[40:41], vcc
	s_cbranch_execz .LBB137_157
; %bb.160:                              ;   in Loop: Header=BB137_159 Depth=2
	v_lshl_add_u64 v[8:9], v[14:15], 1, v[10:11]
	global_load_ushort v7, v[8:9], off
	s_waitcnt vmcnt(0)
	v_cmp_lt_i16_e32 vcc, -1, v7
	v_lshlrev_b32_e32 v8, 16, v7
	s_nop 0
	v_cndmask_b32_e32 v9, v40, v41, vcc
	v_xor_b32_sdwa v9, v9, v7 dst_sel:DWORD dst_unused:UNUSED_PAD src0_sel:DWORD src1_sel:WORD_0
	v_cmp_o_f32_e32 vcc, v8, v8
	s_nop 1
	v_cndmask_b32_e32 v8, v40, v9, vcc
	v_and_b32_e32 v8, v8, v45
	v_cmp_eq_u32_e32 vcc, v8, v35
	s_and_b64 exec, exec, vcc
	s_cbranch_execz .LBB137_157
; %bb.161:                              ;   in Loop: Header=BB137_159 Depth=2
	v_perm_b32 v7, v7, s20, v44
	ds_write_b32 v15, v7 offset:3072
	s_branch .LBB137_157
.LBB137_162:                            ;   in Loop: Header=BB137_159 Depth=2
	v_add_u32_e32 v6, s67, v6
	v_cmp_le_u32_e32 vcc, s33, v6
	v_add_u32_e32 v14, s65, v14
	s_mov_b64 s[42:43], 0
	s_orn2_b64 s[40:41], vcc, exec
	s_branch .LBB137_158
.LBB137_163:                            ;   in Loop: Header=BB137_20 Depth=1
	s_or_b64 exec, exec, s[30:31]
	s_andn2_b64 s[30:31], s[36:37], exec
	s_and_b64 s[36:37], s[38:39], exec
	v_lshrrev_b32_e32 v46, 16, v7
	s_or_b64 s[36:37], s[30:31], s[36:37]
.LBB137_164:                            ;   in Loop: Header=BB137_20 Depth=1
	s_or_b64 exec, exec, s[28:29]
	s_mov_b64 s[28:29], 0
	s_mov_b64 s[30:31], -1
.LBB137_165:                            ;   in Loop: Header=BB137_20 Depth=1
	s_orn2_b64 s[36:37], s[36:37], exec
.LBB137_166:                            ;   in Loop: Header=BB137_20 Depth=1
	s_or_b64 exec, exec, s[34:35]
	s_mov_b64 s[38:39], 0
	s_and_saveexec_b64 s[34:35], s[36:37]
	s_cbranch_execz .LBB137_255
; %bb.167:                              ;   in Loop: Header=BB137_20 Depth=1
	s_xor_b64 s[36:37], s[14:15], -1
	s_mov_b64 s[42:43], 0
	v_mov_b32_e32 v6, 1
	v_mov_b32_e32 v3, 1
	s_and_saveexec_b64 s[14:15], s[36:37]
	s_cbranch_execz .LBB137_176
; %bb.168:                              ;   in Loop: Header=BB137_20 Depth=1
	v_cmp_ge_u32_e32 vcc, s48, v5
	s_and_saveexec_b64 s[36:37], vcc
	s_xor_b64 s[36:37], exec, s[36:37]
	s_cbranch_execz .LBB137_173
; %bb.169:                              ;   in Loop: Header=BB137_20 Depth=1
	ds_read_b32 v3, v15 offset:4104
	v_and_b32_e32 v6, v35, v4
	v_lshl_or_b32 v35, 1, v39, v6
	v_or_b32_e32 v45, v45, v2
	s_waitcnt lgkmcnt(0)
	v_cmp_ne_u32_e32 vcc, 0, v3
	s_cbranch_vccnz .LBB137_173
; %bb.170:                              ;   in Loop: Header=BB137_20 Depth=1
	s_and_saveexec_b64 s[38:39], s[24:25]
; %bb.171:                              ;   in Loop: Header=BB137_20 Depth=1
	v_mov_b32_e32 v3, s48
	ds_write_b32 v15, v3 offset:4108
; %bb.172:                              ;   in Loop: Header=BB137_20 Depth=1
	s_or_b64 exec, exec, s[38:39]
	s_waitcnt lgkmcnt(0)
	s_barrier
.LBB137_173:                            ;   in Loop: Header=BB137_20 Depth=1
	s_or_saveexec_b64 s[36:37], s[36:37]
	s_mov_b64 s[38:39], 0
	v_mov_b32_e32 v3, 8
	s_xor_b64 exec, exec, s[36:37]
; %bb.174:                              ;   in Loop: Header=BB137_20 Depth=1
	s_mov_b64 s[38:39], exec
	v_subrev_u32_e32 v5, s48, v5
	v_mov_b32_e32 v3, 0
; %bb.175:                              ;   in Loop: Header=BB137_20 Depth=1
	s_or_b64 exec, exec, s[36:37]
	s_and_b64 s[42:43], s[38:39], exec
	v_mov_b32_e32 v6, v5
.LBB137_176:                            ;   in Loop: Header=BB137_20 Depth=1
	s_or_b64 exec, exec, s[14:15]
	s_mov_b64 s[14:15], -1
                                        ; implicit-def: $sgpr38_sgpr39
                                        ; implicit-def: $sgpr40_sgpr41
	s_and_saveexec_b64 s[36:37], s[42:43]
	s_cbranch_execz .LBB137_254
; %bb.177:                              ;   in Loop: Header=BB137_20 Depth=1
	s_cmp_eq_u32 s56, 1
	s_cselect_b64 s[14:15], -1, 0
	v_cmp_eq_u32_e32 vcc, 1, v6
	s_and_b64 s[14:15], s[14:15], vcc
	s_mov_b64 s[44:45], -1
                                        ; implicit-def: $sgpr40_sgpr41
                                        ; implicit-def: $sgpr38_sgpr39
	s_and_saveexec_b64 s[42:43], s[14:15]
	s_cbranch_execz .LBB137_203
; %bb.178:                              ;   in Loop: Header=BB137_20 Depth=1
	ds_read_b32 v5, v15 offset:4104
	s_waitcnt lgkmcnt(0)
	s_barrier
	v_readfirstlane_b32 s57, v5
	s_and_saveexec_b64 s[38:39], s[6:7]
; %bb.179:                              ;   in Loop: Header=BB137_20 Depth=1
	ds_write_b16 v24, v15
; %bb.180:                              ;   in Loop: Header=BB137_20 Depth=1
	s_or_b64 exec, exec, s[38:39]
	v_and_b32_e32 v5, v35, v4
	v_lshl_or_b32 v35, 2, v39, v5
	v_or_b32_e32 v45, v45, v2
	s_mov_b64 s[38:39], -1
	s_mov_b64 s[40:41], 0
	s_cmp_eq_u32 s57, 0
	s_mov_b64 s[44:45], 0
	s_mov_b64 s[46:47], -1
	s_waitcnt lgkmcnt(0)
	s_barrier
                                        ; implicit-def: $vgpr46
	s_cbranch_scc1 .LBB137_191
; %bb.181:                              ;   in Loop: Header=BB137_20 Depth=1
	s_add_i32 s44, s57, s90
	s_mul_hi_u32 s45, s44, s91
	s_mul_i32 s45, s45, s67
	s_sub_i32 s45, s44, s45
	s_sub_i32 s46, s45, s67
	s_cmp_ge_u32 s45, s67
	s_cselect_b32 s45, s46, s45
	s_sub_i32 s46, s45, s67
	s_cmp_ge_u32 s45, s67
	s_cselect_b32 s45, s46, s45
	s_sub_i32 s58, s44, s45
	v_cmp_gt_u32_e32 vcc, s58, v0
	s_mov_b64 s[46:47], 0
	s_mov_b64 s[44:45], 0
                                        ; implicit-def: $vgpr46
	s_and_saveexec_b64 s[48:49], vcc
	s_cbranch_execz .LBB137_190
; %bb.182:                              ;   in Loop: Header=BB137_20 Depth=1
	v_mov_b32_e32 v5, v23
	v_mov_b32_e32 v7, v0
                                        ; implicit-def: $sgpr50_sgpr51
	s_branch .LBB137_185
.LBB137_183:                            ;   in Loop: Header=BB137_185 Depth=2
	s_or_b64 exec, exec, s[52:53]
	s_waitcnt lgkmcnt(0)
	s_barrier
	ds_read_b32 v8, v15 offset:3072
	s_mov_b64 s[52:53], -1
	s_mov_b64 s[54:55], -1
	s_waitcnt lgkmcnt(0)
	s_barrier
	v_and_b32_e32 v9, 0x7fff, v8
	v_cmp_ne_u32_e32 vcc, 0, v9
	s_cbranch_vccz .LBB137_188
.LBB137_184:                            ;   in Loop: Header=BB137_185 Depth=2
	s_and_b64 s[52:53], exec, s[52:53]
	s_or_b64 s[44:45], s[52:53], s[44:45]
	s_andn2_b64 s[50:51], s[50:51], exec
	s_and_b64 s[52:53], s[54:55], exec
	s_or_b64 s[50:51], s[50:51], s[52:53]
	s_andn2_b64 exec, exec, s[44:45]
	s_cbranch_execz .LBB137_189
.LBB137_185:                            ;   Parent Loop BB137_20 Depth=1
                                        ; =>  This Inner Loop Header: Depth=2
	v_cmp_gt_u32_e32 vcc, s57, v7
	s_and_saveexec_b64 s[52:53], vcc
	s_cbranch_execz .LBB137_183
; %bb.186:                              ;   in Loop: Header=BB137_185 Depth=2
	ds_read_u16 v8, v5
	s_waitcnt lgkmcnt(0)
	v_cmp_lt_i16_e32 vcc, -1, v8
	v_lshlrev_b32_e32 v9, 16, v8
	s_nop 0
	v_cndmask_b32_e32 v14, v40, v41, vcc
	v_xor_b32_sdwa v14, v14, v8 dst_sel:DWORD dst_unused:UNUSED_PAD src0_sel:DWORD src1_sel:WORD_0
	v_cmp_o_f32_e32 vcc, v9, v9
	s_nop 1
	v_cndmask_b32_e32 v9, v40, v14, vcc
	v_and_b32_e32 v9, v9, v45
	v_cmp_eq_u32_e32 vcc, v9, v35
	s_and_b64 exec, exec, vcc
	s_cbranch_execz .LBB137_183
; %bb.187:                              ;   in Loop: Header=BB137_185 Depth=2
	v_perm_b32 v8, v8, s20, v44
	ds_write_b32 v15, v8 offset:3072
	s_branch .LBB137_183
.LBB137_188:                            ;   in Loop: Header=BB137_185 Depth=2
	v_add_u32_e32 v7, s67, v7
	v_cmp_le_u32_e32 vcc, s58, v7
	v_add_u32_e32 v5, s86, v5
	s_mov_b64 s[54:55], 0
	s_orn2_b64 s[52:53], vcc, exec
	s_branch .LBB137_184
.LBB137_189:                            ;   in Loop: Header=BB137_20 Depth=1
	s_or_b64 exec, exec, s[44:45]
	v_lshrrev_b32_e32 v46, 16, v8
	s_and_b64 s[44:45], s[50:51], exec
.LBB137_190:                            ;   in Loop: Header=BB137_20 Depth=1
	s_or_b64 exec, exec, s[48:49]
.LBB137_191:                            ;   in Loop: Header=BB137_20 Depth=1
	s_and_b64 vcc, exec, s[46:47]
	s_cbranch_vccz .LBB137_202
; %bb.192:                              ;   in Loop: Header=BB137_20 Depth=1
                                        ; implicit-def: $vgpr46
	s_mov_b64 s[38:39], exec
	v_readlane_b32 s40, v82, 39
	v_readlane_b32 s41, v82, 40
	s_and_b64 s[40:41], s[38:39], s[40:41]
	s_mov_b64 exec, s[40:41]
	s_cbranch_execz .LBB137_201
; %bb.193:                              ;   in Loop: Header=BB137_20 Depth=1
	s_mov_b64 s[40:41], 0
	v_mov_b32_e32 v14, v12
	v_mov_b32_e32 v5, v0
                                        ; implicit-def: $sgpr46_sgpr47
	s_branch .LBB137_196
.LBB137_194:                            ;   in Loop: Header=BB137_196 Depth=2
	s_or_b64 exec, exec, s[48:49]
	s_waitcnt lgkmcnt(0)
	s_barrier
	ds_read_b32 v7, v15 offset:3072
	s_mov_b64 s[48:49], -1
	s_mov_b64 s[50:51], -1
	s_waitcnt lgkmcnt(0)
	s_barrier
	v_and_b32_e32 v8, 0x7fff, v7
	v_cmp_eq_u32_e32 vcc, 0, v8
	s_cbranch_vccnz .LBB137_199
.LBB137_195:                            ;   in Loop: Header=BB137_196 Depth=2
	s_and_b64 s[48:49], exec, s[48:49]
	s_or_b64 s[40:41], s[48:49], s[40:41]
	s_andn2_b64 s[46:47], s[46:47], exec
	s_and_b64 s[48:49], s[50:51], exec
	s_or_b64 s[46:47], s[46:47], s[48:49]
	s_andn2_b64 exec, exec, s[40:41]
	s_cbranch_execz .LBB137_200
.LBB137_196:                            ;   Parent Loop BB137_20 Depth=1
                                        ; =>  This Inner Loop Header: Depth=2
	v_cmp_gt_u32_e32 vcc, s64, v5
	s_and_saveexec_b64 s[48:49], vcc
	s_cbranch_execz .LBB137_194
; %bb.197:                              ;   in Loop: Header=BB137_196 Depth=2
	v_lshl_add_u64 v[8:9], v[14:15], 1, v[10:11]
	global_load_ushort v7, v[8:9], off
	s_waitcnt vmcnt(0)
	v_cmp_lt_i16_e32 vcc, -1, v7
	v_lshlrev_b32_e32 v8, 16, v7
	s_nop 0
	v_cndmask_b32_e32 v9, v40, v41, vcc
	v_xor_b32_sdwa v9, v9, v7 dst_sel:DWORD dst_unused:UNUSED_PAD src0_sel:DWORD src1_sel:WORD_0
	v_cmp_o_f32_e32 vcc, v8, v8
	s_nop 1
	v_cndmask_b32_e32 v8, v40, v9, vcc
	v_and_b32_e32 v8, v8, v45
	v_cmp_eq_u32_e32 vcc, v8, v35
	s_and_b64 exec, exec, vcc
	s_cbranch_execz .LBB137_194
; %bb.198:                              ;   in Loop: Header=BB137_196 Depth=2
	v_perm_b32 v7, v7, s20, v44
	ds_write_b32 v15, v7 offset:3072
	s_branch .LBB137_194
.LBB137_199:                            ;   in Loop: Header=BB137_196 Depth=2
	v_add_u32_e32 v5, s67, v5
	v_cmp_le_u32_e32 vcc, s33, v5
	v_add_u32_e32 v14, s65, v14
	s_mov_b64 s[50:51], 0
	s_orn2_b64 s[48:49], vcc, exec
	s_branch .LBB137_195
.LBB137_200:                            ;   in Loop: Header=BB137_20 Depth=1
	s_or_b64 exec, exec, s[40:41]
	s_andn2_b64 s[40:41], s[44:45], exec
	s_and_b64 s[44:45], s[46:47], exec
	v_lshrrev_b32_e32 v46, 16, v7
	s_or_b64 s[44:45], s[40:41], s[44:45]
.LBB137_201:                            ;   in Loop: Header=BB137_20 Depth=1
	s_or_b64 exec, exec, s[38:39]
	s_mov_b64 s[38:39], 0
	s_mov_b64 s[40:41], -1
.LBB137_202:                            ;   in Loop: Header=BB137_20 Depth=1
	s_orn2_b64 s[44:45], s[44:45], exec
.LBB137_203:                            ;   in Loop: Header=BB137_20 Depth=1
	s_or_b64 exec, exec, s[42:43]
	s_mov_b64 s[46:47], 0
	s_and_saveexec_b64 s[42:43], s[44:45]
	s_cbranch_execz .LBB137_253
; %bb.204:                              ;   in Loop: Header=BB137_20 Depth=1
	s_xor_b64 s[44:45], s[14:15], -1
	s_mov_b64 s[50:51], 0
	v_mov_b32_e32 v5, 1
	v_mov_b32_e32 v3, 1
	s_and_saveexec_b64 s[14:15], s[44:45]
	s_cbranch_execz .LBB137_213
; %bb.205:                              ;   in Loop: Header=BB137_20 Depth=1
	v_cmp_ge_u32_e32 vcc, s56, v6
	s_and_saveexec_b64 s[44:45], vcc
	s_xor_b64 s[44:45], exec, s[44:45]
	s_cbranch_execz .LBB137_210
; %bb.206:                              ;   in Loop: Header=BB137_20 Depth=1
	ds_read_b32 v3, v15 offset:4104
	v_and_b32_e32 v4, v35, v4
	v_lshl_or_b32 v35, 2, v39, v4
	v_or_b32_e32 v45, v45, v2
	s_waitcnt lgkmcnt(0)
	v_cmp_ne_u32_e32 vcc, 0, v3
	s_cbranch_vccnz .LBB137_210
; %bb.207:                              ;   in Loop: Header=BB137_20 Depth=1
	s_and_saveexec_b64 s[46:47], s[24:25]
; %bb.208:                              ;   in Loop: Header=BB137_20 Depth=1
	v_mov_b32_e32 v3, s56
	ds_write_b32 v15, v3 offset:4108
; %bb.209:                              ;   in Loop: Header=BB137_20 Depth=1
	s_or_b64 exec, exec, s[46:47]
	s_waitcnt lgkmcnt(0)
	s_barrier
.LBB137_210:                            ;   in Loop: Header=BB137_20 Depth=1
	s_or_saveexec_b64 s[44:45], s[44:45]
	s_mov_b64 s[46:47], 0
	v_mov_b32_e32 v3, 8
	s_xor_b64 exec, exec, s[44:45]
; %bb.211:                              ;   in Loop: Header=BB137_20 Depth=1
	s_mov_b64 s[46:47], exec
	v_subrev_u32_e32 v6, s56, v6
	v_mov_b32_e32 v3, 0
; %bb.212:                              ;   in Loop: Header=BB137_20 Depth=1
	s_or_b64 exec, exec, s[44:45]
	s_and_b64 s[50:51], s[46:47], exec
	v_mov_b32_e32 v5, v6
.LBB137_213:                            ;   in Loop: Header=BB137_20 Depth=1
	s_or_b64 exec, exec, s[14:15]
	s_mov_b64 s[48:49], -1
                                        ; implicit-def: $sgpr46_sgpr47
                                        ; implicit-def: $sgpr14_sgpr15
	s_and_saveexec_b64 s[44:45], s[50:51]
	s_cbranch_execz .LBB137_252
; %bb.214:                              ;   in Loop: Header=BB137_20 Depth=1
	s_cmp_eq_u32 s72, 1
	s_cselect_b64 s[14:15], -1, 0
	v_cmp_eq_u32_e32 vcc, 1, v5
	s_and_b64 s[48:49], s[14:15], vcc
	s_mov_b64 s[52:53], -1
                                        ; implicit-def: $sgpr46_sgpr47
                                        ; implicit-def: $sgpr14_sgpr15
	s_and_saveexec_b64 s[50:51], s[48:49]
	s_cbranch_execz .LBB137_240
; %bb.215:                              ;   in Loop: Header=BB137_20 Depth=1
	ds_read_b32 v4, v15 offset:4104
	s_waitcnt lgkmcnt(0)
	s_barrier
	v_readfirstlane_b32 s73, v4
	s_and_saveexec_b64 s[14:15], s[6:7]
; %bb.216:                              ;   in Loop: Header=BB137_20 Depth=1
	ds_write_b16 v24, v15
; %bb.217:                              ;   in Loop: Header=BB137_20 Depth=1
	s_or_b64 exec, exec, s[14:15]
	v_or_b32_e32 v35, v35, v2
	v_or_b32_e32 v45, v45, v2
	s_mov_b64 s[14:15], -1
	s_mov_b64 s[46:47], 0
	s_cmp_eq_u32 s73, 0
	s_mov_b64 s[52:53], 0
	s_mov_b64 s[54:55], -1
	s_waitcnt lgkmcnt(0)
	s_barrier
                                        ; implicit-def: $vgpr46
	s_cbranch_scc1 .LBB137_228
; %bb.218:                              ;   in Loop: Header=BB137_20 Depth=1
	s_add_i32 s52, s73, s90
	s_mul_hi_u32 s53, s52, s91
	s_mul_i32 s53, s53, s67
	s_sub_i32 s53, s52, s53
	s_sub_i32 s54, s53, s67
	s_cmp_ge_u32 s53, s67
	s_cselect_b32 s53, s54, s53
	s_sub_i32 s54, s53, s67
	s_cmp_ge_u32 s53, s67
	s_cselect_b32 s53, s54, s53
	s_sub_i32 s74, s52, s53
	v_cmp_gt_u32_e32 vcc, s74, v0
	s_mov_b64 s[54:55], 0
	s_mov_b64 s[52:53], 0
                                        ; implicit-def: $vgpr46
	s_and_saveexec_b64 s[56:57], vcc
	s_cbranch_execz .LBB137_227
; %bb.219:                              ;   in Loop: Header=BB137_20 Depth=1
	v_mov_b32_e32 v4, v23
	v_mov_b32_e32 v6, v0
                                        ; implicit-def: $sgpr58_sgpr59
	s_branch .LBB137_222
.LBB137_220:                            ;   in Loop: Header=BB137_222 Depth=2
	s_or_b64 exec, exec, s[60:61]
	s_waitcnt lgkmcnt(0)
	s_barrier
	ds_read_b32 v7, v15 offset:3072
	s_mov_b64 s[60:61], -1
	s_mov_b64 s[62:63], -1
	s_waitcnt lgkmcnt(0)
	s_barrier
	v_and_b32_e32 v8, 0x7fff, v7
	v_cmp_ne_u32_e32 vcc, 0, v8
	s_cbranch_vccz .LBB137_225
.LBB137_221:                            ;   in Loop: Header=BB137_222 Depth=2
	s_and_b64 s[60:61], exec, s[60:61]
	s_or_b64 s[52:53], s[60:61], s[52:53]
	s_andn2_b64 s[58:59], s[58:59], exec
	s_and_b64 s[60:61], s[62:63], exec
	s_or_b64 s[58:59], s[58:59], s[60:61]
	s_andn2_b64 exec, exec, s[52:53]
	s_cbranch_execz .LBB137_226
.LBB137_222:                            ;   Parent Loop BB137_20 Depth=1
                                        ; =>  This Inner Loop Header: Depth=2
	v_cmp_gt_u32_e32 vcc, s73, v6
	s_and_saveexec_b64 s[60:61], vcc
	s_cbranch_execz .LBB137_220
; %bb.223:                              ;   in Loop: Header=BB137_222 Depth=2
	ds_read_u16 v7, v4
	s_waitcnt lgkmcnt(0)
	v_cmp_lt_i16_e32 vcc, -1, v7
	v_lshlrev_b32_e32 v8, 16, v7
	s_nop 0
	v_cndmask_b32_e32 v9, v40, v41, vcc
	v_xor_b32_sdwa v9, v9, v7 dst_sel:DWORD dst_unused:UNUSED_PAD src0_sel:DWORD src1_sel:WORD_0
	v_cmp_o_f32_e32 vcc, v8, v8
	s_nop 1
	v_cndmask_b32_e32 v8, v40, v9, vcc
	v_and_b32_e32 v8, v8, v45
	v_cmp_eq_u32_e32 vcc, v8, v35
	s_and_b64 exec, exec, vcc
	s_cbranch_execz .LBB137_220
; %bb.224:                              ;   in Loop: Header=BB137_222 Depth=2
	v_perm_b32 v7, v7, s20, v44
	ds_write_b32 v15, v7 offset:3072
	s_branch .LBB137_220
.LBB137_225:                            ;   in Loop: Header=BB137_222 Depth=2
	v_add_u32_e32 v6, s67, v6
	v_cmp_le_u32_e32 vcc, s74, v6
	v_add_u32_e32 v4, s86, v4
	s_mov_b64 s[62:63], 0
	s_orn2_b64 s[60:61], vcc, exec
	s_branch .LBB137_221
.LBB137_226:                            ;   in Loop: Header=BB137_20 Depth=1
	s_or_b64 exec, exec, s[52:53]
	v_lshrrev_b32_e32 v46, 16, v7
	s_and_b64 s[52:53], s[58:59], exec
.LBB137_227:                            ;   in Loop: Header=BB137_20 Depth=1
	s_or_b64 exec, exec, s[56:57]
.LBB137_228:                            ;   in Loop: Header=BB137_20 Depth=1
	s_and_b64 vcc, exec, s[54:55]
	s_cbranch_vccz .LBB137_239
; %bb.229:                              ;   in Loop: Header=BB137_20 Depth=1
                                        ; implicit-def: $vgpr46
	s_mov_b64 s[14:15], exec
	v_readlane_b32 s46, v82, 39
	v_readlane_b32 s47, v82, 40
	s_and_b64 s[46:47], s[14:15], s[46:47]
	s_mov_b64 exec, s[46:47]
	s_cbranch_execz .LBB137_238
; %bb.230:                              ;   in Loop: Header=BB137_20 Depth=1
	s_mov_b64 s[46:47], 0
	v_mov_b32_e32 v14, v12
	v_mov_b32_e32 v4, v0
                                        ; implicit-def: $sgpr54_sgpr55
	s_branch .LBB137_233
.LBB137_231:                            ;   in Loop: Header=BB137_233 Depth=2
	s_or_b64 exec, exec, s[56:57]
	s_waitcnt lgkmcnt(0)
	s_barrier
	ds_read_b32 v6, v15 offset:3072
	s_mov_b64 s[56:57], -1
	s_mov_b64 s[58:59], -1
	s_waitcnt lgkmcnt(0)
	s_barrier
	v_and_b32_e32 v7, 0x7fff, v6
	v_cmp_eq_u32_e32 vcc, 0, v7
	s_cbranch_vccnz .LBB137_236
.LBB137_232:                            ;   in Loop: Header=BB137_233 Depth=2
	s_and_b64 s[56:57], exec, s[56:57]
	s_or_b64 s[46:47], s[56:57], s[46:47]
	s_andn2_b64 s[54:55], s[54:55], exec
	s_and_b64 s[56:57], s[58:59], exec
	s_or_b64 s[54:55], s[54:55], s[56:57]
	s_andn2_b64 exec, exec, s[46:47]
	s_cbranch_execz .LBB137_237
.LBB137_233:                            ;   Parent Loop BB137_20 Depth=1
                                        ; =>  This Inner Loop Header: Depth=2
	v_cmp_gt_u32_e32 vcc, s64, v4
	s_and_saveexec_b64 s[56:57], vcc
	s_cbranch_execz .LBB137_231
; %bb.234:                              ;   in Loop: Header=BB137_233 Depth=2
	v_lshl_add_u64 v[6:7], v[14:15], 1, v[10:11]
	global_load_ushort v6, v[6:7], off
	s_waitcnt vmcnt(0)
	v_cmp_lt_i16_e32 vcc, -1, v6
	v_lshlrev_b32_e32 v7, 16, v6
	s_nop 0
	v_cndmask_b32_e32 v8, v40, v41, vcc
	v_xor_b32_sdwa v8, v8, v6 dst_sel:DWORD dst_unused:UNUSED_PAD src0_sel:DWORD src1_sel:WORD_0
	v_cmp_o_f32_e32 vcc, v7, v7
	s_nop 1
	v_cndmask_b32_e32 v7, v40, v8, vcc
	v_and_b32_e32 v7, v7, v45
	v_cmp_eq_u32_e32 vcc, v7, v35
	s_and_b64 exec, exec, vcc
	s_cbranch_execz .LBB137_231
; %bb.235:                              ;   in Loop: Header=BB137_233 Depth=2
	v_perm_b32 v6, v6, s20, v44
	ds_write_b32 v15, v6 offset:3072
	s_branch .LBB137_231
.LBB137_236:                            ;   in Loop: Header=BB137_233 Depth=2
	v_add_u32_e32 v4, s67, v4
	v_cmp_le_u32_e32 vcc, s33, v4
	v_add_u32_e32 v14, s65, v14
	s_mov_b64 s[58:59], 0
	s_orn2_b64 s[56:57], vcc, exec
	s_branch .LBB137_232
.LBB137_237:                            ;   in Loop: Header=BB137_20 Depth=1
	s_or_b64 exec, exec, s[46:47]
	s_andn2_b64 s[46:47], s[52:53], exec
	s_and_b64 s[52:53], s[54:55], exec
	v_lshrrev_b32_e32 v46, 16, v6
	s_or_b64 s[52:53], s[46:47], s[52:53]
.LBB137_238:                            ;   in Loop: Header=BB137_20 Depth=1
	s_or_b64 exec, exec, s[14:15]
	s_mov_b64 s[14:15], 0
	s_mov_b64 s[46:47], -1
.LBB137_239:                            ;   in Loop: Header=BB137_20 Depth=1
	s_orn2_b64 s[52:53], s[52:53], exec
.LBB137_240:                            ;   in Loop: Header=BB137_20 Depth=1
	s_or_b64 exec, exec, s[50:51]
	s_mov_b64 s[54:55], 0
	s_and_saveexec_b64 s[50:51], s[52:53]
	s_cbranch_execz .LBB137_251
; %bb.241:                              ;   in Loop: Header=BB137_20 Depth=1
	s_xor_b64 s[52:53], s[48:49], -1
	v_mov_b32_e32 v3, 1
	v_mov_b32_e32 v4, 1
	s_and_saveexec_b64 s[48:49], s[52:53]
	s_cbranch_execz .LBB137_250
; %bb.242:                              ;   in Loop: Header=BB137_20 Depth=1
	v_cmp_ge_u32_e32 vcc, s72, v5
	s_and_saveexec_b64 s[52:53], vcc
	s_xor_b64 s[52:53], exec, s[52:53]
	s_cbranch_execz .LBB137_247
; %bb.243:                              ;   in Loop: Header=BB137_20 Depth=1
	ds_read_b32 v3, v15 offset:4104
	v_or_b32_e32 v35, v35, v2
	v_or_b32_e32 v45, v45, v2
	s_waitcnt lgkmcnt(0)
	v_cmp_ne_u32_e32 vcc, 0, v3
	s_cbranch_vccnz .LBB137_247
; %bb.244:                              ;   in Loop: Header=BB137_20 Depth=1
	s_and_saveexec_b64 s[54:55], s[24:25]
; %bb.245:                              ;   in Loop: Header=BB137_20 Depth=1
	v_mov_b32_e32 v2, s72
	ds_write_b32 v15, v2 offset:4108
; %bb.246:                              ;   in Loop: Header=BB137_20 Depth=1
	s_or_b64 exec, exec, s[54:55]
	s_waitcnt lgkmcnt(0)
	s_barrier
.LBB137_247:                            ;   in Loop: Header=BB137_20 Depth=1
	s_andn2_saveexec_b64 s[52:53], s[52:53]
; %bb.248:                              ;   in Loop: Header=BB137_20 Depth=1
	v_subrev_u32_e32 v5, s72, v5
; %bb.249:                              ;   in Loop: Header=BB137_20 Depth=1
	s_or_b64 exec, exec, s[52:53]
	v_mov_b32_e32 v3, 8
	v_mov_b32_e32 v4, v5
.LBB137_250:                            ;   in Loop: Header=BB137_20 Depth=1
	s_or_b64 exec, exec, s[48:49]
	s_mov_b64 s[54:55], exec
	v_mov_b32_e32 v5, v4
.LBB137_251:                            ;   in Loop: Header=BB137_20 Depth=1
	s_or_b64 exec, exec, s[50:51]
	s_orn2_b64 s[48:49], s[54:55], exec
.LBB137_252:                            ;   in Loop: Header=BB137_20 Depth=1
	s_or_b64 exec, exec, s[44:45]
	s_andn2_b64 s[40:41], s[40:41], exec
	s_and_b64 s[44:45], s[46:47], exec
	s_andn2_b64 s[38:39], s[38:39], exec
	s_and_b64 s[14:15], s[14:15], exec
	s_or_b64 s[40:41], s[40:41], s[44:45]
	s_or_b64 s[38:39], s[38:39], s[14:15]
	s_and_b64 s[46:47], s[48:49], exec
	v_mov_b32_e32 v6, v5
.LBB137_253:                            ;   in Loop: Header=BB137_20 Depth=1
	s_or_b64 exec, exec, s[42:43]
	s_orn2_b64 s[14:15], s[46:47], exec
.LBB137_254:                            ;   in Loop: Header=BB137_20 Depth=1
	s_or_b64 exec, exec, s[36:37]
	s_andn2_b64 s[30:31], s[30:31], exec
	s_and_b64 s[36:37], s[40:41], exec
	s_or_b64 s[30:31], s[30:31], s[36:37]
	s_andn2_b64 s[28:29], s[28:29], exec
	s_and_b64 s[36:37], s[38:39], exec
	s_or_b64 s[28:29], s[28:29], s[36:37]
	s_and_b64 s[38:39], s[14:15], exec
	v_mov_b32_e32 v5, v6
.LBB137_255:                            ;   in Loop: Header=BB137_20 Depth=1
	s_or_b64 exec, exec, s[34:35]
	s_orn2_b64 s[14:15], s[38:39], exec
.LBB137_256:                            ;   in Loop: Header=BB137_20 Depth=1
	s_or_b64 exec, exec, s[26:27]
	s_mov_b64 s[26:27], 0
                                        ; implicit-def: $sgpr36
	s_and_saveexec_b64 s[34:35], s[14:15]
	s_xor_b64 s[14:15], exec, s[34:35]
	s_cbranch_execz .LBB137_18
; %bb.257:                              ;   in Loop: Header=BB137_20 Depth=1
	v_and_b32_e32 v2, 7, v3
	v_cmp_eq_u32_e32 vcc, 0, v2
	s_mov_b64 s[22:23], -1
	s_mov_b64 s[26:27], -1
                                        ; implicit-def: $sgpr36
	s_and_saveexec_b64 s[34:35], vcc
	s_cbranch_execz .LBB137_17
; %bb.258:                              ;   in Loop: Header=BB137_20 Depth=1
	v_add_u32_e32 v2, -2, v39
	v_cmp_eq_u32_e32 vcc, 0, v39
	s_xor_b32 s36, s21, 1
	s_xor_b64 s[26:27], exec, -1
	s_orn2_b64 s[22:23], vcc, exec
	v_mov_b32_e32 v39, v2
	s_branch .LBB137_17
.LBB137_259:
	s_or_b64 exec, exec, s[94:95]
	s_xor_b64 s[8:9], s[68:69], -1
	s_xor_b64 s[0:1], s[96:97], -1
	;; [unrolled: 1-line block ×3, first 2 shown]
	s_mov_b64 s[4:5], 0
	s_and_saveexec_b64 s[2:3], s[0:1]
	s_xor_b64 s[2:3], exec, s[2:3]
	s_cbranch_execnz .LBB137_264
; %bb.260:
	s_andn2_saveexec_b64 s[0:1], s[2:3]
	s_cbranch_execnz .LBB137_277
.LBB137_261:
	s_or_b64 exec, exec, s[0:1]
	s_and_saveexec_b64 s[0:1], s[4:5]
.LBB137_262:
	; divergent unreachable
.LBB137_263:
	s_endpgm
.LBB137_264:
	s_and_saveexec_b64 s[0:1], s[8:9]
	s_xor_b64 s[4:5], exec, s[0:1]
	s_cbranch_execz .LBB137_275
; %bb.265:
	s_and_saveexec_b64 s[0:1], s[6:7]
	s_xor_b64 s[6:7], exec, s[0:1]
; %bb.266:
	v_and_b32_e32 v1, 0x8000, v35
	v_mov_b32_e32 v2, 0x8000
	v_mov_b32_e32 v3, 0xffff
	v_cmp_eq_u32_e32 vcc, 0, v1
	s_nop 1
	v_cndmask_b32_e32 v1, v2, v3, vcc
	v_xor_b32_e32 v46, v1, v35
; %bb.267:
	s_or_b64 exec, exec, s[6:7]
	v_readlane_b32 s8, v82, 8
	v_readlane_b32 s9, v82, 9
	s_mul_i32 s0, s9, s8
	v_readlane_b32 s7, v82, 12
	s_sub_i32 s0, s7, s0
	s_add_i32 s1, s9, 1
	s_sub_i32 s6, s0, s8
	s_cmp_ge_u32 s0, s8
	s_cselect_b32 s1, s1, s9
	s_cselect_b32 s0, s6, s0
	s_add_i32 s6, s1, 1
	s_cmp_ge_u32 s0, s8
	s_cselect_b32 s0, s6, s1
	s_mul_i32 s1, s0, s8
	s_sub_i32 s1, s7, s1
	v_readlane_b32 s6, v82, 4
	v_readlane_b32 s7, v82, 5
	s_mul_i32 s1, s1, s7
	s_mul_i32 s0, s0, s6
	s_add_i32 s0, s0, s1
	s_mov_b32 s1, 0
	s_lshl_b64 s[0:1], s[0:1], 1
	v_readlane_b32 s6, v82, 6
	v_readlane_b32 s7, v82, 7
	s_add_u32 s0, s6, s0
	s_addc_u32 s1, s7, s1
	v_mov_b32_e32 v13, 0
	global_store_short v13, v46, s[0:1]
	s_mov_b64 s[6:7], exec
	v_readlane_b32 s0, v82, 13
	v_readlane_b32 s1, v82, 14
	s_and_b64 s[0:1], s[6:7], s[0:1]
	s_mov_b64 exec, s[0:1]
	s_cbranch_execz .LBB137_274
; %bb.268:
	v_lshlrev_b32_e32 v1, 16, v46
	v_cmp_u_f32_e32 vcc, v1, v1
	s_mov_b64 s[8:9], 0
	s_xor_b64 s[12:13], vcc, -1
                                        ; implicit-def: $sgpr10_sgpr11
                                        ; implicit-def: $sgpr16_sgpr17
                                        ; implicit-def: $sgpr14_sgpr15
	s_branch .LBB137_270
.LBB137_269:                            ;   in Loop: Header=BB137_270 Depth=1
	s_or_b64 exec, exec, s[0:1]
	s_and_b64 s[0:1], exec, s[16:17]
	s_or_b64 s[8:9], s[0:1], s[8:9]
	s_andn2_b64 s[0:1], s[10:11], exec
	s_and_b64 s[10:11], s[14:15], exec
	s_or_b64 s[10:11], s[0:1], s[10:11]
	s_andn2_b64 exec, exec, s[8:9]
	s_cbranch_execz .LBB137_272
.LBB137_270:                            ; =>This Inner Loop Header: Depth=1
	v_lshl_add_u64 v[2:3], v[12:13], 1, v[10:11]
	global_load_ushort v3, v[2:3], off
	v_mov_b32_e32 v2, v0
	s_or_b64 s[14:15], s[14:15], exec
	s_or_b64 s[16:17], s[16:17], exec
	s_waitcnt vmcnt(0)
	v_lshlrev_b32_e32 v0, 16, v3
	v_cmp_o_f32_e64 s[0:1], v0, v0
	v_cmp_neq_f32_e32 vcc, v0, v1
	s_or_b64 s[0:1], s[12:13], s[0:1]
	s_and_b64 s[18:19], vcc, s[0:1]
                                        ; implicit-def: $vgpr0
	s_and_saveexec_b64 s[0:1], s[18:19]
	s_cbranch_execz .LBB137_269
; %bb.271:                              ;   in Loop: Header=BB137_270 Depth=1
	v_add_u32_e32 v0, s67, v2
	v_cmp_le_u32_e32 vcc, s64, v0
	s_andn2_b64 s[16:17], s[16:17], exec
	s_and_b64 s[18:19], vcc, exec
	v_add_u32_e32 v12, s65, v12
	s_andn2_b64 s[14:15], s[14:15], exec
	s_or_b64 s[16:17], s[16:17], s[18:19]
	s_branch .LBB137_269
.LBB137_272:
	s_or_b64 exec, exec, s[8:9]
	s_and_saveexec_b64 s[0:1], s[10:11]
	s_xor_b64 s[0:1], exec, s[0:1]
	s_cbranch_execz .LBB137_274
; %bb.273:
	v_readlane_b32 s10, v82, 10
	v_readlane_b32 s11, v82, 11
	s_mul_i32 s0, s11, s10
	v_readlane_b32 s9, v82, 12
	s_sub_i32 s0, s9, s0
	s_add_i32 s1, s11, 1
	s_sub_i32 s8, s0, s10
	s_cmp_ge_u32 s0, s10
	s_cselect_b32 s1, s1, s11
	s_cselect_b32 s0, s8, s0
	s_add_i32 s8, s1, 1
	s_cmp_ge_u32 s0, s10
	s_cselect_b32 s0, s8, s1
	s_mul_i32 s1, s0, s10
	s_sub_i32 s1, s9, s1
	v_readlane_b32 s8, v82, 0
	v_readlane_b32 s9, v82, 1
	s_mul_i32 s1, s1, s9
	s_mul_i32 s0, s0, s8
	s_add_i32 s0, s0, s1
	s_mov_b32 s1, 0
	s_lshl_b64 s[0:1], s[0:1], 3
	v_readlane_b32 s8, v82, 2
	v_readlane_b32 s9, v82, 3
	s_add_u32 s0, s8, s0
	s_addc_u32 s1, s9, s1
	v_mov_b32_e32 v3, 0
	global_store_dwordx2 v3, v[2:3], s[0:1]
.LBB137_274:
	s_or_b64 exec, exec, s[6:7]
.LBB137_275:
	s_or_saveexec_b64 s[0:1], s[4:5]
	s_mov_b64 s[4:5], 0
	s_xor_b64 exec, exec, s[0:1]
	s_cbranch_execnz .LBB137_278
.LBB137_276:
	s_or_b64 exec, exec, s[0:1]
	s_and_b64 s[4:5], s[4:5], exec
	s_andn2_saveexec_b64 s[0:1], s[2:3]
	s_cbranch_execz .LBB137_261
.LBB137_277:
	s_or_b64 s[4:5], s[4:5], exec
	s_trap 2
	s_or_b64 exec, exec, s[0:1]
	s_and_saveexec_b64 s[0:1], s[4:5]
	s_cbranch_execnz .LBB137_262
	s_branch .LBB137_263
.LBB137_278:
	s_mov_b64 s[4:5], exec
	s_trap 2
	s_branch .LBB137_276
	.section	.rodata,"a",@progbits
	.p2align	6, 0x0
	.amdhsa_kernel _ZN2at6native12_GLOBAL__N_112gatherMedianIN3c108BFloat16EjLi2EEEvNS_4cuda6detail10TensorInfoIT_T0_EENS7_IlS9_EENS7_IKS8_S9_EES9_S9_S9_b
		.amdhsa_group_segment_fixed_size 4120
		.amdhsa_private_segment_fixed_size 0
		.amdhsa_kernarg_size 920
		.amdhsa_user_sgpr_count 2
		.amdhsa_user_sgpr_dispatch_ptr 0
		.amdhsa_user_sgpr_queue_ptr 0
		.amdhsa_user_sgpr_kernarg_segment_ptr 1
		.amdhsa_user_sgpr_dispatch_id 0
		.amdhsa_user_sgpr_kernarg_preload_length 0
		.amdhsa_user_sgpr_kernarg_preload_offset 0
		.amdhsa_user_sgpr_private_segment_size 0
		.amdhsa_uses_dynamic_stack 0
		.amdhsa_enable_private_segment 0
		.amdhsa_system_sgpr_workgroup_id_x 1
		.amdhsa_system_sgpr_workgroup_id_y 1
		.amdhsa_system_sgpr_workgroup_id_z 1
		.amdhsa_system_sgpr_workgroup_info 0
		.amdhsa_system_vgpr_workitem_id 0
		.amdhsa_next_free_vgpr 83
		.amdhsa_next_free_sgpr 100
		.amdhsa_accum_offset 84
		.amdhsa_reserve_vcc 1
		.amdhsa_float_round_mode_32 0
		.amdhsa_float_round_mode_16_64 0
		.amdhsa_float_denorm_mode_32 3
		.amdhsa_float_denorm_mode_16_64 3
		.amdhsa_dx10_clamp 1
		.amdhsa_ieee_mode 1
		.amdhsa_fp16_overflow 0
		.amdhsa_tg_split 0
		.amdhsa_exception_fp_ieee_invalid_op 0
		.amdhsa_exception_fp_denorm_src 0
		.amdhsa_exception_fp_ieee_div_zero 0
		.amdhsa_exception_fp_ieee_overflow 0
		.amdhsa_exception_fp_ieee_underflow 0
		.amdhsa_exception_fp_ieee_inexact 0
		.amdhsa_exception_int_div_zero 0
	.end_amdhsa_kernel
	.section	.text._ZN2at6native12_GLOBAL__N_112gatherMedianIN3c108BFloat16EjLi2EEEvNS_4cuda6detail10TensorInfoIT_T0_EENS7_IlS9_EENS7_IKS8_S9_EES9_S9_S9_b,"axG",@progbits,_ZN2at6native12_GLOBAL__N_112gatherMedianIN3c108BFloat16EjLi2EEEvNS_4cuda6detail10TensorInfoIT_T0_EENS7_IlS9_EENS7_IKS8_S9_EES9_S9_S9_b,comdat
.Lfunc_end137:
	.size	_ZN2at6native12_GLOBAL__N_112gatherMedianIN3c108BFloat16EjLi2EEEvNS_4cuda6detail10TensorInfoIT_T0_EENS7_IlS9_EENS7_IKS8_S9_EES9_S9_S9_b, .Lfunc_end137-_ZN2at6native12_GLOBAL__N_112gatherMedianIN3c108BFloat16EjLi2EEEvNS_4cuda6detail10TensorInfoIT_T0_EENS7_IlS9_EENS7_IKS8_S9_EES9_S9_S9_b
                                        ; -- End function
	.set _ZN2at6native12_GLOBAL__N_112gatherMedianIN3c108BFloat16EjLi2EEEvNS_4cuda6detail10TensorInfoIT_T0_EENS7_IlS9_EENS7_IKS8_S9_EES9_S9_S9_b.num_vgpr, 83
	.set _ZN2at6native12_GLOBAL__N_112gatherMedianIN3c108BFloat16EjLi2EEEvNS_4cuda6detail10TensorInfoIT_T0_EENS7_IlS9_EENS7_IKS8_S9_EES9_S9_S9_b.num_agpr, 0
	.set _ZN2at6native12_GLOBAL__N_112gatherMedianIN3c108BFloat16EjLi2EEEvNS_4cuda6detail10TensorInfoIT_T0_EENS7_IlS9_EENS7_IKS8_S9_EES9_S9_S9_b.numbered_sgpr, 100
	.set _ZN2at6native12_GLOBAL__N_112gatherMedianIN3c108BFloat16EjLi2EEEvNS_4cuda6detail10TensorInfoIT_T0_EENS7_IlS9_EENS7_IKS8_S9_EES9_S9_S9_b.num_named_barrier, 0
	.set _ZN2at6native12_GLOBAL__N_112gatherMedianIN3c108BFloat16EjLi2EEEvNS_4cuda6detail10TensorInfoIT_T0_EENS7_IlS9_EENS7_IKS8_S9_EES9_S9_S9_b.private_seg_size, 0
	.set _ZN2at6native12_GLOBAL__N_112gatherMedianIN3c108BFloat16EjLi2EEEvNS_4cuda6detail10TensorInfoIT_T0_EENS7_IlS9_EENS7_IKS8_S9_EES9_S9_S9_b.uses_vcc, 1
	.set _ZN2at6native12_GLOBAL__N_112gatherMedianIN3c108BFloat16EjLi2EEEvNS_4cuda6detail10TensorInfoIT_T0_EENS7_IlS9_EENS7_IKS8_S9_EES9_S9_S9_b.uses_flat_scratch, 0
	.set _ZN2at6native12_GLOBAL__N_112gatherMedianIN3c108BFloat16EjLi2EEEvNS_4cuda6detail10TensorInfoIT_T0_EENS7_IlS9_EENS7_IKS8_S9_EES9_S9_S9_b.has_dyn_sized_stack, 0
	.set _ZN2at6native12_GLOBAL__N_112gatherMedianIN3c108BFloat16EjLi2EEEvNS_4cuda6detail10TensorInfoIT_T0_EENS7_IlS9_EENS7_IKS8_S9_EES9_S9_S9_b.has_recursion, 0
	.set _ZN2at6native12_GLOBAL__N_112gatherMedianIN3c108BFloat16EjLi2EEEvNS_4cuda6detail10TensorInfoIT_T0_EENS7_IlS9_EENS7_IKS8_S9_EES9_S9_S9_b.has_indirect_call, 0
	.section	.AMDGPU.csdata,"",@progbits
; Kernel info:
; codeLenInByte = 11932
; TotalNumSgprs: 106
; NumVgprs: 83
; NumAgprs: 0
; TotalNumVgprs: 83
; ScratchSize: 0
; MemoryBound: 0
; FloatMode: 240
; IeeeMode: 1
; LDSByteSize: 4120 bytes/workgroup (compile time only)
; SGPRBlocks: 13
; VGPRBlocks: 10
; NumSGPRsForWavesPerEU: 106
; NumVGPRsForWavesPerEU: 83
; AccumOffset: 84
; Occupancy: 5
; WaveLimiterHint : 1
; COMPUTE_PGM_RSRC2:SCRATCH_EN: 0
; COMPUTE_PGM_RSRC2:USER_SGPR: 2
; COMPUTE_PGM_RSRC2:TRAP_HANDLER: 0
; COMPUTE_PGM_RSRC2:TGID_X_EN: 1
; COMPUTE_PGM_RSRC2:TGID_Y_EN: 1
; COMPUTE_PGM_RSRC2:TGID_Z_EN: 1
; COMPUTE_PGM_RSRC2:TIDIG_COMP_CNT: 0
; COMPUTE_PGM_RSRC3_GFX90A:ACCUM_OFFSET: 20
; COMPUTE_PGM_RSRC3_GFX90A:TG_SPLIT: 0
	.section	.text._ZN2at6native12_GLOBAL__N_112gatherMedianIN3c108BFloat16EjLi3EEEvNS_4cuda6detail10TensorInfoIT_T0_EENS7_IlS9_EENS7_IKS8_S9_EES9_S9_S9_b,"axG",@progbits,_ZN2at6native12_GLOBAL__N_112gatherMedianIN3c108BFloat16EjLi3EEEvNS_4cuda6detail10TensorInfoIT_T0_EENS7_IlS9_EENS7_IKS8_S9_EES9_S9_S9_b,comdat
	.globl	_ZN2at6native12_GLOBAL__N_112gatherMedianIN3c108BFloat16EjLi3EEEvNS_4cuda6detail10TensorInfoIT_T0_EENS7_IlS9_EENS7_IKS8_S9_EES9_S9_S9_b ; -- Begin function _ZN2at6native12_GLOBAL__N_112gatherMedianIN3c108BFloat16EjLi3EEEvNS_4cuda6detail10TensorInfoIT_T0_EENS7_IlS9_EENS7_IKS8_S9_EES9_S9_S9_b
	.p2align	8
	.type	_ZN2at6native12_GLOBAL__N_112gatherMedianIN3c108BFloat16EjLi3EEEvNS_4cuda6detail10TensorInfoIT_T0_EENS7_IlS9_EENS7_IKS8_S9_EES9_S9_S9_b,@function
_ZN2at6native12_GLOBAL__N_112gatherMedianIN3c108BFloat16EjLi3EEEvNS_4cuda6detail10TensorInfoIT_T0_EENS7_IlS9_EENS7_IKS8_S9_EES9_S9_S9_b: ; @_ZN2at6native12_GLOBAL__N_112gatherMedianIN3c108BFloat16EjLi3EEEvNS_4cuda6detail10TensorInfoIT_T0_EENS7_IlS9_EENS7_IKS8_S9_EES9_S9_S9_b
; %bb.0:
	s_load_dwordx2 s[10:11], s[0:1], 0x298
	s_load_dwordx4 s[64:67], s[0:1], 0x288
	s_add_u32 s8, s0, 0x298
	s_addc_u32 s9, s1, 0
	s_waitcnt lgkmcnt(0)
	s_mul_i32 s4, s11, s4
	s_add_i32 s3, s4, s3
	s_mul_i32 s3, s3, s10
	s_add_i32 s3, s3, s2
	s_cmp_ge_u32 s3, s65
	s_cbranch_scc1 .LBB138_263
; %bb.1:
	s_load_dwordx2 s[20:21], s[0:1], 0xc
	s_load_dwordx2 s[4:5], s[0:1], 0x0
	s_load_dwordx4 s[16:19], s[0:1], 0x144
                                        ; implicit-def: $vgpr82 : SGPR spill to VGPR lane
                                        ; kill: killed $sgpr0 killed $sgpr1
	s_load_dwordx4 s[24:27], s[0:1], 0x6c
	s_waitcnt lgkmcnt(0)
	v_cvt_f32_u32_e32 v1, s21
	v_writelane_b32 v82, s4, 0
	v_cvt_f32_u32_e32 v2, s20
	v_rcp_iflag_f32_e32 v1, v1
	v_writelane_b32 v82, s5, 1
	v_writelane_b32 v82, s16, 2
	v_rcp_iflag_f32_e32 v2, v2
	v_mul_f32_e32 v1, 0x4f7ffffe, v1
	v_writelane_b32 v82, s17, 3
	v_writelane_b32 v82, s18, 4
	;; [unrolled: 1-line block ×3, first 2 shown]
	s_load_dwordx2 s[18:19], s[0:1], 0xd8
	v_cvt_u32_f32_e32 v1, v1
	s_load_dwordx2 s[16:17], s[0:1], 0xe4
	s_load_dwordx4 s[4:7], s[0:1], 0x21c
	s_load_dwordx2 s[14:15], s[0:1], 0x1bc
	s_load_dwordx2 s[12:13], s[0:1], 0x1b0
	s_sub_i32 s0, 0, s21
	s_waitcnt lgkmcnt(0)
	v_writelane_b32 v82, s18, 6
	v_readfirstlane_b32 s1, v1
	s_mul_i32 s0, s0, s1
	v_writelane_b32 v82, s19, 7
	v_writelane_b32 v82, s24, 8
	s_mul_hi_u32 s0, s1, s0
	s_add_i32 s1, s1, s0
	v_writelane_b32 v82, s25, 9
	v_writelane_b32 v82, s26, 10
	;; [unrolled: 1-line block ×3, first 2 shown]
	v_mul_f32_e32 v1, 0x4f7ffffe, v2
	v_cvt_f32_u32_e32 v2, s17
	s_mul_hi_u32 s0, s3, s1
	v_writelane_b32 v82, s3, 12
	s_mul_i32 s1, s0, s21
	v_readlane_b32 s7, v82, 12
	s_sub_i32 s1, s7, s1
	s_add_i32 s3, s0, 1
	s_sub_i32 s7, s1, s21
	v_cvt_u32_f32_e32 v1, v1
	v_rcp_iflag_f32_e32 v2, v2
	s_cmp_ge_u32 s1, s21
	s_cselect_b32 s0, s3, s0
	s_cselect_b32 s1, s7, s1
	s_add_i32 s3, s0, 1
	s_cmp_ge_u32 s1, s21
	v_readfirstlane_b32 s1, v1
	v_mul_f32_e32 v1, 0x4f7ffffe, v2
	s_cselect_b32 s3, s3, s0
	v_writelane_b32 v82, s20, 13
	s_sub_i32 s0, 0, s20
	v_cvt_u32_f32_e32 v1, v1
	s_mul_i32 s0, s0, s1
	s_mul_hi_u32 s0, s1, s0
	v_writelane_b32 v82, s21, 14
	s_add_i32 s1, s1, s0
	v_writelane_b32 v82, s3, 15
	s_mul_hi_u32 s0, s3, s1
	v_readfirstlane_b32 s1, v1
	v_cvt_f32_u32_e32 v1, s16
	v_writelane_b32 v82, s0, 16
	s_sub_i32 s0, 0, s17
	s_mul_i32 s0, s0, s1
	s_mul_hi_u32 s0, s1, s0
	s_add_i32 s1, s1, s0
	v_readlane_b32 s0, v82, 12
	v_rcp_iflag_f32_e32 v1, v1
	s_mul_hi_u32 s0, s0, s1
	s_mul_i32 s1, s0, s17
	v_readlane_b32 s3, v82, 12
	v_cvt_f32_u32_e32 v2, s15
	s_sub_i32 s1, s3, s1
	s_add_i32 s3, s0, 1
	s_sub_i32 s7, s1, s17
	v_mul_f32_e32 v1, 0x4f7ffffe, v1
	s_cmp_ge_u32 s1, s17
	v_cvt_u32_f32_e32 v1, v1
	s_cselect_b32 s0, s3, s0
	v_rcp_iflag_f32_e32 v2, v2
	s_cselect_b32 s1, s7, s1
	s_add_i32 s3, s0, 1
	s_cmp_ge_u32 s1, s17
	s_cselect_b32 s7, s3, s0
	v_readlane_b32 s3, v82, 12
	v_writelane_b32 v82, s16, 17
	s_sub_i32 s0, 0, s16
	v_readfirstlane_b32 s1, v1
	s_mul_i32 s0, s0, s1
	v_mul_f32_e32 v1, 0x4f7ffffe, v2
	s_mul_hi_u32 s0, s1, s0
	v_cvt_u32_f32_e32 v1, v1
	v_writelane_b32 v82, s17, 18
	s_add_i32 s1, s1, s0
	v_writelane_b32 v82, s7, 19
	s_mul_hi_u32 s0, s7, s1
	v_writelane_b32 v82, s0, 20
	s_sub_i32 s0, 0, s15
	v_mul_lo_u32 v2, s0, v1
	v_mul_hi_u32 v2, v1, v2
	v_add_u32_e32 v1, v1, v2
	v_mul_hi_u32 v1, s3, v1
	v_cvt_f32_u32_e32 v5, s14
	v_mul_lo_u32 v2, v1, s15
	v_sub_u32_e32 v2, s3, v2
	v_subrev_u32_e32 v4, s15, v2
	v_cmp_le_u32_e32 vcc, s15, v2
	v_add_u32_e32 v3, 1, v1
	s_sub_i32 s0, 0, s14
	v_cndmask_b32_e32 v2, v2, v4, vcc
	v_rcp_iflag_f32_e32 v4, v5
	v_cndmask_b32_e32 v1, v1, v3, vcc
	v_add_u32_e32 v3, 1, v1
	v_cmp_le_u32_e32 vcc, s15, v2
	s_nop 1
	v_cndmask_b32_e32 v1, v1, v3, vcc
	v_mul_f32_e32 v3, 0x4f7ffffe, v4
	v_cvt_u32_f32_e32 v3, v3
	v_mul_lo_u32 v2, v1, s15
	v_sub_u32_e32 v2, s3, v2
	v_mul_lo_u32 v2, v2, s6
	v_mul_lo_u32 v4, s0, v3
	v_mul_hi_u32 v4, v3, v4
	v_add_u32_e32 v3, v3, v4
	v_mul_hi_u32 v3, v1, v3
	v_mul_lo_u32 v4, v3, s14
	v_sub_u32_e32 v4, v1, v4
	v_add_u32_e32 v5, 1, v3
	v_subrev_u32_e32 v6, s14, v4
	v_cmp_le_u32_e32 vcc, s14, v4
	v_cmp_gt_u32_e64 s[0:1], s64, v0
	s_nop 0
	v_cndmask_b32_e32 v3, v3, v5, vcc
	v_cndmask_b32_e32 v4, v4, v6, vcc
	v_add_u32_e32 v5, 1, v3
	v_cmp_le_u32_e32 vcc, s14, v4
	s_nop 1
	v_cndmask_b32_e32 v3, v3, v5, vcc
	v_mul_lo_u32 v4, v3, s14
	v_sub_u32_e32 v1, v1, v4
	v_mul_lo_u32 v1, v1, s5
	v_add_u32_e32 v1, v1, v2
	v_mul_lo_u32 v2, v3, s4
	v_add_u32_e32 v2, v1, v2
	v_mov_b32_e32 v3, 0
	v_lshlrev_b64 v[4:5], 1, v[2:3]
	v_lshl_add_u64 v[10:11], s[12:13], 0, v[4:5]
	s_mov_b64 s[4:5], exec
	v_writelane_b32 v82, s0, 21
	s_nop 1
	v_writelane_b32 v82, s1, 22
	s_and_b64 s[0:1], s[4:5], s[0:1]
	s_mov_b64 exec, s[0:1]
	s_cbranch_execz .LBB138_5
; %bb.2:
	s_load_dword s0, s[8:9], 0xc
	v_mul_lo_u32 v2, v0, s66
	s_mov_b64 s[6:7], 0
	v_mov_b32_e32 v1, v3
	v_mov_b32_e32 v4, v0
	s_waitcnt lgkmcnt(0)
	s_and_b32 s0, s0, 0xffff
	s_mul_i32 s1, s66, s0
.LBB138_3:                              ; =>This Inner Loop Header: Depth=1
	v_lshl_add_u64 v[6:7], v[2:3], 1, v[10:11]
	global_load_ushort v5, v[6:7], off
	v_add_u32_e32 v4, s0, v4
	v_cmp_le_u32_e32 vcc, s64, v4
	s_or_b64 s[6:7], vcc, s[6:7]
	v_add_u32_e32 v2, s1, v2
	s_waitcnt vmcnt(0)
	v_lshlrev_b32_e32 v5, 16, v5
	v_cmp_u_f32_e32 vcc, v5, v5
	s_nop 1
	v_addc_co_u32_e32 v1, vcc, 0, v1, vcc
	s_andn2_b64 exec, exec, s[6:7]
	s_cbranch_execnz .LBB138_3
; %bb.4:
	s_or_b64 exec, exec, s[6:7]
	v_mov_b32_e32 v3, v1
.LBB138_5:
	s_or_b64 exec, exec, s[4:5]
	v_cmp_eq_u32_e64 s[24:25], 0, v0
	s_and_saveexec_b64 s[4:5], s[24:25]
; %bb.6:
	v_mov_b32_e32 v4, 0
	v_mov_b32_e32 v5, v4
	ds_write_b64 v4, v[4:5] offset:4096
; %bb.7:
	s_or_b64 exec, exec, s[4:5]
	v_cmp_ne_u32_e32 vcc, 0, v3
	s_waitcnt lgkmcnt(0)
	s_barrier
	s_and_saveexec_b64 s[4:5], vcc
	s_cbranch_execz .LBB138_12
; %bb.8:
	s_mov_b64 s[12:13], exec
	v_mov_b32_e32 v1, 0
	v_mov_b32_e32 v2, v3
	s_mov_b64 s[6:7], 0
.LBB138_9:                              ; =>This Inner Loop Header: Depth=1
	s_ff1_i32_b64 s0, s[12:13]
	v_readlane_b32 s3, v2, s0
	v_readlane_b32 s1, v1, s0
	s_add_u32 s6, s6, s3
	s_addc_u32 s7, s7, s1
	s_lshl_b64 s[0:1], 1, s0
	s_andn2_b64 s[12:13], s[12:13], s[0:1]
	s_cmp_lg_u64 s[12:13], 0
	s_cbranch_scc1 .LBB138_9
; %bb.10:
	v_mbcnt_lo_u32_b32 v1, exec_lo, 0
	v_mbcnt_hi_u32_b32 v1, exec_hi, v1
	v_cmp_eq_u32_e32 vcc, 0, v1
	s_and_saveexec_b64 s[0:1], vcc
	s_xor_b64 s[0:1], exec, s[0:1]
; %bb.11:
	v_mov_b32_e32 v1, 0
	v_mov_b64_e32 v[2:3], s[6:7]
	ds_add_u64 v1, v[2:3] offset:4096
.LBB138_12:
	s_or_b64 exec, exec, s[4:5]
	v_mov_b32_e32 v1, 0
	s_waitcnt lgkmcnt(0)
	s_barrier
	ds_read_b64 v[2:3], v1 offset:4096
	s_bitcmp1_b32 s67, 0
	s_cselect_b64 s[0:1], -1, 0
	s_mov_b32 s3, s64
	s_waitcnt lgkmcnt(0)
	v_readfirstlane_b32 s4, v2
	v_readfirstlane_b32 s5, v3
	s_nop 1
	v_cmp_lt_i64_e64 s[6:7], s[4:5], 1
	s_or_b64 s[0:1], s[0:1], s[6:7]
	s_andn2_b64 vcc, exec, s[0:1]
	s_cbranch_vccnz .LBB138_14
; %bb.13:
	s_not_b64 s[0:1], s[4:5]
	s_add_u32 s0, s0, s64
	s_addc_u32 s1, s1, 0
	s_lshr_b32 s3, s1, 31
	s_add_u32 s0, s0, s3
	s_addc_u32 s1, s1, 0
	s_lshr_b64 s[0:1], s[0:1], 1
	s_add_i32 s3, s0, 1
.LBB138_14:
	s_and_saveexec_b64 s[4:5], s[24:25]
	s_cbranch_execz .LBB138_16
; %bb.15:
	v_mov_b32_e32 v2, 0
	v_mov_b32_e32 v3, s64
	ds_write_b32 v2, v2 offset:4112
	ds_write_b64 v2, v[2:3] offset:4104
.LBB138_16:
	s_or_b64 exec, exec, s[4:5]
	s_waitcnt lgkmcnt(0)
	s_barrier
	s_load_dword s0, s[8:9], 0xc
	v_mbcnt_lo_u32_b32 v1, -1, 0
	v_mbcnt_hi_u32_b32 v22, -1, v1
	v_cmp_gt_u32_e32 vcc, 64, v0
	v_cmp_gt_i32_e64 s[6:7], 4, v22
	s_waitcnt lgkmcnt(0)
	s_and_b32 s67, s0, 0xffff
	s_add_i32 s78, s67, -1
	s_lshl_b32 s99, s67, 2
	s_and_b64 s[86:87], vcc, s[6:7]
	s_add_i32 s11, s78, s64
	s_cmpk_gt_u32 s64, 0x600
	s_cselect_b64 s[12:13], -1, 0
	s_cmp_gt_u32 s67, 63
	s_cselect_b64 s[90:91], -1, 0
	s_cmp_lt_u32 s2, s10
	s_cselect_b32 s1, 12, 18
	v_writelane_b32 v82, s12, 23
	v_lshlrev_b64 v[2:3], v22, -1
	s_add_u32 s8, s8, s1
	v_writelane_b32 v82, s13, 24
	v_not_b32_e32 v18, v2
	v_lshrrev_b32_e32 v2, 2, v0
	s_addc_u32 s9, s9, 0
	v_and_b32_e32 v2, 0xf0, v2
	v_writelane_b32 v82, s8, 25
	v_or_b32_e32 v25, 0xc00, v2
	v_add_u32_e32 v2, 2, v0
	v_writelane_b32 v82, s9, 26
	s_bfe_u32 s9, s0, 0xa0006
	v_max_u32_e32 v2, s64, v2
	s_add_i32 s2, s9, -2
	v_xad_u32 v2, v0, -1, v2
	s_lshr_b32 s0, s2, 1
	v_not_b32_e32 v1, v3
	v_add_u32_e32 v3, -4, v2
	s_add_i32 s8, s0, 1
	v_cmp_lt_u32_e64 s[0:1], 31, v2
	v_lshrrev_b32_e32 v5, 2, v3
	v_add_u32_e32 v5, 1, v5
	v_writelane_b32 v82, s0, 27
	v_cmp_lt_u32_e64 s[12:13], 11, v3
	v_and_b32_e32 v6, 3, v5
	v_writelane_b32 v82, s1, 28
	v_writelane_b32 v82, s12, 29
	v_and_b32_e32 v26, -4, v2
	s_cmpk_gt_u32 s67, 0x7f
	v_writelane_b32 v82, s13, 30
	v_cmp_ne_u32_e64 s[12:13], 0, v6
	v_lshlrev_b32_e32 v19, 2, v0
	v_mov_b32_e32 v15, 0
	v_writelane_b32 v82, s12, 31
	s_mov_b32 s22, 0
	v_lshlrev_b32_e32 v23, 1, v0
	v_writelane_b32 v82, s13, 32
	v_cmp_ne_u32_e64 s[12:13], v2, v26
	v_cvt_f32_u32_e32 v2, s99
	v_mul_lo_u32 v12, s66, v0
	v_writelane_b32 v82, s12, 33
	v_mov_b32_e32 v13, v15
	v_rcp_iflag_f32_e32 v2, v2
	v_writelane_b32 v82, s13, 34
	s_cselect_b64 s[12:13], -1, 0
	v_writelane_b32 v82, s12, 35
	s_and_b32 s10, s9, 0x3fe
	v_mul_f32_e32 v2, 0x4f7ffffe, v2
	v_writelane_b32 v82, s13, 36
	s_and_b32 s12, s8, 7
	s_cmp_gt_u32 s2, 13
	s_cselect_b64 s[14:15], -1, 0
	v_writelane_b32 v82, s14, 37
	s_and_b32 s2, s8, -8
	s_cmp_lg_u32 s12, 0
	v_writelane_b32 v82, s15, 38
	v_writelane_b32 v82, s2, 39
	;; [unrolled: 1-line block ×3, first 2 shown]
	s_cselect_b64 s[12:13], -1, 0
	v_writelane_b32 v82, s12, 41
	v_cvt_u32_f32_e32 v2, v2
	s_cmp_lg_u32 s10, s9
	v_writelane_b32 v82, s13, 42
	v_writelane_b32 v82, s9, 43
	;; [unrolled: 1-line block ×3, first 2 shown]
	s_cselect_b64 s[8:9], -1, 0
	v_writelane_b32 v82, s8, 45
	s_sub_i32 s2, 0, s99
	v_lshlrev_b32_e32 v4, 2, v22
	v_writelane_b32 v82, s9, 46
	v_readfirstlane_b32 s8, v2
	v_cvt_f32_u32_e32 v2, s67
	s_mul_i32 s2, s2, s8
	s_mul_hi_u32 s2, s8, s2
	s_add_i32 s77, s8, s2
	v_rcp_iflag_f32_e32 v2, v2
	s_mul_hi_u32 s2, s64, s77
	s_mul_i32 s2, s2, s99
	s_sub_i32 s2, s64, s2
	s_sub_i32 s8, s2, s99
	v_mul_f32_e32 v2, 0x4f7ffffe, v2
	s_cmp_ge_u32 s2, s99
	v_cvt_u32_f32_e32 v2, v2
	s_cselect_b32 s2, s8, s2
	s_sub_i32 s8, s2, s99
	s_cmp_ge_u32 s2, s99
	s_cselect_b32 s2, s8, s2
	s_sub_i32 s8, 0, s67
	v_readfirstlane_b32 s9, v2
	s_mul_i32 s8, s8, s9
	s_mul_hi_u32 s8, s9, s8
	s_add_i32 s93, s9, s8
	s_mul_hi_u32 s8, s11, s93
	s_mul_i32 s8, s8, s67
	s_sub_i32 s8, s11, s8
	s_sub_i32 s92, s64, s2
	;; [unrolled: 1-line block ×3, first 2 shown]
	s_cmp_ge_u32 s8, s67
	s_cselect_b32 s8, s9, s8
	s_sub_i32 s9, s8, s67
	s_cmp_ge_u32 s8, s67
	s_cselect_b32 s8, s9, s8
	s_sub_i32 s94, s11, s8
	v_cmp_gt_u32_e64 s[8:9], s94, v0
	v_mul_lo_u32 v2, s66, v19
	v_add_u32_e32 v31, s66, v2
	v_writelane_b32 v82, s8, 47
	v_or_b32_e32 v2, 2, v19
	v_mul_lo_u32 v32, s66, v2
	v_writelane_b32 v82, s9, 48
	v_or_b32_e32 v2, 3, v19
	s_add_i32 s8, s67, s64
	v_add_u32_e32 v29, s92, v0
	v_mul_lo_u32 v33, s66, v2
	v_add_u32_e32 v2, s8, v0
	v_mul_lo_u32 v14, v29, s66
	s_mul_i32 s65, s66, s67
	v_subrev_u32_e32 v2, s2, v2
	s_mov_b32 s98, 0xffff
	s_mov_b32 s23, 1
	v_cmp_eq_u32_e64 s[4:5], 0, v22
	v_cmp_gt_u32_e64 s[6:7], 2, v0
	v_add_u32_e32 v24, 0xc00, v23
	v_lshl_add_u64 v[16:17], v[12:13], 1, v[10:11]
	v_and_b32_e32 v13, 0x100, v4
	v_add_u32_e32 v27, v0, v26
	s_mov_b32 s0, s66
	s_mov_b32 s1, s66
	;; [unrolled: 1-line block ×4, first 2 shown]
	v_and_b32_e32 v28, 0x7ffffffc, v5
	v_cmp_gt_u32_e64 s[16:17], s92, v19
	v_cmp_gt_u32_e64 s[18:19], s64, v29
	v_lshl_add_u64 v[20:21], v[14:15], 1, v[10:11]
	v_lshlrev_b32_e32 v30, 3, v6
	s_lshl_b32 s95, s65, 2
	v_lshlrev_b32_e32 v34, 2, v12
	v_mul_lo_u32 v36, s66, v2
	v_lshlrev_b32_e32 v37, 3, v0
	s_lshl_b32 s82, s67, 3
	s_lshl_b32 s83, s67, 1
	v_or_b32_e32 v38, 0xc00, v4
	s_mov_b64 s[68:69], 0
	v_mov_b32_e32 v39, 14
	v_mov_b32_e32 v47, s3
	s_mov_b32 s33, 0x5040100
	v_mov_b32_e32 v52, s64
	s_movk_i32 s20, 0x3f80
	v_mov_b32_e32 v40, 0xffff
	v_mov_b32_e32 v41, 0x8000
	v_mov_b32_e32 v42, -1
	v_mov_b32_e32 v43, 0xc00
	v_mov_b32_e32 v44, 0x5040100
	;; [unrolled: 1-line block ×3, first 2 shown]
	s_mov_b32 s21, s22
	v_mov_b32_e32 v35, 0
	v_mov_b32_e32 v45, 0
                                        ; implicit-def: $sgpr70_sgpr71
                                        ; implicit-def: $sgpr10_sgpr11
                                        ; implicit-def: $sgpr80_sgpr81
                                        ; implicit-def: $sgpr12_sgpr13
                                        ; implicit-def: $sgpr14_sgpr15
                                        ; implicit-def: $sgpr72_sgpr73
	s_branch .LBB138_20
.LBB138_17:                             ;   in Loop: Header=BB138_20 Depth=1
	s_or_b64 exec, exec, s[34:35]
	s_and_b64 s[26:27], s[26:27], exec
	s_andn2_b64 s[30:31], s[30:31], exec
	s_andn2_b64 s[28:29], s[28:29], exec
	s_orn2_b64 s[22:23], s[22:23], exec
.LBB138_18:                             ;   in Loop: Header=BB138_20 Depth=1
	s_or_b64 exec, exec, s[8:9]
	s_andn2_b64 s[8:9], s[72:73], exec
	s_and_b64 s[26:27], s[26:27], exec
	s_or_b64 s[72:73], s[8:9], s[26:27]
	s_andn2_b64 s[8:9], s[14:15], exec
	s_and_b64 s[14:15], s[30:31], exec
	s_or_b64 s[14:15], s[8:9], s[14:15]
	;; [unrolled: 3-line block ×3, first 2 shown]
	s_orn2_b64 s[22:23], s[22:23], exec
.LBB138_19:                             ;   in Loop: Header=BB138_20 Depth=1
	s_or_b64 exec, exec, s[2:3]
	s_and_b64 s[2:3], exec, s[22:23]
	s_or_b64 s[68:69], s[2:3], s[68:69]
	s_andn2_b64 s[2:3], s[80:81], exec
	s_and_b64 s[8:9], s[72:73], exec
	s_or_b64 s[80:81], s[2:3], s[8:9]
	s_andn2_b64 s[2:3], s[10:11], exec
	s_and_b64 s[8:9], s[14:15], exec
	;; [unrolled: 3-line block ×3, first 2 shown]
	s_or_b64 s[70:71], s[2:3], s[8:9]
	s_mov_b32 s21, s36
	v_mov_b32_e32 v47, v5
	s_andn2_b64 exec, exec, s[68:69]
	s_cbranch_execz .LBB138_259
.LBB138_20:                             ; =>This Loop Header: Depth=1
                                        ;     Child Loop BB138_25 Depth 2
                                        ;     Child Loop BB138_46 Depth 2
	;; [unrolled: 1-line block ×19, first 2 shown]
	ds_read_b64 v[2:3], v15 offset:4104
	s_waitcnt lgkmcnt(0)
	v_readfirstlane_b32 s88, v2
	s_cmp_lg_u32 s88, 0
	s_cbranch_scc1 .LBB138_65
; %bb.21:                               ;   in Loop: Header=BB138_20 Depth=1
	v_readlane_b32 s2, v82, 23
	v_readlane_b32 s3, v82, 24
	s_and_b64 vcc, exec, s[2:3]
	s_cbranch_vccz .LBB138_33
; %bb.22:                               ;   in Loop: Header=BB138_20 Depth=1
	s_movk_i32 s2, 0x601
	v_cmp_gt_u32_e32 vcc, s2, v3
	s_mov_b64 s[8:9], 0
	s_mov_b64 s[2:3], 0
	s_cbranch_vccz .LBB138_34
; %bb.23:                               ;   in Loop: Header=BB138_20 Depth=1
	v_readlane_b32 s2, v82, 25
	v_readlane_b32 s3, v82, 26
	s_nop 4
	global_load_ushort v2, v15, s[2:3]
	global_load_ushort v4, v[16:17], off
	s_mov_b64 s[26:27], 0
	s_waitcnt vmcnt(1)
	v_add_u32_e32 v5, v0, v2
	v_mul_lo_u32 v3, s66, v2
	v_mul_lo_u32 v14, s66, v5
	v_mov_b32_e32 v5, v0
	s_branch .LBB138_25
.LBB138_24:                             ;   in Loop: Header=BB138_25 Depth=2
	s_or_b64 exec, exec, s[2:3]
	v_add_u32_e32 v14, v14, v3
	v_mov_b32_e32 v4, v6
	s_andn2_b64 exec, exec, s[26:27]
	s_cbranch_execz .LBB138_40
.LBB138_25:                             ;   Parent Loop BB138_20 Depth=1
                                        ; =>  This Inner Loop Header: Depth=2
	v_add_u32_e32 v5, v5, v2
	v_cmp_gt_u32_e64 s[2:3], s64, v5
	v_cmp_le_u32_e32 vcc, s64, v5
	s_waitcnt lgkmcnt(0)
	v_mov_b32_e32 v7, 0
	v_mov_b32_e32 v6, 0
	s_and_saveexec_b64 s[22:23], s[2:3]
	s_cbranch_execz .LBB138_27
; %bb.26:                               ;   in Loop: Header=BB138_25 Depth=2
	v_lshl_add_u64 v[8:9], v[14:15], 1, v[10:11]
	global_load_ushort v6, v[8:9], off
.LBB138_27:                             ;   in Loop: Header=BB138_25 Depth=2
	s_or_b64 exec, exec, s[22:23]
	s_waitcnt vmcnt(0)
	v_cmp_lt_i16_e64 s[2:3], -1, v4
	v_lshlrev_b32_e32 v9, 16, v4
	s_nop 0
	v_cndmask_b32_e64 v8, v40, v41, s[2:3]
	v_xor_b32_sdwa v8, v8, v4 dst_sel:DWORD dst_unused:UNUSED_PAD src0_sel:DWORD src1_sel:WORD_0
	v_cmp_o_f32_e64 s[2:3], v9, v9
	s_nop 1
	v_cndmask_b32_e64 v8, v40, v8, s[2:3]
	v_and_b32_e32 v8, v8, v45
	v_cmp_eq_u32_e64 s[22:23], v8, v35
	s_cmp_lg_u64 s[22:23], 0
	s_cselect_b64 s[2:3], -1, 0
	s_and_b64 s[2:3], s[4:5], s[2:3]
	s_and_saveexec_b64 s[28:29], s[2:3]
	s_cbranch_execz .LBB138_31
; %bb.28:                               ;   in Loop: Header=BB138_25 Depth=2
	s_mov_b64 s[34:35], exec
	v_mbcnt_lo_u32_b32 v7, s34, 0
	v_mbcnt_hi_u32_b32 v7, s35, v7
	s_bcnt1_i32_b64 s36, s[22:23]
	v_cmp_eq_u32_e64 s[2:3], 0, v7
                                        ; implicit-def: $vgpr8
	s_and_saveexec_b64 s[30:31], s[2:3]
; %bb.29:                               ;   in Loop: Header=BB138_25 Depth=2
	s_bcnt1_i32_b64 s2, s[34:35]
	s_mul_i32 s2, s36, s2
	v_mov_b32_e32 v8, s2
	ds_add_rtn_u32 v8, v15, v8 offset:4112
; %bb.30:                               ;   in Loop: Header=BB138_25 Depth=2
	s_or_b64 exec, exec, s[30:31]
	s_waitcnt lgkmcnt(0)
	v_readfirstlane_b32 s2, v8
	s_nop 1
	v_mov_b32_e32 v8, s2
	v_mad_u32_u24 v7, s36, v7, v8
.LBB138_31:                             ;   in Loop: Header=BB138_25 Depth=2
	s_or_b64 exec, exec, s[28:29]
	ds_bpermute_b32 v7, v13, v7
	s_and_b64 s[2:3], exec, vcc
	s_or_b64 s[26:27], s[2:3], s[26:27]
	s_and_saveexec_b64 s[2:3], s[22:23]
	s_cbranch_execz .LBB138_24
; %bb.32:                               ;   in Loop: Header=BB138_25 Depth=2
	v_and_b32_e32 v9, s22, v18
	v_and_b32_e32 v8, s23, v1
	v_bcnt_u32_b32 v9, v9, 0
	v_bcnt_u32_b32 v8, v8, v9
	v_lshlrev_b32_e32 v8, 1, v8
	s_waitcnt lgkmcnt(0)
	v_lshl_add_u32 v7, v7, 1, v8
	ds_write_b16 v7, v4
	s_branch .LBB138_24
.LBB138_33:                             ;   in Loop: Header=BB138_20 Depth=1
	s_mov_b64 s[8:9], -1
	s_mov_b64 s[2:3], 0
.LBB138_34:                             ;   in Loop: Header=BB138_20 Depth=1
	s_and_b64 vcc, exec, s[8:9]
	s_cbranch_vccz .LBB138_63
.LBB138_35:                             ;   in Loop: Header=BB138_20 Depth=1
	s_mov_b64 s[22:23], exec
	v_readlane_b32 s2, v82, 21
	v_readlane_b32 s3, v82, 22
	s_and_b64 s[2:3], s[22:23], s[2:3]
	s_mov_b64 exec, s[2:3]
	s_cbranch_execz .LBB138_60
; %bb.36:                               ;   in Loop: Header=BB138_20 Depth=1
	v_readlane_b32 s2, v82, 25
	v_readlane_b32 s3, v82, 26
	s_nop 4
	global_load_ushort v2, v15, s[2:3]
	global_load_ushort v48, v[16:17], off
	v_mov_b32_e32 v3, v0
	s_waitcnt vmcnt(1)
	v_readfirstlane_b32 s34, v2
	v_add_u32_e32 v2, v0, v2
	v_cmp_gt_u32_e32 vcc, s64, v2
	s_and_saveexec_b64 s[26:27], vcc
	s_cbranch_execz .LBB138_59
; %bb.37:                               ;   in Loop: Header=BB138_20 Depth=1
	v_readlane_b32 s28, v82, 27
	s_mov_b64 s[2:3], 0
	s_mul_i32 s35, s66, s34
	v_readlane_b32 s29, v82, 28
                                        ; implicit-def: $vgpr3
                                        ; implicit-def: $vgpr4
                                        ; implicit-def: $vgpr5
	s_and_saveexec_b64 s[8:9], s[28:29]
	s_xor_b64 s[28:29], exec, s[8:9]
	s_cbranch_execnz .LBB138_43
; %bb.38:                               ;   in Loop: Header=BB138_20 Depth=1
	s_andn2_saveexec_b64 s[8:9], s[28:29]
	s_cbranch_execnz .LBB138_54
.LBB138_39:                             ;   in Loop: Header=BB138_20 Depth=1
	s_or_b64 exec, exec, s[8:9]
	s_and_saveexec_b64 s[8:9], s[2:3]
	s_cbranch_execnz .LBB138_55
	s_branch .LBB138_58
.LBB138_40:                             ;   in Loop: Header=BB138_20 Depth=1
	s_or_b64 exec, exec, s[26:27]
	s_waitcnt lgkmcnt(0)
	s_barrier
	s_and_saveexec_b64 s[2:3], s[24:25]
	s_cbranch_execz .LBB138_42
; %bb.41:                               ;   in Loop: Header=BB138_20 Depth=1
	ds_read_b32 v2, v15 offset:4112
	s_waitcnt lgkmcnt(0)
	ds_write_b32 v15, v2 offset:4104
.LBB138_42:                             ;   in Loop: Header=BB138_20 Depth=1
	s_or_b64 exec, exec, s[2:3]
	s_waitcnt lgkmcnt(0)
	s_barrier
	s_mov_b64 s[2:3], -1
	s_and_b64 vcc, exec, s[8:9]
	s_cbranch_vccnz .LBB138_35
	s_branch .LBB138_63
.LBB138_43:                             ;   in Loop: Header=BB138_20 Depth=1
	v_cvt_f32_u32_e32 v3, s34
	v_add_u32_e32 v4, s34, v2
	v_max_u32_e32 v4, s64, v4
	s_lshl_b32 s2, s34, 1
	v_rcp_iflag_f32_e32 v3, v3
	v_sub_u32_e32 v4, v4, v0
	v_cmp_ne_u32_e32 vcc, s2, v4
	s_sub_i32 s3, 0, s34
	v_mul_f32_e32 v3, 0x4f7ffffe, v3
	v_cvt_u32_f32_e32 v3, v3
	v_cndmask_b32_e64 v5, 0, 1, vcc
	v_or_b32_e32 v5, s2, v5
	v_sub_u32_e32 v4, v4, v5
	v_mul_lo_u32 v5, s3, v3
	v_mul_hi_u32 v5, v3, v5
	v_add_u32_e32 v3, v3, v5
	v_mul_hi_u32 v3, v4, v3
	v_mul_lo_u32 v5, v3, s34
	v_sub_u32_e32 v4, v4, v5
	v_add_u32_e32 v5, 1, v3
	v_cmp_le_u32_e64 s[2:3], s34, v4
	s_nop 1
	v_cndmask_b32_e64 v3, v3, v5, s[2:3]
	v_subrev_u32_e32 v5, s34, v4
	v_cndmask_b32_e64 v4, v4, v5, s[2:3]
	v_add_u32_e32 v5, 1, v3
	v_cmp_le_u32_e64 s[2:3], s34, v4
	v_mul_lo_u32 v4, s66, v2
	s_nop 0
	v_cndmask_b32_e64 v3, v3, v5, s[2:3]
	v_addc_co_u32_e32 v3, vcc, 0, v3, vcc
	s_abs_i32 s2, s35
	v_mul_hi_u32 v5, s2, v3
	v_mul_lo_u32 v3, s2, v3
	s_not_b32 s2, s35
	s_ashr_i32 s2, s2, 31
	s_cmp_eq_u32 s34, 1
	v_cmp_eq_u32_e32 vcc, 0, v5
	v_xor_b32_e32 v4, s2, v4
	s_cselect_b64 s[8:9], -1, 0
	v_cmp_le_u32_e64 s[2:3], v3, v4
	s_and_b64 s[8:9], vcc, s[8:9]
	s_and_b64 s[30:31], s[8:9], s[2:3]
	s_mov_b64 s[8:9], -1
	v_mov_b32_e32 v4, v0
                                        ; implicit-def: $vgpr3
	s_and_saveexec_b64 s[2:3], s[30:31]
	s_cbranch_execz .LBB138_53
; %bb.44:                               ;   in Loop: Header=BB138_20 Depth=1
	v_add_u32_e32 v5, 3, v2
	v_add_u32_e32 v4, 2, v2
	;; [unrolled: 1-line block ×3, first 2 shown]
	v_mov_b64_e32 v[8:9], v[4:5]
	s_waitcnt vmcnt(0)
	v_lshlrev_b32_e32 v49, 16, v48
	v_mov_b32_e32 v14, 0
	v_mov_b64_e32 v[6:7], v[2:3]
                                        ; implicit-def: $vgpr48
	s_mov_b64 s[8:9], exec
	v_readlane_b32 s30, v82, 29
	v_readlane_b32 s31, v82, 30
	s_and_b64 s[30:31], s[8:9], s[30:31]
	s_mov_b64 exec, s[30:31]
	s_cbranch_execz .LBB138_48
; %bb.45:                               ;   in Loop: Header=BB138_20 Depth=1
	v_mov_b64_e32 v[8:9], v[4:5]
	s_mov_b32 s36, 0
	s_mov_b64 s[30:31], 0
	v_mov_b32_e32 v50, v28
	v_mov_b32_e32 v51, v23
	v_mov_b64_e32 v[6:7], v[2:3]
.LBB138_46:                             ;   Parent Loop BB138_20 Depth=1
                                        ; =>  This Inner Loop Header: Depth=2
	v_mul_lo_u32 v14, v6, s0
	v_add_u32_e32 v3, 4, v6
	v_add_u32_e32 v48, 4, v7
	;; [unrolled: 1-line block ×4, first 2 shown]
	v_mul_lo_u32 v4, v9, s76
	v_mul_lo_u32 v56, v7, s1
	v_mov_b32_e32 v57, v15
	v_mov_b32_e32 v5, v15
	;; [unrolled: 1-line block ×4, first 2 shown]
	v_add_u32_e32 v80, 8, v6
	v_lshl_add_u64 v[76:77], v[14:15], 1, v[10:11]
	v_mul_lo_u32 v62, v58, s76
	v_mul_lo_u32 v60, v53, s79
	;; [unrolled: 1-line block ×5, first 2 shown]
	v_mov_b32_e32 v55, v15
	v_mov_b32_e32 v63, v15
	v_add_u32_e32 v64, 8, v7
	v_add_u32_e32 v81, 12, v6
	v_lshl_add_u64 v[56:57], v[56:57], 1, v[10:11]
	v_lshl_add_u64 v[4:5], v[4:5], 1, v[10:11]
	;; [unrolled: 1-line block ×5, first 2 shown]
	v_mul_lo_u32 v14, v80, s0
	v_add_u32_e32 v66, 8, v8
	v_add_u32_e32 v68, 8, v9
	v_mov_b32_e32 v65, v15
	v_add_u32_e32 v70, 12, v7
	v_add_u32_e32 v72, 12, v8
	v_add_u32_e32 v74, 12, v9
	v_lshl_add_u64 v[54:55], v[54:55], 1, v[10:11]
	v_mul_lo_u32 v64, v64, s1
	v_lshl_add_u64 v[62:63], v[62:63], 1, v[10:11]
	global_load_ushort v3, v[76:77], off
	global_load_ushort v53, v[56:57], off
	s_nop 0
	global_load_ushort v56, v[54:55], off
	global_load_ushort v76, v[4:5], off
	;; [unrolled: 1-line block ×4, first 2 shown]
	s_nop 0
	global_load_ushort v58, v[60:61], off
	s_nop 0
	global_load_ushort v60, v[62:63], off
	v_lshl_add_u64 v[4:5], v[14:15], 1, v[10:11]
	v_mul_lo_u32 v14, v81, s0
	v_mov_b32_e32 v67, v15
	v_mov_b32_e32 v69, v15
	;; [unrolled: 1-line block ×5, first 2 shown]
	v_mul_lo_u32 v68, v68, s76
	v_mul_lo_u32 v66, v66, s79
	;; [unrolled: 1-line block ×5, first 2 shown]
	v_lshl_add_u64 v[64:65], v[64:65], 1, v[10:11]
	v_lshl_add_u64 v[54:55], v[14:15], 1, v[10:11]
	;; [unrolled: 1-line block ×7, first 2 shown]
	global_load_ushort v59, v[64:65], off
	global_load_ushort v61, v[66:67], off
	global_load_ushort v62, v[68:69], off
	global_load_ushort v63, v[70:71], off
	s_nop 0
	global_load_ushort v64, v[72:73], off
	global_load_ushort v48, v[74:75], off
	;; [unrolled: 1-line block ×3, first 2 shown]
	s_nop 0
	global_load_ushort v4, v[4:5], off
	v_add_u32_e32 v50, -4, v50
	s_add_i32 s36, s36, 16
	v_cmp_eq_u32_e32 vcc, 0, v50
	v_add_u32_e32 v9, 16, v9
	v_add_u32_e32 v8, 16, v8
	;; [unrolled: 1-line block ×4, first 2 shown]
	v_mov_b32_e32 v14, s36
	s_or_b64 s[30:31], vcc, s[30:31]
	s_waitcnt vmcnt(15)
	v_alignbit_b32 v54, v3, v49, 16
	s_waitcnt vmcnt(13)
	v_perm_b32 v55, v56, v53, s33
	s_waitcnt vmcnt(11)
	v_perm_b32 v56, v77, v76, s33
	;; [unrolled: 2-line block ×3, first 2 shown]
	ds_write_b128 v51, v[54:57]
	s_waitcnt vmcnt(6)
	v_perm_b32 v59, v61, v59, s33
	s_waitcnt vmcnt(3)
	v_perm_b32 v61, v64, v63, s33
	;; [unrolled: 2-line block ×4, first 2 shown]
	v_perm_b32 v60, v65, v62, s33
	ds_write_b128 v51, v[58:61] offset:16
	v_add_u32_e32 v51, 32, v51
	s_andn2_b64 exec, exec, s[30:31]
	s_cbranch_execnz .LBB138_46
; %bb.47:                               ;   in Loop: Header=BB138_20 Depth=1
	s_or_b64 exec, exec, s[30:31]
.LBB138_48:                             ;   in Loop: Header=BB138_20 Depth=1
	s_or_b64 exec, exec, s[8:9]
	s_mov_b64 s[8:9], exec
	v_readlane_b32 s30, v82, 31
	v_readlane_b32 s31, v82, 32
	s_and_b64 s[30:31], s[8:9], s[30:31]
	s_mov_b64 exec, s[30:31]
	s_cbranch_execz .LBB138_52
; %bb.49:                               ;   in Loop: Header=BB138_20 Depth=1
	v_lshl_add_u32 v3, v14, 1, v23
	s_mov_b64 s[30:31], 0
	v_mov_b32_e32 v4, v30
.LBB138_50:                             ;   Parent Loop BB138_20 Depth=1
                                        ; =>  This Inner Loop Header: Depth=2
	v_mul_lo_u32 v50, v9, s76
	v_mul_lo_u32 v54, v8, s79
	v_mov_b32_e32 v55, v15
	v_mov_b32_e32 v51, v15
	v_mul_lo_u32 v56, v7, s1
	v_mul_lo_u32 v14, v6, s0
	v_mov_b32_e32 v57, v15
	v_lshl_add_u64 v[54:55], v[54:55], 1, v[10:11]
	v_lshl_add_u64 v[50:51], v[50:51], 1, v[10:11]
	;; [unrolled: 1-line block ×4, first 2 shown]
	global_load_ushort v5, v[54:55], off
	global_load_ushort v48, v[50:51], off
	;; [unrolled: 1-line block ×3, first 2 shown]
	s_nop 0
	global_load_ushort v50, v[58:59], off
	v_add_u32_e32 v4, -8, v4
	v_cmp_eq_u32_e32 vcc, 0, v4
	v_add_u32_e32 v9, 4, v9
	v_add_u32_e32 v8, 4, v8
	v_add_u32_e32 v7, 4, v7
	v_add_u32_e32 v6, 4, v6
	s_or_b64 s[30:31], vcc, s[30:31]
	s_waitcnt vmcnt(2)
	v_perm_b32 v53, v48, v5, s33
	s_waitcnt vmcnt(1)
	v_perm_b32 v51, v5, v14, s33
	s_waitcnt vmcnt(0)
	v_alignbit_b32 v50, v50, v49, 16
	ds_write_b64 v3, v[50:51]
	v_add_u32_e32 v3, 8, v3
	v_mov_b32_e32 v49, v53
	s_andn2_b64 exec, exec, s[30:31]
	s_cbranch_execnz .LBB138_50
; %bb.51:                               ;   in Loop: Header=BB138_20 Depth=1
	s_or_b64 exec, exec, s[30:31]
.LBB138_52:                             ;   in Loop: Header=BB138_20 Depth=1
	s_or_b64 exec, exec, s[8:9]
	v_readlane_b32 s8, v82, 33
	v_add_u32_e32 v2, v2, v26
	v_readlane_b32 s9, v82, 34
	v_add_u32_e32 v3, -1, v2
	s_orn2_b64 s[8:9], s[8:9], exec
	v_mov_b32_e32 v4, v27
.LBB138_53:                             ;   in Loop: Header=BB138_20 Depth=1
	s_or_b64 exec, exec, s[2:3]
	v_mov_b32_e32 v5, s35
	s_and_b64 s[2:3], s[8:9], exec
	s_andn2_saveexec_b64 s[8:9], s[28:29]
	s_cbranch_execz .LBB138_39
.LBB138_54:                             ;   in Loop: Header=BB138_20 Depth=1
	v_mov_b32_e32 v5, s35
	s_or_b64 s[2:3], s[2:3], exec
	v_mov_b32_e32 v4, v0
	s_or_b64 exec, exec, s[8:9]
	s_and_saveexec_b64 s[8:9], s[2:3]
	s_cbranch_execz .LBB138_58
.LBB138_55:                             ;   in Loop: Header=BB138_20 Depth=1
	s_sub_i32 s28, 0, s34
	v_mul_lo_u32 v14, s66, v2
	s_mov_b64 s[2:3], 0
.LBB138_56:                             ;   Parent Loop BB138_20 Depth=1
                                        ; =>  This Inner Loop Header: Depth=2
	v_lshl_add_u64 v[6:7], v[14:15], 1, v[10:11]
	s_waitcnt vmcnt(0)
	v_mov_b32_e32 v3, v48
	global_load_ushort v48, v[6:7], off
	v_mov_b32_e32 v6, v2
	v_lshlrev_b32_e32 v2, 1, v4
	ds_write_b16 v2, v3
	v_add_u32_e32 v2, s34, v6
	v_cmp_le_u32_e32 vcc, s64, v2
	v_add_u32_e32 v14, v14, v5
	s_or_b64 s[2:3], vcc, s[2:3]
	v_mov_b32_e32 v4, v6
	s_andn2_b64 exec, exec, s[2:3]
	s_cbranch_execnz .LBB138_56
; %bb.57:                               ;   in Loop: Header=BB138_20 Depth=1
	s_or_b64 exec, exec, s[2:3]
	v_add_u32_e32 v3, s28, v2
.LBB138_58:                             ;   in Loop: Header=BB138_20 Depth=1
	s_or_b64 exec, exec, s[8:9]
.LBB138_59:                             ;   in Loop: Header=BB138_20 Depth=1
	s_or_b64 exec, exec, s[26:27]
	v_lshlrev_b32_e32 v2, 1, v3
	s_waitcnt vmcnt(0)
	ds_write_b16 v2, v48
.LBB138_60:                             ;   in Loop: Header=BB138_20 Depth=1
	s_or_b64 exec, exec, s[22:23]
	s_waitcnt lgkmcnt(0)
	s_barrier
	s_and_saveexec_b64 s[2:3], s[24:25]
; %bb.61:                               ;   in Loop: Header=BB138_20 Depth=1
	ds_write_b32 v15, v52 offset:4104
; %bb.62:                               ;   in Loop: Header=BB138_20 Depth=1
	s_or_b64 exec, exec, s[2:3]
	s_mov_b64 s[2:3], -1
	s_waitcnt lgkmcnt(0)
	s_barrier
.LBB138_63:                             ;   in Loop: Header=BB138_20 Depth=1
	s_mov_b32 s88, 0
	s_and_b64 vcc, exec, s[2:3]
	s_cbranch_vccz .LBB138_65
; %bb.64:                               ;   in Loop: Header=BB138_20 Depth=1
	ds_read_b32 v2, v15 offset:4104
	s_waitcnt lgkmcnt(0)
	v_readfirstlane_b32 s88, v2
.LBB138_65:                             ;   in Loop: Header=BB138_20 Depth=1
	s_cmp_lt_i32 s88, 1
	s_mov_b64 s[2:3], -1
                                        ; implicit-def: $vgpr4_vgpr5
	s_cbranch_scc1 .LBB138_75
; %bb.66:                               ;   in Loop: Header=BB138_20 Depth=1
	s_and_b64 vcc, exec, s[2:3]
	s_cbranch_vccnz .LBB138_86
.LBB138_67:                             ;   in Loop: Header=BB138_20 Depth=1
	s_lshl_b32 s22, s21, 6
	s_and_saveexec_b64 s[2:3], s[4:5]
.LBB138_68:                             ;   in Loop: Header=BB138_20 Depth=1
	v_lshl_add_u32 v6, s22, 2, v25
	ds_write_b128 v6, v[2:5]
.LBB138_69:                             ;   in Loop: Header=BB138_20 Depth=1
	s_or_b64 exec, exec, s[2:3]
	s_waitcnt lgkmcnt(0)
	s_barrier
	s_and_saveexec_b64 s[2:3], s[86:87]
	s_cbranch_execz .LBB138_103
; %bb.70:                               ;   in Loop: Header=BB138_20 Depth=1
	v_add_u32_e32 v4, s22, v22
	s_andn2_b64 vcc, exec, s[90:91]
	v_mov_b32_e32 v2, 0
	s_cbranch_vccnz .LBB138_102
; %bb.71:                               ;   in Loop: Header=BB138_20 Depth=1
	v_readlane_b32 s8, v82, 35
	v_readlane_b32 s9, v82, 36
	s_andn2_b64 vcc, exec, s[8:9]
	s_cbranch_vccnz .LBB138_95
; %bb.72:                               ;   in Loop: Header=BB138_20 Depth=1
	v_readlane_b32 s8, v82, 37
	v_readlane_b32 s9, v82, 38
	s_andn2_b64 vcc, exec, s[8:9]
	v_lshl_add_u32 v5, v4, 2, v43
	s_cbranch_vccnz .LBB138_96
; %bb.73:                               ;   in Loop: Header=BB138_20 Depth=1
	s_mov_b32 s9, 1
	s_mov_b32 s8, 0
	v_mov_b32_e32 v2, 0
	v_mov_b32_e32 v3, 0
	v_readlane_b32 s23, v82, 39
.LBB138_74:                             ;   Parent Loop BB138_20 Depth=1
                                        ; =>  This Inner Loop Header: Depth=2
	v_lshl_add_u32 v14, s8, 4, v5
	v_lshl_add_u32 v53, s9, 4, v5
	ds_read2_b32 v[6:7], v14 offset1:8
	ds_read2_b32 v[8:9], v53 offset1:8
	ds_read2_b32 v[48:49], v14 offset0:16 offset1:24
	ds_read2_b32 v[50:51], v53 offset0:16 offset1:24
	ds_read2_b32 v[54:55], v14 offset0:32 offset1:40
	ds_read2_b32 v[56:57], v53 offset0:32 offset1:40
	ds_read2_b32 v[58:59], v14 offset0:48 offset1:56
	ds_read2_b32 v[60:61], v53 offset0:48 offset1:56
	s_waitcnt lgkmcnt(7)
	v_add3_u32 v2, v6, v2, v7
	s_waitcnt lgkmcnt(6)
	v_add3_u32 v3, v8, v3, v9
	;; [unrolled: 2-line block ×3, first 2 shown]
	v_add3_u32 v2, v48, v2, v49
	s_add_i32 s9, s9, 16
	s_add_i32 s8, s8, 16
	s_add_i32 s23, s23, -8
	s_waitcnt lgkmcnt(3)
	v_add3_u32 v2, v54, v2, v55
	s_waitcnt lgkmcnt(2)
	v_add3_u32 v3, v56, v3, v57
	s_cmp_lg_u32 s23, 0
	s_waitcnt lgkmcnt(0)
	v_add3_u32 v3, v60, v3, v61
	v_add3_u32 v2, v58, v2, v59
	s_cbranch_scc1 .LBB138_74
	s_branch .LBB138_97
.LBB138_75:                             ;   in Loop: Header=BB138_20 Depth=1
	v_mov_b32_e32 v14, v15
	v_mov_b64_e32 v[4:5], v[14:15]
	v_mov_b64_e32 v[2:3], v[14:15]
	s_and_saveexec_b64 s[52:53], s[16:17]
	s_cbranch_execz .LBB138_79
; %bb.76:                               ;   in Loop: Header=BB138_20 Depth=1
	s_mov_b32 s8, 0
	s_mov_b64 s[54:55], 0
	v_mov_b32_e32 v6, v19
	s_mov_b32 s58, 0
	s_mov_b32 s59, s8
	;; [unrolled: 1-line block ×4, first 2 shown]
.LBB138_77:                             ;   Parent Loop BB138_20 Depth=1
                                        ; =>  This Inner Loop Header: Depth=2
	v_add_u32_e32 v14, s8, v34
	v_lshl_add_u64 v[2:3], v[14:15], 1, v[10:11]
	v_add_u32_e32 v14, s8, v31
	global_load_ushort v4, v[2:3], off
	v_lshl_add_u64 v[2:3], v[14:15], 1, v[10:11]
	v_add_u32_e32 v14, s8, v32
	global_load_ushort v5, v[2:3], off
	;; [unrolled: 3-line block ×3, first 2 shown]
	v_lshl_add_u64 v[2:3], v[14:15], 1, v[10:11]
	global_load_ushort v2, v[2:3], off
	v_add_u32_e32 v6, s99, v6
	v_cmp_le_u32_e32 vcc, s92, v6
	s_add_i32 s8, s8, s95
	s_waitcnt vmcnt(3)
	v_cmp_lt_i16_e64 s[2:3], -1, v4
	v_lshlrev_b32_e32 v3, 16, v4
	s_nop 0
	v_cndmask_b32_e64 v8, v40, v41, s[2:3]
	v_xor_b32_sdwa v4, v8, v4 dst_sel:DWORD dst_unused:UNUSED_PAD src0_sel:DWORD src1_sel:WORD_0
	v_cmp_o_f32_e64 s[2:3], v3, v3
	s_waitcnt vmcnt(2)
	v_cmp_lt_i16_e64 s[22:23], -1, v5
	v_lshlrev_b32_e32 v9, 16, v5
	v_cndmask_b32_e64 v4, v40, v4, s[2:3]
	v_cndmask_b32_e64 v3, v40, v41, s[22:23]
	s_waitcnt vmcnt(1)
	v_cmp_lt_i16_e64 s[2:3], -1, v7
	v_lshlrev_b32_e32 v8, 16, v7
	v_xor_b32_sdwa v3, v3, v5 dst_sel:DWORD dst_unused:UNUSED_PAD src0_sel:DWORD src1_sel:WORD_0
	v_cndmask_b32_e64 v5, v40, v41, s[2:3]
	s_waitcnt vmcnt(0)
	v_cmp_lt_i16_e64 s[2:3], -1, v2
	v_cmp_o_f32_e64 s[22:23], v9, v9
	v_xor_b32_sdwa v5, v5, v7 dst_sel:DWORD dst_unused:UNUSED_PAD src0_sel:DWORD src1_sel:WORD_0
	v_cndmask_b32_e64 v7, v40, v41, s[2:3]
	v_and_b32_e32 v14, v4, v45
	v_bfe_u32 v4, v4, v39, 2
	v_cmp_o_f32_e64 s[2:3], v8, v8
	v_cndmask_b32_e64 v3, v40, v3, s[22:23]
	v_cmp_eq_u32_e64 s[22:23], 0, v4
	v_cndmask_b32_e64 v5, v40, v5, s[2:3]
	v_cmp_eq_u32_e64 s[2:3], v14, v35
	v_lshlrev_b32_e32 v9, 16, v2
	v_xor_b32_sdwa v2, v7, v2 dst_sel:DWORD dst_unused:UNUSED_PAD src0_sel:DWORD src1_sel:WORD_0
	v_and_b32_e32 v7, v3, v45
	v_bfe_u32 v3, v3, v39, 2
	v_cmp_eq_u32_e64 s[26:27], 1, v4
	s_and_b64 s[22:23], s[2:3], s[22:23]
	v_cmp_eq_u32_e64 s[28:29], 2, v4
	v_cmp_eq_u32_e64 s[30:31], 3, v4
	v_cmp_o_f32_e64 s[34:35], v9, v9
	v_cmp_eq_u32_e64 s[36:37], 0, v3
	v_cmp_eq_u32_e64 s[38:39], 1, v3
	;; [unrolled: 1-line block ×4, first 2 shown]
	v_cndmask_b32_e64 v3, 0, 1, s[22:23]
	s_and_b64 s[22:23], s[2:3], s[26:27]
	v_cndmask_b32_e64 v2, v40, v2, s[34:35]
	v_cmp_eq_u32_e64 s[34:35], v7, v35
	v_and_b32_e32 v4, v5, v45
	v_bfe_u32 v5, v5, v39, 2
	v_cndmask_b32_e64 v7, 0, 1, s[22:23]
	s_and_b64 s[22:23], s[2:3], s[28:29]
	s_and_b64 s[2:3], s[2:3], s[30:31]
	v_cndmask_b32_e64 v8, 0, 1, s[22:23]
	v_cndmask_b32_e64 v9, 0, 1, s[2:3]
	v_cmp_eq_u32_e64 s[2:3], v4, v35
	v_and_b32_e32 v4, v2, v45
	v_bfe_u32 v2, v2, v39, 2
	v_cmp_eq_u32_e64 s[22:23], 0, v5
	s_and_b64 s[36:37], s[34:35], s[36:37]
	s_and_b64 s[38:39], s[34:35], s[38:39]
	;; [unrolled: 1-line block ×4, first 2 shown]
	v_cmp_eq_u32_e64 s[26:27], 1, v5
	v_cmp_eq_u32_e64 s[28:29], 2, v5
	;; [unrolled: 1-line block ×3, first 2 shown]
	v_cndmask_b32_e64 v5, 0, 1, s[38:39]
	v_cmp_ne_u32_e64 s[38:39], 0, v8
	v_cndmask_b32_e64 v8, 0, 1, s[34:35]
	v_cmp_eq_u32_e64 s[34:35], v4, v35
	v_cmp_eq_u32_e64 s[42:43], 0, v2
	s_and_b64 s[22:23], s[2:3], s[22:23]
	v_cmp_ne_u32_e64 s[44:45], 0, v3
	v_cndmask_b32_e64 v3, 0, 1, s[36:37]
	v_cmp_eq_u32_e64 s[46:47], 1, v2
	v_cmp_eq_u32_e64 s[48:49], 2, v2
	;; [unrolled: 1-line block ×3, first 2 shown]
	v_cndmask_b32_e64 v2, 0, 1, s[22:23]
	s_and_b64 s[26:27], s[2:3], s[26:27]
	s_and_b64 s[28:29], s[2:3], s[28:29]
	;; [unrolled: 1-line block ×4, first 2 shown]
	v_cmp_ne_u32_e64 s[36:37], 0, v7
	v_cndmask_b32_e64 v7, 0, 1, s[40:41]
	v_cmp_ne_u32_e64 s[40:41], 0, v9
	s_bcnt1_i32_b64 s9, s[44:45]
	v_cmp_ne_u32_e64 s[44:45], 0, v3
	v_cmp_ne_u32_e64 s[22:23], 0, v5
	v_cndmask_b32_e64 v3, 0, 1, s[26:27]
	v_cndmask_b32_e64 v5, 0, 1, s[2:3]
	v_cmp_ne_u32_e64 s[2:3], 0, v2
	v_cndmask_b32_e64 v2, 0, 1, s[30:31]
	s_and_b64 s[30:31], s[34:35], s[46:47]
	s_bcnt1_i32_b64 s36, s[36:37]
	s_bcnt1_i32_b64 s37, s[38:39]
	v_cmp_ne_u32_e64 s[26:27], 0, v7
	v_cndmask_b32_e64 v4, 0, 1, s[28:29]
	s_bcnt1_i32_b64 s38, s[40:41]
	s_bcnt1_i32_b64 s40, s[22:23]
	v_cmp_ne_u32_e64 s[22:23], 0, v3
	v_cndmask_b32_e64 v3, 0, 1, s[30:31]
	s_and_b64 s[30:31], s[34:35], s[48:49]
	v_cmp_ne_u32_e64 s[28:29], 0, v8
	s_bcnt1_i32_b64 s41, s[26:27]
	v_cmp_ne_u32_e64 s[26:27], 0, v4
	v_cndmask_b32_e64 v4, 0, 1, s[30:31]
	s_and_b64 s[30:31], s[34:35], s[50:51]
	s_bcnt1_i32_b64 s39, s[44:45]
	s_add_i32 s9, s58, s9
	s_add_i32 s36, s59, s36
	s_bcnt1_i32_b64 s42, s[28:29]
	v_cmp_ne_u32_e64 s[28:29], 0, v5
	v_cndmask_b32_e64 v5, 0, 1, s[30:31]
	s_add_i32 s30, s56, s37
	s_add_i32 s31, s57, s38
	s_bcnt1_i32_b64 s34, s[2:3]
	v_cmp_ne_u32_e64 s[2:3], 0, v2
	s_bcnt1_i32_b64 s35, s[22:23]
	v_cmp_ne_u32_e64 s[22:23], 0, v3
	s_add_i32 s36, s36, s40
	s_add_i32 s9, s9, s39
	s_bcnt1_i32_b64 s37, s[26:27]
	v_cmp_ne_u32_e64 s[26:27], 0, v4
	s_bcnt1_i32_b64 s38, s[28:29]
	v_cmp_ne_u32_e64 s[28:29], 0, v5
	s_add_i32 s31, s31, s42
	s_add_i32 s30, s30, s41
	s_bcnt1_i32_b64 s2, s[2:3]
	s_bcnt1_i32_b64 s3, s[22:23]
	s_add_i32 s9, s9, s34
	s_add_i32 s22, s36, s35
	s_bcnt1_i32_b64 s23, s[26:27]
	s_bcnt1_i32_b64 s26, s[28:29]
	s_add_i32 s27, s30, s37
	s_add_i32 s28, s31, s38
	s_add_i32 s59, s22, s3
	s_add_i32 s58, s9, s2
	s_add_i32 s57, s28, s26
	s_add_i32 s56, s27, s23
	s_or_b64 s[54:55], vcc, s[54:55]
	v_mov_b64_e32 v[2:3], s[58:59]
	v_mov_b64_e32 v[4:5], s[56:57]
	s_andn2_b64 exec, exec, s[54:55]
	s_cbranch_execnz .LBB138_77
; %bb.78:                               ;   in Loop: Header=BB138_20 Depth=1
	s_or_b64 exec, exec, s[54:55]
.LBB138_79:                             ;   in Loop: Header=BB138_20 Depth=1
	s_or_b64 exec, exec, s[52:53]
	s_and_saveexec_b64 s[8:9], s[18:19]
	s_cbranch_execz .LBB138_85
; %bb.80:                               ;   in Loop: Header=BB138_20 Depth=1
	global_load_ushort v8, v[20:21], off
	s_mov_b64 s[22:23], 0
	v_mov_b32_e32 v14, v36
	v_mov_b32_e32 v6, v29
	s_branch .LBB138_82
.LBB138_81:                             ;   in Loop: Header=BB138_82 Depth=2
	s_or_b64 exec, exec, s[26:27]
	s_and_b64 s[2:3], exec, vcc
	s_waitcnt vmcnt(0)
	v_cmp_lt_i16_e32 vcc, -1, v8
	v_lshlrev_b32_e32 v48, 16, v8
	s_or_b64 s[22:23], s[2:3], s[22:23]
	v_cndmask_b32_e32 v9, v40, v41, vcc
	v_xor_b32_sdwa v8, v9, v8 dst_sel:DWORD dst_unused:UNUSED_PAD src0_sel:DWORD src1_sel:WORD_0
	v_cmp_o_f32_e32 vcc, v48, v48
	v_add_u32_e32 v14, s65, v14
	s_nop 0
	v_cndmask_b32_e32 v8, v40, v8, vcc
	v_and_b32_e32 v9, v8, v45
	v_bfe_u32 v8, v8, v39, 2
	v_cmp_eq_u32_e32 vcc, v9, v35
	v_cmp_eq_u32_e64 s[2:3], 0, v8
	s_and_b64 s[2:3], vcc, s[2:3]
	s_nop 0
	v_cndmask_b32_e64 v9, 0, 1, s[2:3]
	v_cmp_ne_u32_e64 s[2:3], 0, v9
	s_bcnt1_i32_b64 s26, s[2:3]
	v_cmp_eq_u32_e64 s[2:3], 1, v8
	s_and_b64 s[2:3], vcc, s[2:3]
	v_add_u32_e32 v2, s26, v2
	v_cndmask_b32_e64 v9, 0, 1, s[2:3]
	v_cmp_ne_u32_e64 s[2:3], 0, v9
	s_bcnt1_i32_b64 s2, s[2:3]
	s_nop 0
	v_add_u32_e32 v3, s2, v3
	v_cmp_eq_u32_e64 s[2:3], 2, v8
	s_and_b64 s[2:3], vcc, s[2:3]
	s_nop 0
	v_cndmask_b32_e64 v9, 0, 1, s[2:3]
	v_cmp_ne_u32_e64 s[2:3], 0, v9
	s_bcnt1_i32_b64 s26, s[2:3]
	v_cmp_eq_u32_e64 s[2:3], 3, v8
	s_and_b64 s[2:3], vcc, s[2:3]
	v_add_u32_e32 v4, s26, v4
	v_cndmask_b32_e64 v8, 0, 1, s[2:3]
	v_cmp_ne_u32_e32 vcc, 0, v8
	s_bcnt1_i32_b64 s2, vcc
	v_add_u32_e32 v5, s2, v5
	v_mov_b32_e32 v8, v7
	s_andn2_b64 exec, exec, s[22:23]
	s_cbranch_execz .LBB138_84
.LBB138_82:                             ;   Parent Loop BB138_20 Depth=1
                                        ; =>  This Inner Loop Header: Depth=2
	v_add_u32_e32 v6, s67, v6
	v_cmp_gt_u32_e64 s[2:3], s64, v6
	v_cmp_le_u32_e32 vcc, s64, v6
	v_mov_b32_e32 v7, 0
	s_and_saveexec_b64 s[26:27], s[2:3]
	s_cbranch_execz .LBB138_81
; %bb.83:                               ;   in Loop: Header=BB138_82 Depth=2
	v_lshl_add_u64 v[48:49], v[14:15], 1, v[10:11]
	global_load_ushort v7, v[48:49], off
	s_branch .LBB138_81
.LBB138_84:                             ;   in Loop: Header=BB138_20 Depth=1
	s_or_b64 exec, exec, s[22:23]
.LBB138_85:                             ;   in Loop: Header=BB138_20 Depth=1
	s_or_b64 exec, exec, s[8:9]
	s_branch .LBB138_67
.LBB138_86:                             ;   in Loop: Header=BB138_20 Depth=1
	s_mul_hi_u32 s2, s88, s77
	s_mul_i32 s2, s2, s99
	s_sub_i32 s2, s88, s2
	s_sub_i32 s3, s2, s99
	s_cmp_ge_u32 s2, s99
	s_cselect_b32 s2, s3, s2
	s_sub_i32 s3, s2, s99
	s_cmp_ge_u32 s2, s99
	s_cselect_b32 s2, s3, s2
	s_sub_i32 s89, s88, s2
	v_mov_b32_e32 v14, v15
	v_cmp_gt_u32_e32 vcc, s89, v19
	v_mov_b64_e32 v[4:5], v[14:15]
	v_mov_b64_e32 v[2:3], v[14:15]
	s_and_saveexec_b64 s[74:75], vcc
	s_cbranch_execz .LBB138_90
; %bb.87:                               ;   in Loop: Header=BB138_20 Depth=1
	s_mov_b32 s96, 0
	s_mov_b64 s[84:85], 0
	v_mov_b32_e32 v6, v37
	v_mov_b32_e32 v7, v19
	s_mov_b32 s97, s96
	s_mov_b32 s8, s96
	;; [unrolled: 1-line block ×3, first 2 shown]
.LBB138_88:                             ;   Parent Loop BB138_20 Depth=1
                                        ; =>  This Inner Loop Header: Depth=2
	ds_read_b64 v[2:3], v6
	v_add_u32_e32 v7, s99, v7
	v_cmp_le_u32_e32 vcc, s89, v7
	v_add_u32_e32 v6, s82, v6
	s_waitcnt lgkmcnt(0)
	v_cmp_lt_i16_e64 s[2:3], -1, v2
	v_lshlrev_b32_e32 v4, 16, v2
	s_nop 0
	v_cndmask_b32_e64 v14, v40, v41, s[2:3]
	v_cmp_gt_i16_sdwa s[2:3], v2, v42 src0_sel:WORD_1 src1_sel:DWORD
	v_and_b32_e32 v5, 0xffff0000, v2
	v_cmp_o_f32_e64 s[28:29], v4, v4
	v_cndmask_b32_e64 v48, v40, v41, s[2:3]
	v_cmp_lt_i16_e64 s[2:3], -1, v3
	v_xor_b32_sdwa v48, v48, v2 dst_sel:DWORD dst_unused:UNUSED_PAD src0_sel:DWORD src1_sel:WORD_1
	v_bitop3_b32 v2, v14, v2, s98 bitop3:0x78
	v_cndmask_b32_e64 v49, v40, v41, s[2:3]
	v_cmp_gt_i16_sdwa s[2:3], v3, v42 src0_sel:WORD_1 src1_sel:DWORD
	v_lshlrev_b32_e32 v8, 16, v3
	v_cndmask_b32_e64 v2, v40, v2, s[28:29]
	v_cndmask_b32_e64 v50, v40, v41, s[2:3]
	v_cmp_o_f32_e64 s[2:3], v5, v5
	v_and_b32_e32 v9, 0xffff0000, v3
	v_bitop3_b32 v5, v49, v3, s98 bitop3:0x78
	v_cmp_o_f32_e64 s[22:23], v8, v8
	v_cndmask_b32_e64 v4, v40, v48, s[2:3]
	v_and_b32_e32 v8, v2, v45
	v_bfe_u32 v2, v2, v39, 2
	v_xor_b32_sdwa v3, v50, v3 dst_sel:DWORD dst_unused:UNUSED_PAD src0_sel:DWORD src1_sel:WORD_1
	v_cmp_o_f32_e64 s[26:27], v9, v9
	v_cndmask_b32_e64 v5, v40, v5, s[22:23]
	v_and_b32_e32 v9, v4, v45
	v_bfe_u32 v4, v4, v39, 2
	v_cmp_eq_u32_e64 s[2:3], v8, v35
	v_cmp_eq_u32_e64 s[30:31], 0, v2
	v_cndmask_b32_e64 v3, v40, v3, s[26:27]
	v_and_b32_e32 v14, v5, v45
	v_bfe_u32 v5, v5, v39, 2
	v_cmp_eq_u32_e64 s[22:23], v9, v35
	v_cmp_eq_u32_e64 s[34:35], 0, v4
	s_and_b64 s[30:31], s[2:3], s[30:31]
	v_and_b32_e32 v48, v3, v45
	v_bfe_u32 v3, v3, v39, 2
	v_cmp_eq_u32_e64 s[26:27], v14, v35
	v_cmp_eq_u32_e64 s[36:37], 0, v5
	;; [unrolled: 1-line block ×5, first 2 shown]
	v_cndmask_b32_e64 v2, 0, 1, s[30:31]
	s_and_b64 s[30:31], s[22:23], s[34:35]
	v_cmp_eq_u32_e64 s[28:29], v48, v35
	v_cmp_eq_u32_e64 s[38:39], 0, v3
	;; [unrolled: 1-line block ×5, first 2 shown]
	v_cndmask_b32_e64 v3, 0, 1, s[30:31]
	s_and_b64 s[30:31], s[26:27], s[36:37]
	v_cmp_eq_u32_e64 s[42:43], 1, v4
	v_cmp_eq_u32_e64 s[50:51], 2, v4
	;; [unrolled: 1-line block ×3, first 2 shown]
	v_cndmask_b32_e64 v4, 0, 1, s[30:31]
	s_and_b64 s[30:31], s[28:29], s[38:39]
	v_cmp_eq_u32_e64 s[44:45], 1, v5
	v_cmp_eq_u32_e64 s[52:53], 2, v5
	;; [unrolled: 1-line block ×3, first 2 shown]
	v_cndmask_b32_e64 v5, 0, 1, s[30:31]
	s_and_b64 s[30:31], s[2:3], s[40:41]
	v_cndmask_b32_e64 v8, 0, 1, s[30:31]
	s_and_b64 s[30:31], s[22:23], s[42:43]
	;; [unrolled: 2-line block ×5, first 2 shown]
	s_and_b64 s[2:3], s[2:3], s[56:57]
	v_cndmask_b32_e64 v49, 0, 1, s[30:31]
	s_and_b64 s[30:31], s[22:23], s[50:51]
	v_cndmask_b32_e64 v54, 0, 1, s[2:3]
	;; [unrolled: 2-line block ×7, first 2 shown]
	v_cndmask_b32_e64 v57, 0, 1, s[2:3]
	v_cmp_ne_u32_e64 s[2:3], 0, v2
	v_cmp_ne_u32_e64 s[22:23], 0, v3
	;; [unrolled: 1-line block ×11, first 2 shown]
	s_bcnt1_i32_b64 s2, s[2:3]
	s_bcnt1_i32_b64 s3, s[22:23]
	;; [unrolled: 1-line block ×8, first 2 shown]
	v_cmp_ne_u32_e64 s[38:39], 0, v48
	v_cmp_ne_u32_e64 s[44:45], 0, v51
	;; [unrolled: 1-line block ×3, first 2 shown]
	s_bcnt1_i32_b64 s27, s[34:35]
	s_bcnt1_i32_b64 s31, s[42:43]
	;; [unrolled: 1-line block ×3, first 2 shown]
	s_add_i32 s2, s96, s2
	s_add_i32 s26, s97, s26
	;; [unrolled: 1-line block ×4, first 2 shown]
	v_cmp_ne_u32_e64 s[46:47], 0, v53
	v_cmp_ne_u32_e64 s[54:55], 0, v57
	s_bcnt1_i32_b64 s29, s[38:39]
	s_bcnt1_i32_b64 s34, s[44:45]
	;; [unrolled: 1-line block ×3, first 2 shown]
	s_add_i32 s26, s26, s27
	s_add_i32 s2, s2, s3
	;; [unrolled: 1-line block ×4, first 2 shown]
	s_bcnt1_i32_b64 s35, s[46:47]
	s_bcnt1_i32_b64 s39, s[54:55]
	s_add_i32 s2, s2, s22
	s_add_i32 s9, s26, s28
	s_add_i32 s8, s8, s34
	s_add_i32 s3, s3, s38
	s_add_i32 s97, s9, s29
	s_add_i32 s96, s2, s23
	s_add_i32 s9, s3, s39
	s_add_i32 s8, s8, s35
	s_or_b64 s[84:85], vcc, s[84:85]
	v_mov_b64_e32 v[2:3], s[96:97]
	v_mov_b64_e32 v[4:5], s[8:9]
	s_andn2_b64 exec, exec, s[84:85]
	s_cbranch_execnz .LBB138_88
; %bb.89:                               ;   in Loop: Header=BB138_20 Depth=1
	s_or_b64 exec, exec, s[84:85]
.LBB138_90:                             ;   in Loop: Header=BB138_20 Depth=1
	s_or_b64 exec, exec, s[74:75]
	v_add_u32_e32 v6, s89, v0
	v_cmp_gt_u32_e32 vcc, s88, v6
	s_and_saveexec_b64 s[8:9], vcc
	s_cbranch_execz .LBB138_94
; %bb.91:                               ;   in Loop: Header=BB138_20 Depth=1
	v_lshlrev_b32_e32 v7, 1, v6
	s_mov_b64 s[34:35], 0
.LBB138_92:                             ;   Parent Loop BB138_20 Depth=1
                                        ; =>  This Inner Loop Header: Depth=2
	ds_read_u16 v8, v7
	v_add_u32_e32 v6, s67, v6
	v_cmp_le_u32_e32 vcc, s88, v6
	v_add_u32_e32 v7, s83, v7
	s_waitcnt lgkmcnt(0)
	v_cmp_lt_i16_e64 s[2:3], -1, v8
	v_lshlrev_b32_e32 v9, 16, v8
	s_nop 0
	v_cndmask_b32_e64 v14, v40, v41, s[2:3]
	v_xor_b32_sdwa v8, v14, v8 dst_sel:DWORD dst_unused:UNUSED_PAD src0_sel:DWORD src1_sel:WORD_0
	v_cmp_o_f32_e64 s[2:3], v9, v9
	s_nop 1
	v_cndmask_b32_e64 v8, v40, v8, s[2:3]
	v_and_b32_e32 v9, v8, v45
	v_bfe_u32 v8, v8, v39, 2
	v_cmp_eq_u32_e64 s[2:3], v9, v35
	v_cmp_eq_u32_e64 s[22:23], 0, v8
	;; [unrolled: 1-line block ×3, first 2 shown]
	s_and_b64 s[22:23], s[2:3], s[22:23]
	v_cmp_eq_u32_e64 s[28:29], 2, v8
	v_cmp_eq_u32_e64 s[30:31], 3, v8
	v_cndmask_b32_e64 v8, 0, 1, s[22:23]
	s_and_b64 s[22:23], s[2:3], s[26:27]
	v_cndmask_b32_e64 v9, 0, 1, s[22:23]
	s_and_b64 s[22:23], s[2:3], s[28:29]
	s_and_b64 s[2:3], s[2:3], s[30:31]
	v_cndmask_b32_e64 v14, 0, 1, s[22:23]
	v_cndmask_b32_e64 v48, 0, 1, s[2:3]
	v_cmp_ne_u32_e64 s[2:3], 0, v8
	v_cmp_ne_u32_e64 s[22:23], 0, v9
	;; [unrolled: 1-line block ×4, first 2 shown]
	s_bcnt1_i32_b64 s2, s[2:3]
	s_bcnt1_i32_b64 s3, s[22:23]
	;; [unrolled: 1-line block ×4, first 2 shown]
	v_add_u32_e32 v3, s3, v3
	v_add_u32_e32 v2, s2, v2
	;; [unrolled: 1-line block ×3, first 2 shown]
	s_or_b64 s[34:35], vcc, s[34:35]
	v_add_u32_e32 v4, s22, v4
	s_andn2_b64 exec, exec, s[34:35]
	s_cbranch_execnz .LBB138_92
; %bb.93:                               ;   in Loop: Header=BB138_20 Depth=1
	s_or_b64 exec, exec, s[34:35]
.LBB138_94:                             ;   in Loop: Header=BB138_20 Depth=1
	s_or_b64 exec, exec, s[8:9]
	s_lshl_b32 s22, s21, 6
	s_and_saveexec_b64 s[2:3], s[4:5]
	s_cbranch_execnz .LBB138_68
	s_branch .LBB138_69
.LBB138_95:                             ;   in Loop: Header=BB138_20 Depth=1
	v_mov_b32_e32 v2, 0
	s_mov_b32 s23, 0
	s_cbranch_execnz .LBB138_100
	s_branch .LBB138_102
.LBB138_96:                             ;   in Loop: Header=BB138_20 Depth=1
	v_mov_b32_e32 v14, v15
	s_mov_b32 s8, 0
	v_mov_b64_e32 v[2:3], v[14:15]
	s_mov_b32 s9, 1
.LBB138_97:                             ;   in Loop: Header=BB138_20 Depth=1
	v_readlane_b32 s26, v82, 41
	v_readlane_b32 s27, v82, 42
	s_andn2_b64 vcc, exec, s[26:27]
	v_readlane_b32 s23, v82, 40
	s_cbranch_vccnz .LBB138_99
.LBB138_98:                             ;   Parent Loop BB138_20 Depth=1
                                        ; =>  This Inner Loop Header: Depth=2
	v_lshl_add_u32 v6, s8, 4, v5
	v_lshl_add_u32 v7, s9, 4, v5
	ds_read_b32 v7, v7
	ds_read_b32 v6, v6
	s_add_i32 s9, s9, 2
	s_add_i32 s8, s8, 2
	s_add_i32 s23, s23, -1
	s_cmp_lg_u32 s23, 0
	s_waitcnt lgkmcnt(1)
	v_add_u32_e32 v3, v7, v3
	s_waitcnt lgkmcnt(0)
	v_add_u32_e32 v2, v6, v2
	s_cbranch_scc1 .LBB138_98
.LBB138_99:                             ;   in Loop: Header=BB138_20 Depth=1
	v_readlane_b32 s8, v82, 45
	v_add_u32_e32 v2, v2, v3
	v_readlane_b32 s23, v82, 44
	v_readlane_b32 s9, v82, 46
	s_and_b64 vcc, exec, s[8:9]
	s_cbranch_vccz .LBB138_102
.LBB138_100:                            ;   in Loop: Header=BB138_20 Depth=1
	s_lshl_b32 s8, s21, 8
	s_lshl_b32 s9, s23, 4
	s_add_i32 s8, s8, s9
	v_add_u32_e32 v3, s8, v38
	v_readlane_b32 s8, v82, 43
	s_sub_i32 s8, s8, s23
.LBB138_101:                            ;   Parent Loop BB138_20 Depth=1
                                        ; =>  This Inner Loop Header: Depth=2
	ds_read_b32 v5, v3
	s_add_i32 s8, s8, -1
	v_add_u32_e32 v3, 16, v3
	s_cmp_eq_u32 s8, 0
	s_waitcnt lgkmcnt(0)
	v_add_u32_e32 v2, v5, v2
	s_cbranch_scc0 .LBB138_101
.LBB138_102:                            ;   in Loop: Header=BB138_20 Depth=1
	v_lshlrev_b32_e32 v3, 2, v4
	ds_write_b32 v3, v2 offset:3072
.LBB138_103:                            ;   in Loop: Header=BB138_20 Depth=1
	s_or_b64 exec, exec, s[2:3]
	s_lshl_b32 s2, s22, 2
	v_mov_b32_e32 v2, s2
	s_waitcnt lgkmcnt(0)
	s_barrier
	ds_read_b128 v[2:5], v2 offset:3072
	v_cmp_eq_u32_e32 vcc, 1, v47
	s_mov_b64 s[22:23], -1
	s_mov_b64 s[30:31], -1
                                        ; implicit-def: $sgpr28_sgpr29
                                        ; implicit-def: $sgpr8_sgpr9
	s_waitcnt lgkmcnt(0)
	v_readfirstlane_b32 s44, v2
	s_cmp_eq_u32 s44, 1
	v_lshlrev_b32_e64 v2, v39, 3
	s_cselect_b64 s[2:3], -1, 0
	v_readfirstlane_b32 s48, v3
	v_readfirstlane_b32 s56, v4
	v_readfirstlane_b32 s74, v5
	v_not_b32_e32 v4, v2
	s_and_b64 s[26:27], s[2:3], vcc
	s_and_saveexec_b64 s[2:3], s[26:27]
	s_cbranch_execz .LBB138_129
; %bb.104:                              ;   in Loop: Header=BB138_20 Depth=1
	ds_read_b32 v3, v15 offset:4104
	s_waitcnt lgkmcnt(0)
	s_barrier
	v_readfirstlane_b32 s45, v3
	s_and_saveexec_b64 s[8:9], s[6:7]
; %bb.105:                              ;   in Loop: Header=BB138_20 Depth=1
	ds_write_b16 v24, v15
; %bb.106:                              ;   in Loop: Header=BB138_20 Depth=1
	s_or_b64 exec, exec, s[8:9]
	v_and_b32_e32 v35, v35, v4
	v_or_b32_e32 v45, v45, v2
	s_mov_b64 s[8:9], -1
	s_mov_b64 s[28:29], 0
	s_cmp_eq_u32 s45, 0
	s_mov_b64 s[30:31], 0
	s_mov_b64 s[34:35], -1
	s_waitcnt lgkmcnt(0)
	s_barrier
                                        ; implicit-def: $vgpr46
	s_cbranch_scc1 .LBB138_117
; %bb.107:                              ;   in Loop: Header=BB138_20 Depth=1
	s_add_i32 s30, s45, s78
	s_mul_hi_u32 s31, s30, s93
	s_mul_i32 s31, s31, s67
	s_sub_i32 s31, s30, s31
	s_sub_i32 s34, s31, s67
	s_cmp_ge_u32 s31, s67
	s_cselect_b32 s31, s34, s31
	s_sub_i32 s34, s31, s67
	s_cmp_ge_u32 s31, s67
	s_cselect_b32 s31, s34, s31
	s_sub_i32 s46, s30, s31
	v_cmp_gt_u32_e32 vcc, s46, v0
	s_mov_b64 s[34:35], 0
	s_mov_b64 s[30:31], 0
                                        ; implicit-def: $vgpr46
	s_and_saveexec_b64 s[36:37], vcc
	s_cbranch_execz .LBB138_116
; %bb.108:                              ;   in Loop: Header=BB138_20 Depth=1
	v_mov_b32_e32 v3, v23
	v_mov_b32_e32 v5, v0
                                        ; implicit-def: $sgpr38_sgpr39
	s_branch .LBB138_111
.LBB138_109:                            ;   in Loop: Header=BB138_111 Depth=2
	s_or_b64 exec, exec, s[40:41]
	s_waitcnt lgkmcnt(0)
	s_barrier
	ds_read_b32 v6, v15 offset:3072
	s_mov_b64 s[40:41], -1
	s_mov_b64 s[42:43], -1
	s_waitcnt lgkmcnt(0)
	s_barrier
	v_and_b32_e32 v7, 0x7fff, v6
	v_cmp_ne_u32_e32 vcc, 0, v7
	s_cbranch_vccz .LBB138_114
.LBB138_110:                            ;   in Loop: Header=BB138_111 Depth=2
	s_and_b64 s[40:41], exec, s[40:41]
	s_or_b64 s[30:31], s[40:41], s[30:31]
	s_andn2_b64 s[38:39], s[38:39], exec
	s_and_b64 s[40:41], s[42:43], exec
	s_or_b64 s[38:39], s[38:39], s[40:41]
	s_andn2_b64 exec, exec, s[30:31]
	s_cbranch_execz .LBB138_115
.LBB138_111:                            ;   Parent Loop BB138_20 Depth=1
                                        ; =>  This Inner Loop Header: Depth=2
	v_cmp_gt_u32_e32 vcc, s45, v5
	s_and_saveexec_b64 s[40:41], vcc
	s_cbranch_execz .LBB138_109
; %bb.112:                              ;   in Loop: Header=BB138_111 Depth=2
	ds_read_u16 v6, v3
	s_waitcnt lgkmcnt(0)
	v_cmp_lt_i16_e32 vcc, -1, v6
	v_lshlrev_b32_e32 v7, 16, v6
	s_nop 0
	v_cndmask_b32_e32 v8, v40, v41, vcc
	v_xor_b32_sdwa v8, v8, v6 dst_sel:DWORD dst_unused:UNUSED_PAD src0_sel:DWORD src1_sel:WORD_0
	v_cmp_o_f32_e32 vcc, v7, v7
	s_nop 1
	v_cndmask_b32_e32 v7, v40, v8, vcc
	v_and_b32_e32 v7, v7, v45
	v_cmp_eq_u32_e32 vcc, v7, v35
	s_and_b64 exec, exec, vcc
	s_cbranch_execz .LBB138_109
; %bb.113:                              ;   in Loop: Header=BB138_111 Depth=2
	v_perm_b32 v6, v6, s20, v44
	ds_write_b32 v15, v6 offset:3072
	s_branch .LBB138_109
.LBB138_114:                            ;   in Loop: Header=BB138_111 Depth=2
	v_add_u32_e32 v5, s67, v5
	v_cmp_le_u32_e32 vcc, s46, v5
	v_add_u32_e32 v3, s83, v3
	s_mov_b64 s[42:43], 0
	s_orn2_b64 s[40:41], vcc, exec
	s_branch .LBB138_110
.LBB138_115:                            ;   in Loop: Header=BB138_20 Depth=1
	s_or_b64 exec, exec, s[30:31]
	v_lshrrev_b32_e32 v46, 16, v6
	s_and_b64 s[30:31], s[38:39], exec
.LBB138_116:                            ;   in Loop: Header=BB138_20 Depth=1
	s_or_b64 exec, exec, s[36:37]
.LBB138_117:                            ;   in Loop: Header=BB138_20 Depth=1
	s_and_b64 vcc, exec, s[34:35]
	s_cbranch_vccz .LBB138_128
; %bb.118:                              ;   in Loop: Header=BB138_20 Depth=1
                                        ; implicit-def: $vgpr46
	s_mov_b64 s[8:9], exec
	v_readlane_b32 s28, v82, 47
	v_readlane_b32 s29, v82, 48
	s_and_b64 s[28:29], s[8:9], s[28:29]
	s_mov_b64 exec, s[28:29]
	s_cbranch_execz .LBB138_127
; %bb.119:                              ;   in Loop: Header=BB138_20 Depth=1
	s_mov_b64 s[28:29], 0
	v_mov_b32_e32 v14, v12
	v_mov_b32_e32 v3, v0
                                        ; implicit-def: $sgpr34_sgpr35
	s_branch .LBB138_122
.LBB138_120:                            ;   in Loop: Header=BB138_122 Depth=2
	s_or_b64 exec, exec, s[36:37]
	s_waitcnt lgkmcnt(0)
	s_barrier
	ds_read_b32 v5, v15 offset:3072
	s_mov_b64 s[36:37], -1
	s_mov_b64 s[38:39], -1
	s_waitcnt lgkmcnt(0)
	s_barrier
	v_and_b32_e32 v6, 0x7fff, v5
	v_cmp_ne_u32_e32 vcc, 0, v6
	s_cbranch_vccz .LBB138_125
.LBB138_121:                            ;   in Loop: Header=BB138_122 Depth=2
	s_and_b64 s[36:37], exec, s[36:37]
	s_or_b64 s[28:29], s[36:37], s[28:29]
	s_andn2_b64 s[34:35], s[34:35], exec
	s_and_b64 s[36:37], s[38:39], exec
	s_or_b64 s[34:35], s[34:35], s[36:37]
	s_andn2_b64 exec, exec, s[28:29]
	s_cbranch_execz .LBB138_126
.LBB138_122:                            ;   Parent Loop BB138_20 Depth=1
                                        ; =>  This Inner Loop Header: Depth=2
	v_cmp_gt_u32_e32 vcc, s64, v3
	s_and_saveexec_b64 s[36:37], vcc
	s_cbranch_execz .LBB138_120
; %bb.123:                              ;   in Loop: Header=BB138_122 Depth=2
	v_lshl_add_u64 v[6:7], v[14:15], 1, v[10:11]
	global_load_ushort v5, v[6:7], off
	s_waitcnt vmcnt(0)
	v_cmp_lt_i16_e32 vcc, -1, v5
	v_lshlrev_b32_e32 v6, 16, v5
	s_nop 0
	v_cndmask_b32_e32 v7, v40, v41, vcc
	v_xor_b32_sdwa v7, v7, v5 dst_sel:DWORD dst_unused:UNUSED_PAD src0_sel:DWORD src1_sel:WORD_0
	v_cmp_o_f32_e32 vcc, v6, v6
	s_nop 1
	v_cndmask_b32_e32 v6, v40, v7, vcc
	v_and_b32_e32 v6, v6, v45
	v_cmp_eq_u32_e32 vcc, v6, v35
	s_and_b64 exec, exec, vcc
	s_cbranch_execz .LBB138_120
; %bb.124:                              ;   in Loop: Header=BB138_122 Depth=2
	v_perm_b32 v5, v5, s20, v44
	ds_write_b32 v15, v5 offset:3072
	s_branch .LBB138_120
.LBB138_125:                            ;   in Loop: Header=BB138_122 Depth=2
	v_add_u32_e32 v3, s67, v3
	v_cmp_le_u32_e32 vcc, s94, v3
	v_add_u32_e32 v14, s65, v14
	s_mov_b64 s[38:39], 0
	s_orn2_b64 s[36:37], vcc, exec
	s_branch .LBB138_121
.LBB138_126:                            ;   in Loop: Header=BB138_20 Depth=1
	s_or_b64 exec, exec, s[28:29]
	s_andn2_b64 s[28:29], s[30:31], exec
	s_and_b64 s[30:31], s[34:35], exec
	v_lshrrev_b32_e32 v46, 16, v5
	s_or_b64 s[30:31], s[28:29], s[30:31]
.LBB138_127:                            ;   in Loop: Header=BB138_20 Depth=1
	s_or_b64 exec, exec, s[8:9]
	s_mov_b64 s[8:9], 0
	s_mov_b64 s[28:29], -1
.LBB138_128:                            ;   in Loop: Header=BB138_20 Depth=1
	s_orn2_b64 s[30:31], s[30:31], exec
.LBB138_129:                            ;   in Loop: Header=BB138_20 Depth=1
	s_or_b64 exec, exec, s[2:3]
	s_andn2_b64 s[2:3], s[14:15], exec
	s_and_b64 s[14:15], s[28:29], exec
	s_or_b64 s[14:15], s[2:3], s[14:15]
	s_andn2_b64 s[2:3], s[12:13], exec
	s_and_b64 s[8:9], s[8:9], exec
	v_readfirstlane_b32 s36, v0
	s_andn2_b64 s[72:73], s[72:73], exec
	s_or_b64 s[12:13], s[2:3], s[8:9]
                                        ; implicit-def: $vgpr5
	s_and_saveexec_b64 s[2:3], s[30:31]
	s_cbranch_execz .LBB138_19
; %bb.130:                              ;   in Loop: Header=BB138_20 Depth=1
	s_xor_b64 s[22:23], s[26:27], -1
	s_mov_b64 s[26:27], 0
	v_mov_b32_e32 v5, 1
	v_mov_b32_e32 v3, 1
	s_and_saveexec_b64 s[8:9], s[22:23]
	s_cbranch_execz .LBB138_139
; %bb.131:                              ;   in Loop: Header=BB138_20 Depth=1
	v_cmp_ge_u32_e32 vcc, s44, v47
	s_and_saveexec_b64 s[22:23], vcc
	s_xor_b64 s[22:23], exec, s[22:23]
	s_cbranch_execz .LBB138_136
; %bb.132:                              ;   in Loop: Header=BB138_20 Depth=1
	ds_read_b32 v3, v15 offset:4104
	v_and_b32_e32 v35, v35, v4
	v_or_b32_e32 v45, v45, v2
	s_waitcnt lgkmcnt(0)
	v_cmp_ne_u32_e32 vcc, 0, v3
	s_cbranch_vccnz .LBB138_136
; %bb.133:                              ;   in Loop: Header=BB138_20 Depth=1
	s_and_saveexec_b64 s[26:27], s[24:25]
; %bb.134:                              ;   in Loop: Header=BB138_20 Depth=1
	v_mov_b32_e32 v3, s44
	ds_write_b32 v15, v3 offset:4108
; %bb.135:                              ;   in Loop: Header=BB138_20 Depth=1
	s_or_b64 exec, exec, s[26:27]
	s_waitcnt lgkmcnt(0)
	s_barrier
.LBB138_136:                            ;   in Loop: Header=BB138_20 Depth=1
	s_or_saveexec_b64 s[22:23], s[22:23]
	s_mov_b64 s[26:27], 0
	v_mov_b32_e32 v3, 8
	s_xor_b64 exec, exec, s[22:23]
; %bb.137:                              ;   in Loop: Header=BB138_20 Depth=1
	s_mov_b64 s[26:27], exec
	v_subrev_u32_e32 v47, s44, v47
	v_mov_b32_e32 v3, 0
; %bb.138:                              ;   in Loop: Header=BB138_20 Depth=1
	s_or_b64 exec, exec, s[22:23]
	s_and_b64 s[26:27], s[26:27], exec
	v_mov_b32_e32 v5, v47
.LBB138_139:                            ;   in Loop: Header=BB138_20 Depth=1
	s_or_b64 exec, exec, s[8:9]
	s_mov_b64 s[22:23], -1
	s_mov_b64 s[8:9], -1
                                        ; implicit-def: $sgpr28_sgpr29
                                        ; implicit-def: $sgpr30_sgpr31
	s_and_saveexec_b64 s[34:35], s[26:27]
	s_xor_b64 s[26:27], exec, s[34:35]
	s_cbranch_execz .LBB138_256
; %bb.140:                              ;   in Loop: Header=BB138_20 Depth=1
	s_cmp_eq_u32 s48, 1
	s_cselect_b64 s[8:9], -1, 0
	v_cmp_eq_u32_e32 vcc, 1, v5
	s_and_b64 s[8:9], s[8:9], vcc
	s_mov_b64 s[36:37], -1
                                        ; implicit-def: $sgpr30_sgpr31
                                        ; implicit-def: $sgpr28_sgpr29
	s_and_saveexec_b64 s[34:35], s[8:9]
	s_cbranch_execz .LBB138_166
; %bb.141:                              ;   in Loop: Header=BB138_20 Depth=1
	ds_read_b32 v6, v15 offset:4104
	s_waitcnt lgkmcnt(0)
	s_barrier
	v_readfirstlane_b32 s49, v6
	s_and_saveexec_b64 s[28:29], s[6:7]
; %bb.142:                              ;   in Loop: Header=BB138_20 Depth=1
	ds_write_b16 v24, v15
; %bb.143:                              ;   in Loop: Header=BB138_20 Depth=1
	s_or_b64 exec, exec, s[28:29]
	v_and_b32_e32 v6, v35, v4
	v_lshl_or_b32 v35, 1, v39, v6
	v_or_b32_e32 v45, v45, v2
	s_mov_b64 s[28:29], -1
	s_mov_b64 s[30:31], 0
	s_cmp_eq_u32 s49, 0
	s_mov_b64 s[36:37], 0
	s_mov_b64 s[38:39], -1
	s_waitcnt lgkmcnt(0)
	s_barrier
                                        ; implicit-def: $vgpr46
	s_cbranch_scc1 .LBB138_154
; %bb.144:                              ;   in Loop: Header=BB138_20 Depth=1
	s_add_i32 s36, s49, s78
	s_mul_hi_u32 s37, s36, s93
	s_mul_i32 s37, s37, s67
	s_sub_i32 s37, s36, s37
	s_sub_i32 s38, s37, s67
	s_cmp_ge_u32 s37, s67
	s_cselect_b32 s37, s38, s37
	s_sub_i32 s38, s37, s67
	s_cmp_ge_u32 s37, s67
	s_cselect_b32 s37, s38, s37
	s_sub_i32 s50, s36, s37
	v_cmp_gt_u32_e32 vcc, s50, v0
	s_mov_b64 s[38:39], 0
	s_mov_b64 s[36:37], 0
                                        ; implicit-def: $vgpr46
	s_and_saveexec_b64 s[40:41], vcc
	s_cbranch_execz .LBB138_153
; %bb.145:                              ;   in Loop: Header=BB138_20 Depth=1
	v_mov_b32_e32 v6, v23
	v_mov_b32_e32 v7, v0
                                        ; implicit-def: $sgpr42_sgpr43
	s_branch .LBB138_148
.LBB138_146:                            ;   in Loop: Header=BB138_148 Depth=2
	s_or_b64 exec, exec, s[44:45]
	s_waitcnt lgkmcnt(0)
	s_barrier
	ds_read_b32 v8, v15 offset:3072
	s_mov_b64 s[44:45], -1
	s_mov_b64 s[46:47], -1
	s_waitcnt lgkmcnt(0)
	s_barrier
	v_and_b32_e32 v9, 0x7fff, v8
	v_cmp_ne_u32_e32 vcc, 0, v9
	s_cbranch_vccz .LBB138_151
.LBB138_147:                            ;   in Loop: Header=BB138_148 Depth=2
	s_and_b64 s[44:45], exec, s[44:45]
	s_or_b64 s[36:37], s[44:45], s[36:37]
	s_andn2_b64 s[42:43], s[42:43], exec
	s_and_b64 s[44:45], s[46:47], exec
	s_or_b64 s[42:43], s[42:43], s[44:45]
	s_andn2_b64 exec, exec, s[36:37]
	s_cbranch_execz .LBB138_152
.LBB138_148:                            ;   Parent Loop BB138_20 Depth=1
                                        ; =>  This Inner Loop Header: Depth=2
	v_cmp_gt_u32_e32 vcc, s49, v7
	s_and_saveexec_b64 s[44:45], vcc
	s_cbranch_execz .LBB138_146
; %bb.149:                              ;   in Loop: Header=BB138_148 Depth=2
	ds_read_u16 v8, v6
	s_waitcnt lgkmcnt(0)
	v_cmp_lt_i16_e32 vcc, -1, v8
	v_lshlrev_b32_e32 v9, 16, v8
	s_nop 0
	v_cndmask_b32_e32 v14, v40, v41, vcc
	v_xor_b32_sdwa v14, v14, v8 dst_sel:DWORD dst_unused:UNUSED_PAD src0_sel:DWORD src1_sel:WORD_0
	v_cmp_o_f32_e32 vcc, v9, v9
	s_nop 1
	v_cndmask_b32_e32 v9, v40, v14, vcc
	v_and_b32_e32 v9, v9, v45
	v_cmp_eq_u32_e32 vcc, v9, v35
	s_and_b64 exec, exec, vcc
	s_cbranch_execz .LBB138_146
; %bb.150:                              ;   in Loop: Header=BB138_148 Depth=2
	v_perm_b32 v8, v8, s20, v44
	ds_write_b32 v15, v8 offset:3072
	s_branch .LBB138_146
.LBB138_151:                            ;   in Loop: Header=BB138_148 Depth=2
	v_add_u32_e32 v7, s67, v7
	v_cmp_le_u32_e32 vcc, s50, v7
	v_add_u32_e32 v6, s83, v6
	s_mov_b64 s[46:47], 0
	s_orn2_b64 s[44:45], vcc, exec
	s_branch .LBB138_147
.LBB138_152:                            ;   in Loop: Header=BB138_20 Depth=1
	s_or_b64 exec, exec, s[36:37]
	v_lshrrev_b32_e32 v46, 16, v8
	s_and_b64 s[36:37], s[42:43], exec
.LBB138_153:                            ;   in Loop: Header=BB138_20 Depth=1
	s_or_b64 exec, exec, s[40:41]
.LBB138_154:                            ;   in Loop: Header=BB138_20 Depth=1
	s_and_b64 vcc, exec, s[38:39]
	s_cbranch_vccz .LBB138_165
; %bb.155:                              ;   in Loop: Header=BB138_20 Depth=1
                                        ; implicit-def: $vgpr46
	s_mov_b64 s[28:29], exec
	v_readlane_b32 s30, v82, 47
	v_readlane_b32 s31, v82, 48
	s_and_b64 s[30:31], s[28:29], s[30:31]
	s_mov_b64 exec, s[30:31]
	s_cbranch_execz .LBB138_164
; %bb.156:                              ;   in Loop: Header=BB138_20 Depth=1
	s_mov_b64 s[30:31], 0
	v_mov_b32_e32 v14, v12
	v_mov_b32_e32 v6, v0
                                        ; implicit-def: $sgpr38_sgpr39
	s_branch .LBB138_159
.LBB138_157:                            ;   in Loop: Header=BB138_159 Depth=2
	s_or_b64 exec, exec, s[40:41]
	s_waitcnt lgkmcnt(0)
	s_barrier
	ds_read_b32 v7, v15 offset:3072
	s_mov_b64 s[40:41], -1
	s_mov_b64 s[42:43], -1
	s_waitcnt lgkmcnt(0)
	s_barrier
	v_and_b32_e32 v8, 0x7fff, v7
	v_cmp_eq_u32_e32 vcc, 0, v8
	s_cbranch_vccnz .LBB138_162
.LBB138_158:                            ;   in Loop: Header=BB138_159 Depth=2
	s_and_b64 s[40:41], exec, s[40:41]
	s_or_b64 s[30:31], s[40:41], s[30:31]
	s_andn2_b64 s[38:39], s[38:39], exec
	s_and_b64 s[40:41], s[42:43], exec
	s_or_b64 s[38:39], s[38:39], s[40:41]
	s_andn2_b64 exec, exec, s[30:31]
	s_cbranch_execz .LBB138_163
.LBB138_159:                            ;   Parent Loop BB138_20 Depth=1
                                        ; =>  This Inner Loop Header: Depth=2
	v_cmp_gt_u32_e32 vcc, s64, v6
	s_and_saveexec_b64 s[40:41], vcc
	s_cbranch_execz .LBB138_157
; %bb.160:                              ;   in Loop: Header=BB138_159 Depth=2
	v_lshl_add_u64 v[8:9], v[14:15], 1, v[10:11]
	global_load_ushort v7, v[8:9], off
	s_waitcnt vmcnt(0)
	v_cmp_lt_i16_e32 vcc, -1, v7
	v_lshlrev_b32_e32 v8, 16, v7
	s_nop 0
	v_cndmask_b32_e32 v9, v40, v41, vcc
	v_xor_b32_sdwa v9, v9, v7 dst_sel:DWORD dst_unused:UNUSED_PAD src0_sel:DWORD src1_sel:WORD_0
	v_cmp_o_f32_e32 vcc, v8, v8
	s_nop 1
	v_cndmask_b32_e32 v8, v40, v9, vcc
	v_and_b32_e32 v8, v8, v45
	v_cmp_eq_u32_e32 vcc, v8, v35
	s_and_b64 exec, exec, vcc
	s_cbranch_execz .LBB138_157
; %bb.161:                              ;   in Loop: Header=BB138_159 Depth=2
	v_perm_b32 v7, v7, s20, v44
	ds_write_b32 v15, v7 offset:3072
	s_branch .LBB138_157
.LBB138_162:                            ;   in Loop: Header=BB138_159 Depth=2
	v_add_u32_e32 v6, s67, v6
	v_cmp_le_u32_e32 vcc, s94, v6
	v_add_u32_e32 v14, s65, v14
	s_mov_b64 s[42:43], 0
	s_orn2_b64 s[40:41], vcc, exec
	s_branch .LBB138_158
.LBB138_163:                            ;   in Loop: Header=BB138_20 Depth=1
	s_or_b64 exec, exec, s[30:31]
	s_andn2_b64 s[30:31], s[36:37], exec
	s_and_b64 s[36:37], s[38:39], exec
	v_lshrrev_b32_e32 v46, 16, v7
	s_or_b64 s[36:37], s[30:31], s[36:37]
.LBB138_164:                            ;   in Loop: Header=BB138_20 Depth=1
	s_or_b64 exec, exec, s[28:29]
	s_mov_b64 s[28:29], 0
	s_mov_b64 s[30:31], -1
.LBB138_165:                            ;   in Loop: Header=BB138_20 Depth=1
	s_orn2_b64 s[36:37], s[36:37], exec
.LBB138_166:                            ;   in Loop: Header=BB138_20 Depth=1
	s_or_b64 exec, exec, s[34:35]
	s_mov_b64 s[38:39], 0
	s_and_saveexec_b64 s[34:35], s[36:37]
	s_cbranch_execz .LBB138_255
; %bb.167:                              ;   in Loop: Header=BB138_20 Depth=1
	s_xor_b64 s[36:37], s[8:9], -1
	s_mov_b64 s[42:43], 0
	v_mov_b32_e32 v6, 1
	v_mov_b32_e32 v3, 1
	s_and_saveexec_b64 s[8:9], s[36:37]
	s_cbranch_execz .LBB138_176
; %bb.168:                              ;   in Loop: Header=BB138_20 Depth=1
	v_cmp_ge_u32_e32 vcc, s48, v5
	s_and_saveexec_b64 s[36:37], vcc
	s_xor_b64 s[36:37], exec, s[36:37]
	s_cbranch_execz .LBB138_173
; %bb.169:                              ;   in Loop: Header=BB138_20 Depth=1
	ds_read_b32 v3, v15 offset:4104
	v_and_b32_e32 v6, v35, v4
	v_lshl_or_b32 v35, 1, v39, v6
	v_or_b32_e32 v45, v45, v2
	s_waitcnt lgkmcnt(0)
	v_cmp_ne_u32_e32 vcc, 0, v3
	s_cbranch_vccnz .LBB138_173
; %bb.170:                              ;   in Loop: Header=BB138_20 Depth=1
	s_and_saveexec_b64 s[38:39], s[24:25]
; %bb.171:                              ;   in Loop: Header=BB138_20 Depth=1
	v_mov_b32_e32 v3, s48
	ds_write_b32 v15, v3 offset:4108
; %bb.172:                              ;   in Loop: Header=BB138_20 Depth=1
	s_or_b64 exec, exec, s[38:39]
	s_waitcnt lgkmcnt(0)
	s_barrier
.LBB138_173:                            ;   in Loop: Header=BB138_20 Depth=1
	s_or_saveexec_b64 s[36:37], s[36:37]
	s_mov_b64 s[38:39], 0
	v_mov_b32_e32 v3, 8
	s_xor_b64 exec, exec, s[36:37]
; %bb.174:                              ;   in Loop: Header=BB138_20 Depth=1
	s_mov_b64 s[38:39], exec
	v_subrev_u32_e32 v5, s48, v5
	v_mov_b32_e32 v3, 0
; %bb.175:                              ;   in Loop: Header=BB138_20 Depth=1
	s_or_b64 exec, exec, s[36:37]
	s_and_b64 s[42:43], s[38:39], exec
	v_mov_b32_e32 v6, v5
.LBB138_176:                            ;   in Loop: Header=BB138_20 Depth=1
	s_or_b64 exec, exec, s[8:9]
	s_mov_b64 s[8:9], -1
                                        ; implicit-def: $sgpr38_sgpr39
                                        ; implicit-def: $sgpr40_sgpr41
	s_and_saveexec_b64 s[36:37], s[42:43]
	s_cbranch_execz .LBB138_254
; %bb.177:                              ;   in Loop: Header=BB138_20 Depth=1
	s_cmp_eq_u32 s56, 1
	s_cselect_b64 s[8:9], -1, 0
	v_cmp_eq_u32_e32 vcc, 1, v6
	s_and_b64 s[8:9], s[8:9], vcc
	s_mov_b64 s[44:45], -1
                                        ; implicit-def: $sgpr40_sgpr41
                                        ; implicit-def: $sgpr38_sgpr39
	s_and_saveexec_b64 s[42:43], s[8:9]
	s_cbranch_execz .LBB138_203
; %bb.178:                              ;   in Loop: Header=BB138_20 Depth=1
	ds_read_b32 v5, v15 offset:4104
	s_waitcnt lgkmcnt(0)
	s_barrier
	v_readfirstlane_b32 s57, v5
	s_and_saveexec_b64 s[38:39], s[6:7]
; %bb.179:                              ;   in Loop: Header=BB138_20 Depth=1
	ds_write_b16 v24, v15
; %bb.180:                              ;   in Loop: Header=BB138_20 Depth=1
	s_or_b64 exec, exec, s[38:39]
	v_and_b32_e32 v5, v35, v4
	v_lshl_or_b32 v35, 2, v39, v5
	v_or_b32_e32 v45, v45, v2
	s_mov_b64 s[38:39], -1
	s_mov_b64 s[40:41], 0
	s_cmp_eq_u32 s57, 0
	s_mov_b64 s[44:45], 0
	s_mov_b64 s[46:47], -1
	s_waitcnt lgkmcnt(0)
	s_barrier
                                        ; implicit-def: $vgpr46
	s_cbranch_scc1 .LBB138_191
; %bb.181:                              ;   in Loop: Header=BB138_20 Depth=1
	s_add_i32 s44, s57, s78
	s_mul_hi_u32 s45, s44, s93
	s_mul_i32 s45, s45, s67
	s_sub_i32 s45, s44, s45
	s_sub_i32 s46, s45, s67
	s_cmp_ge_u32 s45, s67
	s_cselect_b32 s45, s46, s45
	s_sub_i32 s46, s45, s67
	s_cmp_ge_u32 s45, s67
	s_cselect_b32 s45, s46, s45
	s_sub_i32 s58, s44, s45
	v_cmp_gt_u32_e32 vcc, s58, v0
	s_mov_b64 s[46:47], 0
	s_mov_b64 s[44:45], 0
                                        ; implicit-def: $vgpr46
	s_and_saveexec_b64 s[48:49], vcc
	s_cbranch_execz .LBB138_190
; %bb.182:                              ;   in Loop: Header=BB138_20 Depth=1
	v_mov_b32_e32 v5, v23
	v_mov_b32_e32 v7, v0
                                        ; implicit-def: $sgpr50_sgpr51
	s_branch .LBB138_185
.LBB138_183:                            ;   in Loop: Header=BB138_185 Depth=2
	s_or_b64 exec, exec, s[52:53]
	s_waitcnt lgkmcnt(0)
	s_barrier
	ds_read_b32 v8, v15 offset:3072
	s_mov_b64 s[52:53], -1
	s_mov_b64 s[54:55], -1
	s_waitcnt lgkmcnt(0)
	s_barrier
	v_and_b32_e32 v9, 0x7fff, v8
	v_cmp_ne_u32_e32 vcc, 0, v9
	s_cbranch_vccz .LBB138_188
.LBB138_184:                            ;   in Loop: Header=BB138_185 Depth=2
	s_and_b64 s[52:53], exec, s[52:53]
	s_or_b64 s[44:45], s[52:53], s[44:45]
	s_andn2_b64 s[50:51], s[50:51], exec
	s_and_b64 s[52:53], s[54:55], exec
	s_or_b64 s[50:51], s[50:51], s[52:53]
	s_andn2_b64 exec, exec, s[44:45]
	s_cbranch_execz .LBB138_189
.LBB138_185:                            ;   Parent Loop BB138_20 Depth=1
                                        ; =>  This Inner Loop Header: Depth=2
	v_cmp_gt_u32_e32 vcc, s57, v7
	s_and_saveexec_b64 s[52:53], vcc
	s_cbranch_execz .LBB138_183
; %bb.186:                              ;   in Loop: Header=BB138_185 Depth=2
	ds_read_u16 v8, v5
	s_waitcnt lgkmcnt(0)
	v_cmp_lt_i16_e32 vcc, -1, v8
	v_lshlrev_b32_e32 v9, 16, v8
	s_nop 0
	v_cndmask_b32_e32 v14, v40, v41, vcc
	v_xor_b32_sdwa v14, v14, v8 dst_sel:DWORD dst_unused:UNUSED_PAD src0_sel:DWORD src1_sel:WORD_0
	v_cmp_o_f32_e32 vcc, v9, v9
	s_nop 1
	v_cndmask_b32_e32 v9, v40, v14, vcc
	v_and_b32_e32 v9, v9, v45
	v_cmp_eq_u32_e32 vcc, v9, v35
	s_and_b64 exec, exec, vcc
	s_cbranch_execz .LBB138_183
; %bb.187:                              ;   in Loop: Header=BB138_185 Depth=2
	v_perm_b32 v8, v8, s20, v44
	ds_write_b32 v15, v8 offset:3072
	s_branch .LBB138_183
.LBB138_188:                            ;   in Loop: Header=BB138_185 Depth=2
	v_add_u32_e32 v7, s67, v7
	v_cmp_le_u32_e32 vcc, s58, v7
	v_add_u32_e32 v5, s83, v5
	s_mov_b64 s[54:55], 0
	s_orn2_b64 s[52:53], vcc, exec
	s_branch .LBB138_184
.LBB138_189:                            ;   in Loop: Header=BB138_20 Depth=1
	s_or_b64 exec, exec, s[44:45]
	v_lshrrev_b32_e32 v46, 16, v8
	s_and_b64 s[44:45], s[50:51], exec
.LBB138_190:                            ;   in Loop: Header=BB138_20 Depth=1
	s_or_b64 exec, exec, s[48:49]
.LBB138_191:                            ;   in Loop: Header=BB138_20 Depth=1
	s_and_b64 vcc, exec, s[46:47]
	s_cbranch_vccz .LBB138_202
; %bb.192:                              ;   in Loop: Header=BB138_20 Depth=1
                                        ; implicit-def: $vgpr46
	s_mov_b64 s[38:39], exec
	v_readlane_b32 s40, v82, 47
	v_readlane_b32 s41, v82, 48
	s_and_b64 s[40:41], s[38:39], s[40:41]
	s_mov_b64 exec, s[40:41]
	s_cbranch_execz .LBB138_201
; %bb.193:                              ;   in Loop: Header=BB138_20 Depth=1
	s_mov_b64 s[40:41], 0
	v_mov_b32_e32 v14, v12
	v_mov_b32_e32 v5, v0
                                        ; implicit-def: $sgpr46_sgpr47
	s_branch .LBB138_196
.LBB138_194:                            ;   in Loop: Header=BB138_196 Depth=2
	s_or_b64 exec, exec, s[48:49]
	s_waitcnt lgkmcnt(0)
	s_barrier
	ds_read_b32 v7, v15 offset:3072
	s_mov_b64 s[48:49], -1
	s_mov_b64 s[50:51], -1
	s_waitcnt lgkmcnt(0)
	s_barrier
	v_and_b32_e32 v8, 0x7fff, v7
	v_cmp_eq_u32_e32 vcc, 0, v8
	s_cbranch_vccnz .LBB138_199
.LBB138_195:                            ;   in Loop: Header=BB138_196 Depth=2
	s_and_b64 s[48:49], exec, s[48:49]
	s_or_b64 s[40:41], s[48:49], s[40:41]
	s_andn2_b64 s[46:47], s[46:47], exec
	s_and_b64 s[48:49], s[50:51], exec
	s_or_b64 s[46:47], s[46:47], s[48:49]
	s_andn2_b64 exec, exec, s[40:41]
	s_cbranch_execz .LBB138_200
.LBB138_196:                            ;   Parent Loop BB138_20 Depth=1
                                        ; =>  This Inner Loop Header: Depth=2
	v_cmp_gt_u32_e32 vcc, s64, v5
	s_and_saveexec_b64 s[48:49], vcc
	s_cbranch_execz .LBB138_194
; %bb.197:                              ;   in Loop: Header=BB138_196 Depth=2
	v_lshl_add_u64 v[8:9], v[14:15], 1, v[10:11]
	global_load_ushort v7, v[8:9], off
	s_waitcnt vmcnt(0)
	v_cmp_lt_i16_e32 vcc, -1, v7
	v_lshlrev_b32_e32 v8, 16, v7
	s_nop 0
	v_cndmask_b32_e32 v9, v40, v41, vcc
	v_xor_b32_sdwa v9, v9, v7 dst_sel:DWORD dst_unused:UNUSED_PAD src0_sel:DWORD src1_sel:WORD_0
	v_cmp_o_f32_e32 vcc, v8, v8
	s_nop 1
	v_cndmask_b32_e32 v8, v40, v9, vcc
	v_and_b32_e32 v8, v8, v45
	v_cmp_eq_u32_e32 vcc, v8, v35
	s_and_b64 exec, exec, vcc
	s_cbranch_execz .LBB138_194
; %bb.198:                              ;   in Loop: Header=BB138_196 Depth=2
	v_perm_b32 v7, v7, s20, v44
	ds_write_b32 v15, v7 offset:3072
	s_branch .LBB138_194
.LBB138_199:                            ;   in Loop: Header=BB138_196 Depth=2
	v_add_u32_e32 v5, s67, v5
	v_cmp_le_u32_e32 vcc, s94, v5
	v_add_u32_e32 v14, s65, v14
	s_mov_b64 s[50:51], 0
	s_orn2_b64 s[48:49], vcc, exec
	s_branch .LBB138_195
.LBB138_200:                            ;   in Loop: Header=BB138_20 Depth=1
	s_or_b64 exec, exec, s[40:41]
	s_andn2_b64 s[40:41], s[44:45], exec
	s_and_b64 s[44:45], s[46:47], exec
	v_lshrrev_b32_e32 v46, 16, v7
	s_or_b64 s[44:45], s[40:41], s[44:45]
.LBB138_201:                            ;   in Loop: Header=BB138_20 Depth=1
	s_or_b64 exec, exec, s[38:39]
	s_mov_b64 s[38:39], 0
	s_mov_b64 s[40:41], -1
.LBB138_202:                            ;   in Loop: Header=BB138_20 Depth=1
	s_orn2_b64 s[44:45], s[44:45], exec
.LBB138_203:                            ;   in Loop: Header=BB138_20 Depth=1
	s_or_b64 exec, exec, s[42:43]
	s_mov_b64 s[46:47], 0
	s_and_saveexec_b64 s[42:43], s[44:45]
	s_cbranch_execz .LBB138_253
; %bb.204:                              ;   in Loop: Header=BB138_20 Depth=1
	s_xor_b64 s[44:45], s[8:9], -1
	s_mov_b64 s[50:51], 0
	v_mov_b32_e32 v5, 1
	v_mov_b32_e32 v3, 1
	s_and_saveexec_b64 s[8:9], s[44:45]
	s_cbranch_execz .LBB138_213
; %bb.205:                              ;   in Loop: Header=BB138_20 Depth=1
	v_cmp_ge_u32_e32 vcc, s56, v6
	s_and_saveexec_b64 s[44:45], vcc
	s_xor_b64 s[44:45], exec, s[44:45]
	s_cbranch_execz .LBB138_210
; %bb.206:                              ;   in Loop: Header=BB138_20 Depth=1
	ds_read_b32 v3, v15 offset:4104
	v_and_b32_e32 v4, v35, v4
	v_lshl_or_b32 v35, 2, v39, v4
	v_or_b32_e32 v45, v45, v2
	s_waitcnt lgkmcnt(0)
	v_cmp_ne_u32_e32 vcc, 0, v3
	s_cbranch_vccnz .LBB138_210
; %bb.207:                              ;   in Loop: Header=BB138_20 Depth=1
	s_and_saveexec_b64 s[46:47], s[24:25]
; %bb.208:                              ;   in Loop: Header=BB138_20 Depth=1
	v_mov_b32_e32 v3, s56
	ds_write_b32 v15, v3 offset:4108
; %bb.209:                              ;   in Loop: Header=BB138_20 Depth=1
	s_or_b64 exec, exec, s[46:47]
	s_waitcnt lgkmcnt(0)
	s_barrier
.LBB138_210:                            ;   in Loop: Header=BB138_20 Depth=1
	s_or_saveexec_b64 s[44:45], s[44:45]
	s_mov_b64 s[46:47], 0
	v_mov_b32_e32 v3, 8
	s_xor_b64 exec, exec, s[44:45]
; %bb.211:                              ;   in Loop: Header=BB138_20 Depth=1
	s_mov_b64 s[46:47], exec
	v_subrev_u32_e32 v6, s56, v6
	v_mov_b32_e32 v3, 0
; %bb.212:                              ;   in Loop: Header=BB138_20 Depth=1
	s_or_b64 exec, exec, s[44:45]
	s_and_b64 s[50:51], s[46:47], exec
	v_mov_b32_e32 v5, v6
.LBB138_213:                            ;   in Loop: Header=BB138_20 Depth=1
	s_or_b64 exec, exec, s[8:9]
	s_mov_b64 s[48:49], -1
                                        ; implicit-def: $sgpr46_sgpr47
                                        ; implicit-def: $sgpr8_sgpr9
	s_and_saveexec_b64 s[44:45], s[50:51]
	s_cbranch_execz .LBB138_252
; %bb.214:                              ;   in Loop: Header=BB138_20 Depth=1
	s_cmp_eq_u32 s74, 1
	s_cselect_b64 s[8:9], -1, 0
	v_cmp_eq_u32_e32 vcc, 1, v5
	s_and_b64 s[48:49], s[8:9], vcc
	s_mov_b64 s[52:53], -1
                                        ; implicit-def: $sgpr46_sgpr47
                                        ; implicit-def: $sgpr8_sgpr9
	s_and_saveexec_b64 s[50:51], s[48:49]
	s_cbranch_execz .LBB138_240
; %bb.215:                              ;   in Loop: Header=BB138_20 Depth=1
	ds_read_b32 v4, v15 offset:4104
	s_waitcnt lgkmcnt(0)
	s_barrier
	v_readfirstlane_b32 s75, v4
	s_and_saveexec_b64 s[8:9], s[6:7]
; %bb.216:                              ;   in Loop: Header=BB138_20 Depth=1
	ds_write_b16 v24, v15
; %bb.217:                              ;   in Loop: Header=BB138_20 Depth=1
	s_or_b64 exec, exec, s[8:9]
	v_or_b32_e32 v35, v35, v2
	v_or_b32_e32 v45, v45, v2
	s_mov_b64 s[8:9], -1
	s_mov_b64 s[46:47], 0
	s_cmp_eq_u32 s75, 0
	s_mov_b64 s[52:53], 0
	s_mov_b64 s[54:55], -1
	s_waitcnt lgkmcnt(0)
	s_barrier
                                        ; implicit-def: $vgpr46
	s_cbranch_scc1 .LBB138_228
; %bb.218:                              ;   in Loop: Header=BB138_20 Depth=1
	s_add_i32 s52, s75, s78
	s_mul_hi_u32 s53, s52, s93
	s_mul_i32 s53, s53, s67
	s_sub_i32 s53, s52, s53
	s_sub_i32 s54, s53, s67
	s_cmp_ge_u32 s53, s67
	s_cselect_b32 s53, s54, s53
	s_sub_i32 s54, s53, s67
	s_cmp_ge_u32 s53, s67
	s_cselect_b32 s53, s54, s53
	s_sub_i32 s84, s52, s53
	v_cmp_gt_u32_e32 vcc, s84, v0
	s_mov_b64 s[54:55], 0
	s_mov_b64 s[52:53], 0
                                        ; implicit-def: $vgpr46
	s_and_saveexec_b64 s[56:57], vcc
	s_cbranch_execz .LBB138_227
; %bb.219:                              ;   in Loop: Header=BB138_20 Depth=1
	v_mov_b32_e32 v4, v23
	v_mov_b32_e32 v6, v0
                                        ; implicit-def: $sgpr58_sgpr59
	s_branch .LBB138_222
.LBB138_220:                            ;   in Loop: Header=BB138_222 Depth=2
	s_or_b64 exec, exec, s[60:61]
	s_waitcnt lgkmcnt(0)
	s_barrier
	ds_read_b32 v7, v15 offset:3072
	s_mov_b64 s[60:61], -1
	s_mov_b64 s[62:63], -1
	s_waitcnt lgkmcnt(0)
	s_barrier
	v_and_b32_e32 v8, 0x7fff, v7
	v_cmp_ne_u32_e32 vcc, 0, v8
	s_cbranch_vccz .LBB138_225
.LBB138_221:                            ;   in Loop: Header=BB138_222 Depth=2
	s_and_b64 s[60:61], exec, s[60:61]
	s_or_b64 s[52:53], s[60:61], s[52:53]
	s_andn2_b64 s[58:59], s[58:59], exec
	s_and_b64 s[60:61], s[62:63], exec
	s_or_b64 s[58:59], s[58:59], s[60:61]
	s_andn2_b64 exec, exec, s[52:53]
	s_cbranch_execz .LBB138_226
.LBB138_222:                            ;   Parent Loop BB138_20 Depth=1
                                        ; =>  This Inner Loop Header: Depth=2
	v_cmp_gt_u32_e32 vcc, s75, v6
	s_and_saveexec_b64 s[60:61], vcc
	s_cbranch_execz .LBB138_220
; %bb.223:                              ;   in Loop: Header=BB138_222 Depth=2
	ds_read_u16 v7, v4
	s_waitcnt lgkmcnt(0)
	v_cmp_lt_i16_e32 vcc, -1, v7
	v_lshlrev_b32_e32 v8, 16, v7
	s_nop 0
	v_cndmask_b32_e32 v9, v40, v41, vcc
	v_xor_b32_sdwa v9, v9, v7 dst_sel:DWORD dst_unused:UNUSED_PAD src0_sel:DWORD src1_sel:WORD_0
	v_cmp_o_f32_e32 vcc, v8, v8
	s_nop 1
	v_cndmask_b32_e32 v8, v40, v9, vcc
	v_and_b32_e32 v8, v8, v45
	v_cmp_eq_u32_e32 vcc, v8, v35
	s_and_b64 exec, exec, vcc
	s_cbranch_execz .LBB138_220
; %bb.224:                              ;   in Loop: Header=BB138_222 Depth=2
	v_perm_b32 v7, v7, s20, v44
	ds_write_b32 v15, v7 offset:3072
	s_branch .LBB138_220
.LBB138_225:                            ;   in Loop: Header=BB138_222 Depth=2
	v_add_u32_e32 v6, s67, v6
	v_cmp_le_u32_e32 vcc, s84, v6
	v_add_u32_e32 v4, s83, v4
	s_mov_b64 s[62:63], 0
	s_orn2_b64 s[60:61], vcc, exec
	s_branch .LBB138_221
.LBB138_226:                            ;   in Loop: Header=BB138_20 Depth=1
	s_or_b64 exec, exec, s[52:53]
	v_lshrrev_b32_e32 v46, 16, v7
	s_and_b64 s[52:53], s[58:59], exec
.LBB138_227:                            ;   in Loop: Header=BB138_20 Depth=1
	s_or_b64 exec, exec, s[56:57]
.LBB138_228:                            ;   in Loop: Header=BB138_20 Depth=1
	s_and_b64 vcc, exec, s[54:55]
	s_cbranch_vccz .LBB138_239
; %bb.229:                              ;   in Loop: Header=BB138_20 Depth=1
                                        ; implicit-def: $vgpr46
	s_mov_b64 s[8:9], exec
	v_readlane_b32 s46, v82, 47
	v_readlane_b32 s47, v82, 48
	s_and_b64 s[46:47], s[8:9], s[46:47]
	s_mov_b64 exec, s[46:47]
	s_cbranch_execz .LBB138_238
; %bb.230:                              ;   in Loop: Header=BB138_20 Depth=1
	s_mov_b64 s[46:47], 0
	v_mov_b32_e32 v14, v12
	v_mov_b32_e32 v4, v0
                                        ; implicit-def: $sgpr54_sgpr55
	s_branch .LBB138_233
.LBB138_231:                            ;   in Loop: Header=BB138_233 Depth=2
	s_or_b64 exec, exec, s[56:57]
	s_waitcnt lgkmcnt(0)
	s_barrier
	ds_read_b32 v6, v15 offset:3072
	s_mov_b64 s[56:57], -1
	s_mov_b64 s[58:59], -1
	s_waitcnt lgkmcnt(0)
	s_barrier
	v_and_b32_e32 v7, 0x7fff, v6
	v_cmp_eq_u32_e32 vcc, 0, v7
	s_cbranch_vccnz .LBB138_236
.LBB138_232:                            ;   in Loop: Header=BB138_233 Depth=2
	s_and_b64 s[56:57], exec, s[56:57]
	s_or_b64 s[46:47], s[56:57], s[46:47]
	s_andn2_b64 s[54:55], s[54:55], exec
	s_and_b64 s[56:57], s[58:59], exec
	s_or_b64 s[54:55], s[54:55], s[56:57]
	s_andn2_b64 exec, exec, s[46:47]
	s_cbranch_execz .LBB138_237
.LBB138_233:                            ;   Parent Loop BB138_20 Depth=1
                                        ; =>  This Inner Loop Header: Depth=2
	v_cmp_gt_u32_e32 vcc, s64, v4
	s_and_saveexec_b64 s[56:57], vcc
	s_cbranch_execz .LBB138_231
; %bb.234:                              ;   in Loop: Header=BB138_233 Depth=2
	v_lshl_add_u64 v[6:7], v[14:15], 1, v[10:11]
	global_load_ushort v6, v[6:7], off
	s_waitcnt vmcnt(0)
	v_cmp_lt_i16_e32 vcc, -1, v6
	v_lshlrev_b32_e32 v7, 16, v6
	s_nop 0
	v_cndmask_b32_e32 v8, v40, v41, vcc
	v_xor_b32_sdwa v8, v8, v6 dst_sel:DWORD dst_unused:UNUSED_PAD src0_sel:DWORD src1_sel:WORD_0
	v_cmp_o_f32_e32 vcc, v7, v7
	s_nop 1
	v_cndmask_b32_e32 v7, v40, v8, vcc
	v_and_b32_e32 v7, v7, v45
	v_cmp_eq_u32_e32 vcc, v7, v35
	s_and_b64 exec, exec, vcc
	s_cbranch_execz .LBB138_231
; %bb.235:                              ;   in Loop: Header=BB138_233 Depth=2
	v_perm_b32 v6, v6, s20, v44
	ds_write_b32 v15, v6 offset:3072
	s_branch .LBB138_231
.LBB138_236:                            ;   in Loop: Header=BB138_233 Depth=2
	v_add_u32_e32 v4, s67, v4
	v_cmp_le_u32_e32 vcc, s94, v4
	v_add_u32_e32 v14, s65, v14
	s_mov_b64 s[58:59], 0
	s_orn2_b64 s[56:57], vcc, exec
	s_branch .LBB138_232
.LBB138_237:                            ;   in Loop: Header=BB138_20 Depth=1
	s_or_b64 exec, exec, s[46:47]
	s_andn2_b64 s[46:47], s[52:53], exec
	s_and_b64 s[52:53], s[54:55], exec
	v_lshrrev_b32_e32 v46, 16, v6
	s_or_b64 s[52:53], s[46:47], s[52:53]
.LBB138_238:                            ;   in Loop: Header=BB138_20 Depth=1
	s_or_b64 exec, exec, s[8:9]
	s_mov_b64 s[8:9], 0
	s_mov_b64 s[46:47], -1
.LBB138_239:                            ;   in Loop: Header=BB138_20 Depth=1
	s_orn2_b64 s[52:53], s[52:53], exec
.LBB138_240:                            ;   in Loop: Header=BB138_20 Depth=1
	s_or_b64 exec, exec, s[50:51]
	s_mov_b64 s[54:55], 0
	s_and_saveexec_b64 s[50:51], s[52:53]
	s_cbranch_execz .LBB138_251
; %bb.241:                              ;   in Loop: Header=BB138_20 Depth=1
	s_xor_b64 s[52:53], s[48:49], -1
	v_mov_b32_e32 v3, 1
	v_mov_b32_e32 v4, 1
	s_and_saveexec_b64 s[48:49], s[52:53]
	s_cbranch_execz .LBB138_250
; %bb.242:                              ;   in Loop: Header=BB138_20 Depth=1
	v_cmp_ge_u32_e32 vcc, s74, v5
	s_and_saveexec_b64 s[52:53], vcc
	s_xor_b64 s[52:53], exec, s[52:53]
	s_cbranch_execz .LBB138_247
; %bb.243:                              ;   in Loop: Header=BB138_20 Depth=1
	ds_read_b32 v3, v15 offset:4104
	v_or_b32_e32 v35, v35, v2
	v_or_b32_e32 v45, v45, v2
	s_waitcnt lgkmcnt(0)
	v_cmp_ne_u32_e32 vcc, 0, v3
	s_cbranch_vccnz .LBB138_247
; %bb.244:                              ;   in Loop: Header=BB138_20 Depth=1
	s_and_saveexec_b64 s[54:55], s[24:25]
; %bb.245:                              ;   in Loop: Header=BB138_20 Depth=1
	v_mov_b32_e32 v2, s74
	ds_write_b32 v15, v2 offset:4108
; %bb.246:                              ;   in Loop: Header=BB138_20 Depth=1
	s_or_b64 exec, exec, s[54:55]
	s_waitcnt lgkmcnt(0)
	s_barrier
.LBB138_247:                            ;   in Loop: Header=BB138_20 Depth=1
	s_andn2_saveexec_b64 s[52:53], s[52:53]
; %bb.248:                              ;   in Loop: Header=BB138_20 Depth=1
	v_subrev_u32_e32 v5, s74, v5
; %bb.249:                              ;   in Loop: Header=BB138_20 Depth=1
	s_or_b64 exec, exec, s[52:53]
	v_mov_b32_e32 v3, 8
	v_mov_b32_e32 v4, v5
.LBB138_250:                            ;   in Loop: Header=BB138_20 Depth=1
	s_or_b64 exec, exec, s[48:49]
	s_mov_b64 s[54:55], exec
	v_mov_b32_e32 v5, v4
.LBB138_251:                            ;   in Loop: Header=BB138_20 Depth=1
	s_or_b64 exec, exec, s[50:51]
	s_orn2_b64 s[48:49], s[54:55], exec
.LBB138_252:                            ;   in Loop: Header=BB138_20 Depth=1
	s_or_b64 exec, exec, s[44:45]
	s_andn2_b64 s[40:41], s[40:41], exec
	s_and_b64 s[44:45], s[46:47], exec
	s_andn2_b64 s[38:39], s[38:39], exec
	s_and_b64 s[8:9], s[8:9], exec
	s_or_b64 s[40:41], s[40:41], s[44:45]
	s_or_b64 s[38:39], s[38:39], s[8:9]
	s_and_b64 s[46:47], s[48:49], exec
	v_mov_b32_e32 v6, v5
.LBB138_253:                            ;   in Loop: Header=BB138_20 Depth=1
	s_or_b64 exec, exec, s[42:43]
	s_orn2_b64 s[8:9], s[46:47], exec
.LBB138_254:                            ;   in Loop: Header=BB138_20 Depth=1
	s_or_b64 exec, exec, s[36:37]
	s_andn2_b64 s[30:31], s[30:31], exec
	s_and_b64 s[36:37], s[40:41], exec
	s_or_b64 s[30:31], s[30:31], s[36:37]
	s_andn2_b64 s[28:29], s[28:29], exec
	s_and_b64 s[36:37], s[38:39], exec
	s_or_b64 s[28:29], s[28:29], s[36:37]
	s_and_b64 s[38:39], s[8:9], exec
	v_mov_b32_e32 v5, v6
.LBB138_255:                            ;   in Loop: Header=BB138_20 Depth=1
	s_or_b64 exec, exec, s[34:35]
	s_orn2_b64 s[8:9], s[38:39], exec
.LBB138_256:                            ;   in Loop: Header=BB138_20 Depth=1
	s_or_b64 exec, exec, s[26:27]
	s_mov_b64 s[26:27], 0
                                        ; implicit-def: $sgpr36
	s_and_saveexec_b64 s[34:35], s[8:9]
	s_xor_b64 s[8:9], exec, s[34:35]
	s_cbranch_execz .LBB138_18
; %bb.257:                              ;   in Loop: Header=BB138_20 Depth=1
	v_and_b32_e32 v2, 7, v3
	v_cmp_eq_u32_e32 vcc, 0, v2
	s_mov_b64 s[22:23], -1
	s_mov_b64 s[26:27], -1
                                        ; implicit-def: $sgpr36
	s_and_saveexec_b64 s[34:35], vcc
	s_cbranch_execz .LBB138_17
; %bb.258:                              ;   in Loop: Header=BB138_20 Depth=1
	v_add_u32_e32 v2, -2, v39
	v_cmp_eq_u32_e32 vcc, 0, v39
	s_xor_b32 s36, s21, 1
	s_xor_b64 s[26:27], exec, -1
	s_orn2_b64 s[22:23], vcc, exec
	v_mov_b32_e32 v39, v2
	s_branch .LBB138_17
.LBB138_259:
	s_or_b64 exec, exec, s[68:69]
	s_xor_b64 s[8:9], s[10:11], -1
	s_xor_b64 s[0:1], s[70:71], -1
	;; [unrolled: 1-line block ×3, first 2 shown]
	s_mov_b64 s[4:5], 0
	s_and_saveexec_b64 s[2:3], s[0:1]
	s_xor_b64 s[2:3], exec, s[2:3]
	s_cbranch_execnz .LBB138_264
; %bb.260:
	s_andn2_saveexec_b64 s[0:1], s[2:3]
	s_cbranch_execnz .LBB138_277
.LBB138_261:
	s_or_b64 exec, exec, s[0:1]
	s_and_saveexec_b64 s[0:1], s[4:5]
.LBB138_262:
	; divergent unreachable
.LBB138_263:
	s_endpgm
.LBB138_264:
	s_and_saveexec_b64 s[0:1], s[8:9]
	s_xor_b64 s[4:5], exec, s[0:1]
	s_cbranch_execz .LBB138_275
; %bb.265:
	s_and_saveexec_b64 s[0:1], s[6:7]
	s_xor_b64 s[6:7], exec, s[0:1]
; %bb.266:
	v_and_b32_e32 v1, 0x8000, v35
	v_mov_b32_e32 v2, 0x8000
	v_mov_b32_e32 v3, 0xffff
	v_cmp_eq_u32_e32 vcc, 0, v1
	s_nop 1
	v_cndmask_b32_e32 v1, v2, v3, vcc
	v_xor_b32_e32 v46, v1, v35
; %bb.267:
	s_or_b64 exec, exec, s[6:7]
	v_readlane_b32 s8, v82, 13
	v_readlane_b32 s9, v82, 14
	;; [unrolled: 1-line block ×3, first 2 shown]
	s_mul_i32 s0, s10, s9
	v_readlane_b32 s1, v82, 12
	v_readlane_b32 s9, v82, 16
	s_sub_i32 s0, s1, s0
	s_mul_i32 s1, s9, s8
	s_sub_i32 s1, s10, s1
	s_add_i32 s6, s9, 1
	s_sub_i32 s7, s1, s8
	s_cmp_ge_u32 s1, s8
	s_cselect_b32 s6, s6, s9
	s_cselect_b32 s1, s7, s1
	s_add_i32 s7, s6, 1
	s_cmp_ge_u32 s1, s8
	s_cselect_b32 s1, s7, s6
	v_readlane_b32 s12, v82, 8
	s_mul_i32 s6, s1, s8
	v_readlane_b32 s13, v82, 9
	v_readlane_b32 s14, v82, 10
	s_sub_i32 s6, s10, s6
	s_mul_i32 s0, s0, s14
	s_mul_i32 s6, s6, s13
	s_add_i32 s0, s6, s0
	s_mul_i32 s1, s1, s12
	s_add_i32 s0, s0, s1
	s_mov_b32 s1, 0
	s_lshl_b64 s[0:1], s[0:1], 1
	v_readlane_b32 s6, v82, 0
	v_readlane_b32 s7, v82, 1
	s_add_u32 s0, s6, s0
	s_addc_u32 s1, s7, s1
	v_mov_b32_e32 v13, 0
	v_readlane_b32 s15, v82, 11
	global_store_short v13, v46, s[0:1]
	s_mov_b64 s[6:7], exec
	v_readlane_b32 s0, v82, 21
	v_readlane_b32 s1, v82, 22
	s_and_b64 s[0:1], s[6:7], s[0:1]
	s_mov_b64 exec, s[0:1]
	s_cbranch_execz .LBB138_274
; %bb.268:
	v_lshlrev_b32_e32 v1, 16, v46
	v_cmp_u_f32_e32 vcc, v1, v1
	s_mov_b64 s[8:9], 0
	s_xor_b64 s[12:13], vcc, -1
                                        ; implicit-def: $sgpr10_sgpr11
                                        ; implicit-def: $sgpr16_sgpr17
                                        ; implicit-def: $sgpr14_sgpr15
	s_branch .LBB138_270
.LBB138_269:                            ;   in Loop: Header=BB138_270 Depth=1
	s_or_b64 exec, exec, s[0:1]
	s_and_b64 s[0:1], exec, s[16:17]
	s_or_b64 s[8:9], s[0:1], s[8:9]
	s_andn2_b64 s[0:1], s[10:11], exec
	s_and_b64 s[10:11], s[14:15], exec
	s_or_b64 s[10:11], s[0:1], s[10:11]
	s_andn2_b64 exec, exec, s[8:9]
	s_cbranch_execz .LBB138_272
.LBB138_270:                            ; =>This Inner Loop Header: Depth=1
	v_lshl_add_u64 v[2:3], v[12:13], 1, v[10:11]
	global_load_ushort v3, v[2:3], off
	v_mov_b32_e32 v2, v0
	s_or_b64 s[14:15], s[14:15], exec
	s_or_b64 s[16:17], s[16:17], exec
	s_waitcnt vmcnt(0)
	v_lshlrev_b32_e32 v0, 16, v3
	v_cmp_o_f32_e64 s[0:1], v0, v0
	v_cmp_neq_f32_e32 vcc, v0, v1
	s_or_b64 s[0:1], s[12:13], s[0:1]
	s_and_b64 s[18:19], vcc, s[0:1]
                                        ; implicit-def: $vgpr0
	s_and_saveexec_b64 s[0:1], s[18:19]
	s_cbranch_execz .LBB138_269
; %bb.271:                              ;   in Loop: Header=BB138_270 Depth=1
	v_add_u32_e32 v0, s67, v2
	v_cmp_le_u32_e32 vcc, s64, v0
	s_andn2_b64 s[16:17], s[16:17], exec
	s_and_b64 s[18:19], vcc, exec
	v_add_u32_e32 v12, s65, v12
	s_andn2_b64 s[14:15], s[14:15], exec
	s_or_b64 s[16:17], s[16:17], s[18:19]
	s_branch .LBB138_269
.LBB138_272:
	s_or_b64 exec, exec, s[8:9]
	s_and_saveexec_b64 s[0:1], s[10:11]
	s_xor_b64 s[0:1], exec, s[0:1]
	s_cbranch_execz .LBB138_274
; %bb.273:
	v_readlane_b32 s8, v82, 2
	v_readlane_b32 s16, v82, 17
	;; [unrolled: 1-line block ×6, first 2 shown]
	s_mov_b32 s14, s10
	s_mul_i32 s0, s15, s17
	v_readlane_b32 s1, v82, 12
	s_mov_b64 s[12:13], s[8:9]
	v_readlane_b32 s10, v82, 20
	s_sub_i32 s0, s1, s0
	s_mul_i32 s1, s10, s16
	s_sub_i32 s1, s15, s1
	s_add_i32 s8, s10, 1
	s_sub_i32 s9, s1, s16
	s_cmp_ge_u32 s1, s16
	s_cselect_b32 s8, s8, s10
	s_cselect_b32 s1, s9, s1
	s_add_i32 s9, s8, 1
	s_cmp_ge_u32 s1, s16
	s_cselect_b32 s1, s9, s8
	s_mul_i32 s8, s1, s16
	s_sub_i32 s8, s15, s8
	s_mul_i32 s0, s0, s14
	s_mul_i32 s8, s8, s13
	s_add_i32 s0, s8, s0
	s_mul_i32 s1, s1, s12
	s_add_i32 s0, s0, s1
	s_mov_b32 s1, 0
	s_lshl_b64 s[0:1], s[0:1], 3
	v_readlane_b32 s8, v82, 6
	v_readlane_b32 s9, v82, 7
	s_add_u32 s0, s8, s0
	s_addc_u32 s1, s9, s1
	v_mov_b32_e32 v3, 0
	v_readlane_b32 s11, v82, 5
	global_store_dwordx2 v3, v[2:3], s[0:1]
.LBB138_274:
	s_or_b64 exec, exec, s[6:7]
.LBB138_275:
	s_or_saveexec_b64 s[0:1], s[4:5]
	s_mov_b64 s[4:5], 0
	s_xor_b64 exec, exec, s[0:1]
	s_cbranch_execnz .LBB138_278
.LBB138_276:
	s_or_b64 exec, exec, s[0:1]
	s_and_b64 s[4:5], s[4:5], exec
	s_andn2_saveexec_b64 s[0:1], s[2:3]
	s_cbranch_execz .LBB138_261
.LBB138_277:
	s_or_b64 s[4:5], s[4:5], exec
	s_trap 2
	s_or_b64 exec, exec, s[0:1]
	s_and_saveexec_b64 s[0:1], s[4:5]
	s_cbranch_execnz .LBB138_262
	s_branch .LBB138_263
.LBB138_278:
	s_mov_b64 s[4:5], exec
	s_trap 2
	s_branch .LBB138_276
	.section	.rodata,"a",@progbits
	.p2align	6, 0x0
	.amdhsa_kernel _ZN2at6native12_GLOBAL__N_112gatherMedianIN3c108BFloat16EjLi3EEEvNS_4cuda6detail10TensorInfoIT_T0_EENS7_IlS9_EENS7_IKS8_S9_EES9_S9_S9_b
		.amdhsa_group_segment_fixed_size 4120
		.amdhsa_private_segment_fixed_size 0
		.amdhsa_kernarg_size 920
		.amdhsa_user_sgpr_count 2
		.amdhsa_user_sgpr_dispatch_ptr 0
		.amdhsa_user_sgpr_queue_ptr 0
		.amdhsa_user_sgpr_kernarg_segment_ptr 1
		.amdhsa_user_sgpr_dispatch_id 0
		.amdhsa_user_sgpr_kernarg_preload_length 0
		.amdhsa_user_sgpr_kernarg_preload_offset 0
		.amdhsa_user_sgpr_private_segment_size 0
		.amdhsa_uses_dynamic_stack 0
		.amdhsa_enable_private_segment 0
		.amdhsa_system_sgpr_workgroup_id_x 1
		.amdhsa_system_sgpr_workgroup_id_y 1
		.amdhsa_system_sgpr_workgroup_id_z 1
		.amdhsa_system_sgpr_workgroup_info 0
		.amdhsa_system_vgpr_workitem_id 0
		.amdhsa_next_free_vgpr 83
		.amdhsa_next_free_sgpr 100
		.amdhsa_accum_offset 84
		.amdhsa_reserve_vcc 1
		.amdhsa_float_round_mode_32 0
		.amdhsa_float_round_mode_16_64 0
		.amdhsa_float_denorm_mode_32 3
		.amdhsa_float_denorm_mode_16_64 3
		.amdhsa_dx10_clamp 1
		.amdhsa_ieee_mode 1
		.amdhsa_fp16_overflow 0
		.amdhsa_tg_split 0
		.amdhsa_exception_fp_ieee_invalid_op 0
		.amdhsa_exception_fp_denorm_src 0
		.amdhsa_exception_fp_ieee_div_zero 0
		.amdhsa_exception_fp_ieee_overflow 0
		.amdhsa_exception_fp_ieee_underflow 0
		.amdhsa_exception_fp_ieee_inexact 0
		.amdhsa_exception_int_div_zero 0
	.end_amdhsa_kernel
	.section	.text._ZN2at6native12_GLOBAL__N_112gatherMedianIN3c108BFloat16EjLi3EEEvNS_4cuda6detail10TensorInfoIT_T0_EENS7_IlS9_EENS7_IKS8_S9_EES9_S9_S9_b,"axG",@progbits,_ZN2at6native12_GLOBAL__N_112gatherMedianIN3c108BFloat16EjLi3EEEvNS_4cuda6detail10TensorInfoIT_T0_EENS7_IlS9_EENS7_IKS8_S9_EES9_S9_S9_b,comdat
.Lfunc_end138:
	.size	_ZN2at6native12_GLOBAL__N_112gatherMedianIN3c108BFloat16EjLi3EEEvNS_4cuda6detail10TensorInfoIT_T0_EENS7_IlS9_EENS7_IKS8_S9_EES9_S9_S9_b, .Lfunc_end138-_ZN2at6native12_GLOBAL__N_112gatherMedianIN3c108BFloat16EjLi3EEEvNS_4cuda6detail10TensorInfoIT_T0_EENS7_IlS9_EENS7_IKS8_S9_EES9_S9_S9_b
                                        ; -- End function
	.set _ZN2at6native12_GLOBAL__N_112gatherMedianIN3c108BFloat16EjLi3EEEvNS_4cuda6detail10TensorInfoIT_T0_EENS7_IlS9_EENS7_IKS8_S9_EES9_S9_S9_b.num_vgpr, 83
	.set _ZN2at6native12_GLOBAL__N_112gatherMedianIN3c108BFloat16EjLi3EEEvNS_4cuda6detail10TensorInfoIT_T0_EENS7_IlS9_EENS7_IKS8_S9_EES9_S9_S9_b.num_agpr, 0
	.set _ZN2at6native12_GLOBAL__N_112gatherMedianIN3c108BFloat16EjLi3EEEvNS_4cuda6detail10TensorInfoIT_T0_EENS7_IlS9_EENS7_IKS8_S9_EES9_S9_S9_b.numbered_sgpr, 100
	.set _ZN2at6native12_GLOBAL__N_112gatherMedianIN3c108BFloat16EjLi3EEEvNS_4cuda6detail10TensorInfoIT_T0_EENS7_IlS9_EENS7_IKS8_S9_EES9_S9_S9_b.num_named_barrier, 0
	.set _ZN2at6native12_GLOBAL__N_112gatherMedianIN3c108BFloat16EjLi3EEEvNS_4cuda6detail10TensorInfoIT_T0_EENS7_IlS9_EENS7_IKS8_S9_EES9_S9_S9_b.private_seg_size, 0
	.set _ZN2at6native12_GLOBAL__N_112gatherMedianIN3c108BFloat16EjLi3EEEvNS_4cuda6detail10TensorInfoIT_T0_EENS7_IlS9_EENS7_IKS8_S9_EES9_S9_S9_b.uses_vcc, 1
	.set _ZN2at6native12_GLOBAL__N_112gatherMedianIN3c108BFloat16EjLi3EEEvNS_4cuda6detail10TensorInfoIT_T0_EENS7_IlS9_EENS7_IKS8_S9_EES9_S9_S9_b.uses_flat_scratch, 0
	.set _ZN2at6native12_GLOBAL__N_112gatherMedianIN3c108BFloat16EjLi3EEEvNS_4cuda6detail10TensorInfoIT_T0_EENS7_IlS9_EENS7_IKS8_S9_EES9_S9_S9_b.has_dyn_sized_stack, 0
	.set _ZN2at6native12_GLOBAL__N_112gatherMedianIN3c108BFloat16EjLi3EEEvNS_4cuda6detail10TensorInfoIT_T0_EENS7_IlS9_EENS7_IKS8_S9_EES9_S9_S9_b.has_recursion, 0
	.set _ZN2at6native12_GLOBAL__N_112gatherMedianIN3c108BFloat16EjLi3EEEvNS_4cuda6detail10TensorInfoIT_T0_EENS7_IlS9_EENS7_IKS8_S9_EES9_S9_S9_b.has_indirect_call, 0
	.section	.AMDGPU.csdata,"",@progbits
; Kernel info:
; codeLenInByte = 12396
; TotalNumSgprs: 106
; NumVgprs: 83
; NumAgprs: 0
; TotalNumVgprs: 83
; ScratchSize: 0
; MemoryBound: 0
; FloatMode: 240
; IeeeMode: 1
; LDSByteSize: 4120 bytes/workgroup (compile time only)
; SGPRBlocks: 13
; VGPRBlocks: 10
; NumSGPRsForWavesPerEU: 106
; NumVGPRsForWavesPerEU: 83
; AccumOffset: 84
; Occupancy: 5
; WaveLimiterHint : 1
; COMPUTE_PGM_RSRC2:SCRATCH_EN: 0
; COMPUTE_PGM_RSRC2:USER_SGPR: 2
; COMPUTE_PGM_RSRC2:TRAP_HANDLER: 0
; COMPUTE_PGM_RSRC2:TGID_X_EN: 1
; COMPUTE_PGM_RSRC2:TGID_Y_EN: 1
; COMPUTE_PGM_RSRC2:TGID_Z_EN: 1
; COMPUTE_PGM_RSRC2:TIDIG_COMP_CNT: 0
; COMPUTE_PGM_RSRC3_GFX90A:ACCUM_OFFSET: 20
; COMPUTE_PGM_RSRC3_GFX90A:TG_SPLIT: 0
	.section	.text._ZN2at6native12_GLOBAL__N_112gatherMedianIN3c108BFloat16EjLin1EEEvNS_4cuda6detail10TensorInfoIT_T0_EENS7_IlS9_EENS7_IKS8_S9_EES9_S9_S9_b,"axG",@progbits,_ZN2at6native12_GLOBAL__N_112gatherMedianIN3c108BFloat16EjLin1EEEvNS_4cuda6detail10TensorInfoIT_T0_EENS7_IlS9_EENS7_IKS8_S9_EES9_S9_S9_b,comdat
	.globl	_ZN2at6native12_GLOBAL__N_112gatherMedianIN3c108BFloat16EjLin1EEEvNS_4cuda6detail10TensorInfoIT_T0_EENS7_IlS9_EENS7_IKS8_S9_EES9_S9_S9_b ; -- Begin function _ZN2at6native12_GLOBAL__N_112gatherMedianIN3c108BFloat16EjLin1EEEvNS_4cuda6detail10TensorInfoIT_T0_EENS7_IlS9_EENS7_IKS8_S9_EES9_S9_S9_b
	.p2align	8
	.type	_ZN2at6native12_GLOBAL__N_112gatherMedianIN3c108BFloat16EjLin1EEEvNS_4cuda6detail10TensorInfoIT_T0_EENS7_IlS9_EENS7_IKS8_S9_EES9_S9_S9_b,@function
_ZN2at6native12_GLOBAL__N_112gatherMedianIN3c108BFloat16EjLin1EEEvNS_4cuda6detail10TensorInfoIT_T0_EENS7_IlS9_EENS7_IKS8_S9_EES9_S9_S9_b: ; @_ZN2at6native12_GLOBAL__N_112gatherMedianIN3c108BFloat16EjLin1EEEvNS_4cuda6detail10TensorInfoIT_T0_EENS7_IlS9_EENS7_IKS8_S9_EES9_S9_S9_b
; %bb.0:
	s_load_dwordx2 s[10:11], s[0:1], 0x298
	s_load_dwordx4 s[64:67], s[0:1], 0x288
	s_add_u32 s8, s0, 0x298
	s_addc_u32 s9, s1, 0
	s_waitcnt lgkmcnt(0)
	s_mul_i32 s4, s11, s4
	s_add_i32 s3, s4, s3
	s_mul_i32 s3, s3, s10
	s_add_i32 s3, s3, s2
	s_cmp_ge_u32 s3, s65
	s_cbranch_scc1 .LBB139_272
; %bb.1:
	s_load_dword s4, s[0:1], 0xd0
	s_mov_b32 s69, 0
	s_mov_b32 s33, s3
	s_waitcnt lgkmcnt(0)
	s_cmp_lt_i32 s4, 2
	s_cbranch_scc1 .LBB139_4
; %bb.2:
	s_add_i32 s68, s4, -1
	s_add_i32 s6, s4, 1
	s_lshl_b64 s[4:5], s[68:69], 2
	s_add_u32 s4, s0, s4
	s_addc_u32 s5, s1, s5
	s_add_u32 s4, s4, 8
	s_addc_u32 s5, s5, 0
	s_mov_b32 s33, s3
.LBB139_3:                              ; =>This Inner Loop Header: Depth=1
	s_load_dword s7, s[4:5], 0x0
	s_load_dword s12, s[4:5], 0x64
	s_mov_b32 s11, s33
	s_waitcnt lgkmcnt(0)
	v_cvt_f32_u32_e32 v1, s7
	s_sub_i32 s13, 0, s7
	v_rcp_iflag_f32_e32 v1, v1
	s_nop 0
	v_mul_f32_e32 v1, 0x4f7ffffe, v1
	v_cvt_u32_f32_e32 v1, v1
	s_nop 0
	v_readfirstlane_b32 s14, v1
	s_mul_i32 s13, s13, s14
	s_mul_hi_u32 s13, s14, s13
	s_add_i32 s14, s14, s13
	s_mul_hi_u32 s13, s33, s14
	s_mul_i32 s14, s13, s7
	s_sub_i32 s14, s33, s14
	s_add_i32 s15, s13, 1
	s_sub_i32 s16, s14, s7
	s_cmp_ge_u32 s14, s7
	s_cselect_b32 s13, s15, s13
	s_cselect_b32 s14, s16, s14
	s_add_i32 s15, s13, 1
	s_cmp_ge_u32 s14, s7
	s_cselect_b32 s33, s15, s13
	s_mul_i32 s7, s33, s7
	s_sub_i32 s7, s11, s7
	s_mul_i32 s7, s12, s7
	s_add_i32 s6, s6, -1
	s_add_i32 s69, s7, s69
	s_add_u32 s4, s4, -4
	s_addc_u32 s5, s5, -1
	s_cmp_gt_u32 s6, 2
	s_cbranch_scc1 .LBB139_3
.LBB139_4:
	s_load_dword s6, s[0:1], 0x1a8
	s_add_u32 s4, s0, 0xd8
	s_addc_u32 s5, s1, 0
	s_mov_b32 s71, 0
	s_mov_b32 s65, s3
	s_waitcnt lgkmcnt(0)
	s_cmp_lt_i32 s6, 2
	s_cbranch_scc1 .LBB139_7
; %bb.5:
	s_add_i32 s70, s6, -1
	s_add_i32 s11, s6, 1
	s_lshl_b64 s[6:7], s[70:71], 2
	s_add_u32 s6, s4, s6
	s_addc_u32 s7, s5, s7
	s_add_u32 s6, s6, 8
	s_addc_u32 s7, s7, 0
	s_mov_b32 s65, s3
.LBB139_6:                              ; =>This Inner Loop Header: Depth=1
	s_load_dword s12, s[6:7], 0x0
	s_load_dword s14, s[6:7], 0x64
	s_mov_b32 s13, s65
	s_waitcnt lgkmcnt(0)
	v_cvt_f32_u32_e32 v1, s12
	s_sub_i32 s15, 0, s12
	v_rcp_iflag_f32_e32 v1, v1
	s_nop 0
	v_mul_f32_e32 v1, 0x4f7ffffe, v1
	v_cvt_u32_f32_e32 v1, v1
	s_nop 0
	v_readfirstlane_b32 s16, v1
	s_mul_i32 s15, s15, s16
	s_mul_hi_u32 s15, s16, s15
	s_add_i32 s16, s16, s15
	s_mul_hi_u32 s15, s65, s16
	s_mul_i32 s16, s15, s12
	s_sub_i32 s16, s65, s16
	s_add_i32 s17, s15, 1
	s_sub_i32 s18, s16, s12
	s_cmp_ge_u32 s16, s12
	s_cselect_b32 s15, s17, s15
	s_cselect_b32 s16, s18, s16
	s_add_i32 s17, s15, 1
	s_cmp_ge_u32 s16, s12
	s_cselect_b32 s65, s17, s15
	s_mul_i32 s12, s65, s12
	s_sub_i32 s12, s13, s12
	s_mul_i32 s12, s14, s12
	s_add_i32 s11, s11, -1
	s_add_i32 s71, s12, s71
	s_add_u32 s6, s6, -4
	s_addc_u32 s7, s7, -1
	s_cmp_gt_u32 s11, 2
	s_cbranch_scc1 .LBB139_6
.LBB139_7:
	s_load_dword s6, s[0:1], 0x6c
	s_load_dword s12, s[0:1], 0x280
                                        ; implicit-def: $vgpr82 : SGPR spill to VGPR lane
	v_mov_b32_e32 v2, s3
	v_mov_b32_e32 v1, 0
	s_waitcnt lgkmcnt(0)
	v_writelane_b32 v82, s6, 0
	s_add_u32 s6, s0, 0x1b0
	s_addc_u32 s7, s1, 0
	s_cmp_lt_i32 s12, 2
	s_cbranch_scc1 .LBB139_10
; %bb.8:
	s_add_i32 s11, s12, 1
	s_add_i32 s12, s12, -1
	s_mov_b32 s13, 0
	s_lshl_b64 s[12:13], s[12:13], 2
	s_add_u32 s6, s6, s12
	s_addc_u32 s7, s7, s13
	s_add_u32 s6, s6, 8
	s_addc_u32 s7, s7, 0
	v_mov_b32_e32 v2, s3
	v_mov_b32_e32 v1, 0
.LBB139_9:                              ; =>This Inner Loop Header: Depth=1
	s_load_dword s3, s[6:7], 0x0
	s_load_dword s12, s[6:7], 0x64
	v_mov_b32_e32 v3, v2
	s_add_i32 s11, s11, -1
	s_waitcnt lgkmcnt(0)
	v_cvt_f32_u32_e32 v2, s3
	s_sub_i32 s13, 0, s3
	s_add_u32 s6, s6, -4
	s_addc_u32 s7, s7, -1
	v_rcp_iflag_f32_e32 v2, v2
	s_cmp_gt_u32 s11, 2
	v_mul_f32_e32 v2, 0x4f7ffffe, v2
	v_cvt_u32_f32_e32 v2, v2
	v_mul_lo_u32 v4, s13, v2
	v_mul_hi_u32 v4, v2, v4
	v_add_u32_e32 v2, v2, v4
	v_mul_hi_u32 v2, v3, v2
	v_mul_lo_u32 v4, v2, s3
	v_sub_u32_e32 v4, v3, v4
	v_add_u32_e32 v5, 1, v2
	v_subrev_u32_e32 v6, s3, v4
	v_cmp_le_u32_e32 vcc, s3, v4
	s_nop 1
	v_cndmask_b32_e32 v2, v2, v5, vcc
	v_cndmask_b32_e32 v4, v4, v6, vcc
	v_add_u32_e32 v5, 1, v2
	v_cmp_le_u32_e32 vcc, s3, v4
	s_nop 1
	v_cndmask_b32_e32 v2, v2, v5, vcc
	v_mul_lo_u32 v4, v2, s3
	v_sub_u32_e32 v3, v3, v4
	v_mul_lo_u32 v3, s12, v3
	v_add_u32_e32 v1, v3, v1
	s_cbranch_scc1 .LBB139_9
.LBB139_10:
	s_load_dword s3, s[4:5], 0x6c
	v_mov_b32_e32 v3, 0
                                        ; kill: killed $sgpr0 killed $sgpr1
	s_waitcnt lgkmcnt(0)
	v_writelane_b32 v82, s3, 1
	s_load_dword s3, s[0:1], 0x21c
	s_load_dwordx2 s[4:5], s[0:1], 0x0
	s_waitcnt lgkmcnt(0)
	v_mul_lo_u32 v2, s3, v2
	v_writelane_b32 v82, s4, 2
	v_add_u32_e32 v2, v2, v1
	v_lshlrev_b64 v[4:5], 1, v[2:3]
	v_writelane_b32 v82, s5, 3
	s_load_dwordx2 s[4:5], s[0:1], 0xd8
	v_mov_b32_e32 v2, v3
	s_waitcnt lgkmcnt(0)
	v_writelane_b32 v82, s4, 4
	s_nop 1
	v_writelane_b32 v82, s5, 5
	s_load_dwordx2 s[4:5], s[0:1], 0x1b0
	v_cmp_gt_u32_e64 s[0:1], s64, v0
	s_waitcnt lgkmcnt(0)
	v_lshl_add_u64 v[10:11], s[4:5], 0, v[4:5]
	s_mov_b64 s[4:5], exec
	v_writelane_b32 v82, s0, 6
	s_nop 1
	v_writelane_b32 v82, s1, 7
	s_and_b64 s[0:1], s[4:5], s[0:1]
	s_mov_b64 exec, s[0:1]
	s_cbranch_execz .LBB139_14
; %bb.11:
	s_load_dword s0, s[8:9], 0xc
	v_mov_b32_e32 v5, 0
	v_mul_lo_u32 v4, v0, s66
	s_mov_b64 s[6:7], 0
	v_mov_b32_e32 v2, v5
	s_waitcnt lgkmcnt(0)
	s_and_b32 s0, s0, 0xffff
	s_mul_i32 s1, s66, s0
	v_mov_b32_e32 v1, v0
.LBB139_12:                             ; =>This Inner Loop Header: Depth=1
	v_lshl_add_u64 v[6:7], v[4:5], 1, v[10:11]
	global_load_ushort v3, v[6:7], off
	v_add_u32_e32 v1, s0, v1
	v_cmp_le_u32_e32 vcc, s64, v1
	s_or_b64 s[6:7], vcc, s[6:7]
	v_add_u32_e32 v4, s1, v4
	s_waitcnt vmcnt(0)
	v_lshlrev_b32_e32 v3, 16, v3
	v_cmp_u_f32_e32 vcc, v3, v3
	s_nop 1
	v_addc_co_u32_e32 v2, vcc, 0, v2, vcc
	s_andn2_b64 exec, exec, s[6:7]
	s_cbranch_execnz .LBB139_12
; %bb.13:
	s_or_b64 exec, exec, s[6:7]
.LBB139_14:
	s_or_b64 exec, exec, s[4:5]
	v_cmp_eq_u32_e64 s[0:1], 0, v0
	s_mov_b64 s[4:5], exec
	s_nop 0
	v_writelane_b32 v82, s0, 8
	s_nop 1
	v_writelane_b32 v82, s1, 9
	s_and_b64 s[0:1], s[4:5], s[0:1]
	s_mov_b64 exec, s[0:1]
; %bb.15:
	v_mov_b32_e32 v4, 0
	v_mov_b32_e32 v5, v4
	ds_write_b64 v4, v[4:5] offset:4096
; %bb.16:
	s_or_b64 exec, exec, s[4:5]
	v_cmp_ne_u32_e32 vcc, 0, v2
	s_waitcnt lgkmcnt(0)
	s_barrier
	s_and_saveexec_b64 s[4:5], vcc
	s_cbranch_execz .LBB139_21
; %bb.17:
	s_mov_b64 s[12:13], exec
	v_mov_b32_e32 v1, 0
	s_mov_b64 s[6:7], 0
.LBB139_18:                             ; =>This Inner Loop Header: Depth=1
	s_ff1_i32_b64 s0, s[12:13]
	v_readlane_b32 s3, v2, s0
	v_readlane_b32 s1, v1, s0
	s_add_u32 s6, s6, s3
	s_addc_u32 s7, s7, s1
	s_lshl_b64 s[0:1], 1, s0
	s_andn2_b64 s[12:13], s[12:13], s[0:1]
	s_cmp_lg_u64 s[12:13], 0
	s_cbranch_scc1 .LBB139_18
; %bb.19:
	v_mbcnt_lo_u32_b32 v1, exec_lo, 0
	v_mbcnt_hi_u32_b32 v1, exec_hi, v1
	v_cmp_eq_u32_e32 vcc, 0, v1
	s_and_saveexec_b64 s[0:1], vcc
	s_xor_b64 s[0:1], exec, s[0:1]
; %bb.20:
	v_mov_b32_e32 v1, 0
	v_mov_b64_e32 v[2:3], s[6:7]
	ds_add_u64 v1, v[2:3] offset:4096
.LBB139_21:
	s_or_b64 exec, exec, s[4:5]
	v_mov_b32_e32 v1, 0
	s_waitcnt lgkmcnt(0)
	s_barrier
	ds_read_b64 v[2:3], v1 offset:4096
	s_bitcmp1_b32 s67, 0
	s_cselect_b64 s[0:1], -1, 0
	s_mov_b32 s3, s64
	s_waitcnt lgkmcnt(0)
	v_readfirstlane_b32 s4, v2
	v_readfirstlane_b32 s5, v3
	s_nop 1
	v_cmp_lt_i64_e64 s[6:7], s[4:5], 1
	s_or_b64 s[0:1], s[0:1], s[6:7]
	s_andn2_b64 vcc, exec, s[0:1]
	s_cbranch_vccnz .LBB139_23
; %bb.22:
	s_not_b64 s[0:1], s[4:5]
	s_add_u32 s0, s0, s64
	s_addc_u32 s1, s1, 0
	s_lshr_b32 s3, s1, 31
	s_add_u32 s0, s0, s3
	s_addc_u32 s1, s1, 0
	s_lshr_b64 s[0:1], s[0:1], 1
	s_add_i32 s3, s0, 1
.LBB139_23:
	s_mov_b64 s[4:5], exec
	v_readlane_b32 s0, v82, 8
	v_readlane_b32 s1, v82, 9
	s_and_b64 s[0:1], s[4:5], s[0:1]
	s_mov_b64 exec, s[0:1]
	s_cbranch_execz .LBB139_25
; %bb.24:
	v_mov_b32_e32 v2, 0
	v_mov_b32_e32 v3, s64
	ds_write_b32 v2, v2 offset:4112
	ds_write_b64 v2, v[2:3] offset:4104
.LBB139_25:
	s_or_b64 exec, exec, s[4:5]
	s_waitcnt lgkmcnt(0)
	s_barrier
	s_load_dword s0, s[8:9], 0xc
	v_mbcnt_lo_u32_b32 v1, -1, 0
	v_mbcnt_hi_u32_b32 v22, -1, v1
	v_cmp_gt_u32_e32 vcc, 64, v0
	v_cmp_gt_i32_e64 s[6:7], 4, v22
	s_waitcnt lgkmcnt(0)
	s_and_b32 s67, s0, 0xffff
	s_add_i32 s1, s67, -1
	s_lshl_b32 s68, s67, 2
	s_and_b64 s[78:79], vcc, s[6:7]
	s_add_i32 s11, s1, s64
	s_cmpk_gt_u32 s64, 0x600
	s_cselect_b64 s[12:13], -1, 0
	s_cmp_gt_u32 s67, 63
	s_cselect_b64 s[82:83], -1, 0
	s_cmp_lt_u32 s2, s10
	v_writelane_b32 v82, s1, 10
	s_cselect_b32 s1, 12, 18
	v_writelane_b32 v82, s12, 11
	v_lshlrev_b64 v[2:3], v22, -1
	s_add_u32 s8, s8, s1
	v_writelane_b32 v82, s13, 12
	v_not_b32_e32 v18, v2
	v_lshrrev_b32_e32 v2, 2, v0
	s_addc_u32 s9, s9, 0
	v_and_b32_e32 v2, 0xf0, v2
	v_writelane_b32 v82, s8, 13
	v_or_b32_e32 v25, 0xc00, v2
	v_add_u32_e32 v2, 2, v0
	v_writelane_b32 v82, s9, 14
	s_bfe_u32 s9, s0, 0xa0006
	v_max_u32_e32 v2, s64, v2
	s_add_i32 s2, s9, -2
	v_xad_u32 v2, v0, -1, v2
	s_lshr_b32 s0, s2, 1
	v_not_b32_e32 v1, v3
	v_add_u32_e32 v3, -4, v2
	s_add_i32 s8, s0, 1
	v_cmp_lt_u32_e64 s[0:1], 31, v2
	v_lshrrev_b32_e32 v5, 2, v3
	v_add_u32_e32 v5, 1, v5
	v_writelane_b32 v82, s0, 15
	v_cmp_lt_u32_e64 s[12:13], 11, v3
	v_and_b32_e32 v6, 3, v5
	v_writelane_b32 v82, s1, 16
	v_writelane_b32 v82, s12, 17
	v_and_b32_e32 v26, -4, v2
	s_cmpk_gt_u32 s67, 0x7f
	v_writelane_b32 v82, s13, 18
	v_cmp_ne_u32_e64 s[12:13], 0, v6
	v_lshlrev_b32_e32 v19, 2, v0
	v_mov_b32_e32 v15, 0
	v_writelane_b32 v82, s12, 19
	s_mov_b32 s14, 0
	v_lshlrev_b32_e32 v23, 1, v0
	v_writelane_b32 v82, s13, 20
	v_cmp_ne_u32_e64 s[12:13], v2, v26
	v_cvt_f32_u32_e32 v2, s68
	v_mul_lo_u32 v12, s66, v0
	v_writelane_b32 v82, s12, 21
	v_mov_b32_e32 v13, v15
	v_rcp_iflag_f32_e32 v2, v2
	v_writelane_b32 v82, s13, 22
	s_cselect_b64 s[12:13], -1, 0
	v_writelane_b32 v82, s12, 23
	s_and_b32 s10, s9, 0x3fe
	v_mul_f32_e32 v2, 0x4f7ffffe, v2
	v_writelane_b32 v82, s13, 24
	s_and_b32 s12, s8, 7
	s_cmp_gt_u32 s2, 13
	s_cselect_b64 s[16:17], -1, 0
	v_writelane_b32 v82, s16, 25
	s_and_b32 s2, s8, -8
	s_cmp_lg_u32 s12, 0
	v_writelane_b32 v82, s17, 26
	v_writelane_b32 v82, s2, 27
	;; [unrolled: 1-line block ×3, first 2 shown]
	s_cselect_b64 s[12:13], -1, 0
	v_writelane_b32 v82, s12, 29
	v_cvt_u32_f32_e32 v2, v2
	s_cmp_lg_u32 s10, s9
	v_writelane_b32 v82, s13, 30
	v_writelane_b32 v82, s9, 31
	;; [unrolled: 1-line block ×3, first 2 shown]
	s_cselect_b64 s[8:9], -1, 0
	v_writelane_b32 v82, s8, 33
	s_sub_i32 s2, 0, s68
	v_lshlrev_b32_e32 v4, 2, v22
	v_writelane_b32 v82, s9, 34
	v_readfirstlane_b32 s8, v2
	v_cvt_f32_u32_e32 v2, s67
	s_mul_i32 s2, s2, s8
	s_mul_hi_u32 s2, s8, s2
	s_add_i32 s84, s8, s2
	v_rcp_iflag_f32_e32 v2, v2
	s_mul_hi_u32 s2, s64, s84
	s_mul_i32 s2, s2, s68
	s_sub_i32 s2, s64, s2
	s_sub_i32 s8, s2, s68
	v_mul_f32_e32 v2, 0x4f7ffffe, v2
	s_cmp_ge_u32 s2, s68
	v_cvt_u32_f32_e32 v2, v2
	s_cselect_b32 s2, s8, s2
	s_sub_i32 s8, s2, s68
	s_cmp_ge_u32 s2, s68
	s_cselect_b32 s2, s8, s2
	s_sub_i32 s8, 0, s67
	v_readfirstlane_b32 s9, v2
	s_mul_i32 s8, s8, s9
	s_mul_hi_u32 s8, s9, s8
	s_add_i32 s8, s9, s8
	v_writelane_b32 v82, s8, 35
	s_mul_hi_u32 s8, s11, s8
	s_mul_i32 s8, s8, s67
	s_sub_i32 s8, s11, s8
	s_sub_i32 s85, s64, s2
	;; [unrolled: 1-line block ×3, first 2 shown]
	s_cmp_ge_u32 s8, s67
	s_cselect_b32 s8, s9, s8
	s_sub_i32 s9, s8, s67
	s_cmp_ge_u32 s8, s67
	s_cselect_b32 s8, s9, s8
	s_sub_i32 s87, s11, s8
	v_cmp_gt_u32_e64 s[8:9], s87, v0
	v_mul_lo_u32 v2, s66, v19
	v_add_u32_e32 v31, s66, v2
	v_writelane_b32 v82, s8, 36
	v_or_b32_e32 v2, 2, v19
	v_mul_lo_u32 v32, s66, v2
	v_writelane_b32 v82, s9, 37
	v_or_b32_e32 v2, 3, v19
	s_add_i32 s8, s67, s64
	v_add_u32_e32 v29, s85, v0
	v_mul_lo_u32 v33, s66, v2
	v_add_u32_e32 v2, s8, v0
	v_mul_lo_u32 v14, v29, s66
	s_mul_i32 s90, s66, s67
	v_subrev_u32_e32 v2, s2, v2
	s_mov_b32 s70, 0xffff
	s_mov_b32 s15, 1
	v_cmp_eq_u32_e64 s[4:5], 0, v22
	v_cmp_gt_u32_e64 s[6:7], 2, v0
	v_add_u32_e32 v24, 0xc00, v23
	v_lshl_add_u64 v[16:17], v[12:13], 1, v[10:11]
	v_and_b32_e32 v13, 0x100, v4
	v_add_u32_e32 v27, v0, v26
	s_mov_b32 s93, s66
	s_mov_b32 s0, s66
	;; [unrolled: 1-line block ×4, first 2 shown]
	v_and_b32_e32 v28, 0x7ffffffc, v5
	v_cmp_gt_u32_e64 s[16:17], s85, v19
	v_cmp_gt_u32_e64 s[18:19], s64, v29
	v_lshl_add_u64 v[20:21], v[14:15], 1, v[10:11]
	v_lshlrev_b32_e32 v30, 3, v6
	s_lshl_b32 s20, s90, 2
	v_lshlrev_b32_e32 v34, 2, v12
	v_mul_lo_u32 v36, s66, v2
	v_lshlrev_b32_e32 v37, 3, v0
	s_lshl_b32 s21, s67, 3
	s_lshl_b32 s80, s67, 1
	v_or_b32_e32 v38, 0xc00, v4
	s_mov_b64 s[94:95], 0
	v_mov_b32_e32 v39, 14
	v_mov_b32_e32 v47, s3
	s_mov_b32 s81, 0x5040100
	v_mov_b32_e32 v52, s64
	s_movk_i32 s24, 0x3f80
	v_mov_b32_e32 v40, 0xffff
	v_mov_b32_e32 v41, 0x8000
	v_mov_b32_e32 v42, -1
	v_mov_b32_e32 v43, 0xc00
	v_mov_b32_e32 v44, 0x5040100
	;; [unrolled: 1-line block ×3, first 2 shown]
	s_mov_b32 s25, s14
	v_mov_b32_e32 v35, 0
	v_mov_b32_e32 v45, 0
                                        ; implicit-def: $sgpr96_sgpr97
                                        ; implicit-def: $sgpr72_sgpr73
                                        ; implicit-def: $sgpr98_sgpr99
                                        ; implicit-def: $sgpr10_sgpr11
                                        ; implicit-def: $sgpr12_sgpr13
                                        ; implicit-def: $sgpr14_sgpr15
	s_branch .LBB139_29
.LBB139_26:                             ;   in Loop: Header=BB139_29 Depth=1
	s_or_b64 exec, exec, s[34:35]
	s_and_b64 s[26:27], s[26:27], exec
	s_andn2_b64 s[30:31], s[30:31], exec
	s_andn2_b64 s[28:29], s[28:29], exec
	s_orn2_b64 s[22:23], s[22:23], exec
.LBB139_27:                             ;   in Loop: Header=BB139_29 Depth=1
	s_or_b64 exec, exec, s[8:9]
	s_andn2_b64 s[8:9], s[14:15], exec
	s_and_b64 s[14:15], s[26:27], exec
	s_or_b64 s[14:15], s[8:9], s[14:15]
	s_andn2_b64 s[8:9], s[12:13], exec
	s_and_b64 s[12:13], s[30:31], exec
	s_or_b64 s[12:13], s[8:9], s[12:13]
	s_andn2_b64 s[8:9], s[10:11], exec
	s_and_b64 s[10:11], s[28:29], exec
	s_or_b64 s[10:11], s[8:9], s[10:11]
	s_orn2_b64 s[22:23], s[22:23], exec
.LBB139_28:                             ;   in Loop: Header=BB139_29 Depth=1
	s_or_b64 exec, exec, s[2:3]
	s_and_b64 s[2:3], exec, s[22:23]
	s_or_b64 s[94:95], s[2:3], s[94:95]
	s_andn2_b64 s[2:3], s[98:99], exec
	s_and_b64 s[8:9], s[14:15], exec
	s_or_b64 s[98:99], s[2:3], s[8:9]
	s_andn2_b64 s[2:3], s[72:73], exec
	s_and_b64 s[8:9], s[12:13], exec
	;; [unrolled: 3-line block ×3, first 2 shown]
	s_or_b64 s[96:97], s[2:3], s[8:9]
	s_mov_b32 s25, s36
	v_mov_b32_e32 v47, v5
	s_andn2_b64 exec, exec, s[94:95]
	s_cbranch_execz .LBB139_268
.LBB139_29:                             ; =>This Loop Header: Depth=1
                                        ;     Child Loop BB139_34 Depth 2
                                        ;     Child Loop BB139_55 Depth 2
	;; [unrolled: 1-line block ×19, first 2 shown]
	ds_read_b64 v[2:3], v15 offset:4104
	s_waitcnt lgkmcnt(0)
	v_readfirstlane_b32 s91, v2
	s_cmp_lg_u32 s91, 0
	s_cbranch_scc1 .LBB139_74
; %bb.30:                               ;   in Loop: Header=BB139_29 Depth=1
	v_readlane_b32 s2, v82, 11
	v_readlane_b32 s3, v82, 12
	s_and_b64 vcc, exec, s[2:3]
	s_cbranch_vccz .LBB139_42
; %bb.31:                               ;   in Loop: Header=BB139_29 Depth=1
	s_movk_i32 s2, 0x601
	v_cmp_gt_u32_e32 vcc, s2, v3
	s_mov_b64 s[8:9], 0
	s_mov_b64 s[2:3], 0
	s_cbranch_vccz .LBB139_43
; %bb.32:                               ;   in Loop: Header=BB139_29 Depth=1
	v_readlane_b32 s2, v82, 13
	v_readlane_b32 s3, v82, 14
	s_nop 4
	global_load_ushort v2, v15, s[2:3]
	global_load_ushort v4, v[16:17], off
	s_mov_b64 s[26:27], 0
	s_waitcnt vmcnt(1)
	v_add_u32_e32 v5, v0, v2
	v_mul_lo_u32 v3, s66, v2
	v_mul_lo_u32 v14, s66, v5
	v_mov_b32_e32 v5, v0
	s_branch .LBB139_34
.LBB139_33:                             ;   in Loop: Header=BB139_34 Depth=2
	s_or_b64 exec, exec, s[2:3]
	v_add_u32_e32 v14, v14, v3
	v_mov_b32_e32 v4, v6
	s_andn2_b64 exec, exec, s[26:27]
	s_cbranch_execz .LBB139_49
.LBB139_34:                             ;   Parent Loop BB139_29 Depth=1
                                        ; =>  This Inner Loop Header: Depth=2
	v_add_u32_e32 v5, v5, v2
	v_cmp_gt_u32_e64 s[2:3], s64, v5
	v_cmp_le_u32_e32 vcc, s64, v5
	s_waitcnt lgkmcnt(0)
	v_mov_b32_e32 v7, 0
	v_mov_b32_e32 v6, 0
	s_and_saveexec_b64 s[22:23], s[2:3]
	s_cbranch_execz .LBB139_36
; %bb.35:                               ;   in Loop: Header=BB139_34 Depth=2
	v_lshl_add_u64 v[8:9], v[14:15], 1, v[10:11]
	global_load_ushort v6, v[8:9], off
.LBB139_36:                             ;   in Loop: Header=BB139_34 Depth=2
	s_or_b64 exec, exec, s[22:23]
	s_waitcnt vmcnt(0)
	v_cmp_lt_i16_e64 s[2:3], -1, v4
	v_lshlrev_b32_e32 v9, 16, v4
	s_nop 0
	v_cndmask_b32_e64 v8, v40, v41, s[2:3]
	v_xor_b32_sdwa v8, v8, v4 dst_sel:DWORD dst_unused:UNUSED_PAD src0_sel:DWORD src1_sel:WORD_0
	v_cmp_o_f32_e64 s[2:3], v9, v9
	s_nop 1
	v_cndmask_b32_e64 v8, v40, v8, s[2:3]
	v_and_b32_e32 v8, v8, v45
	v_cmp_eq_u32_e64 s[22:23], v8, v35
	s_cmp_lg_u64 s[22:23], 0
	s_cselect_b64 s[2:3], -1, 0
	s_and_b64 s[2:3], s[4:5], s[2:3]
	s_and_saveexec_b64 s[28:29], s[2:3]
	s_cbranch_execz .LBB139_40
; %bb.37:                               ;   in Loop: Header=BB139_34 Depth=2
	s_mov_b64 s[34:35], exec
	v_mbcnt_lo_u32_b32 v7, s34, 0
	v_mbcnt_hi_u32_b32 v7, s35, v7
	s_bcnt1_i32_b64 s36, s[22:23]
	v_cmp_eq_u32_e64 s[2:3], 0, v7
                                        ; implicit-def: $vgpr8
	s_and_saveexec_b64 s[30:31], s[2:3]
; %bb.38:                               ;   in Loop: Header=BB139_34 Depth=2
	s_bcnt1_i32_b64 s2, s[34:35]
	s_mul_i32 s2, s36, s2
	v_mov_b32_e32 v8, s2
	ds_add_rtn_u32 v8, v15, v8 offset:4112
; %bb.39:                               ;   in Loop: Header=BB139_34 Depth=2
	s_or_b64 exec, exec, s[30:31]
	s_waitcnt lgkmcnt(0)
	v_readfirstlane_b32 s2, v8
	s_nop 1
	v_mov_b32_e32 v8, s2
	v_mad_u32_u24 v7, s36, v7, v8
.LBB139_40:                             ;   in Loop: Header=BB139_34 Depth=2
	s_or_b64 exec, exec, s[28:29]
	ds_bpermute_b32 v7, v13, v7
	s_and_b64 s[2:3], exec, vcc
	s_or_b64 s[26:27], s[2:3], s[26:27]
	s_and_saveexec_b64 s[2:3], s[22:23]
	s_cbranch_execz .LBB139_33
; %bb.41:                               ;   in Loop: Header=BB139_34 Depth=2
	v_and_b32_e32 v9, s22, v18
	v_and_b32_e32 v8, s23, v1
	v_bcnt_u32_b32 v9, v9, 0
	v_bcnt_u32_b32 v8, v8, v9
	v_lshlrev_b32_e32 v8, 1, v8
	s_waitcnt lgkmcnt(0)
	v_lshl_add_u32 v7, v7, 1, v8
	ds_write_b16 v7, v4
	s_branch .LBB139_33
.LBB139_42:                             ;   in Loop: Header=BB139_29 Depth=1
	s_mov_b64 s[8:9], -1
	s_mov_b64 s[2:3], 0
.LBB139_43:                             ;   in Loop: Header=BB139_29 Depth=1
	s_and_b64 vcc, exec, s[8:9]
	s_cbranch_vccz .LBB139_72
.LBB139_44:                             ;   in Loop: Header=BB139_29 Depth=1
	s_mov_b64 s[22:23], exec
	v_readlane_b32 s2, v82, 6
	v_readlane_b32 s3, v82, 7
	s_and_b64 s[2:3], s[22:23], s[2:3]
	s_mov_b64 exec, s[2:3]
	s_cbranch_execz .LBB139_69
; %bb.45:                               ;   in Loop: Header=BB139_29 Depth=1
	v_readlane_b32 s2, v82, 13
	v_readlane_b32 s3, v82, 14
	s_nop 4
	global_load_ushort v2, v15, s[2:3]
	global_load_ushort v48, v[16:17], off
	v_mov_b32_e32 v3, v0
	s_waitcnt vmcnt(1)
	v_readfirstlane_b32 s34, v2
	v_add_u32_e32 v2, v0, v2
	v_cmp_gt_u32_e32 vcc, s64, v2
	s_and_saveexec_b64 s[26:27], vcc
	s_cbranch_execz .LBB139_68
; %bb.46:                               ;   in Loop: Header=BB139_29 Depth=1
	v_readlane_b32 s28, v82, 15
	s_mov_b64 s[2:3], 0
	s_mul_i32 s35, s66, s34
	v_readlane_b32 s29, v82, 16
                                        ; implicit-def: $vgpr3
                                        ; implicit-def: $vgpr4
                                        ; implicit-def: $vgpr5
	s_and_saveexec_b64 s[8:9], s[28:29]
	s_xor_b64 s[28:29], exec, s[8:9]
	s_cbranch_execnz .LBB139_52
; %bb.47:                               ;   in Loop: Header=BB139_29 Depth=1
	s_andn2_saveexec_b64 s[8:9], s[28:29]
	s_cbranch_execnz .LBB139_63
.LBB139_48:                             ;   in Loop: Header=BB139_29 Depth=1
	s_or_b64 exec, exec, s[8:9]
	s_and_saveexec_b64 s[8:9], s[2:3]
	s_cbranch_execnz .LBB139_64
	s_branch .LBB139_67
.LBB139_49:                             ;   in Loop: Header=BB139_29 Depth=1
	s_or_b64 exec, exec, s[26:27]
	s_waitcnt lgkmcnt(0)
	s_barrier
	s_mov_b64 s[2:3], exec
	v_readlane_b32 s22, v82, 8
	v_readlane_b32 s23, v82, 9
	s_and_b64 s[22:23], s[2:3], s[22:23]
	s_mov_b64 exec, s[22:23]
	s_cbranch_execz .LBB139_51
; %bb.50:                               ;   in Loop: Header=BB139_29 Depth=1
	ds_read_b32 v2, v15 offset:4112
	s_waitcnt lgkmcnt(0)
	ds_write_b32 v15, v2 offset:4104
.LBB139_51:                             ;   in Loop: Header=BB139_29 Depth=1
	s_or_b64 exec, exec, s[2:3]
	s_waitcnt lgkmcnt(0)
	s_barrier
	s_mov_b64 s[2:3], -1
	s_and_b64 vcc, exec, s[8:9]
	s_cbranch_vccnz .LBB139_44
	s_branch .LBB139_72
.LBB139_52:                             ;   in Loop: Header=BB139_29 Depth=1
	v_cvt_f32_u32_e32 v3, s34
	v_add_u32_e32 v4, s34, v2
	v_max_u32_e32 v4, s64, v4
	s_lshl_b32 s2, s34, 1
	v_rcp_iflag_f32_e32 v3, v3
	v_sub_u32_e32 v4, v4, v0
	v_cmp_ne_u32_e32 vcc, s2, v4
	s_sub_i32 s3, 0, s34
	v_mul_f32_e32 v3, 0x4f7ffffe, v3
	v_cvt_u32_f32_e32 v3, v3
	v_cndmask_b32_e64 v5, 0, 1, vcc
	v_or_b32_e32 v5, s2, v5
	v_sub_u32_e32 v4, v4, v5
	v_mul_lo_u32 v5, s3, v3
	v_mul_hi_u32 v5, v3, v5
	v_add_u32_e32 v3, v3, v5
	v_mul_hi_u32 v3, v4, v3
	v_mul_lo_u32 v5, v3, s34
	v_sub_u32_e32 v4, v4, v5
	v_add_u32_e32 v5, 1, v3
	v_cmp_le_u32_e64 s[2:3], s34, v4
	s_nop 1
	v_cndmask_b32_e64 v3, v3, v5, s[2:3]
	v_subrev_u32_e32 v5, s34, v4
	v_cndmask_b32_e64 v4, v4, v5, s[2:3]
	v_add_u32_e32 v5, 1, v3
	v_cmp_le_u32_e64 s[2:3], s34, v4
	v_mul_lo_u32 v4, s66, v2
	s_nop 0
	v_cndmask_b32_e64 v3, v3, v5, s[2:3]
	v_addc_co_u32_e32 v3, vcc, 0, v3, vcc
	s_abs_i32 s2, s35
	v_mul_hi_u32 v5, s2, v3
	v_mul_lo_u32 v3, s2, v3
	s_not_b32 s2, s35
	s_ashr_i32 s2, s2, 31
	s_cmp_eq_u32 s34, 1
	v_cmp_eq_u32_e32 vcc, 0, v5
	v_xor_b32_e32 v4, s2, v4
	s_cselect_b64 s[8:9], -1, 0
	v_cmp_le_u32_e64 s[2:3], v3, v4
	s_and_b64 s[8:9], vcc, s[8:9]
	s_and_b64 s[30:31], s[8:9], s[2:3]
	s_mov_b64 s[8:9], -1
	v_mov_b32_e32 v4, v0
                                        ; implicit-def: $vgpr3
	s_and_saveexec_b64 s[2:3], s[30:31]
	s_cbranch_execz .LBB139_62
; %bb.53:                               ;   in Loop: Header=BB139_29 Depth=1
	v_add_u32_e32 v5, 3, v2
	v_add_u32_e32 v4, 2, v2
	;; [unrolled: 1-line block ×3, first 2 shown]
	v_mov_b64_e32 v[8:9], v[4:5]
	s_waitcnt vmcnt(0)
	v_lshlrev_b32_e32 v49, 16, v48
	v_mov_b32_e32 v14, 0
	v_mov_b64_e32 v[6:7], v[2:3]
                                        ; implicit-def: $vgpr48
	s_mov_b64 s[8:9], exec
	v_readlane_b32 s30, v82, 17
	v_readlane_b32 s31, v82, 18
	s_and_b64 s[30:31], s[8:9], s[30:31]
	s_mov_b64 exec, s[30:31]
	s_cbranch_execz .LBB139_57
; %bb.54:                               ;   in Loop: Header=BB139_29 Depth=1
	v_mov_b64_e32 v[8:9], v[4:5]
	s_mov_b32 s36, 0
	s_mov_b64 s[30:31], 0
	v_mov_b32_e32 v50, v28
	v_mov_b32_e32 v51, v23
	v_mov_b64_e32 v[6:7], v[2:3]
.LBB139_55:                             ;   Parent Loop BB139_29 Depth=1
                                        ; =>  This Inner Loop Header: Depth=2
	v_mul_lo_u32 v14, v6, s93
	v_add_u32_e32 v3, 4, v6
	v_add_u32_e32 v48, 4, v7
	;; [unrolled: 1-line block ×4, first 2 shown]
	v_mul_lo_u32 v4, v9, s92
	v_mul_lo_u32 v56, v7, s0
	v_mov_b32_e32 v57, v15
	v_mov_b32_e32 v5, v15
	;; [unrolled: 1-line block ×4, first 2 shown]
	v_add_u32_e32 v80, 8, v6
	v_lshl_add_u64 v[76:77], v[14:15], 1, v[10:11]
	v_mul_lo_u32 v62, v58, s92
	v_mul_lo_u32 v60, v53, s1
	;; [unrolled: 1-line block ×5, first 2 shown]
	v_mov_b32_e32 v55, v15
	v_mov_b32_e32 v63, v15
	v_add_u32_e32 v64, 8, v7
	v_add_u32_e32 v81, 12, v6
	v_lshl_add_u64 v[56:57], v[56:57], 1, v[10:11]
	v_lshl_add_u64 v[4:5], v[4:5], 1, v[10:11]
	v_lshl_add_u64 v[78:79], v[14:15], 1, v[10:11]
	v_lshl_add_u64 v[58:59], v[58:59], 1, v[10:11]
	v_lshl_add_u64 v[60:61], v[60:61], 1, v[10:11]
	v_mul_lo_u32 v14, v80, s93
	v_add_u32_e32 v66, 8, v8
	v_add_u32_e32 v68, 8, v9
	v_mov_b32_e32 v65, v15
	v_add_u32_e32 v70, 12, v7
	v_add_u32_e32 v72, 12, v8
	v_add_u32_e32 v74, 12, v9
	v_lshl_add_u64 v[54:55], v[54:55], 1, v[10:11]
	v_mul_lo_u32 v64, v64, s0
	v_lshl_add_u64 v[62:63], v[62:63], 1, v[10:11]
	global_load_ushort v3, v[76:77], off
	global_load_ushort v53, v[56:57], off
	s_nop 0
	global_load_ushort v56, v[54:55], off
	global_load_ushort v76, v[4:5], off
	;; [unrolled: 1-line block ×4, first 2 shown]
	s_nop 0
	global_load_ushort v58, v[60:61], off
	s_nop 0
	global_load_ushort v60, v[62:63], off
	v_lshl_add_u64 v[4:5], v[14:15], 1, v[10:11]
	v_mul_lo_u32 v14, v81, s93
	v_mov_b32_e32 v67, v15
	v_mov_b32_e32 v69, v15
	;; [unrolled: 1-line block ×5, first 2 shown]
	v_mul_lo_u32 v68, v68, s92
	v_mul_lo_u32 v66, v66, s1
	;; [unrolled: 1-line block ×5, first 2 shown]
	v_lshl_add_u64 v[64:65], v[64:65], 1, v[10:11]
	v_lshl_add_u64 v[54:55], v[14:15], 1, v[10:11]
	;; [unrolled: 1-line block ×7, first 2 shown]
	global_load_ushort v59, v[64:65], off
	global_load_ushort v61, v[66:67], off
	;; [unrolled: 1-line block ×4, first 2 shown]
	s_nop 0
	global_load_ushort v64, v[72:73], off
	global_load_ushort v48, v[74:75], off
	;; [unrolled: 1-line block ×3, first 2 shown]
	s_nop 0
	global_load_ushort v4, v[4:5], off
	v_add_u32_e32 v50, -4, v50
	s_add_i32 s36, s36, 16
	v_cmp_eq_u32_e32 vcc, 0, v50
	v_add_u32_e32 v9, 16, v9
	v_add_u32_e32 v8, 16, v8
	;; [unrolled: 1-line block ×4, first 2 shown]
	v_mov_b32_e32 v14, s36
	s_or_b64 s[30:31], vcc, s[30:31]
	s_waitcnt vmcnt(15)
	v_alignbit_b32 v54, v3, v49, 16
	s_waitcnt vmcnt(13)
	v_perm_b32 v55, v56, v53, s81
	s_waitcnt vmcnt(11)
	v_perm_b32 v56, v77, v76, s81
	s_waitcnt vmcnt(9)
	v_perm_b32 v57, v58, v57, s81
	ds_write_b128 v51, v[54:57]
	s_waitcnt vmcnt(6)
	v_perm_b32 v59, v61, v59, s81
	s_waitcnt vmcnt(3)
	v_perm_b32 v61, v64, v63, s81
	;; [unrolled: 2-line block ×4, first 2 shown]
	v_perm_b32 v60, v65, v62, s81
	ds_write_b128 v51, v[58:61] offset:16
	v_add_u32_e32 v51, 32, v51
	s_andn2_b64 exec, exec, s[30:31]
	s_cbranch_execnz .LBB139_55
; %bb.56:                               ;   in Loop: Header=BB139_29 Depth=1
	s_or_b64 exec, exec, s[30:31]
.LBB139_57:                             ;   in Loop: Header=BB139_29 Depth=1
	s_or_b64 exec, exec, s[8:9]
	s_mov_b64 s[8:9], exec
	v_readlane_b32 s30, v82, 19
	v_readlane_b32 s31, v82, 20
	s_and_b64 s[30:31], s[8:9], s[30:31]
	s_mov_b64 exec, s[30:31]
	s_cbranch_execz .LBB139_61
; %bb.58:                               ;   in Loop: Header=BB139_29 Depth=1
	v_lshl_add_u32 v3, v14, 1, v23
	s_mov_b64 s[30:31], 0
	v_mov_b32_e32 v4, v30
.LBB139_59:                             ;   Parent Loop BB139_29 Depth=1
                                        ; =>  This Inner Loop Header: Depth=2
	v_mul_lo_u32 v50, v9, s92
	v_mul_lo_u32 v54, v8, s1
	v_mov_b32_e32 v55, v15
	v_mov_b32_e32 v51, v15
	v_mul_lo_u32 v56, v7, s0
	v_mul_lo_u32 v14, v6, s93
	v_mov_b32_e32 v57, v15
	v_lshl_add_u64 v[54:55], v[54:55], 1, v[10:11]
	v_lshl_add_u64 v[50:51], v[50:51], 1, v[10:11]
	;; [unrolled: 1-line block ×4, first 2 shown]
	global_load_ushort v5, v[54:55], off
	global_load_ushort v48, v[50:51], off
	;; [unrolled: 1-line block ×3, first 2 shown]
	s_nop 0
	global_load_ushort v50, v[58:59], off
	v_add_u32_e32 v4, -8, v4
	v_cmp_eq_u32_e32 vcc, 0, v4
	v_add_u32_e32 v9, 4, v9
	v_add_u32_e32 v8, 4, v8
	;; [unrolled: 1-line block ×4, first 2 shown]
	s_or_b64 s[30:31], vcc, s[30:31]
	s_waitcnt vmcnt(2)
	v_perm_b32 v53, v48, v5, s81
	s_waitcnt vmcnt(1)
	v_perm_b32 v51, v5, v14, s81
	s_waitcnt vmcnt(0)
	v_alignbit_b32 v50, v50, v49, 16
	ds_write_b64 v3, v[50:51]
	v_add_u32_e32 v3, 8, v3
	v_mov_b32_e32 v49, v53
	s_andn2_b64 exec, exec, s[30:31]
	s_cbranch_execnz .LBB139_59
; %bb.60:                               ;   in Loop: Header=BB139_29 Depth=1
	s_or_b64 exec, exec, s[30:31]
.LBB139_61:                             ;   in Loop: Header=BB139_29 Depth=1
	s_or_b64 exec, exec, s[8:9]
	v_readlane_b32 s8, v82, 21
	v_add_u32_e32 v2, v2, v26
	v_readlane_b32 s9, v82, 22
	v_add_u32_e32 v3, -1, v2
	s_orn2_b64 s[8:9], s[8:9], exec
	v_mov_b32_e32 v4, v27
.LBB139_62:                             ;   in Loop: Header=BB139_29 Depth=1
	s_or_b64 exec, exec, s[2:3]
	v_mov_b32_e32 v5, s35
	s_and_b64 s[2:3], s[8:9], exec
	s_andn2_saveexec_b64 s[8:9], s[28:29]
	s_cbranch_execz .LBB139_48
.LBB139_63:                             ;   in Loop: Header=BB139_29 Depth=1
	v_mov_b32_e32 v5, s35
	s_or_b64 s[2:3], s[2:3], exec
	v_mov_b32_e32 v4, v0
	s_or_b64 exec, exec, s[8:9]
	s_and_saveexec_b64 s[8:9], s[2:3]
	s_cbranch_execz .LBB139_67
.LBB139_64:                             ;   in Loop: Header=BB139_29 Depth=1
	s_sub_i32 s28, 0, s34
	v_mul_lo_u32 v14, s66, v2
	s_mov_b64 s[2:3], 0
.LBB139_65:                             ;   Parent Loop BB139_29 Depth=1
                                        ; =>  This Inner Loop Header: Depth=2
	v_lshl_add_u64 v[6:7], v[14:15], 1, v[10:11]
	s_waitcnt vmcnt(0)
	v_mov_b32_e32 v3, v48
	global_load_ushort v48, v[6:7], off
	v_mov_b32_e32 v6, v2
	v_lshlrev_b32_e32 v2, 1, v4
	ds_write_b16 v2, v3
	v_add_u32_e32 v2, s34, v6
	v_cmp_le_u32_e32 vcc, s64, v2
	v_add_u32_e32 v14, v14, v5
	s_or_b64 s[2:3], vcc, s[2:3]
	v_mov_b32_e32 v4, v6
	s_andn2_b64 exec, exec, s[2:3]
	s_cbranch_execnz .LBB139_65
; %bb.66:                               ;   in Loop: Header=BB139_29 Depth=1
	s_or_b64 exec, exec, s[2:3]
	v_add_u32_e32 v3, s28, v2
.LBB139_67:                             ;   in Loop: Header=BB139_29 Depth=1
	s_or_b64 exec, exec, s[8:9]
.LBB139_68:                             ;   in Loop: Header=BB139_29 Depth=1
	s_or_b64 exec, exec, s[26:27]
	v_lshlrev_b32_e32 v2, 1, v3
	s_waitcnt vmcnt(0)
	ds_write_b16 v2, v48
.LBB139_69:                             ;   in Loop: Header=BB139_29 Depth=1
	s_or_b64 exec, exec, s[22:23]
	s_waitcnt lgkmcnt(0)
	s_barrier
	s_mov_b64 s[2:3], exec
	v_readlane_b32 s8, v82, 8
	v_readlane_b32 s9, v82, 9
	s_and_b64 s[8:9], s[2:3], s[8:9]
	s_mov_b64 exec, s[8:9]
; %bb.70:                               ;   in Loop: Header=BB139_29 Depth=1
	ds_write_b32 v15, v52 offset:4104
; %bb.71:                               ;   in Loop: Header=BB139_29 Depth=1
	s_or_b64 exec, exec, s[2:3]
	s_mov_b64 s[2:3], -1
	s_waitcnt lgkmcnt(0)
	s_barrier
.LBB139_72:                             ;   in Loop: Header=BB139_29 Depth=1
	s_mov_b32 s91, 0
	s_and_b64 vcc, exec, s[2:3]
	s_cbranch_vccz .LBB139_74
; %bb.73:                               ;   in Loop: Header=BB139_29 Depth=1
	ds_read_b32 v2, v15 offset:4104
	s_waitcnt lgkmcnt(0)
	v_readfirstlane_b32 s91, v2
.LBB139_74:                             ;   in Loop: Header=BB139_29 Depth=1
	s_cmp_lt_i32 s91, 1
	s_mov_b64 s[2:3], -1
                                        ; implicit-def: $vgpr4_vgpr5
	s_cbranch_scc1 .LBB139_84
; %bb.75:                               ;   in Loop: Header=BB139_29 Depth=1
	s_and_b64 vcc, exec, s[2:3]
	s_cbranch_vccnz .LBB139_95
.LBB139_76:                             ;   in Loop: Header=BB139_29 Depth=1
	s_lshl_b32 s22, s25, 6
	s_and_saveexec_b64 s[2:3], s[4:5]
.LBB139_77:                             ;   in Loop: Header=BB139_29 Depth=1
	v_lshl_add_u32 v6, s22, 2, v25
	ds_write_b128 v6, v[2:5]
.LBB139_78:                             ;   in Loop: Header=BB139_29 Depth=1
	s_or_b64 exec, exec, s[2:3]
	s_waitcnt lgkmcnt(0)
	s_barrier
	s_and_saveexec_b64 s[2:3], s[78:79]
	s_cbranch_execz .LBB139_112
; %bb.79:                               ;   in Loop: Header=BB139_29 Depth=1
	v_add_u32_e32 v4, s22, v22
	s_andn2_b64 vcc, exec, s[82:83]
	v_mov_b32_e32 v2, 0
	s_cbranch_vccnz .LBB139_111
; %bb.80:                               ;   in Loop: Header=BB139_29 Depth=1
	v_readlane_b32 s8, v82, 23
	v_readlane_b32 s9, v82, 24
	s_andn2_b64 vcc, exec, s[8:9]
	s_cbranch_vccnz .LBB139_104
; %bb.81:                               ;   in Loop: Header=BB139_29 Depth=1
	v_readlane_b32 s8, v82, 25
	v_readlane_b32 s9, v82, 26
	s_andn2_b64 vcc, exec, s[8:9]
	v_lshl_add_u32 v5, v4, 2, v43
	s_cbranch_vccnz .LBB139_105
; %bb.82:                               ;   in Loop: Header=BB139_29 Depth=1
	s_mov_b32 s9, 1
	s_mov_b32 s8, 0
	v_mov_b32_e32 v2, 0
	v_mov_b32_e32 v3, 0
	v_readlane_b32 s23, v82, 27
.LBB139_83:                             ;   Parent Loop BB139_29 Depth=1
                                        ; =>  This Inner Loop Header: Depth=2
	v_lshl_add_u32 v14, s8, 4, v5
	v_lshl_add_u32 v53, s9, 4, v5
	ds_read2_b32 v[6:7], v14 offset1:8
	ds_read2_b32 v[8:9], v53 offset1:8
	ds_read2_b32 v[48:49], v14 offset0:16 offset1:24
	ds_read2_b32 v[50:51], v53 offset0:16 offset1:24
	;; [unrolled: 1-line block ×6, first 2 shown]
	s_waitcnt lgkmcnt(7)
	v_add3_u32 v2, v6, v2, v7
	s_waitcnt lgkmcnt(6)
	v_add3_u32 v3, v8, v3, v9
	;; [unrolled: 2-line block ×3, first 2 shown]
	v_add3_u32 v2, v48, v2, v49
	s_add_i32 s9, s9, 16
	s_add_i32 s8, s8, 16
	s_add_i32 s23, s23, -8
	s_waitcnt lgkmcnt(3)
	v_add3_u32 v2, v54, v2, v55
	s_waitcnt lgkmcnt(2)
	v_add3_u32 v3, v56, v3, v57
	s_cmp_lg_u32 s23, 0
	s_waitcnt lgkmcnt(0)
	v_add3_u32 v3, v60, v3, v61
	v_add3_u32 v2, v58, v2, v59
	s_cbranch_scc1 .LBB139_83
	s_branch .LBB139_106
.LBB139_84:                             ;   in Loop: Header=BB139_29 Depth=1
	v_mov_b32_e32 v14, v15
	v_mov_b64_e32 v[4:5], v[14:15]
	v_mov_b64_e32 v[2:3], v[14:15]
	s_and_saveexec_b64 s[52:53], s[16:17]
	s_cbranch_execz .LBB139_88
; %bb.85:                               ;   in Loop: Header=BB139_29 Depth=1
	s_mov_b32 s8, 0
	s_mov_b64 s[54:55], 0
	v_mov_b32_e32 v6, v19
	s_mov_b32 s58, 0
	s_mov_b32 s59, s8
	;; [unrolled: 1-line block ×4, first 2 shown]
.LBB139_86:                             ;   Parent Loop BB139_29 Depth=1
                                        ; =>  This Inner Loop Header: Depth=2
	v_add_u32_e32 v14, s8, v34
	v_lshl_add_u64 v[2:3], v[14:15], 1, v[10:11]
	v_add_u32_e32 v14, s8, v31
	global_load_ushort v4, v[2:3], off
	v_lshl_add_u64 v[2:3], v[14:15], 1, v[10:11]
	v_add_u32_e32 v14, s8, v32
	global_load_ushort v5, v[2:3], off
	;; [unrolled: 3-line block ×3, first 2 shown]
	v_lshl_add_u64 v[2:3], v[14:15], 1, v[10:11]
	global_load_ushort v2, v[2:3], off
	v_add_u32_e32 v6, s68, v6
	v_cmp_le_u32_e32 vcc, s85, v6
	s_add_i32 s8, s8, s20
	s_waitcnt vmcnt(3)
	v_cmp_lt_i16_e64 s[2:3], -1, v4
	v_lshlrev_b32_e32 v3, 16, v4
	s_nop 0
	v_cndmask_b32_e64 v8, v40, v41, s[2:3]
	v_xor_b32_sdwa v4, v8, v4 dst_sel:DWORD dst_unused:UNUSED_PAD src0_sel:DWORD src1_sel:WORD_0
	v_cmp_o_f32_e64 s[2:3], v3, v3
	s_waitcnt vmcnt(2)
	v_cmp_lt_i16_e64 s[22:23], -1, v5
	v_lshlrev_b32_e32 v9, 16, v5
	v_cndmask_b32_e64 v4, v40, v4, s[2:3]
	v_cndmask_b32_e64 v3, v40, v41, s[22:23]
	s_waitcnt vmcnt(1)
	v_cmp_lt_i16_e64 s[2:3], -1, v7
	v_lshlrev_b32_e32 v8, 16, v7
	v_xor_b32_sdwa v3, v3, v5 dst_sel:DWORD dst_unused:UNUSED_PAD src0_sel:DWORD src1_sel:WORD_0
	v_cndmask_b32_e64 v5, v40, v41, s[2:3]
	s_waitcnt vmcnt(0)
	v_cmp_lt_i16_e64 s[2:3], -1, v2
	v_cmp_o_f32_e64 s[22:23], v9, v9
	v_xor_b32_sdwa v5, v5, v7 dst_sel:DWORD dst_unused:UNUSED_PAD src0_sel:DWORD src1_sel:WORD_0
	v_cndmask_b32_e64 v7, v40, v41, s[2:3]
	v_and_b32_e32 v14, v4, v45
	v_bfe_u32 v4, v4, v39, 2
	v_cmp_o_f32_e64 s[2:3], v8, v8
	v_cndmask_b32_e64 v3, v40, v3, s[22:23]
	v_cmp_eq_u32_e64 s[22:23], 0, v4
	v_cndmask_b32_e64 v5, v40, v5, s[2:3]
	v_cmp_eq_u32_e64 s[2:3], v14, v35
	v_lshlrev_b32_e32 v9, 16, v2
	v_xor_b32_sdwa v2, v7, v2 dst_sel:DWORD dst_unused:UNUSED_PAD src0_sel:DWORD src1_sel:WORD_0
	v_and_b32_e32 v7, v3, v45
	v_bfe_u32 v3, v3, v39, 2
	v_cmp_eq_u32_e64 s[26:27], 1, v4
	s_and_b64 s[22:23], s[2:3], s[22:23]
	v_cmp_eq_u32_e64 s[28:29], 2, v4
	v_cmp_eq_u32_e64 s[30:31], 3, v4
	v_cmp_o_f32_e64 s[34:35], v9, v9
	v_cmp_eq_u32_e64 s[36:37], 0, v3
	v_cmp_eq_u32_e64 s[38:39], 1, v3
	;; [unrolled: 1-line block ×4, first 2 shown]
	v_cndmask_b32_e64 v3, 0, 1, s[22:23]
	s_and_b64 s[22:23], s[2:3], s[26:27]
	v_cndmask_b32_e64 v2, v40, v2, s[34:35]
	v_cmp_eq_u32_e64 s[34:35], v7, v35
	v_and_b32_e32 v4, v5, v45
	v_bfe_u32 v5, v5, v39, 2
	v_cndmask_b32_e64 v7, 0, 1, s[22:23]
	s_and_b64 s[22:23], s[2:3], s[28:29]
	s_and_b64 s[2:3], s[2:3], s[30:31]
	v_cndmask_b32_e64 v8, 0, 1, s[22:23]
	v_cndmask_b32_e64 v9, 0, 1, s[2:3]
	v_cmp_eq_u32_e64 s[2:3], v4, v35
	v_and_b32_e32 v4, v2, v45
	v_bfe_u32 v2, v2, v39, 2
	v_cmp_eq_u32_e64 s[22:23], 0, v5
	s_and_b64 s[36:37], s[34:35], s[36:37]
	s_and_b64 s[38:39], s[34:35], s[38:39]
	;; [unrolled: 1-line block ×4, first 2 shown]
	v_cmp_eq_u32_e64 s[26:27], 1, v5
	v_cmp_eq_u32_e64 s[28:29], 2, v5
	;; [unrolled: 1-line block ×3, first 2 shown]
	v_cndmask_b32_e64 v5, 0, 1, s[38:39]
	v_cmp_ne_u32_e64 s[38:39], 0, v8
	v_cndmask_b32_e64 v8, 0, 1, s[34:35]
	v_cmp_eq_u32_e64 s[34:35], v4, v35
	v_cmp_eq_u32_e64 s[42:43], 0, v2
	s_and_b64 s[22:23], s[2:3], s[22:23]
	v_cmp_ne_u32_e64 s[44:45], 0, v3
	v_cndmask_b32_e64 v3, 0, 1, s[36:37]
	v_cmp_eq_u32_e64 s[46:47], 1, v2
	v_cmp_eq_u32_e64 s[48:49], 2, v2
	;; [unrolled: 1-line block ×3, first 2 shown]
	v_cndmask_b32_e64 v2, 0, 1, s[22:23]
	s_and_b64 s[26:27], s[2:3], s[26:27]
	s_and_b64 s[28:29], s[2:3], s[28:29]
	s_and_b64 s[2:3], s[2:3], s[30:31]
	s_and_b64 s[30:31], s[34:35], s[42:43]
	v_cmp_ne_u32_e64 s[36:37], 0, v7
	v_cndmask_b32_e64 v7, 0, 1, s[40:41]
	v_cmp_ne_u32_e64 s[40:41], 0, v9
	s_bcnt1_i32_b64 s9, s[44:45]
	v_cmp_ne_u32_e64 s[44:45], 0, v3
	v_cmp_ne_u32_e64 s[22:23], 0, v5
	v_cndmask_b32_e64 v3, 0, 1, s[26:27]
	v_cndmask_b32_e64 v5, 0, 1, s[2:3]
	v_cmp_ne_u32_e64 s[2:3], 0, v2
	v_cndmask_b32_e64 v2, 0, 1, s[30:31]
	s_and_b64 s[30:31], s[34:35], s[46:47]
	s_bcnt1_i32_b64 s36, s[36:37]
	s_bcnt1_i32_b64 s37, s[38:39]
	v_cmp_ne_u32_e64 s[26:27], 0, v7
	v_cndmask_b32_e64 v4, 0, 1, s[28:29]
	s_bcnt1_i32_b64 s38, s[40:41]
	s_bcnt1_i32_b64 s40, s[22:23]
	v_cmp_ne_u32_e64 s[22:23], 0, v3
	v_cndmask_b32_e64 v3, 0, 1, s[30:31]
	s_and_b64 s[30:31], s[34:35], s[48:49]
	v_cmp_ne_u32_e64 s[28:29], 0, v8
	s_bcnt1_i32_b64 s41, s[26:27]
	v_cmp_ne_u32_e64 s[26:27], 0, v4
	v_cndmask_b32_e64 v4, 0, 1, s[30:31]
	s_and_b64 s[30:31], s[34:35], s[50:51]
	s_bcnt1_i32_b64 s39, s[44:45]
	s_add_i32 s9, s58, s9
	s_add_i32 s36, s59, s36
	s_bcnt1_i32_b64 s42, s[28:29]
	v_cmp_ne_u32_e64 s[28:29], 0, v5
	v_cndmask_b32_e64 v5, 0, 1, s[30:31]
	s_add_i32 s30, s56, s37
	s_add_i32 s31, s57, s38
	s_bcnt1_i32_b64 s34, s[2:3]
	v_cmp_ne_u32_e64 s[2:3], 0, v2
	s_bcnt1_i32_b64 s35, s[22:23]
	v_cmp_ne_u32_e64 s[22:23], 0, v3
	s_add_i32 s36, s36, s40
	s_add_i32 s9, s9, s39
	s_bcnt1_i32_b64 s37, s[26:27]
	v_cmp_ne_u32_e64 s[26:27], 0, v4
	s_bcnt1_i32_b64 s38, s[28:29]
	v_cmp_ne_u32_e64 s[28:29], 0, v5
	s_add_i32 s31, s31, s42
	s_add_i32 s30, s30, s41
	s_bcnt1_i32_b64 s2, s[2:3]
	s_bcnt1_i32_b64 s3, s[22:23]
	s_add_i32 s9, s9, s34
	s_add_i32 s22, s36, s35
	s_bcnt1_i32_b64 s23, s[26:27]
	s_bcnt1_i32_b64 s26, s[28:29]
	s_add_i32 s27, s30, s37
	s_add_i32 s28, s31, s38
	;; [unrolled: 1-line block ×6, first 2 shown]
	s_or_b64 s[54:55], vcc, s[54:55]
	v_mov_b64_e32 v[2:3], s[58:59]
	v_mov_b64_e32 v[4:5], s[56:57]
	s_andn2_b64 exec, exec, s[54:55]
	s_cbranch_execnz .LBB139_86
; %bb.87:                               ;   in Loop: Header=BB139_29 Depth=1
	s_or_b64 exec, exec, s[54:55]
.LBB139_88:                             ;   in Loop: Header=BB139_29 Depth=1
	s_or_b64 exec, exec, s[52:53]
	s_and_saveexec_b64 s[8:9], s[18:19]
	s_cbranch_execz .LBB139_94
; %bb.89:                               ;   in Loop: Header=BB139_29 Depth=1
	global_load_ushort v8, v[20:21], off
	s_mov_b64 s[22:23], 0
	v_mov_b32_e32 v14, v36
	v_mov_b32_e32 v6, v29
	s_branch .LBB139_91
.LBB139_90:                             ;   in Loop: Header=BB139_91 Depth=2
	s_or_b64 exec, exec, s[26:27]
	s_and_b64 s[2:3], exec, vcc
	s_waitcnt vmcnt(0)
	v_cmp_lt_i16_e32 vcc, -1, v8
	v_lshlrev_b32_e32 v48, 16, v8
	s_or_b64 s[22:23], s[2:3], s[22:23]
	v_cndmask_b32_e32 v9, v40, v41, vcc
	v_xor_b32_sdwa v8, v9, v8 dst_sel:DWORD dst_unused:UNUSED_PAD src0_sel:DWORD src1_sel:WORD_0
	v_cmp_o_f32_e32 vcc, v48, v48
	v_add_u32_e32 v14, s90, v14
	s_nop 0
	v_cndmask_b32_e32 v8, v40, v8, vcc
	v_and_b32_e32 v9, v8, v45
	v_bfe_u32 v8, v8, v39, 2
	v_cmp_eq_u32_e32 vcc, v9, v35
	v_cmp_eq_u32_e64 s[2:3], 0, v8
	s_and_b64 s[2:3], vcc, s[2:3]
	s_nop 0
	v_cndmask_b32_e64 v9, 0, 1, s[2:3]
	v_cmp_ne_u32_e64 s[2:3], 0, v9
	s_bcnt1_i32_b64 s26, s[2:3]
	v_cmp_eq_u32_e64 s[2:3], 1, v8
	s_and_b64 s[2:3], vcc, s[2:3]
	v_add_u32_e32 v2, s26, v2
	v_cndmask_b32_e64 v9, 0, 1, s[2:3]
	v_cmp_ne_u32_e64 s[2:3], 0, v9
	s_bcnt1_i32_b64 s2, s[2:3]
	s_nop 0
	v_add_u32_e32 v3, s2, v3
	v_cmp_eq_u32_e64 s[2:3], 2, v8
	s_and_b64 s[2:3], vcc, s[2:3]
	s_nop 0
	v_cndmask_b32_e64 v9, 0, 1, s[2:3]
	v_cmp_ne_u32_e64 s[2:3], 0, v9
	s_bcnt1_i32_b64 s26, s[2:3]
	v_cmp_eq_u32_e64 s[2:3], 3, v8
	s_and_b64 s[2:3], vcc, s[2:3]
	v_add_u32_e32 v4, s26, v4
	v_cndmask_b32_e64 v8, 0, 1, s[2:3]
	v_cmp_ne_u32_e32 vcc, 0, v8
	s_bcnt1_i32_b64 s2, vcc
	v_add_u32_e32 v5, s2, v5
	v_mov_b32_e32 v8, v7
	s_andn2_b64 exec, exec, s[22:23]
	s_cbranch_execz .LBB139_93
.LBB139_91:                             ;   Parent Loop BB139_29 Depth=1
                                        ; =>  This Inner Loop Header: Depth=2
	v_add_u32_e32 v6, s67, v6
	v_cmp_gt_u32_e64 s[2:3], s64, v6
	v_cmp_le_u32_e32 vcc, s64, v6
	v_mov_b32_e32 v7, 0
	s_and_saveexec_b64 s[26:27], s[2:3]
	s_cbranch_execz .LBB139_90
; %bb.92:                               ;   in Loop: Header=BB139_91 Depth=2
	v_lshl_add_u64 v[48:49], v[14:15], 1, v[10:11]
	global_load_ushort v7, v[48:49], off
	s_branch .LBB139_90
.LBB139_93:                             ;   in Loop: Header=BB139_29 Depth=1
	s_or_b64 exec, exec, s[22:23]
.LBB139_94:                             ;   in Loop: Header=BB139_29 Depth=1
	s_or_b64 exec, exec, s[8:9]
	s_branch .LBB139_76
.LBB139_95:                             ;   in Loop: Header=BB139_29 Depth=1
	s_mul_hi_u32 s2, s91, s84
	s_mul_i32 s2, s2, s68
	s_sub_i32 s2, s91, s2
	s_sub_i32 s3, s2, s68
	s_cmp_ge_u32 s2, s68
	s_cselect_b32 s2, s3, s2
	s_sub_i32 s3, s2, s68
	s_cmp_ge_u32 s2, s68
	s_cselect_b32 s2, s3, s2
	s_sub_i32 s86, s91, s2
	v_mov_b32_e32 v14, v15
	v_cmp_gt_u32_e32 vcc, s86, v19
	v_mov_b64_e32 v[4:5], v[14:15]
	v_mov_b64_e32 v[2:3], v[14:15]
	s_and_saveexec_b64 s[74:75], vcc
	s_cbranch_execz .LBB139_99
; %bb.96:                               ;   in Loop: Header=BB139_29 Depth=1
	s_mov_b32 s88, 0
	s_mov_b64 s[76:77], 0
	v_mov_b32_e32 v6, v37
	v_mov_b32_e32 v7, v19
	s_mov_b32 s89, s88
	s_mov_b32 s8, s88
	;; [unrolled: 1-line block ×3, first 2 shown]
.LBB139_97:                             ;   Parent Loop BB139_29 Depth=1
                                        ; =>  This Inner Loop Header: Depth=2
	ds_read_b64 v[2:3], v6
	v_add_u32_e32 v7, s68, v7
	v_cmp_le_u32_e32 vcc, s86, v7
	v_add_u32_e32 v6, s21, v6
	s_waitcnt lgkmcnt(0)
	v_cmp_lt_i16_e64 s[2:3], -1, v2
	v_lshlrev_b32_e32 v4, 16, v2
	s_nop 0
	v_cndmask_b32_e64 v14, v40, v41, s[2:3]
	v_cmp_gt_i16_sdwa s[2:3], v2, v42 src0_sel:WORD_1 src1_sel:DWORD
	v_and_b32_e32 v5, 0xffff0000, v2
	v_cmp_o_f32_e64 s[28:29], v4, v4
	v_cndmask_b32_e64 v48, v40, v41, s[2:3]
	v_cmp_lt_i16_e64 s[2:3], -1, v3
	v_xor_b32_sdwa v48, v48, v2 dst_sel:DWORD dst_unused:UNUSED_PAD src0_sel:DWORD src1_sel:WORD_1
	v_bitop3_b32 v2, v14, v2, s70 bitop3:0x78
	v_cndmask_b32_e64 v49, v40, v41, s[2:3]
	v_cmp_gt_i16_sdwa s[2:3], v3, v42 src0_sel:WORD_1 src1_sel:DWORD
	v_lshlrev_b32_e32 v8, 16, v3
	v_cndmask_b32_e64 v2, v40, v2, s[28:29]
	v_cndmask_b32_e64 v50, v40, v41, s[2:3]
	v_cmp_o_f32_e64 s[2:3], v5, v5
	v_and_b32_e32 v9, 0xffff0000, v3
	v_bitop3_b32 v5, v49, v3, s70 bitop3:0x78
	v_cmp_o_f32_e64 s[22:23], v8, v8
	v_cndmask_b32_e64 v4, v40, v48, s[2:3]
	v_and_b32_e32 v8, v2, v45
	v_bfe_u32 v2, v2, v39, 2
	v_xor_b32_sdwa v3, v50, v3 dst_sel:DWORD dst_unused:UNUSED_PAD src0_sel:DWORD src1_sel:WORD_1
	v_cmp_o_f32_e64 s[26:27], v9, v9
	v_cndmask_b32_e64 v5, v40, v5, s[22:23]
	v_and_b32_e32 v9, v4, v45
	v_bfe_u32 v4, v4, v39, 2
	v_cmp_eq_u32_e64 s[2:3], v8, v35
	v_cmp_eq_u32_e64 s[30:31], 0, v2
	v_cndmask_b32_e64 v3, v40, v3, s[26:27]
	v_and_b32_e32 v14, v5, v45
	v_bfe_u32 v5, v5, v39, 2
	v_cmp_eq_u32_e64 s[22:23], v9, v35
	v_cmp_eq_u32_e64 s[34:35], 0, v4
	s_and_b64 s[30:31], s[2:3], s[30:31]
	v_and_b32_e32 v48, v3, v45
	v_bfe_u32 v3, v3, v39, 2
	v_cmp_eq_u32_e64 s[26:27], v14, v35
	v_cmp_eq_u32_e64 s[36:37], 0, v5
	;; [unrolled: 1-line block ×5, first 2 shown]
	v_cndmask_b32_e64 v2, 0, 1, s[30:31]
	s_and_b64 s[30:31], s[22:23], s[34:35]
	v_cmp_eq_u32_e64 s[28:29], v48, v35
	v_cmp_eq_u32_e64 s[38:39], 0, v3
	;; [unrolled: 1-line block ×5, first 2 shown]
	v_cndmask_b32_e64 v3, 0, 1, s[30:31]
	s_and_b64 s[30:31], s[26:27], s[36:37]
	v_cmp_eq_u32_e64 s[42:43], 1, v4
	v_cmp_eq_u32_e64 s[50:51], 2, v4
	;; [unrolled: 1-line block ×3, first 2 shown]
	v_cndmask_b32_e64 v4, 0, 1, s[30:31]
	s_and_b64 s[30:31], s[28:29], s[38:39]
	v_cmp_eq_u32_e64 s[44:45], 1, v5
	v_cmp_eq_u32_e64 s[52:53], 2, v5
	;; [unrolled: 1-line block ×3, first 2 shown]
	v_cndmask_b32_e64 v5, 0, 1, s[30:31]
	s_and_b64 s[30:31], s[2:3], s[40:41]
	v_cndmask_b32_e64 v8, 0, 1, s[30:31]
	s_and_b64 s[30:31], s[22:23], s[42:43]
	;; [unrolled: 2-line block ×5, first 2 shown]
	s_and_b64 s[2:3], s[2:3], s[56:57]
	v_cndmask_b32_e64 v49, 0, 1, s[30:31]
	s_and_b64 s[30:31], s[22:23], s[50:51]
	v_cndmask_b32_e64 v54, 0, 1, s[2:3]
	s_and_b64 s[2:3], s[22:23], s[58:59]
	v_cndmask_b32_e64 v50, 0, 1, s[30:31]
	s_and_b64 s[30:31], s[26:27], s[52:53]
	v_cndmask_b32_e64 v55, 0, 1, s[2:3]
	s_and_b64 s[2:3], s[26:27], s[60:61]
	v_cndmask_b32_e64 v51, 0, 1, s[30:31]
	s_and_b64 s[30:31], s[28:29], s[54:55]
	v_cndmask_b32_e64 v56, 0, 1, s[2:3]
	s_and_b64 s[2:3], s[28:29], s[62:63]
	v_cndmask_b32_e64 v53, 0, 1, s[30:31]
	v_cndmask_b32_e64 v57, 0, 1, s[2:3]
	v_cmp_ne_u32_e64 s[2:3], 0, v2
	v_cmp_ne_u32_e64 s[22:23], 0, v3
	;; [unrolled: 1-line block ×11, first 2 shown]
	s_bcnt1_i32_b64 s2, s[2:3]
	s_bcnt1_i32_b64 s3, s[22:23]
	;; [unrolled: 1-line block ×8, first 2 shown]
	v_cmp_ne_u32_e64 s[38:39], 0, v48
	v_cmp_ne_u32_e64 s[44:45], 0, v51
	;; [unrolled: 1-line block ×3, first 2 shown]
	s_bcnt1_i32_b64 s27, s[34:35]
	s_bcnt1_i32_b64 s31, s[42:43]
	s_bcnt1_i32_b64 s37, s[50:51]
	s_add_i32 s2, s88, s2
	s_add_i32 s26, s89, s26
	;; [unrolled: 1-line block ×4, first 2 shown]
	v_cmp_ne_u32_e64 s[46:47], 0, v53
	v_cmp_ne_u32_e64 s[54:55], 0, v57
	s_bcnt1_i32_b64 s29, s[38:39]
	s_bcnt1_i32_b64 s34, s[44:45]
	;; [unrolled: 1-line block ×3, first 2 shown]
	s_add_i32 s26, s26, s27
	s_add_i32 s2, s2, s3
	;; [unrolled: 1-line block ×4, first 2 shown]
	s_bcnt1_i32_b64 s35, s[46:47]
	s_bcnt1_i32_b64 s39, s[54:55]
	s_add_i32 s2, s2, s22
	s_add_i32 s9, s26, s28
	;; [unrolled: 1-line block ×8, first 2 shown]
	s_or_b64 s[76:77], vcc, s[76:77]
	v_mov_b64_e32 v[2:3], s[88:89]
	v_mov_b64_e32 v[4:5], s[8:9]
	s_andn2_b64 exec, exec, s[76:77]
	s_cbranch_execnz .LBB139_97
; %bb.98:                               ;   in Loop: Header=BB139_29 Depth=1
	s_or_b64 exec, exec, s[76:77]
.LBB139_99:                             ;   in Loop: Header=BB139_29 Depth=1
	s_or_b64 exec, exec, s[74:75]
	v_add_u32_e32 v6, s86, v0
	v_cmp_gt_u32_e32 vcc, s91, v6
	s_and_saveexec_b64 s[8:9], vcc
	s_cbranch_execz .LBB139_103
; %bb.100:                              ;   in Loop: Header=BB139_29 Depth=1
	v_lshlrev_b32_e32 v7, 1, v6
	s_mov_b64 s[34:35], 0
.LBB139_101:                            ;   Parent Loop BB139_29 Depth=1
                                        ; =>  This Inner Loop Header: Depth=2
	ds_read_u16 v8, v7
	v_add_u32_e32 v6, s67, v6
	v_cmp_le_u32_e32 vcc, s91, v6
	v_add_u32_e32 v7, s80, v7
	s_waitcnt lgkmcnt(0)
	v_cmp_lt_i16_e64 s[2:3], -1, v8
	v_lshlrev_b32_e32 v9, 16, v8
	s_nop 0
	v_cndmask_b32_e64 v14, v40, v41, s[2:3]
	v_xor_b32_sdwa v8, v14, v8 dst_sel:DWORD dst_unused:UNUSED_PAD src0_sel:DWORD src1_sel:WORD_0
	v_cmp_o_f32_e64 s[2:3], v9, v9
	s_nop 1
	v_cndmask_b32_e64 v8, v40, v8, s[2:3]
	v_and_b32_e32 v9, v8, v45
	v_bfe_u32 v8, v8, v39, 2
	v_cmp_eq_u32_e64 s[2:3], v9, v35
	v_cmp_eq_u32_e64 s[22:23], 0, v8
	;; [unrolled: 1-line block ×3, first 2 shown]
	s_and_b64 s[22:23], s[2:3], s[22:23]
	v_cmp_eq_u32_e64 s[28:29], 2, v8
	v_cmp_eq_u32_e64 s[30:31], 3, v8
	v_cndmask_b32_e64 v8, 0, 1, s[22:23]
	s_and_b64 s[22:23], s[2:3], s[26:27]
	v_cndmask_b32_e64 v9, 0, 1, s[22:23]
	s_and_b64 s[22:23], s[2:3], s[28:29]
	s_and_b64 s[2:3], s[2:3], s[30:31]
	v_cndmask_b32_e64 v14, 0, 1, s[22:23]
	v_cndmask_b32_e64 v48, 0, 1, s[2:3]
	v_cmp_ne_u32_e64 s[2:3], 0, v8
	v_cmp_ne_u32_e64 s[22:23], 0, v9
	;; [unrolled: 1-line block ×4, first 2 shown]
	s_bcnt1_i32_b64 s2, s[2:3]
	s_bcnt1_i32_b64 s3, s[22:23]
	;; [unrolled: 1-line block ×4, first 2 shown]
	v_add_u32_e32 v3, s3, v3
	v_add_u32_e32 v2, s2, v2
	;; [unrolled: 1-line block ×3, first 2 shown]
	s_or_b64 s[34:35], vcc, s[34:35]
	v_add_u32_e32 v4, s22, v4
	s_andn2_b64 exec, exec, s[34:35]
	s_cbranch_execnz .LBB139_101
; %bb.102:                              ;   in Loop: Header=BB139_29 Depth=1
	s_or_b64 exec, exec, s[34:35]
.LBB139_103:                            ;   in Loop: Header=BB139_29 Depth=1
	s_or_b64 exec, exec, s[8:9]
	s_lshl_b32 s22, s25, 6
	s_and_saveexec_b64 s[2:3], s[4:5]
	s_cbranch_execnz .LBB139_77
	s_branch .LBB139_78
.LBB139_104:                            ;   in Loop: Header=BB139_29 Depth=1
	v_mov_b32_e32 v2, 0
	s_mov_b32 s23, 0
	s_cbranch_execnz .LBB139_109
	s_branch .LBB139_111
.LBB139_105:                            ;   in Loop: Header=BB139_29 Depth=1
	v_mov_b32_e32 v14, v15
	s_mov_b32 s8, 0
	v_mov_b64_e32 v[2:3], v[14:15]
	s_mov_b32 s9, 1
.LBB139_106:                            ;   in Loop: Header=BB139_29 Depth=1
	v_readlane_b32 s26, v82, 29
	v_readlane_b32 s27, v82, 30
	s_andn2_b64 vcc, exec, s[26:27]
	v_readlane_b32 s23, v82, 28
	s_cbranch_vccnz .LBB139_108
.LBB139_107:                            ;   Parent Loop BB139_29 Depth=1
                                        ; =>  This Inner Loop Header: Depth=2
	v_lshl_add_u32 v6, s8, 4, v5
	v_lshl_add_u32 v7, s9, 4, v5
	ds_read_b32 v7, v7
	ds_read_b32 v6, v6
	s_add_i32 s9, s9, 2
	s_add_i32 s8, s8, 2
	s_add_i32 s23, s23, -1
	s_cmp_lg_u32 s23, 0
	s_waitcnt lgkmcnt(1)
	v_add_u32_e32 v3, v7, v3
	s_waitcnt lgkmcnt(0)
	v_add_u32_e32 v2, v6, v2
	s_cbranch_scc1 .LBB139_107
.LBB139_108:                            ;   in Loop: Header=BB139_29 Depth=1
	v_readlane_b32 s8, v82, 33
	v_add_u32_e32 v2, v2, v3
	v_readlane_b32 s23, v82, 32
	v_readlane_b32 s9, v82, 34
	s_and_b64 vcc, exec, s[8:9]
	s_cbranch_vccz .LBB139_111
.LBB139_109:                            ;   in Loop: Header=BB139_29 Depth=1
	s_lshl_b32 s8, s25, 8
	s_lshl_b32 s9, s23, 4
	s_add_i32 s8, s8, s9
	v_add_u32_e32 v3, s8, v38
	v_readlane_b32 s8, v82, 31
	s_sub_i32 s8, s8, s23
.LBB139_110:                            ;   Parent Loop BB139_29 Depth=1
                                        ; =>  This Inner Loop Header: Depth=2
	ds_read_b32 v5, v3
	s_add_i32 s8, s8, -1
	v_add_u32_e32 v3, 16, v3
	s_cmp_eq_u32 s8, 0
	s_waitcnt lgkmcnt(0)
	v_add_u32_e32 v2, v5, v2
	s_cbranch_scc0 .LBB139_110
.LBB139_111:                            ;   in Loop: Header=BB139_29 Depth=1
	v_lshlrev_b32_e32 v3, 2, v4
	ds_write_b32 v3, v2 offset:3072
.LBB139_112:                            ;   in Loop: Header=BB139_29 Depth=1
	s_or_b64 exec, exec, s[2:3]
	s_lshl_b32 s2, s22, 2
	v_mov_b32_e32 v2, s2
	s_waitcnt lgkmcnt(0)
	s_barrier
	ds_read_b128 v[2:5], v2 offset:3072
	v_cmp_eq_u32_e32 vcc, 1, v47
	s_mov_b64 s[22:23], -1
	s_mov_b64 s[30:31], -1
                                        ; implicit-def: $sgpr28_sgpr29
                                        ; implicit-def: $sgpr8_sgpr9
	s_waitcnt lgkmcnt(0)
	v_readfirstlane_b32 s44, v2
	s_cmp_eq_u32 s44, 1
	v_lshlrev_b32_e64 v2, v39, 3
	s_cselect_b64 s[2:3], -1, 0
	v_readfirstlane_b32 s48, v3
	v_readfirstlane_b32 s56, v4
	v_readfirstlane_b32 s74, v5
	v_not_b32_e32 v4, v2
	s_and_b64 s[26:27], s[2:3], vcc
	s_and_saveexec_b64 s[2:3], s[26:27]
	s_cbranch_execz .LBB139_138
; %bb.113:                              ;   in Loop: Header=BB139_29 Depth=1
	ds_read_b32 v3, v15 offset:4104
	s_waitcnt lgkmcnt(0)
	s_barrier
	v_readfirstlane_b32 s45, v3
	s_and_saveexec_b64 s[8:9], s[6:7]
; %bb.114:                              ;   in Loop: Header=BB139_29 Depth=1
	ds_write_b16 v24, v15
; %bb.115:                              ;   in Loop: Header=BB139_29 Depth=1
	s_or_b64 exec, exec, s[8:9]
	v_and_b32_e32 v35, v35, v4
	v_or_b32_e32 v45, v45, v2
	s_mov_b64 s[8:9], -1
	s_mov_b64 s[28:29], 0
	s_cmp_eq_u32 s45, 0
	s_mov_b64 s[30:31], 0
	s_mov_b64 s[34:35], -1
	s_waitcnt lgkmcnt(0)
	s_barrier
                                        ; implicit-def: $vgpr46
	s_cbranch_scc1 .LBB139_126
; %bb.116:                              ;   in Loop: Header=BB139_29 Depth=1
	v_readlane_b32 s30, v82, 10
	s_add_i32 s30, s45, s30
	v_readlane_b32 s31, v82, 35
	s_mul_hi_u32 s31, s30, s31
	s_mul_i32 s31, s31, s67
	s_sub_i32 s31, s30, s31
	s_sub_i32 s34, s31, s67
	s_cmp_ge_u32 s31, s67
	s_cselect_b32 s31, s34, s31
	s_sub_i32 s34, s31, s67
	s_cmp_ge_u32 s31, s67
	s_cselect_b32 s31, s34, s31
	s_sub_i32 s46, s30, s31
	v_cmp_gt_u32_e32 vcc, s46, v0
	s_mov_b64 s[34:35], 0
	s_mov_b64 s[30:31], 0
                                        ; implicit-def: $vgpr46
	s_and_saveexec_b64 s[36:37], vcc
	s_cbranch_execz .LBB139_125
; %bb.117:                              ;   in Loop: Header=BB139_29 Depth=1
	v_mov_b32_e32 v3, v23
	v_mov_b32_e32 v5, v0
                                        ; implicit-def: $sgpr38_sgpr39
	s_branch .LBB139_120
.LBB139_118:                            ;   in Loop: Header=BB139_120 Depth=2
	s_or_b64 exec, exec, s[40:41]
	s_waitcnt lgkmcnt(0)
	s_barrier
	ds_read_b32 v6, v15 offset:3072
	s_mov_b64 s[40:41], -1
	s_mov_b64 s[42:43], -1
	s_waitcnt lgkmcnt(0)
	s_barrier
	v_and_b32_e32 v7, 0x7fff, v6
	v_cmp_ne_u32_e32 vcc, 0, v7
	s_cbranch_vccz .LBB139_123
.LBB139_119:                            ;   in Loop: Header=BB139_120 Depth=2
	s_and_b64 s[40:41], exec, s[40:41]
	s_or_b64 s[30:31], s[40:41], s[30:31]
	s_andn2_b64 s[38:39], s[38:39], exec
	s_and_b64 s[40:41], s[42:43], exec
	s_or_b64 s[38:39], s[38:39], s[40:41]
	s_andn2_b64 exec, exec, s[30:31]
	s_cbranch_execz .LBB139_124
.LBB139_120:                            ;   Parent Loop BB139_29 Depth=1
                                        ; =>  This Inner Loop Header: Depth=2
	v_cmp_gt_u32_e32 vcc, s45, v5
	s_and_saveexec_b64 s[40:41], vcc
	s_cbranch_execz .LBB139_118
; %bb.121:                              ;   in Loop: Header=BB139_120 Depth=2
	ds_read_u16 v6, v3
	s_waitcnt lgkmcnt(0)
	v_cmp_lt_i16_e32 vcc, -1, v6
	v_lshlrev_b32_e32 v7, 16, v6
	s_nop 0
	v_cndmask_b32_e32 v8, v40, v41, vcc
	v_xor_b32_sdwa v8, v8, v6 dst_sel:DWORD dst_unused:UNUSED_PAD src0_sel:DWORD src1_sel:WORD_0
	v_cmp_o_f32_e32 vcc, v7, v7
	s_nop 1
	v_cndmask_b32_e32 v7, v40, v8, vcc
	v_and_b32_e32 v7, v7, v45
	v_cmp_eq_u32_e32 vcc, v7, v35
	s_and_b64 exec, exec, vcc
	s_cbranch_execz .LBB139_118
; %bb.122:                              ;   in Loop: Header=BB139_120 Depth=2
	v_perm_b32 v6, v6, s24, v44
	ds_write_b32 v15, v6 offset:3072
	s_branch .LBB139_118
.LBB139_123:                            ;   in Loop: Header=BB139_120 Depth=2
	v_add_u32_e32 v5, s67, v5
	v_cmp_le_u32_e32 vcc, s46, v5
	v_add_u32_e32 v3, s80, v3
	s_mov_b64 s[42:43], 0
	s_orn2_b64 s[40:41], vcc, exec
	s_branch .LBB139_119
.LBB139_124:                            ;   in Loop: Header=BB139_29 Depth=1
	s_or_b64 exec, exec, s[30:31]
	v_lshrrev_b32_e32 v46, 16, v6
	s_and_b64 s[30:31], s[38:39], exec
.LBB139_125:                            ;   in Loop: Header=BB139_29 Depth=1
	s_or_b64 exec, exec, s[36:37]
.LBB139_126:                            ;   in Loop: Header=BB139_29 Depth=1
	s_and_b64 vcc, exec, s[34:35]
	s_cbranch_vccz .LBB139_137
; %bb.127:                              ;   in Loop: Header=BB139_29 Depth=1
                                        ; implicit-def: $vgpr46
	s_mov_b64 s[8:9], exec
	v_readlane_b32 s28, v82, 36
	v_readlane_b32 s29, v82, 37
	s_and_b64 s[28:29], s[8:9], s[28:29]
	s_mov_b64 exec, s[28:29]
	s_cbranch_execz .LBB139_136
; %bb.128:                              ;   in Loop: Header=BB139_29 Depth=1
	s_mov_b64 s[28:29], 0
	v_mov_b32_e32 v14, v12
	v_mov_b32_e32 v3, v0
                                        ; implicit-def: $sgpr34_sgpr35
	s_branch .LBB139_131
.LBB139_129:                            ;   in Loop: Header=BB139_131 Depth=2
	s_or_b64 exec, exec, s[36:37]
	s_waitcnt lgkmcnt(0)
	s_barrier
	ds_read_b32 v5, v15 offset:3072
	s_mov_b64 s[36:37], -1
	s_mov_b64 s[38:39], -1
	s_waitcnt lgkmcnt(0)
	s_barrier
	v_and_b32_e32 v6, 0x7fff, v5
	v_cmp_ne_u32_e32 vcc, 0, v6
	s_cbranch_vccz .LBB139_134
.LBB139_130:                            ;   in Loop: Header=BB139_131 Depth=2
	s_and_b64 s[36:37], exec, s[36:37]
	s_or_b64 s[28:29], s[36:37], s[28:29]
	s_andn2_b64 s[34:35], s[34:35], exec
	s_and_b64 s[36:37], s[38:39], exec
	s_or_b64 s[34:35], s[34:35], s[36:37]
	s_andn2_b64 exec, exec, s[28:29]
	s_cbranch_execz .LBB139_135
.LBB139_131:                            ;   Parent Loop BB139_29 Depth=1
                                        ; =>  This Inner Loop Header: Depth=2
	v_cmp_gt_u32_e32 vcc, s64, v3
	s_and_saveexec_b64 s[36:37], vcc
	s_cbranch_execz .LBB139_129
; %bb.132:                              ;   in Loop: Header=BB139_131 Depth=2
	v_lshl_add_u64 v[6:7], v[14:15], 1, v[10:11]
	global_load_ushort v5, v[6:7], off
	s_waitcnt vmcnt(0)
	v_cmp_lt_i16_e32 vcc, -1, v5
	v_lshlrev_b32_e32 v6, 16, v5
	s_nop 0
	v_cndmask_b32_e32 v7, v40, v41, vcc
	v_xor_b32_sdwa v7, v7, v5 dst_sel:DWORD dst_unused:UNUSED_PAD src0_sel:DWORD src1_sel:WORD_0
	v_cmp_o_f32_e32 vcc, v6, v6
	s_nop 1
	v_cndmask_b32_e32 v6, v40, v7, vcc
	v_and_b32_e32 v6, v6, v45
	v_cmp_eq_u32_e32 vcc, v6, v35
	s_and_b64 exec, exec, vcc
	s_cbranch_execz .LBB139_129
; %bb.133:                              ;   in Loop: Header=BB139_131 Depth=2
	v_perm_b32 v5, v5, s24, v44
	ds_write_b32 v15, v5 offset:3072
	s_branch .LBB139_129
.LBB139_134:                            ;   in Loop: Header=BB139_131 Depth=2
	v_add_u32_e32 v3, s67, v3
	v_cmp_le_u32_e32 vcc, s87, v3
	v_add_u32_e32 v14, s90, v14
	s_mov_b64 s[38:39], 0
	s_orn2_b64 s[36:37], vcc, exec
	s_branch .LBB139_130
.LBB139_135:                            ;   in Loop: Header=BB139_29 Depth=1
	s_or_b64 exec, exec, s[28:29]
	s_andn2_b64 s[28:29], s[30:31], exec
	s_and_b64 s[30:31], s[34:35], exec
	v_lshrrev_b32_e32 v46, 16, v5
	s_or_b64 s[30:31], s[28:29], s[30:31]
.LBB139_136:                            ;   in Loop: Header=BB139_29 Depth=1
	s_or_b64 exec, exec, s[8:9]
	s_mov_b64 s[8:9], 0
	s_mov_b64 s[28:29], -1
.LBB139_137:                            ;   in Loop: Header=BB139_29 Depth=1
	s_orn2_b64 s[30:31], s[30:31], exec
.LBB139_138:                            ;   in Loop: Header=BB139_29 Depth=1
	s_or_b64 exec, exec, s[2:3]
	s_andn2_b64 s[2:3], s[12:13], exec
	s_and_b64 s[12:13], s[28:29], exec
	s_or_b64 s[12:13], s[2:3], s[12:13]
	s_andn2_b64 s[2:3], s[10:11], exec
	s_and_b64 s[8:9], s[8:9], exec
	v_readfirstlane_b32 s36, v0
	s_andn2_b64 s[14:15], s[14:15], exec
	s_or_b64 s[10:11], s[2:3], s[8:9]
                                        ; implicit-def: $vgpr5
	s_and_saveexec_b64 s[2:3], s[30:31]
	s_cbranch_execz .LBB139_28
; %bb.139:                              ;   in Loop: Header=BB139_29 Depth=1
	s_xor_b64 s[22:23], s[26:27], -1
	s_mov_b64 s[26:27], 0
	v_mov_b32_e32 v5, 1
	v_mov_b32_e32 v3, 1
	s_and_saveexec_b64 s[8:9], s[22:23]
	s_cbranch_execz .LBB139_148
; %bb.140:                              ;   in Loop: Header=BB139_29 Depth=1
	v_cmp_ge_u32_e32 vcc, s44, v47
	s_and_saveexec_b64 s[22:23], vcc
	s_xor_b64 s[22:23], exec, s[22:23]
	s_cbranch_execz .LBB139_145
; %bb.141:                              ;   in Loop: Header=BB139_29 Depth=1
	ds_read_b32 v3, v15 offset:4104
	v_and_b32_e32 v35, v35, v4
	v_or_b32_e32 v45, v45, v2
	s_waitcnt lgkmcnt(0)
	v_cmp_ne_u32_e32 vcc, 0, v3
	s_cbranch_vccnz .LBB139_145
; %bb.142:                              ;   in Loop: Header=BB139_29 Depth=1
	s_mov_b64 s[26:27], exec
	v_readlane_b32 s28, v82, 8
	v_readlane_b32 s29, v82, 9
	s_and_b64 s[28:29], s[26:27], s[28:29]
	s_mov_b64 exec, s[28:29]
; %bb.143:                              ;   in Loop: Header=BB139_29 Depth=1
	v_mov_b32_e32 v3, s44
	ds_write_b32 v15, v3 offset:4108
; %bb.144:                              ;   in Loop: Header=BB139_29 Depth=1
	s_or_b64 exec, exec, s[26:27]
	s_waitcnt lgkmcnt(0)
	s_barrier
.LBB139_145:                            ;   in Loop: Header=BB139_29 Depth=1
	s_or_saveexec_b64 s[22:23], s[22:23]
	s_mov_b64 s[26:27], 0
	v_mov_b32_e32 v3, 8
	s_xor_b64 exec, exec, s[22:23]
; %bb.146:                              ;   in Loop: Header=BB139_29 Depth=1
	s_mov_b64 s[26:27], exec
	v_subrev_u32_e32 v47, s44, v47
	v_mov_b32_e32 v3, 0
; %bb.147:                              ;   in Loop: Header=BB139_29 Depth=1
	s_or_b64 exec, exec, s[22:23]
	s_and_b64 s[26:27], s[26:27], exec
	v_mov_b32_e32 v5, v47
.LBB139_148:                            ;   in Loop: Header=BB139_29 Depth=1
	s_or_b64 exec, exec, s[8:9]
	s_mov_b64 s[22:23], -1
	s_mov_b64 s[8:9], -1
                                        ; implicit-def: $sgpr28_sgpr29
                                        ; implicit-def: $sgpr30_sgpr31
	s_and_saveexec_b64 s[34:35], s[26:27]
	s_xor_b64 s[26:27], exec, s[34:35]
	s_cbranch_execz .LBB139_265
; %bb.149:                              ;   in Loop: Header=BB139_29 Depth=1
	s_cmp_eq_u32 s48, 1
	s_cselect_b64 s[8:9], -1, 0
	v_cmp_eq_u32_e32 vcc, 1, v5
	s_and_b64 s[8:9], s[8:9], vcc
	s_mov_b64 s[36:37], -1
                                        ; implicit-def: $sgpr30_sgpr31
                                        ; implicit-def: $sgpr28_sgpr29
	s_and_saveexec_b64 s[34:35], s[8:9]
	s_cbranch_execz .LBB139_175
; %bb.150:                              ;   in Loop: Header=BB139_29 Depth=1
	ds_read_b32 v6, v15 offset:4104
	s_waitcnt lgkmcnt(0)
	s_barrier
	v_readfirstlane_b32 s49, v6
	s_and_saveexec_b64 s[28:29], s[6:7]
; %bb.151:                              ;   in Loop: Header=BB139_29 Depth=1
	ds_write_b16 v24, v15
; %bb.152:                              ;   in Loop: Header=BB139_29 Depth=1
	s_or_b64 exec, exec, s[28:29]
	v_and_b32_e32 v6, v35, v4
	v_lshl_or_b32 v35, 1, v39, v6
	v_or_b32_e32 v45, v45, v2
	s_mov_b64 s[28:29], -1
	s_mov_b64 s[30:31], 0
	s_cmp_eq_u32 s49, 0
	s_mov_b64 s[36:37], 0
	s_mov_b64 s[38:39], -1
	s_waitcnt lgkmcnt(0)
	s_barrier
                                        ; implicit-def: $vgpr46
	s_cbranch_scc1 .LBB139_163
; %bb.153:                              ;   in Loop: Header=BB139_29 Depth=1
	v_readlane_b32 s36, v82, 10
	s_add_i32 s36, s49, s36
	v_readlane_b32 s37, v82, 35
	s_mul_hi_u32 s37, s36, s37
	s_mul_i32 s37, s37, s67
	s_sub_i32 s37, s36, s37
	s_sub_i32 s38, s37, s67
	s_cmp_ge_u32 s37, s67
	s_cselect_b32 s37, s38, s37
	s_sub_i32 s38, s37, s67
	s_cmp_ge_u32 s37, s67
	s_cselect_b32 s37, s38, s37
	s_sub_i32 s50, s36, s37
	v_cmp_gt_u32_e32 vcc, s50, v0
	s_mov_b64 s[38:39], 0
	s_mov_b64 s[36:37], 0
                                        ; implicit-def: $vgpr46
	s_and_saveexec_b64 s[40:41], vcc
	s_cbranch_execz .LBB139_162
; %bb.154:                              ;   in Loop: Header=BB139_29 Depth=1
	v_mov_b32_e32 v6, v23
	v_mov_b32_e32 v7, v0
                                        ; implicit-def: $sgpr42_sgpr43
	s_branch .LBB139_157
.LBB139_155:                            ;   in Loop: Header=BB139_157 Depth=2
	s_or_b64 exec, exec, s[44:45]
	s_waitcnt lgkmcnt(0)
	s_barrier
	ds_read_b32 v8, v15 offset:3072
	s_mov_b64 s[44:45], -1
	s_mov_b64 s[46:47], -1
	s_waitcnt lgkmcnt(0)
	s_barrier
	v_and_b32_e32 v9, 0x7fff, v8
	v_cmp_ne_u32_e32 vcc, 0, v9
	s_cbranch_vccz .LBB139_160
.LBB139_156:                            ;   in Loop: Header=BB139_157 Depth=2
	s_and_b64 s[44:45], exec, s[44:45]
	s_or_b64 s[36:37], s[44:45], s[36:37]
	s_andn2_b64 s[42:43], s[42:43], exec
	s_and_b64 s[44:45], s[46:47], exec
	s_or_b64 s[42:43], s[42:43], s[44:45]
	s_andn2_b64 exec, exec, s[36:37]
	s_cbranch_execz .LBB139_161
.LBB139_157:                            ;   Parent Loop BB139_29 Depth=1
                                        ; =>  This Inner Loop Header: Depth=2
	v_cmp_gt_u32_e32 vcc, s49, v7
	s_and_saveexec_b64 s[44:45], vcc
	s_cbranch_execz .LBB139_155
; %bb.158:                              ;   in Loop: Header=BB139_157 Depth=2
	ds_read_u16 v8, v6
	s_waitcnt lgkmcnt(0)
	v_cmp_lt_i16_e32 vcc, -1, v8
	v_lshlrev_b32_e32 v9, 16, v8
	s_nop 0
	v_cndmask_b32_e32 v14, v40, v41, vcc
	v_xor_b32_sdwa v14, v14, v8 dst_sel:DWORD dst_unused:UNUSED_PAD src0_sel:DWORD src1_sel:WORD_0
	v_cmp_o_f32_e32 vcc, v9, v9
	s_nop 1
	v_cndmask_b32_e32 v9, v40, v14, vcc
	v_and_b32_e32 v9, v9, v45
	v_cmp_eq_u32_e32 vcc, v9, v35
	s_and_b64 exec, exec, vcc
	s_cbranch_execz .LBB139_155
; %bb.159:                              ;   in Loop: Header=BB139_157 Depth=2
	v_perm_b32 v8, v8, s24, v44
	ds_write_b32 v15, v8 offset:3072
	s_branch .LBB139_155
.LBB139_160:                            ;   in Loop: Header=BB139_157 Depth=2
	v_add_u32_e32 v7, s67, v7
	v_cmp_le_u32_e32 vcc, s50, v7
	v_add_u32_e32 v6, s80, v6
	s_mov_b64 s[46:47], 0
	s_orn2_b64 s[44:45], vcc, exec
	s_branch .LBB139_156
.LBB139_161:                            ;   in Loop: Header=BB139_29 Depth=1
	s_or_b64 exec, exec, s[36:37]
	v_lshrrev_b32_e32 v46, 16, v8
	s_and_b64 s[36:37], s[42:43], exec
.LBB139_162:                            ;   in Loop: Header=BB139_29 Depth=1
	s_or_b64 exec, exec, s[40:41]
.LBB139_163:                            ;   in Loop: Header=BB139_29 Depth=1
	s_and_b64 vcc, exec, s[38:39]
	s_cbranch_vccz .LBB139_174
; %bb.164:                              ;   in Loop: Header=BB139_29 Depth=1
                                        ; implicit-def: $vgpr46
	s_mov_b64 s[28:29], exec
	v_readlane_b32 s30, v82, 36
	v_readlane_b32 s31, v82, 37
	s_and_b64 s[30:31], s[28:29], s[30:31]
	s_mov_b64 exec, s[30:31]
	s_cbranch_execz .LBB139_173
; %bb.165:                              ;   in Loop: Header=BB139_29 Depth=1
	s_mov_b64 s[30:31], 0
	v_mov_b32_e32 v14, v12
	v_mov_b32_e32 v6, v0
                                        ; implicit-def: $sgpr38_sgpr39
	s_branch .LBB139_168
.LBB139_166:                            ;   in Loop: Header=BB139_168 Depth=2
	s_or_b64 exec, exec, s[40:41]
	s_waitcnt lgkmcnt(0)
	s_barrier
	ds_read_b32 v7, v15 offset:3072
	s_mov_b64 s[40:41], -1
	s_mov_b64 s[42:43], -1
	s_waitcnt lgkmcnt(0)
	s_barrier
	v_and_b32_e32 v8, 0x7fff, v7
	v_cmp_eq_u32_e32 vcc, 0, v8
	s_cbranch_vccnz .LBB139_171
.LBB139_167:                            ;   in Loop: Header=BB139_168 Depth=2
	s_and_b64 s[40:41], exec, s[40:41]
	s_or_b64 s[30:31], s[40:41], s[30:31]
	s_andn2_b64 s[38:39], s[38:39], exec
	s_and_b64 s[40:41], s[42:43], exec
	s_or_b64 s[38:39], s[38:39], s[40:41]
	s_andn2_b64 exec, exec, s[30:31]
	s_cbranch_execz .LBB139_172
.LBB139_168:                            ;   Parent Loop BB139_29 Depth=1
                                        ; =>  This Inner Loop Header: Depth=2
	v_cmp_gt_u32_e32 vcc, s64, v6
	s_and_saveexec_b64 s[40:41], vcc
	s_cbranch_execz .LBB139_166
; %bb.169:                              ;   in Loop: Header=BB139_168 Depth=2
	v_lshl_add_u64 v[8:9], v[14:15], 1, v[10:11]
	global_load_ushort v7, v[8:9], off
	s_waitcnt vmcnt(0)
	v_cmp_lt_i16_e32 vcc, -1, v7
	v_lshlrev_b32_e32 v8, 16, v7
	s_nop 0
	v_cndmask_b32_e32 v9, v40, v41, vcc
	v_xor_b32_sdwa v9, v9, v7 dst_sel:DWORD dst_unused:UNUSED_PAD src0_sel:DWORD src1_sel:WORD_0
	v_cmp_o_f32_e32 vcc, v8, v8
	s_nop 1
	v_cndmask_b32_e32 v8, v40, v9, vcc
	v_and_b32_e32 v8, v8, v45
	v_cmp_eq_u32_e32 vcc, v8, v35
	s_and_b64 exec, exec, vcc
	s_cbranch_execz .LBB139_166
; %bb.170:                              ;   in Loop: Header=BB139_168 Depth=2
	v_perm_b32 v7, v7, s24, v44
	ds_write_b32 v15, v7 offset:3072
	s_branch .LBB139_166
.LBB139_171:                            ;   in Loop: Header=BB139_168 Depth=2
	v_add_u32_e32 v6, s67, v6
	v_cmp_le_u32_e32 vcc, s87, v6
	v_add_u32_e32 v14, s90, v14
	s_mov_b64 s[42:43], 0
	s_orn2_b64 s[40:41], vcc, exec
	s_branch .LBB139_167
.LBB139_172:                            ;   in Loop: Header=BB139_29 Depth=1
	s_or_b64 exec, exec, s[30:31]
	s_andn2_b64 s[30:31], s[36:37], exec
	s_and_b64 s[36:37], s[38:39], exec
	v_lshrrev_b32_e32 v46, 16, v7
	s_or_b64 s[36:37], s[30:31], s[36:37]
.LBB139_173:                            ;   in Loop: Header=BB139_29 Depth=1
	s_or_b64 exec, exec, s[28:29]
	s_mov_b64 s[28:29], 0
	s_mov_b64 s[30:31], -1
.LBB139_174:                            ;   in Loop: Header=BB139_29 Depth=1
	s_orn2_b64 s[36:37], s[36:37], exec
.LBB139_175:                            ;   in Loop: Header=BB139_29 Depth=1
	s_or_b64 exec, exec, s[34:35]
	s_mov_b64 s[38:39], 0
	s_and_saveexec_b64 s[34:35], s[36:37]
	s_cbranch_execz .LBB139_264
; %bb.176:                              ;   in Loop: Header=BB139_29 Depth=1
	s_xor_b64 s[36:37], s[8:9], -1
	s_mov_b64 s[42:43], 0
	v_mov_b32_e32 v6, 1
	v_mov_b32_e32 v3, 1
	s_and_saveexec_b64 s[8:9], s[36:37]
	s_cbranch_execz .LBB139_185
; %bb.177:                              ;   in Loop: Header=BB139_29 Depth=1
	v_cmp_ge_u32_e32 vcc, s48, v5
	s_and_saveexec_b64 s[36:37], vcc
	s_xor_b64 s[36:37], exec, s[36:37]
	s_cbranch_execz .LBB139_182
; %bb.178:                              ;   in Loop: Header=BB139_29 Depth=1
	ds_read_b32 v3, v15 offset:4104
	v_and_b32_e32 v6, v35, v4
	v_lshl_or_b32 v35, 1, v39, v6
	v_or_b32_e32 v45, v45, v2
	s_waitcnt lgkmcnt(0)
	v_cmp_ne_u32_e32 vcc, 0, v3
	s_cbranch_vccnz .LBB139_182
; %bb.179:                              ;   in Loop: Header=BB139_29 Depth=1
	s_mov_b64 s[38:39], exec
	v_readlane_b32 s40, v82, 8
	v_readlane_b32 s41, v82, 9
	s_and_b64 s[40:41], s[38:39], s[40:41]
	s_mov_b64 exec, s[40:41]
; %bb.180:                              ;   in Loop: Header=BB139_29 Depth=1
	v_mov_b32_e32 v3, s48
	ds_write_b32 v15, v3 offset:4108
; %bb.181:                              ;   in Loop: Header=BB139_29 Depth=1
	s_or_b64 exec, exec, s[38:39]
	s_waitcnt lgkmcnt(0)
	s_barrier
.LBB139_182:                            ;   in Loop: Header=BB139_29 Depth=1
	s_or_saveexec_b64 s[36:37], s[36:37]
	s_mov_b64 s[38:39], 0
	v_mov_b32_e32 v3, 8
	s_xor_b64 exec, exec, s[36:37]
; %bb.183:                              ;   in Loop: Header=BB139_29 Depth=1
	s_mov_b64 s[38:39], exec
	v_subrev_u32_e32 v5, s48, v5
	v_mov_b32_e32 v3, 0
; %bb.184:                              ;   in Loop: Header=BB139_29 Depth=1
	s_or_b64 exec, exec, s[36:37]
	s_and_b64 s[42:43], s[38:39], exec
	v_mov_b32_e32 v6, v5
.LBB139_185:                            ;   in Loop: Header=BB139_29 Depth=1
	s_or_b64 exec, exec, s[8:9]
	s_mov_b64 s[8:9], -1
                                        ; implicit-def: $sgpr38_sgpr39
                                        ; implicit-def: $sgpr40_sgpr41
	s_and_saveexec_b64 s[36:37], s[42:43]
	s_cbranch_execz .LBB139_263
; %bb.186:                              ;   in Loop: Header=BB139_29 Depth=1
	s_cmp_eq_u32 s56, 1
	s_cselect_b64 s[8:9], -1, 0
	v_cmp_eq_u32_e32 vcc, 1, v6
	s_and_b64 s[8:9], s[8:9], vcc
	s_mov_b64 s[44:45], -1
                                        ; implicit-def: $sgpr40_sgpr41
                                        ; implicit-def: $sgpr38_sgpr39
	s_and_saveexec_b64 s[42:43], s[8:9]
	s_cbranch_execz .LBB139_212
; %bb.187:                              ;   in Loop: Header=BB139_29 Depth=1
	ds_read_b32 v5, v15 offset:4104
	s_waitcnt lgkmcnt(0)
	s_barrier
	v_readfirstlane_b32 s57, v5
	s_and_saveexec_b64 s[38:39], s[6:7]
; %bb.188:                              ;   in Loop: Header=BB139_29 Depth=1
	ds_write_b16 v24, v15
; %bb.189:                              ;   in Loop: Header=BB139_29 Depth=1
	s_or_b64 exec, exec, s[38:39]
	v_and_b32_e32 v5, v35, v4
	v_lshl_or_b32 v35, 2, v39, v5
	v_or_b32_e32 v45, v45, v2
	s_mov_b64 s[38:39], -1
	s_mov_b64 s[40:41], 0
	s_cmp_eq_u32 s57, 0
	s_mov_b64 s[44:45], 0
	s_mov_b64 s[46:47], -1
	s_waitcnt lgkmcnt(0)
	s_barrier
                                        ; implicit-def: $vgpr46
	s_cbranch_scc1 .LBB139_200
; %bb.190:                              ;   in Loop: Header=BB139_29 Depth=1
	v_readlane_b32 s44, v82, 10
	s_add_i32 s44, s57, s44
	v_readlane_b32 s45, v82, 35
	s_mul_hi_u32 s45, s44, s45
	s_mul_i32 s45, s45, s67
	s_sub_i32 s45, s44, s45
	s_sub_i32 s46, s45, s67
	s_cmp_ge_u32 s45, s67
	s_cselect_b32 s45, s46, s45
	s_sub_i32 s46, s45, s67
	s_cmp_ge_u32 s45, s67
	s_cselect_b32 s45, s46, s45
	s_sub_i32 s58, s44, s45
	v_cmp_gt_u32_e32 vcc, s58, v0
	s_mov_b64 s[46:47], 0
	s_mov_b64 s[44:45], 0
                                        ; implicit-def: $vgpr46
	s_and_saveexec_b64 s[48:49], vcc
	s_cbranch_execz .LBB139_199
; %bb.191:                              ;   in Loop: Header=BB139_29 Depth=1
	v_mov_b32_e32 v5, v23
	v_mov_b32_e32 v7, v0
                                        ; implicit-def: $sgpr50_sgpr51
	s_branch .LBB139_194
.LBB139_192:                            ;   in Loop: Header=BB139_194 Depth=2
	s_or_b64 exec, exec, s[52:53]
	s_waitcnt lgkmcnt(0)
	s_barrier
	ds_read_b32 v8, v15 offset:3072
	s_mov_b64 s[52:53], -1
	s_mov_b64 s[54:55], -1
	s_waitcnt lgkmcnt(0)
	s_barrier
	v_and_b32_e32 v9, 0x7fff, v8
	v_cmp_ne_u32_e32 vcc, 0, v9
	s_cbranch_vccz .LBB139_197
.LBB139_193:                            ;   in Loop: Header=BB139_194 Depth=2
	s_and_b64 s[52:53], exec, s[52:53]
	s_or_b64 s[44:45], s[52:53], s[44:45]
	s_andn2_b64 s[50:51], s[50:51], exec
	s_and_b64 s[52:53], s[54:55], exec
	s_or_b64 s[50:51], s[50:51], s[52:53]
	s_andn2_b64 exec, exec, s[44:45]
	s_cbranch_execz .LBB139_198
.LBB139_194:                            ;   Parent Loop BB139_29 Depth=1
                                        ; =>  This Inner Loop Header: Depth=2
	v_cmp_gt_u32_e32 vcc, s57, v7
	s_and_saveexec_b64 s[52:53], vcc
	s_cbranch_execz .LBB139_192
; %bb.195:                              ;   in Loop: Header=BB139_194 Depth=2
	ds_read_u16 v8, v5
	s_waitcnt lgkmcnt(0)
	v_cmp_lt_i16_e32 vcc, -1, v8
	v_lshlrev_b32_e32 v9, 16, v8
	s_nop 0
	v_cndmask_b32_e32 v14, v40, v41, vcc
	v_xor_b32_sdwa v14, v14, v8 dst_sel:DWORD dst_unused:UNUSED_PAD src0_sel:DWORD src1_sel:WORD_0
	v_cmp_o_f32_e32 vcc, v9, v9
	s_nop 1
	v_cndmask_b32_e32 v9, v40, v14, vcc
	v_and_b32_e32 v9, v9, v45
	v_cmp_eq_u32_e32 vcc, v9, v35
	s_and_b64 exec, exec, vcc
	s_cbranch_execz .LBB139_192
; %bb.196:                              ;   in Loop: Header=BB139_194 Depth=2
	v_perm_b32 v8, v8, s24, v44
	ds_write_b32 v15, v8 offset:3072
	s_branch .LBB139_192
.LBB139_197:                            ;   in Loop: Header=BB139_194 Depth=2
	v_add_u32_e32 v7, s67, v7
	v_cmp_le_u32_e32 vcc, s58, v7
	v_add_u32_e32 v5, s80, v5
	s_mov_b64 s[54:55], 0
	s_orn2_b64 s[52:53], vcc, exec
	s_branch .LBB139_193
.LBB139_198:                            ;   in Loop: Header=BB139_29 Depth=1
	s_or_b64 exec, exec, s[44:45]
	v_lshrrev_b32_e32 v46, 16, v8
	s_and_b64 s[44:45], s[50:51], exec
.LBB139_199:                            ;   in Loop: Header=BB139_29 Depth=1
	s_or_b64 exec, exec, s[48:49]
.LBB139_200:                            ;   in Loop: Header=BB139_29 Depth=1
	s_and_b64 vcc, exec, s[46:47]
	s_cbranch_vccz .LBB139_211
; %bb.201:                              ;   in Loop: Header=BB139_29 Depth=1
                                        ; implicit-def: $vgpr46
	s_mov_b64 s[38:39], exec
	v_readlane_b32 s40, v82, 36
	v_readlane_b32 s41, v82, 37
	s_and_b64 s[40:41], s[38:39], s[40:41]
	s_mov_b64 exec, s[40:41]
	s_cbranch_execz .LBB139_210
; %bb.202:                              ;   in Loop: Header=BB139_29 Depth=1
	s_mov_b64 s[40:41], 0
	v_mov_b32_e32 v14, v12
	v_mov_b32_e32 v5, v0
                                        ; implicit-def: $sgpr46_sgpr47
	s_branch .LBB139_205
.LBB139_203:                            ;   in Loop: Header=BB139_205 Depth=2
	s_or_b64 exec, exec, s[48:49]
	s_waitcnt lgkmcnt(0)
	s_barrier
	ds_read_b32 v7, v15 offset:3072
	s_mov_b64 s[48:49], -1
	s_mov_b64 s[50:51], -1
	s_waitcnt lgkmcnt(0)
	s_barrier
	v_and_b32_e32 v8, 0x7fff, v7
	v_cmp_eq_u32_e32 vcc, 0, v8
	s_cbranch_vccnz .LBB139_208
.LBB139_204:                            ;   in Loop: Header=BB139_205 Depth=2
	s_and_b64 s[48:49], exec, s[48:49]
	s_or_b64 s[40:41], s[48:49], s[40:41]
	s_andn2_b64 s[46:47], s[46:47], exec
	s_and_b64 s[48:49], s[50:51], exec
	s_or_b64 s[46:47], s[46:47], s[48:49]
	s_andn2_b64 exec, exec, s[40:41]
	s_cbranch_execz .LBB139_209
.LBB139_205:                            ;   Parent Loop BB139_29 Depth=1
                                        ; =>  This Inner Loop Header: Depth=2
	v_cmp_gt_u32_e32 vcc, s64, v5
	s_and_saveexec_b64 s[48:49], vcc
	s_cbranch_execz .LBB139_203
; %bb.206:                              ;   in Loop: Header=BB139_205 Depth=2
	v_lshl_add_u64 v[8:9], v[14:15], 1, v[10:11]
	global_load_ushort v7, v[8:9], off
	s_waitcnt vmcnt(0)
	v_cmp_lt_i16_e32 vcc, -1, v7
	v_lshlrev_b32_e32 v8, 16, v7
	s_nop 0
	v_cndmask_b32_e32 v9, v40, v41, vcc
	v_xor_b32_sdwa v9, v9, v7 dst_sel:DWORD dst_unused:UNUSED_PAD src0_sel:DWORD src1_sel:WORD_0
	v_cmp_o_f32_e32 vcc, v8, v8
	s_nop 1
	v_cndmask_b32_e32 v8, v40, v9, vcc
	v_and_b32_e32 v8, v8, v45
	v_cmp_eq_u32_e32 vcc, v8, v35
	s_and_b64 exec, exec, vcc
	s_cbranch_execz .LBB139_203
; %bb.207:                              ;   in Loop: Header=BB139_205 Depth=2
	v_perm_b32 v7, v7, s24, v44
	ds_write_b32 v15, v7 offset:3072
	s_branch .LBB139_203
.LBB139_208:                            ;   in Loop: Header=BB139_205 Depth=2
	v_add_u32_e32 v5, s67, v5
	v_cmp_le_u32_e32 vcc, s87, v5
	v_add_u32_e32 v14, s90, v14
	s_mov_b64 s[50:51], 0
	s_orn2_b64 s[48:49], vcc, exec
	s_branch .LBB139_204
.LBB139_209:                            ;   in Loop: Header=BB139_29 Depth=1
	s_or_b64 exec, exec, s[40:41]
	s_andn2_b64 s[40:41], s[44:45], exec
	s_and_b64 s[44:45], s[46:47], exec
	v_lshrrev_b32_e32 v46, 16, v7
	s_or_b64 s[44:45], s[40:41], s[44:45]
.LBB139_210:                            ;   in Loop: Header=BB139_29 Depth=1
	s_or_b64 exec, exec, s[38:39]
	s_mov_b64 s[38:39], 0
	s_mov_b64 s[40:41], -1
.LBB139_211:                            ;   in Loop: Header=BB139_29 Depth=1
	s_orn2_b64 s[44:45], s[44:45], exec
.LBB139_212:                            ;   in Loop: Header=BB139_29 Depth=1
	s_or_b64 exec, exec, s[42:43]
	s_mov_b64 s[46:47], 0
	s_and_saveexec_b64 s[42:43], s[44:45]
	s_cbranch_execz .LBB139_262
; %bb.213:                              ;   in Loop: Header=BB139_29 Depth=1
	s_xor_b64 s[44:45], s[8:9], -1
	s_mov_b64 s[50:51], 0
	v_mov_b32_e32 v5, 1
	v_mov_b32_e32 v3, 1
	s_and_saveexec_b64 s[8:9], s[44:45]
	s_cbranch_execz .LBB139_222
; %bb.214:                              ;   in Loop: Header=BB139_29 Depth=1
	v_cmp_ge_u32_e32 vcc, s56, v6
	s_and_saveexec_b64 s[44:45], vcc
	s_xor_b64 s[44:45], exec, s[44:45]
	s_cbranch_execz .LBB139_219
; %bb.215:                              ;   in Loop: Header=BB139_29 Depth=1
	ds_read_b32 v3, v15 offset:4104
	v_and_b32_e32 v4, v35, v4
	v_lshl_or_b32 v35, 2, v39, v4
	v_or_b32_e32 v45, v45, v2
	s_waitcnt lgkmcnt(0)
	v_cmp_ne_u32_e32 vcc, 0, v3
	s_cbranch_vccnz .LBB139_219
; %bb.216:                              ;   in Loop: Header=BB139_29 Depth=1
	s_mov_b64 s[46:47], exec
	v_readlane_b32 s48, v82, 8
	v_readlane_b32 s49, v82, 9
	s_and_b64 s[48:49], s[46:47], s[48:49]
	s_mov_b64 exec, s[48:49]
; %bb.217:                              ;   in Loop: Header=BB139_29 Depth=1
	v_mov_b32_e32 v3, s56
	ds_write_b32 v15, v3 offset:4108
; %bb.218:                              ;   in Loop: Header=BB139_29 Depth=1
	s_or_b64 exec, exec, s[46:47]
	s_waitcnt lgkmcnt(0)
	s_barrier
.LBB139_219:                            ;   in Loop: Header=BB139_29 Depth=1
	s_or_saveexec_b64 s[44:45], s[44:45]
	s_mov_b64 s[46:47], 0
	v_mov_b32_e32 v3, 8
	s_xor_b64 exec, exec, s[44:45]
; %bb.220:                              ;   in Loop: Header=BB139_29 Depth=1
	s_mov_b64 s[46:47], exec
	v_subrev_u32_e32 v6, s56, v6
	v_mov_b32_e32 v3, 0
; %bb.221:                              ;   in Loop: Header=BB139_29 Depth=1
	s_or_b64 exec, exec, s[44:45]
	s_and_b64 s[50:51], s[46:47], exec
	v_mov_b32_e32 v5, v6
.LBB139_222:                            ;   in Loop: Header=BB139_29 Depth=1
	s_or_b64 exec, exec, s[8:9]
	s_mov_b64 s[48:49], -1
                                        ; implicit-def: $sgpr46_sgpr47
                                        ; implicit-def: $sgpr8_sgpr9
	s_and_saveexec_b64 s[44:45], s[50:51]
	s_cbranch_execz .LBB139_261
; %bb.223:                              ;   in Loop: Header=BB139_29 Depth=1
	s_cmp_eq_u32 s74, 1
	s_cselect_b64 s[8:9], -1, 0
	v_cmp_eq_u32_e32 vcc, 1, v5
	s_and_b64 s[48:49], s[8:9], vcc
	s_mov_b64 s[52:53], -1
                                        ; implicit-def: $sgpr46_sgpr47
                                        ; implicit-def: $sgpr8_sgpr9
	s_and_saveexec_b64 s[50:51], s[48:49]
	s_cbranch_execz .LBB139_249
; %bb.224:                              ;   in Loop: Header=BB139_29 Depth=1
	ds_read_b32 v4, v15 offset:4104
	s_waitcnt lgkmcnt(0)
	s_barrier
	v_readfirstlane_b32 s75, v4
	s_and_saveexec_b64 s[8:9], s[6:7]
; %bb.225:                              ;   in Loop: Header=BB139_29 Depth=1
	ds_write_b16 v24, v15
; %bb.226:                              ;   in Loop: Header=BB139_29 Depth=1
	s_or_b64 exec, exec, s[8:9]
	v_or_b32_e32 v35, v35, v2
	v_or_b32_e32 v45, v45, v2
	s_mov_b64 s[8:9], -1
	s_mov_b64 s[46:47], 0
	s_cmp_eq_u32 s75, 0
	s_mov_b64 s[52:53], 0
	s_mov_b64 s[54:55], -1
	s_waitcnt lgkmcnt(0)
	s_barrier
                                        ; implicit-def: $vgpr46
	s_cbranch_scc1 .LBB139_237
; %bb.227:                              ;   in Loop: Header=BB139_29 Depth=1
	v_readlane_b32 s52, v82, 10
	s_add_i32 s52, s75, s52
	v_readlane_b32 s53, v82, 35
	s_mul_hi_u32 s53, s52, s53
	s_mul_i32 s53, s53, s67
	s_sub_i32 s53, s52, s53
	s_sub_i32 s54, s53, s67
	s_cmp_ge_u32 s53, s67
	s_cselect_b32 s53, s54, s53
	s_sub_i32 s54, s53, s67
	s_cmp_ge_u32 s53, s67
	s_cselect_b32 s53, s54, s53
	s_sub_i32 s76, s52, s53
	v_cmp_gt_u32_e32 vcc, s76, v0
	s_mov_b64 s[54:55], 0
	s_mov_b64 s[52:53], 0
                                        ; implicit-def: $vgpr46
	s_and_saveexec_b64 s[56:57], vcc
	s_cbranch_execz .LBB139_236
; %bb.228:                              ;   in Loop: Header=BB139_29 Depth=1
	v_mov_b32_e32 v4, v23
	v_mov_b32_e32 v6, v0
                                        ; implicit-def: $sgpr58_sgpr59
	s_branch .LBB139_231
.LBB139_229:                            ;   in Loop: Header=BB139_231 Depth=2
	s_or_b64 exec, exec, s[60:61]
	s_waitcnt lgkmcnt(0)
	s_barrier
	ds_read_b32 v7, v15 offset:3072
	s_mov_b64 s[60:61], -1
	s_mov_b64 s[62:63], -1
	s_waitcnt lgkmcnt(0)
	s_barrier
	v_and_b32_e32 v8, 0x7fff, v7
	v_cmp_ne_u32_e32 vcc, 0, v8
	s_cbranch_vccz .LBB139_234
.LBB139_230:                            ;   in Loop: Header=BB139_231 Depth=2
	s_and_b64 s[60:61], exec, s[60:61]
	s_or_b64 s[52:53], s[60:61], s[52:53]
	s_andn2_b64 s[58:59], s[58:59], exec
	s_and_b64 s[60:61], s[62:63], exec
	s_or_b64 s[58:59], s[58:59], s[60:61]
	s_andn2_b64 exec, exec, s[52:53]
	s_cbranch_execz .LBB139_235
.LBB139_231:                            ;   Parent Loop BB139_29 Depth=1
                                        ; =>  This Inner Loop Header: Depth=2
	v_cmp_gt_u32_e32 vcc, s75, v6
	s_and_saveexec_b64 s[60:61], vcc
	s_cbranch_execz .LBB139_229
; %bb.232:                              ;   in Loop: Header=BB139_231 Depth=2
	ds_read_u16 v7, v4
	s_waitcnt lgkmcnt(0)
	v_cmp_lt_i16_e32 vcc, -1, v7
	v_lshlrev_b32_e32 v8, 16, v7
	s_nop 0
	v_cndmask_b32_e32 v9, v40, v41, vcc
	v_xor_b32_sdwa v9, v9, v7 dst_sel:DWORD dst_unused:UNUSED_PAD src0_sel:DWORD src1_sel:WORD_0
	v_cmp_o_f32_e32 vcc, v8, v8
	s_nop 1
	v_cndmask_b32_e32 v8, v40, v9, vcc
	v_and_b32_e32 v8, v8, v45
	v_cmp_eq_u32_e32 vcc, v8, v35
	s_and_b64 exec, exec, vcc
	s_cbranch_execz .LBB139_229
; %bb.233:                              ;   in Loop: Header=BB139_231 Depth=2
	v_perm_b32 v7, v7, s24, v44
	ds_write_b32 v15, v7 offset:3072
	s_branch .LBB139_229
.LBB139_234:                            ;   in Loop: Header=BB139_231 Depth=2
	v_add_u32_e32 v6, s67, v6
	v_cmp_le_u32_e32 vcc, s76, v6
	v_add_u32_e32 v4, s80, v4
	s_mov_b64 s[62:63], 0
	s_orn2_b64 s[60:61], vcc, exec
	s_branch .LBB139_230
.LBB139_235:                            ;   in Loop: Header=BB139_29 Depth=1
	s_or_b64 exec, exec, s[52:53]
	v_lshrrev_b32_e32 v46, 16, v7
	s_and_b64 s[52:53], s[58:59], exec
.LBB139_236:                            ;   in Loop: Header=BB139_29 Depth=1
	s_or_b64 exec, exec, s[56:57]
.LBB139_237:                            ;   in Loop: Header=BB139_29 Depth=1
	s_and_b64 vcc, exec, s[54:55]
	s_cbranch_vccz .LBB139_248
; %bb.238:                              ;   in Loop: Header=BB139_29 Depth=1
                                        ; implicit-def: $vgpr46
	s_mov_b64 s[8:9], exec
	v_readlane_b32 s46, v82, 36
	v_readlane_b32 s47, v82, 37
	s_and_b64 s[46:47], s[8:9], s[46:47]
	s_mov_b64 exec, s[46:47]
	s_cbranch_execz .LBB139_247
; %bb.239:                              ;   in Loop: Header=BB139_29 Depth=1
	s_mov_b64 s[46:47], 0
	v_mov_b32_e32 v14, v12
	v_mov_b32_e32 v4, v0
                                        ; implicit-def: $sgpr54_sgpr55
	s_branch .LBB139_242
.LBB139_240:                            ;   in Loop: Header=BB139_242 Depth=2
	s_or_b64 exec, exec, s[56:57]
	s_waitcnt lgkmcnt(0)
	s_barrier
	ds_read_b32 v6, v15 offset:3072
	s_mov_b64 s[56:57], -1
	s_mov_b64 s[58:59], -1
	s_waitcnt lgkmcnt(0)
	s_barrier
	v_and_b32_e32 v7, 0x7fff, v6
	v_cmp_eq_u32_e32 vcc, 0, v7
	s_cbranch_vccnz .LBB139_245
.LBB139_241:                            ;   in Loop: Header=BB139_242 Depth=2
	s_and_b64 s[56:57], exec, s[56:57]
	s_or_b64 s[46:47], s[56:57], s[46:47]
	s_andn2_b64 s[54:55], s[54:55], exec
	s_and_b64 s[56:57], s[58:59], exec
	s_or_b64 s[54:55], s[54:55], s[56:57]
	s_andn2_b64 exec, exec, s[46:47]
	s_cbranch_execz .LBB139_246
.LBB139_242:                            ;   Parent Loop BB139_29 Depth=1
                                        ; =>  This Inner Loop Header: Depth=2
	v_cmp_gt_u32_e32 vcc, s64, v4
	s_and_saveexec_b64 s[56:57], vcc
	s_cbranch_execz .LBB139_240
; %bb.243:                              ;   in Loop: Header=BB139_242 Depth=2
	v_lshl_add_u64 v[6:7], v[14:15], 1, v[10:11]
	global_load_ushort v6, v[6:7], off
	s_waitcnt vmcnt(0)
	v_cmp_lt_i16_e32 vcc, -1, v6
	v_lshlrev_b32_e32 v7, 16, v6
	s_nop 0
	v_cndmask_b32_e32 v8, v40, v41, vcc
	v_xor_b32_sdwa v8, v8, v6 dst_sel:DWORD dst_unused:UNUSED_PAD src0_sel:DWORD src1_sel:WORD_0
	v_cmp_o_f32_e32 vcc, v7, v7
	s_nop 1
	v_cndmask_b32_e32 v7, v40, v8, vcc
	v_and_b32_e32 v7, v7, v45
	v_cmp_eq_u32_e32 vcc, v7, v35
	s_and_b64 exec, exec, vcc
	s_cbranch_execz .LBB139_240
; %bb.244:                              ;   in Loop: Header=BB139_242 Depth=2
	v_perm_b32 v6, v6, s24, v44
	ds_write_b32 v15, v6 offset:3072
	s_branch .LBB139_240
.LBB139_245:                            ;   in Loop: Header=BB139_242 Depth=2
	v_add_u32_e32 v4, s67, v4
	v_cmp_le_u32_e32 vcc, s87, v4
	v_add_u32_e32 v14, s90, v14
	s_mov_b64 s[58:59], 0
	s_orn2_b64 s[56:57], vcc, exec
	s_branch .LBB139_241
.LBB139_246:                            ;   in Loop: Header=BB139_29 Depth=1
	s_or_b64 exec, exec, s[46:47]
	s_andn2_b64 s[46:47], s[52:53], exec
	s_and_b64 s[52:53], s[54:55], exec
	v_lshrrev_b32_e32 v46, 16, v6
	s_or_b64 s[52:53], s[46:47], s[52:53]
.LBB139_247:                            ;   in Loop: Header=BB139_29 Depth=1
	s_or_b64 exec, exec, s[8:9]
	s_mov_b64 s[8:9], 0
	s_mov_b64 s[46:47], -1
.LBB139_248:                            ;   in Loop: Header=BB139_29 Depth=1
	s_orn2_b64 s[52:53], s[52:53], exec
.LBB139_249:                            ;   in Loop: Header=BB139_29 Depth=1
	s_or_b64 exec, exec, s[50:51]
	s_mov_b64 s[54:55], 0
	s_and_saveexec_b64 s[50:51], s[52:53]
	s_cbranch_execz .LBB139_260
; %bb.250:                              ;   in Loop: Header=BB139_29 Depth=1
	s_xor_b64 s[52:53], s[48:49], -1
	v_mov_b32_e32 v3, 1
	v_mov_b32_e32 v4, 1
	s_and_saveexec_b64 s[48:49], s[52:53]
	s_cbranch_execz .LBB139_259
; %bb.251:                              ;   in Loop: Header=BB139_29 Depth=1
	v_cmp_ge_u32_e32 vcc, s74, v5
	s_and_saveexec_b64 s[52:53], vcc
	s_xor_b64 s[52:53], exec, s[52:53]
	s_cbranch_execz .LBB139_256
; %bb.252:                              ;   in Loop: Header=BB139_29 Depth=1
	ds_read_b32 v3, v15 offset:4104
	v_or_b32_e32 v35, v35, v2
	v_or_b32_e32 v45, v45, v2
	s_waitcnt lgkmcnt(0)
	v_cmp_ne_u32_e32 vcc, 0, v3
	s_cbranch_vccnz .LBB139_256
; %bb.253:                              ;   in Loop: Header=BB139_29 Depth=1
	s_mov_b64 s[54:55], exec
	v_readlane_b32 s56, v82, 8
	v_readlane_b32 s57, v82, 9
	s_and_b64 s[56:57], s[54:55], s[56:57]
	s_mov_b64 exec, s[56:57]
; %bb.254:                              ;   in Loop: Header=BB139_29 Depth=1
	v_mov_b32_e32 v2, s74
	ds_write_b32 v15, v2 offset:4108
; %bb.255:                              ;   in Loop: Header=BB139_29 Depth=1
	s_or_b64 exec, exec, s[54:55]
	s_waitcnt lgkmcnt(0)
	s_barrier
.LBB139_256:                            ;   in Loop: Header=BB139_29 Depth=1
	s_andn2_saveexec_b64 s[52:53], s[52:53]
; %bb.257:                              ;   in Loop: Header=BB139_29 Depth=1
	v_subrev_u32_e32 v5, s74, v5
; %bb.258:                              ;   in Loop: Header=BB139_29 Depth=1
	s_or_b64 exec, exec, s[52:53]
	v_mov_b32_e32 v3, 8
	v_mov_b32_e32 v4, v5
.LBB139_259:                            ;   in Loop: Header=BB139_29 Depth=1
	s_or_b64 exec, exec, s[48:49]
	s_mov_b64 s[54:55], exec
	v_mov_b32_e32 v5, v4
.LBB139_260:                            ;   in Loop: Header=BB139_29 Depth=1
	s_or_b64 exec, exec, s[50:51]
	s_orn2_b64 s[48:49], s[54:55], exec
.LBB139_261:                            ;   in Loop: Header=BB139_29 Depth=1
	s_or_b64 exec, exec, s[44:45]
	s_andn2_b64 s[40:41], s[40:41], exec
	s_and_b64 s[44:45], s[46:47], exec
	s_andn2_b64 s[38:39], s[38:39], exec
	s_and_b64 s[8:9], s[8:9], exec
	s_or_b64 s[40:41], s[40:41], s[44:45]
	s_or_b64 s[38:39], s[38:39], s[8:9]
	s_and_b64 s[46:47], s[48:49], exec
	v_mov_b32_e32 v6, v5
.LBB139_262:                            ;   in Loop: Header=BB139_29 Depth=1
	s_or_b64 exec, exec, s[42:43]
	s_orn2_b64 s[8:9], s[46:47], exec
.LBB139_263:                            ;   in Loop: Header=BB139_29 Depth=1
	s_or_b64 exec, exec, s[36:37]
	s_andn2_b64 s[30:31], s[30:31], exec
	s_and_b64 s[36:37], s[40:41], exec
	s_or_b64 s[30:31], s[30:31], s[36:37]
	s_andn2_b64 s[28:29], s[28:29], exec
	s_and_b64 s[36:37], s[38:39], exec
	s_or_b64 s[28:29], s[28:29], s[36:37]
	s_and_b64 s[38:39], s[8:9], exec
	v_mov_b32_e32 v5, v6
.LBB139_264:                            ;   in Loop: Header=BB139_29 Depth=1
	s_or_b64 exec, exec, s[34:35]
	s_orn2_b64 s[8:9], s[38:39], exec
.LBB139_265:                            ;   in Loop: Header=BB139_29 Depth=1
	s_or_b64 exec, exec, s[26:27]
	s_mov_b64 s[26:27], 0
                                        ; implicit-def: $sgpr36
	s_and_saveexec_b64 s[34:35], s[8:9]
	s_xor_b64 s[8:9], exec, s[34:35]
	s_cbranch_execz .LBB139_27
; %bb.266:                              ;   in Loop: Header=BB139_29 Depth=1
	v_and_b32_e32 v2, 7, v3
	v_cmp_eq_u32_e32 vcc, 0, v2
	s_mov_b64 s[22:23], -1
	s_mov_b64 s[26:27], -1
                                        ; implicit-def: $sgpr36
	s_and_saveexec_b64 s[34:35], vcc
	s_cbranch_execz .LBB139_26
; %bb.267:                              ;   in Loop: Header=BB139_29 Depth=1
	v_add_u32_e32 v2, -2, v39
	v_cmp_eq_u32_e32 vcc, 0, v39
	s_xor_b32 s36, s25, 1
	s_xor_b64 s[26:27], exec, -1
	s_orn2_b64 s[22:23], vcc, exec
	v_mov_b32_e32 v39, v2
	s_branch .LBB139_26
.LBB139_268:
	s_or_b64 exec, exec, s[94:95]
	s_xor_b64 s[8:9], s[72:73], -1
	s_xor_b64 s[0:1], s[96:97], -1
	;; [unrolled: 1-line block ×3, first 2 shown]
	s_mov_b64 s[4:5], 0
	s_and_saveexec_b64 s[2:3], s[0:1]
	s_xor_b64 s[2:3], exec, s[2:3]
	s_cbranch_execnz .LBB139_273
; %bb.269:
	s_andn2_saveexec_b64 s[0:1], s[2:3]
	s_cbranch_execnz .LBB139_286
.LBB139_270:
	s_or_b64 exec, exec, s[0:1]
	s_and_saveexec_b64 s[0:1], s[4:5]
.LBB139_271:
	; divergent unreachable
.LBB139_272:
	s_endpgm
.LBB139_273:
	s_and_saveexec_b64 s[0:1], s[8:9]
	s_xor_b64 s[4:5], exec, s[0:1]
	s_cbranch_execz .LBB139_284
; %bb.274:
	s_and_saveexec_b64 s[0:1], s[6:7]
	s_xor_b64 s[6:7], exec, s[0:1]
; %bb.275:
	v_and_b32_e32 v1, 0x8000, v35
	v_mov_b32_e32 v2, 0x8000
	v_mov_b32_e32 v3, 0xffff
	v_cmp_eq_u32_e32 vcc, 0, v1
	s_nop 1
	v_cndmask_b32_e32 v1, v2, v3, vcc
	v_xor_b32_e32 v46, v1, v35
; %bb.276:
	s_or_b64 exec, exec, s[6:7]
	v_readlane_b32 s0, v82, 0
	s_mul_i32 s0, s0, s33
	s_add_i32 s0, s0, s69
	s_mov_b32 s1, 0
	s_lshl_b64 s[0:1], s[0:1], 1
	v_readlane_b32 s6, v82, 2
	v_readlane_b32 s7, v82, 3
	s_add_u32 s0, s6, s0
	s_addc_u32 s1, s7, s1
	v_mov_b32_e32 v13, 0
	global_store_short v13, v46, s[0:1]
	s_mov_b64 s[6:7], exec
	v_readlane_b32 s0, v82, 6
	v_readlane_b32 s1, v82, 7
	s_and_b64 s[0:1], s[6:7], s[0:1]
	s_mov_b64 exec, s[0:1]
	s_cbranch_execz .LBB139_283
; %bb.277:
	v_lshlrev_b32_e32 v1, 16, v46
	v_cmp_u_f32_e32 vcc, v1, v1
	s_mov_b64 s[8:9], 0
	s_xor_b64 s[12:13], vcc, -1
                                        ; implicit-def: $sgpr10_sgpr11
                                        ; implicit-def: $sgpr16_sgpr17
                                        ; implicit-def: $sgpr14_sgpr15
	s_branch .LBB139_279
.LBB139_278:                            ;   in Loop: Header=BB139_279 Depth=1
	s_or_b64 exec, exec, s[0:1]
	s_and_b64 s[0:1], exec, s[16:17]
	s_or_b64 s[8:9], s[0:1], s[8:9]
	s_andn2_b64 s[0:1], s[10:11], exec
	s_and_b64 s[10:11], s[14:15], exec
	s_or_b64 s[10:11], s[0:1], s[10:11]
	s_andn2_b64 exec, exec, s[8:9]
	s_cbranch_execz .LBB139_281
.LBB139_279:                            ; =>This Inner Loop Header: Depth=1
	v_lshl_add_u64 v[2:3], v[12:13], 1, v[10:11]
	global_load_ushort v3, v[2:3], off
	v_mov_b32_e32 v2, v0
	s_or_b64 s[14:15], s[14:15], exec
	s_or_b64 s[16:17], s[16:17], exec
	s_waitcnt vmcnt(0)
	v_lshlrev_b32_e32 v0, 16, v3
	v_cmp_o_f32_e64 s[0:1], v0, v0
	v_cmp_neq_f32_e32 vcc, v0, v1
	s_or_b64 s[0:1], s[12:13], s[0:1]
	s_and_b64 s[18:19], vcc, s[0:1]
                                        ; implicit-def: $vgpr0
	s_and_saveexec_b64 s[0:1], s[18:19]
	s_cbranch_execz .LBB139_278
; %bb.280:                              ;   in Loop: Header=BB139_279 Depth=1
	v_add_u32_e32 v0, s67, v2
	v_cmp_le_u32_e32 vcc, s64, v0
	s_andn2_b64 s[16:17], s[16:17], exec
	s_and_b64 s[18:19], vcc, exec
	v_add_u32_e32 v12, s90, v12
	s_andn2_b64 s[14:15], s[14:15], exec
	s_or_b64 s[16:17], s[16:17], s[18:19]
	s_branch .LBB139_278
.LBB139_281:
	s_or_b64 exec, exec, s[8:9]
	s_and_saveexec_b64 s[0:1], s[10:11]
	s_xor_b64 s[0:1], exec, s[0:1]
	s_cbranch_execz .LBB139_283
; %bb.282:
	v_readlane_b32 s0, v82, 1
	s_mul_i32 s0, s0, s65
	s_add_i32 s0, s0, s71
	s_mov_b32 s1, 0
	s_lshl_b64 s[0:1], s[0:1], 3
	v_readlane_b32 s8, v82, 4
	v_readlane_b32 s9, v82, 5
	s_add_u32 s0, s8, s0
	s_addc_u32 s1, s9, s1
	v_mov_b32_e32 v3, 0
	global_store_dwordx2 v3, v[2:3], s[0:1]
.LBB139_283:
	s_or_b64 exec, exec, s[6:7]
.LBB139_284:
	s_or_saveexec_b64 s[0:1], s[4:5]
	s_mov_b64 s[4:5], 0
	s_xor_b64 exec, exec, s[0:1]
	s_cbranch_execnz .LBB139_287
.LBB139_285:
	s_or_b64 exec, exec, s[0:1]
	s_and_b64 s[4:5], s[4:5], exec
	s_andn2_saveexec_b64 s[0:1], s[2:3]
	s_cbranch_execz .LBB139_270
.LBB139_286:
	s_or_b64 s[4:5], s[4:5], exec
	s_trap 2
	s_or_b64 exec, exec, s[0:1]
	s_and_saveexec_b64 s[0:1], s[4:5]
	s_cbranch_execnz .LBB139_271
	s_branch .LBB139_272
.LBB139_287:
	s_mov_b64 s[4:5], exec
	s_trap 2
	s_branch .LBB139_285
	.section	.rodata,"a",@progbits
	.p2align	6, 0x0
	.amdhsa_kernel _ZN2at6native12_GLOBAL__N_112gatherMedianIN3c108BFloat16EjLin1EEEvNS_4cuda6detail10TensorInfoIT_T0_EENS7_IlS9_EENS7_IKS8_S9_EES9_S9_S9_b
		.amdhsa_group_segment_fixed_size 4120
		.amdhsa_private_segment_fixed_size 0
		.amdhsa_kernarg_size 920
		.amdhsa_user_sgpr_count 2
		.amdhsa_user_sgpr_dispatch_ptr 0
		.amdhsa_user_sgpr_queue_ptr 0
		.amdhsa_user_sgpr_kernarg_segment_ptr 1
		.amdhsa_user_sgpr_dispatch_id 0
		.amdhsa_user_sgpr_kernarg_preload_length 0
		.amdhsa_user_sgpr_kernarg_preload_offset 0
		.amdhsa_user_sgpr_private_segment_size 0
		.amdhsa_uses_dynamic_stack 0
		.amdhsa_enable_private_segment 0
		.amdhsa_system_sgpr_workgroup_id_x 1
		.amdhsa_system_sgpr_workgroup_id_y 1
		.amdhsa_system_sgpr_workgroup_id_z 1
		.amdhsa_system_sgpr_workgroup_info 0
		.amdhsa_system_vgpr_workitem_id 0
		.amdhsa_next_free_vgpr 83
		.amdhsa_next_free_sgpr 100
		.amdhsa_accum_offset 84
		.amdhsa_reserve_vcc 1
		.amdhsa_float_round_mode_32 0
		.amdhsa_float_round_mode_16_64 0
		.amdhsa_float_denorm_mode_32 3
		.amdhsa_float_denorm_mode_16_64 3
		.amdhsa_dx10_clamp 1
		.amdhsa_ieee_mode 1
		.amdhsa_fp16_overflow 0
		.amdhsa_tg_split 0
		.amdhsa_exception_fp_ieee_invalid_op 0
		.amdhsa_exception_fp_denorm_src 0
		.amdhsa_exception_fp_ieee_div_zero 0
		.amdhsa_exception_fp_ieee_overflow 0
		.amdhsa_exception_fp_ieee_underflow 0
		.amdhsa_exception_fp_ieee_inexact 0
		.amdhsa_exception_int_div_zero 0
	.end_amdhsa_kernel
	.section	.text._ZN2at6native12_GLOBAL__N_112gatherMedianIN3c108BFloat16EjLin1EEEvNS_4cuda6detail10TensorInfoIT_T0_EENS7_IlS9_EENS7_IKS8_S9_EES9_S9_S9_b,"axG",@progbits,_ZN2at6native12_GLOBAL__N_112gatherMedianIN3c108BFloat16EjLin1EEEvNS_4cuda6detail10TensorInfoIT_T0_EENS7_IlS9_EENS7_IKS8_S9_EES9_S9_S9_b,comdat
.Lfunc_end139:
	.size	_ZN2at6native12_GLOBAL__N_112gatherMedianIN3c108BFloat16EjLin1EEEvNS_4cuda6detail10TensorInfoIT_T0_EENS7_IlS9_EENS7_IKS8_S9_EES9_S9_S9_b, .Lfunc_end139-_ZN2at6native12_GLOBAL__N_112gatherMedianIN3c108BFloat16EjLin1EEEvNS_4cuda6detail10TensorInfoIT_T0_EENS7_IlS9_EENS7_IKS8_S9_EES9_S9_S9_b
                                        ; -- End function
	.set _ZN2at6native12_GLOBAL__N_112gatherMedianIN3c108BFloat16EjLin1EEEvNS_4cuda6detail10TensorInfoIT_T0_EENS7_IlS9_EENS7_IKS8_S9_EES9_S9_S9_b.num_vgpr, 83
	.set _ZN2at6native12_GLOBAL__N_112gatherMedianIN3c108BFloat16EjLin1EEEvNS_4cuda6detail10TensorInfoIT_T0_EENS7_IlS9_EENS7_IKS8_S9_EES9_S9_S9_b.num_agpr, 0
	.set _ZN2at6native12_GLOBAL__N_112gatherMedianIN3c108BFloat16EjLin1EEEvNS_4cuda6detail10TensorInfoIT_T0_EENS7_IlS9_EENS7_IKS8_S9_EES9_S9_S9_b.numbered_sgpr, 100
	.set _ZN2at6native12_GLOBAL__N_112gatherMedianIN3c108BFloat16EjLin1EEEvNS_4cuda6detail10TensorInfoIT_T0_EENS7_IlS9_EENS7_IKS8_S9_EES9_S9_S9_b.num_named_barrier, 0
	.set _ZN2at6native12_GLOBAL__N_112gatherMedianIN3c108BFloat16EjLin1EEEvNS_4cuda6detail10TensorInfoIT_T0_EENS7_IlS9_EENS7_IKS8_S9_EES9_S9_S9_b.private_seg_size, 0
	.set _ZN2at6native12_GLOBAL__N_112gatherMedianIN3c108BFloat16EjLin1EEEvNS_4cuda6detail10TensorInfoIT_T0_EENS7_IlS9_EENS7_IKS8_S9_EES9_S9_S9_b.uses_vcc, 1
	.set _ZN2at6native12_GLOBAL__N_112gatherMedianIN3c108BFloat16EjLin1EEEvNS_4cuda6detail10TensorInfoIT_T0_EENS7_IlS9_EENS7_IKS8_S9_EES9_S9_S9_b.uses_flat_scratch, 0
	.set _ZN2at6native12_GLOBAL__N_112gatherMedianIN3c108BFloat16EjLin1EEEvNS_4cuda6detail10TensorInfoIT_T0_EENS7_IlS9_EENS7_IKS8_S9_EES9_S9_S9_b.has_dyn_sized_stack, 0
	.set _ZN2at6native12_GLOBAL__N_112gatherMedianIN3c108BFloat16EjLin1EEEvNS_4cuda6detail10TensorInfoIT_T0_EENS7_IlS9_EENS7_IKS8_S9_EES9_S9_S9_b.has_recursion, 0
	.set _ZN2at6native12_GLOBAL__N_112gatherMedianIN3c108BFloat16EjLin1EEEvNS_4cuda6detail10TensorInfoIT_T0_EENS7_IlS9_EENS7_IKS8_S9_EES9_S9_S9_b.has_indirect_call, 0
	.section	.AMDGPU.csdata,"",@progbits
; Kernel info:
; codeLenInByte = 12424
; TotalNumSgprs: 106
; NumVgprs: 83
; NumAgprs: 0
; TotalNumVgprs: 83
; ScratchSize: 0
; MemoryBound: 0
; FloatMode: 240
; IeeeMode: 1
; LDSByteSize: 4120 bytes/workgroup (compile time only)
; SGPRBlocks: 13
; VGPRBlocks: 10
; NumSGPRsForWavesPerEU: 106
; NumVGPRsForWavesPerEU: 83
; AccumOffset: 84
; Occupancy: 5
; WaveLimiterHint : 1
; COMPUTE_PGM_RSRC2:SCRATCH_EN: 0
; COMPUTE_PGM_RSRC2:USER_SGPR: 2
; COMPUTE_PGM_RSRC2:TRAP_HANDLER: 0
; COMPUTE_PGM_RSRC2:TGID_X_EN: 1
; COMPUTE_PGM_RSRC2:TGID_Y_EN: 1
; COMPUTE_PGM_RSRC2:TGID_Z_EN: 1
; COMPUTE_PGM_RSRC2:TIDIG_COMP_CNT: 0
; COMPUTE_PGM_RSRC3_GFX90A:ACCUM_OFFSET: 20
; COMPUTE_PGM_RSRC3_GFX90A:TG_SPLIT: 0
	.section	.text._ZN2at6native12_GLOBAL__N_112gatherMedianIN3c108BFloat16EmLi1EEEvNS_4cuda6detail10TensorInfoIT_T0_EENS7_IlS9_EENS7_IKS8_S9_EES9_S9_S9_b,"axG",@progbits,_ZN2at6native12_GLOBAL__N_112gatherMedianIN3c108BFloat16EmLi1EEEvNS_4cuda6detail10TensorInfoIT_T0_EENS7_IlS9_EENS7_IKS8_S9_EES9_S9_S9_b,comdat
	.globl	_ZN2at6native12_GLOBAL__N_112gatherMedianIN3c108BFloat16EmLi1EEEvNS_4cuda6detail10TensorInfoIT_T0_EENS7_IlS9_EENS7_IKS8_S9_EES9_S9_S9_b ; -- Begin function _ZN2at6native12_GLOBAL__N_112gatherMedianIN3c108BFloat16EmLi1EEEvNS_4cuda6detail10TensorInfoIT_T0_EENS7_IlS9_EENS7_IKS8_S9_EES9_S9_S9_b
	.p2align	8
	.type	_ZN2at6native12_GLOBAL__N_112gatherMedianIN3c108BFloat16EmLi1EEEvNS_4cuda6detail10TensorInfoIT_T0_EENS7_IlS9_EENS7_IKS8_S9_EES9_S9_S9_b,@function
_ZN2at6native12_GLOBAL__N_112gatherMedianIN3c108BFloat16EmLi1EEEvNS_4cuda6detail10TensorInfoIT_T0_EENS7_IlS9_EENS7_IKS8_S9_EES9_S9_S9_b: ; @_ZN2at6native12_GLOBAL__N_112gatherMedianIN3c108BFloat16EmLi1EEEvNS_4cuda6detail10TensorInfoIT_T0_EENS7_IlS9_EENS7_IKS8_S9_EES9_S9_S9_b
; %bb.0:
	s_load_dwordx2 s[8:9], s[0:1], 0x500
	s_load_dwordx4 s[56:59], s[0:1], 0x4e0
	s_add_u32 s10, s0, 0x500
	s_addc_u32 s11, s1, 0
	s_mov_b32 s5, 0
	s_waitcnt lgkmcnt(0)
	s_mul_i32 s4, s9, s4
	s_add_i32 s3, s4, s3
	s_mul_i32 s3, s3, s8
	s_add_i32 s4, s3, s2
	v_mov_b64_e32 v[2:3], s[4:5]
	v_cmp_le_u64_e32 vcc, s[58:59], v[2:3]
	s_cbranch_vccnz .LBB140_285
; %bb.1:
	s_load_dwordx2 s[68:69], s[0:1], 0x4f0
	s_load_dwordx2 s[6:7], s[0:1], 0x410
	s_mov_b32 s14, s4
	s_load_dwordx2 s[4:5], s[0:1], 0x340
	s_load_dwordx2 s[12:13], s[0:1], 0x270
                                        ; implicit-def: $vgpr69 : SGPR spill to VGPR lane
	v_mov_b32_e32 v1, 0
	v_mov_b64_e32 v[2:3], 0
	s_waitcnt lgkmcnt(0)
	s_mul_i32 s3, s7, s14
	s_mul_hi_u32 s7, s6, s14
	v_writelane_b32 v69, s12, 0
	s_add_i32 s7, s7, s3
	s_mul_i32 s6, s6, s14
	v_writelane_b32 v69, s13, 1
	s_load_dwordx2 s[12:13], s[0:1], 0x1a0
	s_waitcnt lgkmcnt(0)
	v_writelane_b32 v69, s12, 2
	s_nop 1
	v_writelane_b32 v69, s13, 3
	s_load_dwordx2 s[12:13], s[0:1], 0xd0
	s_waitcnt lgkmcnt(0)
	v_writelane_b32 v69, s12, 4
	s_nop 1
	v_writelane_b32 v69, s13, 5
	s_load_dwordx2 s[12:13], s[0:1], 0x0
	s_waitcnt lgkmcnt(0)
	v_writelane_b32 v69, s12, 6
	s_nop 1
	v_writelane_b32 v69, s13, 7
	s_mov_b32 s12, s14
	v_writelane_b32 v69, s12, 8
	v_cmp_gt_u64_e64 s[14:15], s[56:57], v[0:1]
	s_nop 0
	v_writelane_b32 v69, s13, 9
	s_mov_b64 s[12:13], exec
	v_writelane_b32 v69, s14, 10
	s_nop 1
	v_writelane_b32 v69, s15, 11
	s_and_b64 s[14:15], s[12:13], s[14:15]
	s_mov_b64 exec, s[14:15]
	s_cbranch_execz .LBB140_5
; %bb.2:
	s_load_dword s3, s[10:11], 0xc
	v_mad_u64_u32 v[2:3], s[16:17], s68, v0, 0
	v_mov_b32_e32 v4, v3
	v_mad_u64_u32 v[4:5], s[16:17], s69, v0, v[4:5]
	s_waitcnt lgkmcnt(0)
	s_and_b32 s14, s3, 0xffff
	s_lshl_b64 s[16:17], s[6:7], 1
	s_add_u32 s16, s4, s16
	v_mov_b32_e32 v3, v4
	s_addc_u32 s17, s5, s17
	s_mul_i32 s3, s69, s14
	s_mul_hi_u32 s9, s68, s14
	v_lshl_add_u64 v[4:5], v[2:3], 1, s[16:17]
	s_add_i32 s17, s9, s3
	s_mul_i32 s16, s68, s14
	s_mov_b32 s15, 0
	s_lshl_b64 s[18:19], s[16:17], 1
	s_mov_b64 s[16:17], 0
	v_mov_b64_e32 v[2:3], 0
	v_mov_b64_e32 v[6:7], v[0:1]
.LBB140_3:                              ; =>This Inner Loop Header: Depth=1
	global_load_ushort v8, v[4:5], off
	v_lshl_add_u64 v[6:7], v[6:7], 0, s[14:15]
	v_cmp_le_u64_e32 vcc, s[56:57], v[6:7]
	s_or_b64 s[16:17], vcc, s[16:17]
	v_mov_b32_e32 v9, s15
	v_lshl_add_u64 v[4:5], v[4:5], 0, s[18:19]
	s_waitcnt vmcnt(0)
	v_lshlrev_b32_e32 v8, 16, v8
	v_cmp_u_f32_e32 vcc, v8, v8
	s_nop 1
	v_cndmask_b32_e64 v8, 0, 1, vcc
	v_lshl_add_u64 v[2:3], v[2:3], 0, v[8:9]
	s_andn2_b64 exec, exec, s[16:17]
	s_cbranch_execnz .LBB140_3
; %bb.4:
	s_or_b64 exec, exec, s[16:17]
.LBB140_5:
	s_or_b64 exec, exec, s[12:13]
	v_cmp_eq_u32_e64 s[14:15], 0, v0
	s_mov_b64 s[12:13], exec
	s_nop 0
	v_writelane_b32 v69, s14, 12
	s_nop 1
	v_writelane_b32 v69, s15, 13
	s_and_b64 s[14:15], s[12:13], s[14:15]
	s_mov_b64 exec, s[14:15]
; %bb.6:
	v_mov_b32_e32 v4, 0
	v_mov_b32_e32 v5, v4
	ds_write_b64 v4, v[4:5] offset:5136
; %bb.7:
	s_or_b64 exec, exec, s[12:13]
	s_mov_b64 s[14:15], 0
	v_cmp_ne_u64_e32 vcc, 0, v[2:3]
	s_waitcnt lgkmcnt(0)
	s_barrier
	s_and_saveexec_b64 s[12:13], vcc
	s_cbranch_execz .LBB140_12
; %bb.8:
	s_mov_b64 s[16:17], exec
.LBB140_9:                              ; =>This Inner Loop Header: Depth=1
	s_ff1_i32_b64 s3, s[16:17]
	v_readlane_b32 s18, v2, s3
	v_readlane_b32 s9, v3, s3
	s_add_u32 s14, s14, s18
	s_addc_u32 s15, s15, s9
	s_lshl_b64 s[18:19], 1, s3
	s_andn2_b64 s[16:17], s[16:17], s[18:19]
	s_cmp_lg_u64 s[16:17], 0
	s_cbranch_scc1 .LBB140_9
; %bb.10:
	v_mbcnt_lo_u32_b32 v2, exec_lo, 0
	v_mbcnt_hi_u32_b32 v2, exec_hi, v2
	v_cmp_eq_u32_e32 vcc, 0, v2
	s_and_saveexec_b64 s[16:17], vcc
	s_xor_b64 s[16:17], exec, s[16:17]
; %bb.11:
	v_mov_b32_e32 v2, 0
	v_mov_b64_e32 v[4:5], s[14:15]
	ds_add_u64 v2, v[4:5] offset:5136
.LBB140_12:
	s_or_b64 exec, exec, s[12:13]
	v_mov_b32_e32 v3, 0
	s_waitcnt lgkmcnt(0)
	s_barrier
	ds_read_b64 v[4:5], v3 offset:5136
	s_waitcnt lgkmcnt(0)
	v_readfirstlane_b32 s12, v4
	v_readfirstlane_b32 s13, v5
	s_mov_b64 s[14:15], exec
	v_readlane_b32 s16, v69, 12
	v_readlane_b32 s17, v69, 13
	s_and_b64 s[16:17], s[14:15], s[16:17]
	s_mov_b64 exec, s[16:17]
	s_cbranch_execz .LBB140_14
; %bb.13:
	v_mov_b32_e32 v4, 0
	v_mov_b32_e32 v6, s56
	;; [unrolled: 1-line block ×4, first 2 shown]
	ds_write_b32 v4, v4 offset:5144
	ds_write_b128 v4, v[4:7] offset:5120
.LBB140_14:
	s_or_b64 exec, exec, s[14:15]
	s_load_dword s3, s[0:1], 0x4f8
	v_cmp_lt_i64_e64 s[0:1], s[12:13], 1
	v_mbcnt_lo_u32_b32 v2, -1, 0
	v_mbcnt_hi_u32_b32 v36, -1, v2
	v_cmp_gt_u32_e32 vcc, 64, v0
	s_waitcnt lgkmcnt(0)
	s_bitcmp1_b32 s3, 0
	s_cselect_b64 s[14:15], -1, 0
	s_not_b64 s[12:13], s[12:13]
	s_or_b64 s[0:1], s[14:15], s[0:1]
	s_add_u32 s12, s56, s12
	s_addc_u32 s13, s57, s13
	s_lshr_b64 s[12:13], s[12:13], 1
	s_add_u32 s3, s12, 1
	s_addc_u32 s9, s13, 0
	s_and_b64 s[0:1], s[0:1], exec
	s_cselect_b32 s13, s9, s57
	s_cselect_b32 s12, s3, s56
	s_lshl_b64 s[0:1], s[6:7], 1
	s_add_u32 s60, s4, s0
	s_addc_u32 s61, s5, s1
	v_cmp_gt_i32_e64 s[0:1], 4, v36
	s_and_b64 s[90:91], vcc, s[0:1]
	v_cmp_gt_u32_e64 s[0:1], 2, v0
	v_mov_b64_e32 v[4:5], 0x600
	s_nop 0
	v_writelane_b32 v69, s0, 14
	s_barrier
	s_nop 0
	v_writelane_b32 v69, s1, 15
	v_cmp_gt_u64_e64 s[0:1], s[56:57], v[4:5]
	v_mov_b32_e32 v19, -1
	v_not_b32_e32 v18, v0
	v_writelane_b32 v69, s0, 16
	v_lshlrev_b32_e32 v8, 3, v0
	s_mov_b32 s55, s68
	v_writelane_b32 v69, s1, 17
	v_mad_u64_u32 v[4:5], s[0:1], s68, v0, 0
	v_mov_b32_e32 v2, v5
	v_mad_u64_u32 v[6:7], s[0:1], s69, v0, v[2:3]
	s_load_dword s0, s[10:11], 0xc
	v_lshlrev_b32_e32 v2, 2, v36
	v_and_b32_e32 v39, 0x100, v2
	v_lshrrev_b32_e32 v2, 1, v0
	v_and_b32_e32 v2, 0x1e0, v2
	s_waitcnt lgkmcnt(0)
	s_and_b32 s70, s0, 0xffff
	s_bfe_u32 s0, s0, 0xa0006
	s_cmp_gt_u32 s70, 63
	v_mov_b32_e32 v5, v6
	v_lshlrev_b64 v[6:7], v36, -1
	s_cselect_b64 s[6:7], -1, 0
	v_or_b32_e32 v40, 0xc00, v2
	v_add_u32_e32 v2, 2, v0
	v_not_b32_e32 v16, v6
	v_writelane_b32 v69, s6, 18
	s_add_u32 s1, s70, -1
	v_mov_b32_e32 v6, s57
	v_cmp_gt_u64_e32 vcc, s[56:57], v[2:3]
	v_not_b32_e32 v17, v7
	v_writelane_b32 v69, s7, 19
	s_addc_u32 s3, 0, -1
	v_cndmask_b32_e32 v7, 0, v6, vcc
	v_mov_b32_e32 v6, s56
	v_writelane_b32 v69, s1, 20
	s_add_u32 s1, s1, s56
	v_cndmask_b32_e32 v6, v2, v6, vcc
	v_writelane_b32 v69, s1, 21
	s_addc_u32 s83, s3, s57
	v_lshl_add_u64 v[6:7], v[6:7], 0, v[18:19]
	v_writelane_b32 v69, s3, 22
	s_cmp_lt_u32 s2, s8
	v_cmp_lt_u64_e64 s[2:3], 3, v[6:7]
	s_cselect_b32 s1, 12, 18
	v_and_b32_e32 v20, -4, v6
	v_writelane_b32 v69, s2, 23
	v_mov_b32_e32 v21, v7
	s_add_u32 s72, s10, s1
	v_writelane_b32 v69, s3, 24
	v_cmp_ne_u64_e64 s[2:3], v[6:7], v[20:21]
	s_addc_u32 s73, s11, 0
	s_add_i32 s1, s0, -1
	v_writelane_b32 v69, s2, 25
	s_and_b32 s1, s1, 0xffff
	v_or_b32_e32 v6, 6, v8
	v_writelane_b32 v69, s3, 26
	s_bfe_u32 s2, s70, 0x30006
	s_cmp_gt_u32 s1, 6
	s_cselect_b64 s[6:7], -1, 0
	v_writelane_b32 v69, s6, 27
	s_and_b32 s84, s0, 0x3f8
	s_cmp_lg_u32 s2, 0
	v_writelane_b32 v69, s7, 28
	v_writelane_b32 v69, s2, 29
	s_cselect_b64 s[0:1], -1, 0
	v_writelane_b32 v69, s0, 30
	s_mov_b32 s78, s69
	s_mov_b32 s79, s68
	v_writelane_b32 v69, s1, 31
	s_lshl_b64 s[0:1], s[68:69], 1
	v_writelane_b32 v69, s0, 32
	s_mov_b32 s80, s69
	s_mov_b32 s77, 0
	v_writelane_b32 v69, s1, 33
	v_mad_u64_u32 v[24:25], s[0:1], s68, v6, 0
	v_mov_b32_e32 v2, v25
	v_mad_u64_u32 v[6:7], s[0:1], s69, v6, v[2:3]
	v_mov_b32_e32 v25, v6
	v_or_b32_e32 v6, 4, v8
	v_mad_u64_u32 v[26:27], s[0:1], s68, v6, 0
	v_mov_b32_e32 v2, v27
	v_mad_u64_u32 v[6:7], s[0:1], s69, v6, v[2:3]
	v_mov_b32_e32 v27, v6
	v_or_b32_e32 v6, 2, v8
	v_writelane_b32 v69, s72, 34
	v_mad_u64_u32 v[28:29], s[0:1], s68, v6, 0
	s_nop 0
	v_writelane_b32 v69, s73, 35
	v_mov_b32_e32 v2, v29
	v_writelane_b32 v69, s55, 36
	v_mad_u64_u32 v[6:7], s[0:1], s69, v6, v[2:3]
	v_writelane_b32 v69, s78, 37
	s_mul_i32 s0, s69, s70
	s_mul_hi_u32 s1, s68, s70
	v_writelane_b32 v69, s79, 38
	v_lshlrev_b32_e32 v37, 1, v0
	s_mov_b32 s81, s68
	v_mov_b32_e32 v2, 0xc00
	s_add_i32 s1, s1, s0
	s_mul_i32 s0, s68, s70
	v_writelane_b32 v69, s80, 39
	v_cmp_eq_u32_e64 s[4:5], 0, v36
	v_add_u32_e32 v38, 0xc00, v37
	v_lshl_add_u64 v[12:13], v[4:5], 1, s[60:61]
	v_lshlrev_b32_e32 v14, 2, v0
	v_mov_b32_e32 v15, v3
	s_mov_b32 s33, 0xffff
	s_mov_b32 s71, s77
	v_lshl_add_u64 v[22:23], v[20:21], 0, v[0:1]
	s_mov_b32 s52, s69
	s_lshl_b64 s[92:93], s[68:69], 3
	v_mov_b32_e32 v29, v6
	v_lshlrev_b64 v[30:31], 3, v[4:5]
	v_lshlrev_b32_e32 v18, 3, v0
	v_lshl_or_b32 v42, v36, 3, v2
	s_lshl_b32 s85, s70, 1
	s_lshl_b64 s[74:75], s[0:1], 1
	s_mov_b32 s6, 14
	s_mov_b64 s[94:95], 0
	v_mov_b64_e32 v[32:33], s[12:13]
	s_mov_b32 s53, 0x5040100
	v_mov_b64_e32 v[52:53], s[56:57]
	s_movk_i32 s49, 0x3f80
	v_mov_b32_e32 v43, 0xffff
	v_mov_b32_e32 v44, 0x8000
	;; [unrolled: 1-line block ×5, first 2 shown]
	s_mov_b32 s7, 0
	v_mov_b32_e32 v41, 0
	v_mov_b32_e32 v47, 0
	v_writelane_b32 v69, s81, 40
                                        ; implicit-def: $sgpr96_sgpr97
                                        ; implicit-def: $sgpr58_sgpr59
                                        ; implicit-def: $sgpr98_sgpr99
                                        ; implicit-def: $sgpr64_sgpr65
                                        ; implicit-def: $sgpr66_sgpr67
                                        ; implicit-def: $sgpr62_sgpr63
	v_writelane_b32 v69, s52, 41
	s_branch .LBB140_18
.LBB140_15:                             ;   in Loop: Header=BB140_18 Depth=1
	s_or_b64 exec, exec, s[12:13]
	s_and_b64 s[10:11], s[10:11], exec
	s_andn2_b64 s[24:25], s[24:25], exec
	s_andn2_b64 s[0:1], s[0:1], exec
	s_orn2_b64 s[18:19], s[8:9], exec
.LBB140_16:                             ;   in Loop: Header=BB140_18 Depth=1
	s_or_b64 exec, exec, s[2:3]
	s_andn2_b64 s[2:3], s[62:63], exec
	s_and_b64 s[8:9], s[10:11], exec
	s_or_b64 s[62:63], s[2:3], s[8:9]
	s_andn2_b64 s[2:3], s[66:67], exec
	s_and_b64 s[8:9], s[24:25], exec
	s_or_b64 s[66:67], s[2:3], s[8:9]
	;; [unrolled: 3-line block ×3, first 2 shown]
	s_orn2_b64 s[0:1], s[18:19], exec
.LBB140_17:                             ;   in Loop: Header=BB140_18 Depth=1
	s_or_b64 exec, exec, s[16:17]
	s_and_b64 s[0:1], exec, s[0:1]
	s_or_b64 s[94:95], s[0:1], s[94:95]
	s_andn2_b64 s[0:1], s[98:99], exec
	s_and_b64 s[2:3], s[62:63], exec
	s_or_b64 s[98:99], s[0:1], s[2:3]
	s_andn2_b64 s[0:1], s[58:59], exec
	s_and_b64 s[2:3], s[66:67], exec
	s_or_b64 s[58:59], s[0:1], s[2:3]
	s_andn2_b64 s[0:1], s[96:97], exec
	s_and_b64 s[2:3], s[64:65], exec
	s_or_b64 s[96:97], s[0:1], s[2:3]
	v_mov_b64_e32 v[32:33], v[8:9]
	s_andn2_b64 exec, exec, s[94:95]
	s_cbranch_execz .LBB140_281
.LBB140_18:                             ; =>This Loop Header: Depth=1
                                        ;     Child Loop BB140_23 Depth 2
                                        ;     Child Loop BB140_37 Depth 2
	;; [unrolled: 1-line block ×17, first 2 shown]
	ds_read_b128 v[4:7], v3 offset:5120
	s_waitcnt lgkmcnt(0)
	v_readfirstlane_b32 s13, v5
	v_readfirstlane_b32 s12, v4
	s_cmp_lg_u64 s[12:13], 0
	s_cbranch_scc1 .LBB140_50
; %bb.19:                               ;   in Loop: Header=BB140_18 Depth=1
	v_readlane_b32 s0, v69, 16
	v_readlane_b32 s1, v69, 17
	s_and_b64 vcc, exec, s[0:1]
	s_cbranch_vccz .LBB140_31
; %bb.20:                               ;   in Loop: Header=BB140_18 Depth=1
	s_mov_b64 s[0:1], 0x601
	v_cmp_gt_u64_e32 vcc, s[0:1], v[6:7]
	s_mov_b64 s[8:9], 0
	s_mov_b64 s[0:1], 0
	s_cbranch_vccz .LBB140_32
; %bb.21:                               ;   in Loop: Header=BB140_18 Depth=1
	global_load_ushort v6, v3, s[72:73]
	global_load_ushort v8, v[12:13], off
	v_readlane_b32 s14, v69, 32
	v_mov_b64_e32 v[4:5], s[60:61]
	v_readlane_b32 s15, v69, 33
	s_mov_b64 s[10:11], 0
	s_waitcnt vmcnt(1)
	v_readfirstlane_b32 s0, v6
	s_and_b32 s0, 0xffff, s0
	s_nop 0
	v_add_u32_e32 v7, s0, v0
	s_mul_i32 s2, s15, s0
	s_mul_hi_u32 s3, s14, s0
	s_mul_i32 s12, s14, s0
	v_mad_u64_u32 v[4:5], s[0:1], s14, v7, v[4:5]
	v_and_b32_e32 v2, 0xffff, v6
	v_mov_b32_e32 v6, v5
	v_mad_u64_u32 v[6:7], s[0:1], s15, v7, v[6:7]
	s_add_i32 s13, s3, s2
	v_mov_b32_e32 v5, v6
	v_mov_b64_e32 v[6:7], v[0:1]
	s_branch .LBB140_23
.LBB140_22:                             ;   in Loop: Header=BB140_23 Depth=2
	s_or_b64 exec, exec, s[2:3]
	v_lshl_add_u64 v[4:5], v[4:5], 0, s[12:13]
	v_mov_b32_e32 v8, v9
	s_andn2_b64 exec, exec, s[10:11]
	s_cbranch_execz .LBB140_148
.LBB140_23:                             ;   Parent Loop BB140_18 Depth=1
                                        ; =>  This Inner Loop Header: Depth=2
	v_lshl_add_u64 v[6:7], v[6:7], 0, v[2:3]
	v_cmp_gt_u64_e64 s[0:1], s[56:57], v[6:7]
	v_cmp_le_u64_e32 vcc, s[56:57], v[6:7]
	s_waitcnt lgkmcnt(0)
	v_mov_b32_e32 v10, 0
	v_mov_b32_e32 v9, 0
	s_and_saveexec_b64 s[2:3], s[0:1]
	s_cbranch_execz .LBB140_25
; %bb.24:                               ;   in Loop: Header=BB140_23 Depth=2
	global_load_ushort v9, v[4:5], off
.LBB140_25:                             ;   in Loop: Header=BB140_23 Depth=2
	s_or_b64 exec, exec, s[2:3]
	s_waitcnt vmcnt(0)
	v_cmp_lt_i16_e64 s[0:1], -1, v8
	v_lshlrev_b32_e32 v34, 16, v8
	s_nop 0
	v_cndmask_b32_e64 v11, v43, v44, s[0:1]
	v_xor_b32_sdwa v11, v11, v8 dst_sel:DWORD dst_unused:UNUSED_PAD src0_sel:DWORD src1_sel:WORD_0
	v_cmp_o_f32_e64 s[0:1], v34, v34
	s_nop 1
	v_cndmask_b32_e64 v11, v43, v11, s[0:1]
	v_and_b32_e32 v11, v11, v47
	v_cmp_eq_u32_e64 s[0:1], v11, v41
	s_cmp_lg_u64 s[0:1], 0
	s_cselect_b64 s[2:3], -1, 0
	s_and_b64 s[2:3], s[4:5], s[2:3]
	s_and_saveexec_b64 s[14:15], s[2:3]
	s_cbranch_execz .LBB140_29
; %bb.26:                               ;   in Loop: Header=BB140_23 Depth=2
	s_mov_b64 s[18:19], exec
	v_mbcnt_lo_u32_b32 v10, s18, 0
	v_mbcnt_hi_u32_b32 v10, s19, v10
	s_bcnt1_i32_b64 s20, s[0:1]
	v_cmp_eq_u32_e64 s[2:3], 0, v10
                                        ; implicit-def: $vgpr11
	s_and_saveexec_b64 s[16:17], s[2:3]
; %bb.27:                               ;   in Loop: Header=BB140_23 Depth=2
	s_bcnt1_i32_b64 s2, s[18:19]
	s_mul_i32 s2, s20, s2
	v_mov_b32_e32 v11, s2
	ds_add_rtn_u32 v11, v3, v11 offset:5144
; %bb.28:                               ;   in Loop: Header=BB140_23 Depth=2
	s_or_b64 exec, exec, s[16:17]
	s_waitcnt lgkmcnt(0)
	v_readfirstlane_b32 s2, v11
	s_nop 1
	v_mov_b32_e32 v11, s2
	v_mad_u32_u24 v10, s20, v10, v11
.LBB140_29:                             ;   in Loop: Header=BB140_23 Depth=2
	s_or_b64 exec, exec, s[14:15]
	ds_bpermute_b32 v10, v39, v10
	s_and_b64 s[2:3], exec, vcc
	s_or_b64 s[10:11], s[2:3], s[10:11]
	s_and_saveexec_b64 s[2:3], s[0:1]
	s_cbranch_execz .LBB140_22
; %bb.30:                               ;   in Loop: Header=BB140_23 Depth=2
	v_and_b32_e32 v34, s0, v16
	v_and_b32_e32 v11, s1, v17
	v_bcnt_u32_b32 v34, v34, 0
	v_bcnt_u32_b32 v11, v11, v34
	v_lshlrev_b32_e32 v11, 1, v11
	s_waitcnt lgkmcnt(0)
	v_lshl_add_u32 v10, v10, 1, v11
	ds_write_b16 v10, v8
	s_branch .LBB140_22
.LBB140_31:                             ;   in Loop: Header=BB140_18 Depth=1
	s_mov_b64 s[8:9], -1
	s_mov_b64 s[0:1], 0
.LBB140_32:                             ;   in Loop: Header=BB140_18 Depth=1
	s_and_b64 vcc, exec, s[8:9]
	s_cbranch_vccz .LBB140_48
.LBB140_33:                             ;   in Loop: Header=BB140_18 Depth=1
	s_mov_b64 s[0:1], exec
	v_readlane_b32 s2, v69, 10
	v_readlane_b32 s3, v69, 11
	s_and_b64 s[2:3], s[0:1], s[2:3]
	s_mov_b64 exec, s[2:3]
	s_cbranch_execz .LBB140_45
; %bb.34:                               ;   in Loop: Header=BB140_18 Depth=1
	global_load_ushort v2, v3, s[72:73]
	global_load_ushort v49, v[12:13], off
	v_mov_b32_e32 v8, v0
	s_waitcnt vmcnt(1)
	v_readfirstlane_b32 s8, v2
	v_add_u32_sdwa v2, v2, v0 dst_sel:DWORD dst_unused:UNUSED_PAD src0_sel:WORD_0 src1_sel:DWORD
	v_cmp_gt_u64_e32 vcc, s[56:57], v[2:3]
	s_and_saveexec_b64 s[2:3], vcc
	s_cbranch_execz .LBB140_44
; %bb.35:                               ;   in Loop: Header=BB140_18 Depth=1
	s_and_b32 s76, s8, 0xffff
	s_cmp_eq_u32 s76, 1
	v_readlane_b32 s10, v69, 23
	s_cselect_b64 s[8:9], -1, 0
	v_readlane_b32 s11, v69, 24
	s_and_b64 s[12:13], s[10:11], s[8:9]
	s_mov_b64 s[10:11], -1
	v_mov_b64_e32 v[6:7], v[0:1]
	v_mov_b64_e32 v[4:5], v[2:3]
                                        ; implicit-def: $vgpr8_vgpr9
	s_and_saveexec_b64 s[8:9], s[12:13]
	s_cbranch_execz .LBB140_39
; %bb.36:                               ;   in Loop: Header=BB140_18 Depth=1
	v_lshl_add_u64 v[8:9], v[2:3], 0, 3
	v_lshl_add_u64 v[6:7], v[2:3], 0, 2
	;; [unrolled: 1-line block ×3, first 2 shown]
	v_mov_b64_e32 v[10:11], v[8:9]
	s_waitcnt vmcnt(0)
	v_lshlrev_b32_e32 v51, 16, v49
	s_mov_b64 s[10:11], 0
	v_mov_b64_e32 v[34:35], v[20:21]
	v_mov_b32_e32 v50, v37
	v_mov_b64_e32 v[8:9], v[6:7]
	v_mov_b64_e32 v[6:7], v[4:5]
	;; [unrolled: 1-line block ×3, first 2 shown]
.LBB140_37:                             ;   Parent Loop BB140_18 Depth=1
                                        ; =>  This Inner Loop Header: Depth=2
	v_mul_lo_u32 v49, v11, s81
	v_mul_lo_u32 v62, v10, s52
	v_mad_u64_u32 v[54:55], s[12:13], v10, s81, 0
	v_mul_lo_u32 v63, v9, s79
	v_mul_lo_u32 v64, v8, s80
	v_mad_u64_u32 v[56:57], s[12:13], v8, s79, 0
	;; [unrolled: 3-line block ×4, first 2 shown]
	v_add3_u32 v55, v55, v62, v49
	v_add3_u32 v57, v57, v64, v63
	;; [unrolled: 1-line block ×4, first 2 shown]
	v_lshl_add_u64 v[56:57], v[56:57], 1, s[60:61]
	v_lshl_add_u64 v[54:55], v[54:55], 1, s[60:61]
	;; [unrolled: 1-line block ×4, first 2 shown]
	global_load_ushort v56, v[56:57], off
	s_nop 0
	global_load_ushort v49, v[54:55], off
	s_nop 0
	global_load_ushort v54, v[58:59], off
	global_load_ushort v57, v[60:61], off
	v_lshl_add_u64 v[34:35], v[34:35], 0, -4
	v_cmp_eq_u64_e32 vcc, 0, v[34:35]
	v_lshl_add_u64 v[10:11], v[10:11], 0, 4
	v_lshl_add_u64 v[8:9], v[8:9], 0, 4
	;; [unrolled: 1-line block ×4, first 2 shown]
	s_or_b64 s[10:11], vcc, s[10:11]
	s_waitcnt vmcnt(2)
	v_perm_b32 v58, v49, v56, s53
	s_waitcnt vmcnt(1)
	v_perm_b32 v55, v56, v54, s53
	s_waitcnt vmcnt(0)
	v_alignbit_b32 v54, v57, v51, 16
	ds_write_b64 v50, v[54:55]
	v_add_u32_e32 v50, 8, v50
	v_mov_b32_e32 v51, v58
	s_andn2_b64 exec, exec, s[10:11]
	s_cbranch_execnz .LBB140_37
; %bb.38:                               ;   in Loop: Header=BB140_18 Depth=1
	s_or_b64 exec, exec, s[10:11]
	v_readlane_b32 s10, v69, 25
	v_lshl_add_u64 v[4:5], v[2:3], 0, v[20:21]
	v_readlane_b32 s11, v69, 26
	v_lshl_add_u64 v[8:9], v[4:5], 0, -1
	s_orn2_b64 s[10:11], s[10:11], exec
	v_mov_b64_e32 v[6:7], v[22:23]
.LBB140_39:                             ;   in Loop: Header=BB140_18 Depth=1
	s_or_b64 exec, exec, s[8:9]
	s_and_saveexec_b64 s[8:9], s[10:11]
	s_cbranch_execz .LBB140_43
; %bb.40:                               ;   in Loop: Header=BB140_18 Depth=1
	v_mov_b64_e32 v[8:9], s[60:61]
	v_readlane_b32 s16, v69, 32
	v_readlane_b32 s17, v69, 33
	s_sub_u32 s10, 0, s76
	v_mad_u64_u32 v[8:9], s[14:15], s16, v4, v[8:9]
	v_mul_lo_u32 v2, s16, v5
	v_mul_lo_u32 v7, s17, v4
	s_mul_i32 s14, s17, s76
	s_mul_hi_u32 s15, s16, s76
	s_mov_b64 s[12:13], 0
	s_subb_u32 s11, 0, 0
	v_add3_u32 v9, v7, v9, v2
	s_add_i32 s15, s15, s14
	s_mul_i32 s14, s16, s76
.LBB140_41:                             ;   Parent Loop BB140_18 Depth=1
                                        ; =>  This Inner Loop Header: Depth=2
	s_waitcnt vmcnt(0)
	v_mov_b32_e32 v2, v49
	global_load_ushort v49, v[8:9], off
	v_mov_b64_e32 v[10:11], v[4:5]
	v_lshlrev_b32_e32 v4, 1, v6
	ds_write_b16 v4, v2
	v_lshl_add_u64 v[4:5], v[10:11], 0, s[76:77]
	v_cmp_le_u64_e32 vcc, s[56:57], v[4:5]
	v_lshl_add_u64 v[8:9], v[8:9], 0, s[14:15]
	s_or_b64 s[12:13], vcc, s[12:13]
	v_mov_b64_e32 v[6:7], v[10:11]
	s_andn2_b64 exec, exec, s[12:13]
	s_cbranch_execnz .LBB140_41
; %bb.42:                               ;   in Loop: Header=BB140_18 Depth=1
	s_or_b64 exec, exec, s[12:13]
	v_lshl_add_u64 v[8:9], s[10:11], 0, v[4:5]
.LBB140_43:                             ;   in Loop: Header=BB140_18 Depth=1
	s_or_b64 exec, exec, s[8:9]
.LBB140_44:                             ;   in Loop: Header=BB140_18 Depth=1
	s_or_b64 exec, exec, s[2:3]
	v_lshlrev_b32_e32 v2, 1, v8
	s_waitcnt vmcnt(0)
	ds_write_b16 v2, v49
.LBB140_45:                             ;   in Loop: Header=BB140_18 Depth=1
	s_or_b64 exec, exec, s[0:1]
	s_waitcnt lgkmcnt(0)
	s_barrier
	s_mov_b64 s[0:1], exec
	v_readlane_b32 s2, v69, 12
	v_readlane_b32 s3, v69, 13
	s_and_b64 s[2:3], s[0:1], s[2:3]
	s_mov_b64 exec, s[2:3]
; %bb.46:                               ;   in Loop: Header=BB140_18 Depth=1
	ds_write_b64 v3, v[52:53] offset:5120
; %bb.47:                               ;   in Loop: Header=BB140_18 Depth=1
	s_or_b64 exec, exec, s[0:1]
	s_mov_b64 s[0:1], -1
	s_waitcnt lgkmcnt(0)
	s_barrier
.LBB140_48:                             ;   in Loop: Header=BB140_18 Depth=1
	s_mov_b64 s[12:13], 0
	s_and_b64 vcc, exec, s[0:1]
	s_cbranch_vccz .LBB140_50
; %bb.49:                               ;   in Loop: Header=BB140_18 Depth=1
	ds_read_b64 v[4:5], v3 offset:5120
	s_waitcnt lgkmcnt(0)
	v_readfirstlane_b32 s12, v4
.LBB140_50:                             ;   in Loop: Header=BB140_18 Depth=1
	s_cmp_lt_i32 s12, 1
	s_mov_b64 s[0:1], -1
                                        ; implicit-def: $vgpr4_vgpr5
                                        ; implicit-def: $vgpr8_vgpr9
	s_cbranch_scc1 .LBB140_60
; %bb.51:                               ;   in Loop: Header=BB140_18 Depth=1
	s_and_b64 vcc, exec, s[0:1]
	s_cbranch_vccnz .LBB140_74
.LBB140_52:                             ;   in Loop: Header=BB140_18 Depth=1
	s_lshl_b32 s2, s7, 6
	s_and_saveexec_b64 s[0:1], s[4:5]
	s_cbranch_execz .LBB140_54
.LBB140_53:                             ;   in Loop: Header=BB140_18 Depth=1
	v_lshl_add_u32 v2, s2, 3, v40
	ds_write_b128 v2, v[4:7]
	ds_write_b128 v2, v[8:11] offset:16
.LBB140_54:                             ;   in Loop: Header=BB140_18 Depth=1
	s_or_b64 exec, exec, s[0:1]
	s_waitcnt lgkmcnt(0)
	s_barrier
	s_and_saveexec_b64 s[0:1], s[90:91]
	s_cbranch_execz .LBB140_89
; %bb.55:                               ;   in Loop: Header=BB140_18 Depth=1
	v_readlane_b32 s8, v69, 18
	v_readlane_b32 s9, v69, 19
	s_andn2_b64 vcc, exec, s[8:9]
	v_mov_b64_e32 v[4:5], 0
	s_cbranch_vccnz .LBB140_88
; %bb.56:                               ;   in Loop: Header=BB140_18 Depth=1
	v_readlane_b32 s8, v69, 27
	v_readlane_b32 s9, v69, 28
	s_andn2_b64 vcc, exec, s[8:9]
	s_cbranch_vccnz .LBB140_84
; %bb.57:                               ;   in Loop: Header=BB140_18 Depth=1
	v_lshl_add_u32 v2, s7, 9, v42
	v_mov_b64_e32 v[4:5], 0
	s_mov_b32 s3, 0
.LBB140_58:                             ;   Parent Loop BB140_18 Depth=1
                                        ; =>  This Inner Loop Header: Depth=2
	ds_read2_b64 v[6:9], v2 offset1:4
	ds_read2_b64 v[54:57], v2 offset0:8 offset1:12
	ds_read2_b64 v[58:61], v2 offset0:16 offset1:20
	;; [unrolled: 1-line block ×3, first 2 shown]
	s_add_i32 s3, s3, 8
	s_waitcnt lgkmcnt(3)
	v_lshl_add_u64 v[4:5], v[6:7], 0, v[4:5]
	v_lshl_add_u64 v[4:5], v[8:9], 0, v[4:5]
	s_waitcnt lgkmcnt(2)
	v_lshl_add_u64 v[4:5], v[54:55], 0, v[4:5]
	v_lshl_add_u64 v[4:5], v[56:57], 0, v[4:5]
	;; [unrolled: 3-line block ×3, first 2 shown]
	s_waitcnt lgkmcnt(0)
	v_lshl_add_u64 v[4:5], v[62:63], 0, v[4:5]
	v_add_u32_e32 v2, 0x100, v2
	s_cmp_eq_u32 s84, s3
	v_lshl_add_u64 v[4:5], v[64:65], 0, v[4:5]
	s_cbranch_scc0 .LBB140_58
; %bb.59:                               ;   in Loop: Header=BB140_18 Depth=1
	s_mov_b32 s3, s84
	s_branch .LBB140_85
.LBB140_60:                             ;   in Loop: Header=BB140_18 Depth=1
	global_load_ushort v2, v3, s[72:73]
	s_mov_b32 s0, s77
	s_waitcnt vmcnt(0)
	v_readfirstlane_b32 s1, v2
	s_and_b32 s10, s1, 0xffff
	s_lshl_b32 s76, s10, 2
	s_mov_b32 s1, s57
	s_cmp_lg_u64 s[0:1], 0
	s_cbranch_scc0 .LBB140_83
; %bb.61:                               ;   in Loop: Header=BB140_18 Depth=1
	v_cvt_f32_u32_e32 v2, s76
	s_sub_u32 s2, 0, s76
	s_subb_u32 s3, 0, 0
	v_fmac_f32_e32 v2, 0, v45
	v_rcp_f32_e32 v2, v2
	s_nop 0
	v_mul_f32_e32 v2, 0x5f7ffffc, v2
	v_mul_f32_e32 v4, 0x2f800000, v2
	v_trunc_f32_e32 v4, v4
	v_fmac_f32_e32 v2, 0xcf800000, v4
	v_cvt_u32_f32_e32 v4, v4
	v_cvt_u32_f32_e32 v2, v2
	v_readfirstlane_b32 s8, v4
	v_readfirstlane_b32 s0, v2
	s_mul_i32 s1, s2, s8
	s_mul_hi_u32 s11, s2, s0
	s_mul_i32 s9, s3, s0
	s_add_i32 s1, s11, s1
	s_mul_i32 s13, s2, s0
	s_add_i32 s1, s1, s9
	s_mul_hi_u32 s11, s0, s13
	s_mul_i32 s14, s0, s1
	s_mul_hi_u32 s9, s0, s1
	s_add_u32 s11, s11, s14
	s_addc_u32 s9, 0, s9
	s_mul_hi_u32 s15, s8, s13
	s_mul_i32 s13, s8, s13
	s_add_u32 s11, s11, s13
	s_mul_hi_u32 s14, s8, s1
	s_addc_u32 s9, s9, s15
	s_addc_u32 s11, s14, 0
	s_mul_i32 s1, s8, s1
	s_add_u32 s1, s9, s1
	s_addc_u32 s9, 0, s11
	s_add_u32 s11, s0, s1
	s_cselect_b64 s[0:1], -1, 0
	s_cmp_lg_u64 s[0:1], 0
	s_addc_u32 s8, s8, s9
	s_mul_i32 s0, s2, s8
	s_mul_hi_u32 s1, s2, s11
	s_add_i32 s0, s1, s0
	s_mul_i32 s3, s3, s11
	s_add_i32 s0, s0, s3
	s_mul_i32 s2, s2, s11
	s_mul_hi_u32 s3, s8, s2
	s_mul_i32 s9, s8, s2
	s_mul_i32 s14, s11, s0
	s_mul_hi_u32 s2, s11, s2
	s_mul_hi_u32 s13, s11, s0
	s_add_u32 s2, s2, s14
	s_addc_u32 s13, 0, s13
	s_add_u32 s2, s2, s9
	s_mul_hi_u32 s1, s8, s0
	s_addc_u32 s2, s13, s3
	s_addc_u32 s1, s1, 0
	s_mul_i32 s0, s8, s0
	s_add_u32 s0, s2, s0
	s_addc_u32 s2, 0, s1
	s_add_u32 s3, s11, s0
	s_cselect_b64 s[0:1], -1, 0
	s_cmp_lg_u64 s[0:1], 0
	s_addc_u32 s0, s8, s2
	s_mul_i32 s2, s56, s0
	s_mul_hi_u32 s8, s56, s3
	s_mul_hi_u32 s1, s56, s0
	s_add_u32 s2, s8, s2
	s_addc_u32 s1, 0, s1
	s_mul_hi_u32 s9, s57, s3
	s_mul_i32 s3, s57, s3
	s_add_u32 s2, s2, s3
	s_mul_hi_u32 s8, s57, s0
	s_addc_u32 s1, s1, s9
	s_addc_u32 s2, s8, 0
	s_mul_i32 s0, s57, s0
	s_add_u32 s0, s1, s0
	s_addc_u32 s1, 0, s2
	s_mul_i32 s1, s76, s1
	s_mul_hi_u32 s2, s76, s0
	s_add_i32 s2, s2, s1
	s_mul_i32 s0, s76, s0
	s_sub_u32 s3, s56, s0
	s_cselect_b64 s[0:1], -1, 0
	s_cmp_lg_u64 s[0:1], 0
	s_subb_u32 s2, s57, s2
	s_sub_u32 s8, s3, s76
	s_cselect_b64 s[0:1], -1, 0
	s_cmp_lg_u64 s[0:1], 0
	s_subb_u32 s9, s2, 0
	s_sub_u32 s11, s8, s76
	s_cselect_b64 s[0:1], -1, 0
	s_cmp_lg_u64 s[0:1], 0
	s_subb_u32 s0, s9, 0
	s_cmp_ge_u32 s8, s76
	s_cselect_b32 s1, -1, 0
	s_cmp_eq_u32 s9, 0
	s_cselect_b32 s1, s1, -1
	s_cmp_lg_u32 s1, 0
	s_cselect_b32 s0, s0, s9
	s_cselect_b32 s8, s11, s8
	s_cmp_ge_u32 s3, s76
	s_cselect_b32 s1, -1, 0
	s_cmp_eq_u32 s2, 0
	s_cselect_b32 s1, s1, -1
	s_cmp_lg_u32 s1, 0
	s_cselect_b32 s1, s0, s2
	s_cselect_b32 s0, s8, s3
	s_cbranch_execnz .LBB140_63
.LBB140_62:                             ;   in Loop: Header=BB140_18 Depth=1
	v_cvt_f32_u32_e32 v2, s76
	s_sub_i32 s0, 0, s76
	v_rcp_iflag_f32_e32 v2, v2
	s_nop 0
	v_mul_f32_e32 v2, 0x4f7ffffe, v2
	v_cvt_u32_f32_e32 v2, v2
	s_nop 0
	v_readfirstlane_b32 s1, v2
	s_mul_i32 s0, s0, s1
	s_mul_hi_u32 s0, s1, s0
	s_add_i32 s1, s1, s0
	s_mul_hi_u32 s0, s56, s1
	s_mul_i32 s0, s0, s76
	s_sub_i32 s0, s56, s0
	s_sub_i32 s1, s0, s76
	s_cmp_ge_u32 s0, s76
	s_cselect_b32 s0, s1, s0
	s_sub_i32 s1, s0, s76
	s_cmp_ge_u32 s0, s76
	s_cselect_b32 s0, s1, s0
	s_mov_b32 s1, s77
.LBB140_63:                             ;   in Loop: Header=BB140_18 Depth=1
	s_sub_u32 s14, s56, s0
	s_subb_u32 s15, s57, s1
	s_mov_b32 s11, s77
	v_cmp_gt_u64_e32 vcc, s[14:15], v[14:15]
	v_mov_b64_e32 v[4:5], 0
	v_mov_b64_e32 v[6:7], 0
	;; [unrolled: 1-line block ×4, first 2 shown]
	s_and_saveexec_b64 s[86:87], vcc
	s_cbranch_execz .LBB140_67
; %bb.64:                               ;   in Loop: Header=BB140_18 Depth=1
	s_mul_i32 s0, s93, s10
	s_mul_hi_u32 s1, s92, s10
	s_mov_b64 s[78:79], s[90:91]
	s_add_i32 s13, s1, s0
	s_mov_b64 s[88:89], 0
	s_mov_b64 s[72:73], s[60:61]
	;; [unrolled: 1-line block ×6, first 2 shown]
	v_mov_b64_e32 v[34:35], v[14:15]
.LBB140_65:                             ;   Parent Loop BB140_18 Depth=1
                                        ; =>  This Inner Loop Header: Depth=2
	v_lshl_add_u64 v[4:5], s[72:73], 0, v[30:31]
	v_lshl_add_u64 v[6:7], s[72:73], 0, v[28:29]
	;; [unrolled: 1-line block ×4, first 2 shown]
	global_load_ushort v2, v[4:5], off
	s_nop 0
	global_load_ushort v4, v[6:7], off
	global_load_ushort v5, v[8:9], off
	s_nop 0
	global_load_ushort v6, v[10:11], off
	s_mul_i32 s82, s92, s10
	v_lshl_add_u64 v[34:35], v[34:35], 0, s[76:77]
	v_cmp_le_u64_e32 vcc, s[14:15], v[34:35]
	s_waitcnt vmcnt(3)
	v_cmp_lt_i16_e64 s[0:1], -1, v2
	s_nop 1
	v_cndmask_b32_e64 v11, v43, v44, s[0:1]
	s_waitcnt vmcnt(2)
	v_cmp_lt_i16_e64 s[0:1], -1, v4
	v_lshlrev_b32_e32 v7, 16, v2
	v_lshlrev_b32_e32 v8, 16, v4
	v_cndmask_b32_e64 v49, v43, v44, s[0:1]
	s_waitcnt vmcnt(1)
	v_cmp_lt_i16_e64 s[0:1], -1, v5
	v_xor_b32_sdwa v2, v11, v2 dst_sel:DWORD dst_unused:UNUSED_PAD src0_sel:DWORD src1_sel:WORD_0
	v_cmp_o_f32_e64 s[18:19], v7, v7
	v_cndmask_b32_e64 v50, v43, v44, s[0:1]
	s_waitcnt vmcnt(0)
	v_cmp_lt_i16_e64 s[0:1], -1, v6
	v_lshlrev_b32_e32 v9, 16, v5
	v_xor_b32_sdwa v4, v49, v4 dst_sel:DWORD dst_unused:UNUSED_PAD src0_sel:DWORD src1_sel:WORD_0
	v_cndmask_b32_e64 v51, v43, v44, s[0:1]
	v_cmp_o_f32_e64 s[0:1], v8, v8
	v_cndmask_b32_e64 v2, v43, v2, s[18:19]
	v_lshlrev_b32_e32 v10, 16, v6
	v_xor_b32_sdwa v5, v50, v5 dst_sel:DWORD dst_unused:UNUSED_PAD src0_sel:DWORD src1_sel:WORD_0
	v_cmp_o_f32_e64 s[2:3], v9, v9
	v_cndmask_b32_e64 v4, v43, v4, s[0:1]
	v_and_b32_e32 v7, v2, v47
	v_bfe_u32 v2, v2, s6, 2
	v_xor_b32_sdwa v6, v51, v6 dst_sel:DWORD dst_unused:UNUSED_PAD src0_sel:DWORD src1_sel:WORD_0
	v_cmp_o_f32_e64 s[16:17], v10, v10
	v_cndmask_b32_e64 v5, v43, v5, s[2:3]
	v_and_b32_e32 v8, v4, v47
	v_bfe_u32 v4, v4, s6, 2
	v_cmp_eq_u32_e64 s[0:1], v7, v41
	v_cmp_eq_u32_e64 s[20:21], 0, v2
	v_cndmask_b32_e64 v6, v43, v6, s[16:17]
	v_and_b32_e32 v9, v5, v47
	v_bfe_u32 v5, v5, s6, 2
	v_cmp_eq_u32_e64 s[2:3], v8, v41
	v_cmp_eq_u32_e64 s[22:23], 0, v4
	s_and_b64 s[20:21], s[0:1], s[20:21]
	v_and_b32_e32 v10, v6, v47
	v_bfe_u32 v6, v6, s6, 2
	v_cmp_eq_u32_e64 s[16:17], v9, v41
	v_cmp_eq_u32_e64 s[24:25], 0, v5
	;; [unrolled: 1-line block ×5, first 2 shown]
	v_cndmask_b32_e64 v2, 0, 1, s[20:21]
	s_and_b64 s[20:21], s[2:3], s[22:23]
	v_cmp_eq_u32_e64 s[18:19], v10, v41
	v_cmp_eq_u32_e64 s[26:27], 0, v6
	;; [unrolled: 1-line block ×5, first 2 shown]
	v_cndmask_b32_e64 v4, 0, 1, s[20:21]
	s_and_b64 s[20:21], s[16:17], s[24:25]
	v_cmp_eq_u32_e64 s[36:37], 1, v5
	v_cmp_eq_u32_e64 s[44:45], 2, v5
	;; [unrolled: 1-line block ×3, first 2 shown]
	v_cndmask_b32_e64 v5, 0, 1, s[20:21]
	s_and_b64 s[20:21], s[18:19], s[26:27]
	v_cmp_eq_u32_e64 s[38:39], 1, v6
	v_cmp_eq_u32_e64 s[46:47], 2, v6
	;; [unrolled: 1-line block ×3, first 2 shown]
	v_cndmask_b32_e64 v6, 0, 1, s[20:21]
	v_cmp_ne_u32_e64 s[20:21], 0, v2
	v_cmp_ne_u32_e64 s[22:23], 0, v4
	v_cmp_ne_u32_e64 s[24:25], 0, v5
	v_cmp_ne_u32_e64 s[26:27], 0, v6
	s_bcnt1_i32_b64 s20, s[20:21]
	s_bcnt1_i32_b64 s21, s[22:23]
	s_bcnt1_i32_b64 s22, s[24:25]
	s_bcnt1_i32_b64 s23, s[26:27]
	s_add_u32 s20, s20, s90
	s_addc_u32 s24, 0, s91
	s_add_u32 s20, s20, s21
	s_addc_u32 s21, s24, 0
	s_add_u32 s20, s20, s22
	s_addc_u32 s21, s21, 0
	s_add_u32 s90, s20, s23
	s_addc_u32 s91, s21, 0
	s_and_b64 s[20:21], s[0:1], s[28:29]
	v_cndmask_b32_e64 v2, 0, 1, s[20:21]
	s_and_b64 s[20:21], s[2:3], s[34:35]
	v_cndmask_b32_e64 v6, 0, 1, s[20:21]
	s_and_b64 s[20:21], s[16:17], s[36:37]
	v_cndmask_b32_e64 v7, 0, 1, s[20:21]
	s_and_b64 s[20:21], s[18:19], s[38:39]
	v_cndmask_b32_e64 v8, 0, 1, s[20:21]
	v_cmp_ne_u32_e64 s[20:21], 0, v2
	v_cmp_ne_u32_e64 s[22:23], 0, v6
	v_cmp_ne_u32_e64 s[24:25], 0, v7
	v_cmp_ne_u32_e64 s[26:27], 0, v8
	s_bcnt1_i32_b64 s20, s[20:21]
	s_bcnt1_i32_b64 s21, s[22:23]
	s_bcnt1_i32_b64 s22, s[24:25]
	s_bcnt1_i32_b64 s23, s[26:27]
	s_add_u32 s20, s20, s80
	s_addc_u32 s24, 0, s81
	s_add_u32 s20, s20, s21
	s_addc_u32 s21, s24, 0
	s_add_u32 s20, s20, s22
	s_addc_u32 s21, s21, 0
	s_add_u32 s80, s20, s23
	s_addc_u32 s81, s21, 0
	s_and_b64 s[20:21], s[0:1], s[40:41]
	v_cndmask_b32_e64 v2, 0, 1, s[20:21]
	s_and_b64 s[20:21], s[2:3], s[42:43]
	v_cndmask_b32_e64 v8, 0, 1, s[20:21]
	s_and_b64 s[20:21], s[16:17], s[44:45]
	v_cndmask_b32_e64 v9, 0, 1, s[20:21]
	s_and_b64 s[20:21], s[18:19], s[46:47]
	;; [unrolled: 24-line block ×3, first 2 shown]
	v_cndmask_b32_e64 v49, 0, 1, s[0:1]
	v_cmp_ne_u32_e64 s[0:1], 0, v2
	v_cmp_ne_u32_e64 s[2:3], 0, v10
	;; [unrolled: 1-line block ×4, first 2 shown]
	s_bcnt1_i32_b64 s0, s[0:1]
	s_bcnt1_i32_b64 s1, s[2:3]
	;; [unrolled: 1-line block ×4, first 2 shown]
	s_add_u32 s0, s0, s8
	s_addc_u32 s8, 0, s9
	s_add_u32 s0, s0, s1
	s_addc_u32 s1, s8, 0
	;; [unrolled: 2-line block ×5, first 2 shown]
	v_mov_b64_e32 v[4:5], s[90:91]
	v_mov_b64_e32 v[6:7], s[80:81]
	;; [unrolled: 1-line block ×3, first 2 shown]
	s_or_b64 s[88:89], vcc, s[88:89]
	v_mov_b64_e32 v[10:11], s[8:9]
	s_andn2_b64 exec, exec, s[88:89]
	s_cbranch_execnz .LBB140_65
; %bb.66:                               ;   in Loop: Header=BB140_18 Depth=1
	s_or_b64 exec, exec, s[88:89]
	v_readlane_b32 s72, v69, 34
	s_mov_b64 s[90:91], s[78:79]
	v_readlane_b32 s73, v69, 35
	v_readlane_b32 s55, v69, 36
	;; [unrolled: 1-line block ×7, first 2 shown]
	s_mov_b32 s53, 0x5040100
	s_movk_i32 s49, 0x3f80
.LBB140_67:                             ;   in Loop: Header=BB140_18 Depth=1
	s_or_b64 exec, exec, s[86:87]
	v_lshl_add_u64 v[34:35], s[14:15], 0, v[0:1]
	v_cmp_gt_u64_e32 vcc, s[56:57], v[34:35]
	s_and_saveexec_b64 s[2:3], vcc
	s_cbranch_execz .LBB140_73
; %bb.68:                               ;   in Loop: Header=BB140_18 Depth=1
	v_mul_lo_u32 v2, v35, s68
	v_mul_lo_u32 v49, v34, s69
	v_mad_u64_u32 v[50:51], s[0:1], v34, s68, 0
	v_add3_u32 v51, v51, v49, v2
	v_lshl_add_u64 v[50:51], v[50:51], 1, s[60:61]
	global_load_ushort v49, v[50:51], off
	s_mov_b64 s[8:9], 0
	s_branch .LBB140_70
.LBB140_69:                             ;   in Loop: Header=BB140_70 Depth=2
	s_or_b64 exec, exec, s[14:15]
	s_and_b64 s[0:1], exec, vcc
	s_waitcnt vmcnt(0)
	v_cmp_lt_i16_e32 vcc, -1, v49
	v_lshlrev_b32_e32 v51, 16, v49
	s_or_b64 s[8:9], s[0:1], s[8:9]
	v_cndmask_b32_e32 v50, v43, v44, vcc
	v_xor_b32_sdwa v49, v50, v49 dst_sel:DWORD dst_unused:UNUSED_PAD src0_sel:DWORD src1_sel:WORD_0
	v_cmp_o_f32_e32 vcc, v51, v51
	s_nop 1
	v_cndmask_b32_e32 v49, v43, v49, vcc
	v_and_b32_e32 v50, v49, v47
	v_bfe_u32 v49, v49, s6, 2
	v_cmp_eq_u32_e32 vcc, v50, v41
	v_cmp_eq_u32_e64 s[0:1], 0, v49
	s_and_b64 s[0:1], vcc, s[0:1]
	s_nop 0
	v_cndmask_b32_e64 v50, 0, 1, s[0:1]
	v_cmp_ne_u32_e64 s[0:1], 0, v50
	s_bcnt1_i32_b64 s76, s[0:1]
	v_cmp_eq_u32_e64 s[0:1], 1, v49
	s_and_b64 s[0:1], vcc, s[0:1]
	v_lshl_add_u64 v[4:5], s[76:77], 0, v[4:5]
	v_cndmask_b32_e64 v50, 0, 1, s[0:1]
	v_cmp_ne_u32_e64 s[0:1], 0, v50
	s_bcnt1_i32_b64 s76, s[0:1]
	v_cmp_eq_u32_e64 s[0:1], 2, v49
	s_and_b64 s[0:1], vcc, s[0:1]
	v_lshl_add_u64 v[6:7], s[76:77], 0, v[6:7]
	;; [unrolled: 6-line block ×3, first 2 shown]
	v_cndmask_b32_e64 v49, 0, 1, s[0:1]
	v_cmp_ne_u32_e32 vcc, 0, v49
	s_bcnt1_i32_b64 s76, vcc
	v_lshl_add_u64 v[10:11], s[76:77], 0, v[10:11]
	v_mov_b32_e32 v49, v2
	s_andn2_b64 exec, exec, s[8:9]
	s_cbranch_execz .LBB140_72
.LBB140_70:                             ;   Parent Loop BB140_18 Depth=1
                                        ; =>  This Inner Loop Header: Depth=2
	v_lshl_add_u64 v[34:35], v[34:35], 0, s[10:11]
	v_cmp_gt_u64_e64 s[0:1], s[56:57], v[34:35]
	v_cmp_le_u64_e32 vcc, s[56:57], v[34:35]
	v_mov_b32_e32 v2, 0
	s_and_saveexec_b64 s[14:15], s[0:1]
	s_cbranch_execz .LBB140_69
; %bb.71:                               ;   in Loop: Header=BB140_70 Depth=2
	v_mul_lo_u32 v2, v35, s68
	v_mul_lo_u32 v54, v34, s69
	v_mad_u64_u32 v[50:51], s[0:1], v34, s68, 0
	v_add3_u32 v51, v51, v54, v2
	v_lshl_add_u64 v[50:51], v[50:51], 1, s[60:61]
	global_load_ushort v2, v[50:51], off
	s_branch .LBB140_69
.LBB140_72:                             ;   in Loop: Header=BB140_18 Depth=1
	s_or_b64 exec, exec, s[8:9]
.LBB140_73:                             ;   in Loop: Header=BB140_18 Depth=1
	s_or_b64 exec, exec, s[2:3]
	s_branch .LBB140_52
.LBB140_74:                             ;   in Loop: Header=BB140_18 Depth=1
	global_load_ushort v2, v3, s[72:73]
	v_mov_b64_e32 v[8:9], 0
	s_waitcnt vmcnt(0)
	v_readfirstlane_b32 s0, v2
	s_and_b32 s82, 0xffff, s0
	s_lshl_b32 s76, s82, 2
	v_cvt_f32_u32_e32 v4, s76
	s_sub_i32 s0, 0, s76
	v_rcp_iflag_f32_e32 v6, v4
	v_mov_b64_e32 v[4:5], 0
	v_mul_f32_e32 v6, 0x4f7ffffe, v6
	v_cvt_u32_f32_e32 v10, v6
	v_mov_b64_e32 v[6:7], 0
	v_readfirstlane_b32 s1, v10
	s_mul_i32 s0, s0, s1
	s_mul_hi_u32 s0, s1, s0
	s_add_i32 s1, s1, s0
	s_mul_hi_u32 s0, s12, s1
	s_mul_i32 s1, s0, s76
	s_sub_i32 s1, s12, s1
	s_add_i32 s2, s0, 1
	s_sub_i32 s3, s1, s76
	s_cmp_ge_u32 s1, s76
	s_cselect_b32 s0, s2, s0
	s_cselect_b32 s1, s3, s1
	s_add_i32 s2, s0, 1
	s_cmp_ge_u32 s1, s76
	s_cselect_b32 s0, s2, s0
	s_mul_hi_u32 s9, s82, s0
	s_mul_i32 s8, s82, s0
	s_lshl_b64 s[10:11], s[8:9], 2
	v_cmp_gt_u64_e32 vcc, s[10:11], v[14:15]
	v_mov_b64_e32 v[10:11], 0
	s_and_saveexec_b64 s[14:15], vcc
	s_cbranch_execz .LBB140_78
; %bb.75:                               ;   in Loop: Header=BB140_18 Depth=1
	s_lshl_b32 s9, s82, 3
	s_mov_b64 s[30:31], 0
	v_mov_b32_e32 v49, v18
	s_mov_b64 s[72:73], 0
	s_mov_b64 s[80:81], 0
	;; [unrolled: 1-line block ×4, first 2 shown]
	v_mov_b64_e32 v[34:35], v[14:15]
.LBB140_76:                             ;   Parent Loop BB140_18 Depth=1
                                        ; =>  This Inner Loop Header: Depth=2
	ds_read_b64 v[4:5], v49
	v_lshl_add_u64 v[34:35], v[34:35], 0, s[76:77]
	v_cmp_le_u64_e32 vcc, s[10:11], v[34:35]
	v_add_u32_e32 v49, s9, v49
	s_waitcnt lgkmcnt(0)
	v_cmp_lt_i16_e64 s[0:1], -1, v4
	v_lshlrev_b32_e32 v6, 16, v4
	s_nop 0
	v_cndmask_b32_e64 v10, v43, v44, s[0:1]
	v_cmp_gt_i16_sdwa s[0:1], v4, v19 src0_sel:WORD_1 src1_sel:DWORD
	v_and_b32_e32 v7, 0xffff0000, v4
	v_cmp_o_f32_e64 s[18:19], v6, v6
	v_cndmask_b32_e64 v11, v43, v44, s[0:1]
	v_cmp_lt_i16_e64 s[0:1], -1, v5
	v_xor_b32_sdwa v11, v11, v4 dst_sel:DWORD dst_unused:UNUSED_PAD src0_sel:DWORD src1_sel:WORD_1
	v_bitop3_b32 v4, v10, v4, s33 bitop3:0x78
	v_cndmask_b32_e64 v50, v43, v44, s[0:1]
	v_cmp_gt_i16_sdwa s[0:1], v5, v19 src0_sel:WORD_1 src1_sel:DWORD
	v_lshlrev_b32_e32 v8, 16, v5
	v_cndmask_b32_e64 v4, v43, v4, s[18:19]
	v_cndmask_b32_e64 v51, v43, v44, s[0:1]
	v_cmp_o_f32_e64 s[0:1], v7, v7
	v_and_b32_e32 v9, 0xffff0000, v5
	v_bitop3_b32 v7, v50, v5, s33 bitop3:0x78
	v_cmp_o_f32_e64 s[2:3], v8, v8
	v_cndmask_b32_e64 v6, v43, v11, s[0:1]
	v_and_b32_e32 v8, v4, v47
	v_bfe_u32 v4, v4, s6, 2
	v_xor_b32_sdwa v5, v51, v5 dst_sel:DWORD dst_unused:UNUSED_PAD src0_sel:DWORD src1_sel:WORD_1
	v_cmp_o_f32_e64 s[16:17], v9, v9
	v_cndmask_b32_e64 v7, v43, v7, s[2:3]
	v_and_b32_e32 v9, v6, v47
	v_bfe_u32 v6, v6, s6, 2
	v_cmp_eq_u32_e64 s[20:21], v8, v41
	v_cmp_eq_u32_e64 s[2:3], 0, v4
	v_cndmask_b32_e64 v5, v43, v5, s[16:17]
	v_and_b32_e32 v10, v7, v47
	v_bfe_u32 v7, v7, s6, 2
	v_cmp_eq_u32_e64 s[18:19], v9, v41
	v_cmp_eq_u32_e64 s[34:35], 0, v6
	s_and_b64 s[2:3], s[20:21], s[2:3]
	v_and_b32_e32 v11, v5, v47
	v_bfe_u32 v5, v5, s6, 2
	v_cmp_eq_u32_e64 s[16:17], v10, v41
	v_cmp_eq_u32_e64 s[36:37], 0, v7
	;; [unrolled: 1-line block ×5, first 2 shown]
	v_cndmask_b32_e64 v4, 0, 1, s[2:3]
	s_and_b64 s[2:3], s[18:19], s[34:35]
	v_cmp_eq_u32_e64 s[0:1], v11, v41
	v_cmp_eq_u32_e64 s[38:39], 0, v5
	;; [unrolled: 1-line block ×5, first 2 shown]
	v_cndmask_b32_e64 v5, 0, 1, s[2:3]
	s_and_b64 s[2:3], s[16:17], s[36:37]
	v_cmp_eq_u32_e64 s[42:43], 1, v6
	v_cmp_eq_u32_e64 s[50:51], 2, v6
	;; [unrolled: 1-line block ×3, first 2 shown]
	v_cndmask_b32_e64 v6, 0, 1, s[2:3]
	s_and_b64 s[2:3], s[0:1], s[38:39]
	v_cmp_eq_u32_e64 s[44:45], 1, v7
	v_cmp_eq_u32_e64 s[52:53], 2, v7
	;; [unrolled: 1-line block ×3, first 2 shown]
	v_cndmask_b32_e64 v7, 0, 1, s[2:3]
	v_cmp_ne_u32_e64 s[2:3], 0, v4
	v_cmp_ne_u32_e64 s[34:35], 0, v5
	;; [unrolled: 1-line block ×4, first 2 shown]
	s_bcnt1_i32_b64 s2, s[2:3]
	s_bcnt1_i32_b64 s3, s[34:35]
	;; [unrolled: 1-line block ×4, first 2 shown]
	s_add_u32 s2, s2, s88
	s_addc_u32 s35, 0, s89
	s_add_u32 s2, s2, s3
	s_addc_u32 s3, s35, 0
	;; [unrolled: 2-line block ×4, first 2 shown]
	s_and_b64 s[2:3], s[20:21], s[40:41]
	v_cndmask_b32_e64 v6, 0, 1, s[2:3]
	s_and_b64 s[2:3], s[18:19], s[42:43]
	v_cndmask_b32_e64 v7, 0, 1, s[2:3]
	;; [unrolled: 2-line block ×4, first 2 shown]
	v_cmp_ne_u32_e64 s[2:3], 0, v6
	v_cmp_ne_u32_e64 s[34:35], 0, v7
	;; [unrolled: 1-line block ×4, first 2 shown]
	s_bcnt1_i32_b64 s2, s[2:3]
	s_bcnt1_i32_b64 s3, s[34:35]
	;; [unrolled: 1-line block ×4, first 2 shown]
	s_add_u32 s2, s2, s86
	s_addc_u32 s35, 0, s87
	s_add_u32 s2, s2, s3
	s_addc_u32 s3, s35, 0
	;; [unrolled: 2-line block ×4, first 2 shown]
	s_and_b64 s[2:3], s[20:21], s[48:49]
	v_cndmask_b32_e64 v8, 0, 1, s[2:3]
	s_and_b64 s[2:3], s[18:19], s[50:51]
	v_cndmask_b32_e64 v9, 0, 1, s[2:3]
	s_and_b64 s[2:3], s[16:17], s[52:53]
	v_cndmask_b32_e64 v10, 0, 1, s[2:3]
	s_and_b64 s[2:3], s[0:1], s[54:55]
	v_cndmask_b32_e64 v11, 0, 1, s[2:3]
	v_cmp_ne_u32_e64 s[2:3], 0, v8
	v_cmp_ne_u32_e64 s[34:35], 0, v9
	v_cmp_ne_u32_e64 s[36:37], 0, v10
	v_cmp_ne_u32_e64 s[38:39], 0, v11
	s_bcnt1_i32_b64 s2, s[2:3]
	s_bcnt1_i32_b64 s3, s[34:35]
	;; [unrolled: 1-line block ×4, first 2 shown]
	s_add_u32 s2, s2, s80
	s_addc_u32 s35, 0, s81
	s_add_u32 s2, s2, s3
	s_addc_u32 s3, s35, 0
	s_add_u32 s2, s2, s13
	s_addc_u32 s3, s3, 0
	s_add_u32 s80, s2, s34
	s_addc_u32 s81, s3, 0
	s_and_b64 s[2:3], s[20:21], s[28:29]
	v_cndmask_b32_e64 v10, 0, 1, s[2:3]
	s_and_b64 s[2:3], s[18:19], s[26:27]
	v_cndmask_b32_e64 v11, 0, 1, s[2:3]
	s_and_b64 s[2:3], s[16:17], s[24:25]
	s_and_b64 s[0:1], s[0:1], s[22:23]
	v_cndmask_b32_e64 v50, 0, 1, s[2:3]
	v_cndmask_b32_e64 v51, 0, 1, s[0:1]
	v_cmp_ne_u32_e64 s[0:1], 0, v10
	v_cmp_ne_u32_e64 s[2:3], 0, v11
	;; [unrolled: 1-line block ×4, first 2 shown]
	s_bcnt1_i32_b64 s0, s[0:1]
	s_bcnt1_i32_b64 s1, s[2:3]
	;; [unrolled: 1-line block ×4, first 2 shown]
	s_add_u32 s0, s0, s72
	s_addc_u32 s13, 0, s73
	s_add_u32 s0, s0, s1
	s_addc_u32 s1, s13, 0
	;; [unrolled: 2-line block ×4, first 2 shown]
	v_mov_b64_e32 v[4:5], s[88:89]
	v_mov_b64_e32 v[6:7], s[86:87]
	;; [unrolled: 1-line block ×3, first 2 shown]
	s_or_b64 s[30:31], vcc, s[30:31]
	v_mov_b64_e32 v[10:11], s[72:73]
	s_andn2_b64 exec, exec, s[30:31]
	s_cbranch_execnz .LBB140_76
; %bb.77:                               ;   in Loop: Header=BB140_18 Depth=1
	s_or_b64 exec, exec, s[30:31]
	v_readlane_b32 s72, v69, 34
	v_readlane_b32 s73, v69, 35
	;; [unrolled: 1-line block ×8, first 2 shown]
	s_mov_b32 s53, 0x5040100
	s_movk_i32 s49, 0x3f80
.LBB140_78:                             ;   in Loop: Header=BB140_18 Depth=1
	s_or_b64 exec, exec, s[14:15]
	s_bitset0_b32 s12, 31
	s_mov_b32 s13, s77
	v_lshl_add_u64 v[34:35], s[10:11], 0, v[0:1]
	v_and_b32_e32 v2, 0xffff, v2
	v_cmp_gt_u64_e32 vcc, s[12:13], v[34:35]
	s_and_saveexec_b64 s[10:11], vcc
	s_cbranch_execz .LBB140_82
; %bb.79:                               ;   in Loop: Header=BB140_18 Depth=1
	v_lshl_add_u32 v49, s8, 3, v37
	s_lshl_b32 s14, s82, 1
	s_mov_b64 s[8:9], 0
.LBB140_80:                             ;   Parent Loop BB140_18 Depth=1
                                        ; =>  This Inner Loop Header: Depth=2
	ds_read_u16 v50, v49
	v_lshl_add_u64 v[34:35], v[34:35], 0, v[2:3]
	v_cmp_le_u64_e32 vcc, s[12:13], v[34:35]
	v_add_u32_e32 v49, s14, v49
	s_waitcnt lgkmcnt(0)
	v_cmp_lt_i16_e64 s[0:1], -1, v50
	v_lshlrev_b32_e32 v51, 16, v50
	s_nop 0
	v_cndmask_b32_e64 v54, v43, v44, s[0:1]
	v_xor_b32_sdwa v50, v54, v50 dst_sel:DWORD dst_unused:UNUSED_PAD src0_sel:DWORD src1_sel:WORD_0
	v_cmp_o_f32_e64 s[0:1], v51, v51
	s_nop 1
	v_cndmask_b32_e64 v50, v43, v50, s[0:1]
	v_and_b32_e32 v51, v50, v47
	v_bfe_u32 v50, v50, s6, 2
	v_cmp_eq_u32_e64 s[0:1], v51, v41
	v_cmp_eq_u32_e64 s[2:3], 0, v50
	;; [unrolled: 1-line block ×3, first 2 shown]
	s_and_b64 s[2:3], s[0:1], s[2:3]
	v_cmp_eq_u32_e64 s[18:19], 2, v50
	v_cmp_eq_u32_e64 s[20:21], 3, v50
	v_cndmask_b32_e64 v50, 0, 1, s[2:3]
	s_and_b64 s[2:3], s[0:1], s[16:17]
	v_cndmask_b32_e64 v51, 0, 1, s[2:3]
	s_and_b64 s[2:3], s[0:1], s[18:19]
	s_and_b64 s[0:1], s[0:1], s[20:21]
	v_cndmask_b32_e64 v55, 0, 1, s[0:1]
	v_cmp_ne_u32_e64 s[0:1], 0, v50
	v_cndmask_b32_e64 v54, 0, 1, s[2:3]
	v_cmp_ne_u32_e64 s[2:3], 0, v51
	s_bcnt1_i32_b64 s76, s[0:1]
	v_cmp_ne_u32_e64 s[16:17], 0, v54
	v_lshl_add_u64 v[4:5], s[76:77], 0, v[4:5]
	s_bcnt1_i32_b64 s76, s[2:3]
	v_cmp_ne_u32_e64 s[18:19], 0, v55
	v_lshl_add_u64 v[6:7], s[76:77], 0, v[6:7]
	s_bcnt1_i32_b64 s76, s[16:17]
	v_lshl_add_u64 v[8:9], s[76:77], 0, v[8:9]
	s_bcnt1_i32_b64 s76, s[18:19]
	s_or_b64 s[8:9], vcc, s[8:9]
	v_lshl_add_u64 v[10:11], s[76:77], 0, v[10:11]
	s_andn2_b64 exec, exec, s[8:9]
	s_cbranch_execnz .LBB140_80
; %bb.81:                               ;   in Loop: Header=BB140_18 Depth=1
	s_or_b64 exec, exec, s[8:9]
.LBB140_82:                             ;   in Loop: Header=BB140_18 Depth=1
	s_or_b64 exec, exec, s[10:11]
	s_lshl_b32 s2, s7, 6
	s_and_saveexec_b64 s[0:1], s[4:5]
	s_cbranch_execnz .LBB140_53
	s_branch .LBB140_54
.LBB140_83:                             ;   in Loop: Header=BB140_18 Depth=1
                                        ; implicit-def: $sgpr0_sgpr1
	s_branch .LBB140_62
.LBB140_84:                             ;   in Loop: Header=BB140_18 Depth=1
	s_mov_b32 s3, 0
	v_mov_b64_e32 v[4:5], 0
.LBB140_85:                             ;   in Loop: Header=BB140_18 Depth=1
	v_readlane_b32 s8, v69, 30
	v_readlane_b32 s9, v69, 31
	s_andn2_b64 vcc, exec, s[8:9]
	s_cbranch_vccnz .LBB140_88
; %bb.86:                               ;   in Loop: Header=BB140_18 Depth=1
	s_lshl_b32 s8, s7, 9
	s_lshl_b32 s3, s3, 5
	s_add_i32 s8, s8, s3
	v_add_u32_e32 v2, s8, v42
	v_readlane_b32 s3, v69, 29
.LBB140_87:                             ;   Parent Loop BB140_18 Depth=1
                                        ; =>  This Inner Loop Header: Depth=2
	ds_read_b64 v[6:7], v2
	s_add_i32 s3, s3, -1
	v_add_u32_e32 v2, 32, v2
	s_cmp_lg_u32 s3, 0
	s_waitcnt lgkmcnt(0)
	v_lshl_add_u64 v[4:5], v[6:7], 0, v[4:5]
	s_cbranch_scc1 .LBB140_87
.LBB140_88:                             ;   in Loop: Header=BB140_18 Depth=1
	v_add_lshl_u32 v2, s2, v36, 3
	ds_write_b64 v2, v[4:5] offset:3072
.LBB140_89:                             ;   in Loop: Header=BB140_18 Depth=1
	s_or_b64 exec, exec, s[0:1]
	s_lshl_b32 s0, s2, 3
	v_mov_b32_e32 v2, s0
	s_waitcnt lgkmcnt(0)
	s_barrier
	ds_read_b128 v[8:11], v2 offset:3088
	ds_read_b128 v[4:7], v2 offset:3072
	s_lshl_b32 s54, 3, s6
	v_cmp_eq_u64_e64 s[0:1], 1, v[32:33]
	s_not_b32 s48, s54
	s_waitcnt lgkmcnt(1)
	v_readfirstlane_b32 s22, v8
	s_waitcnt lgkmcnt(0)
	v_cmp_eq_u64_e32 vcc, 1, v[4:5]
	v_readfirstlane_b32 s23, v9
	v_readfirstlane_b32 s2, v10
	;; [unrolled: 1-line block ×3, first 2 shown]
	s_and_b64 s[10:11], vcc, s[0:1]
	s_mov_b64 s[0:1], -1
	s_mov_b64 s[18:19], -1
                                        ; implicit-def: $sgpr14_sgpr15
                                        ; implicit-def: $sgpr8_sgpr9
	s_and_saveexec_b64 s[12:13], s[10:11]
	s_cbranch_execz .LBB140_121
; %bb.90:                               ;   in Loop: Header=BB140_18 Depth=1
	ds_read_b64 v[8:9], v3 offset:5120
	s_waitcnt lgkmcnt(0)
	s_barrier
	v_readfirstlane_b32 s18, v8
	v_readfirstlane_b32 s19, v9
	s_mov_b64 s[8:9], exec
	v_readlane_b32 s14, v69, 14
	v_readlane_b32 s15, v69, 15
	s_and_b64 s[14:15], s[8:9], s[14:15]
	s_mov_b64 exec, s[14:15]
; %bb.91:                               ;   in Loop: Header=BB140_18 Depth=1
	ds_write_b16 v38, v3
; %bb.92:                               ;   in Loop: Header=BB140_18 Depth=1
	s_or_b64 exec, exec, s[8:9]
	v_and_b32_e32 v41, s48, v41
	v_or_b32_e32 v47, s54, v47
	s_mov_b64 s[8:9], -1
	s_mov_b64 s[14:15], 0
	s_cmp_eq_u64 s[18:19], 0
	s_mov_b64 s[16:17], 0
	s_mov_b64 s[20:21], -1
	s_waitcnt lgkmcnt(0)
	s_barrier
                                        ; implicit-def: $vgpr48
	s_cbranch_scc1 .LBB140_106
; %bb.93:                               ;   in Loop: Header=BB140_18 Depth=1
	v_readlane_b32 s16, v69, 20
	s_add_u32 s26, s18, s16
	v_readlane_b32 s16, v69, 22
	s_addc_u32 s17, s19, s16
	s_mov_b32 s16, s77
	s_cmp_lg_u64 s[16:17], 0
	s_cbranch_scc0 .LBB140_147
; %bb.94:                               ;   in Loop: Header=BB140_18 Depth=1
	v_cvt_f32_u32_e32 v2, s70
	s_sub_u32 s16, 0, s70
	s_subb_u32 s24, 0, 0
	v_fmac_f32_e32 v2, 0, v45
	v_rcp_f32_e32 v2, v2
	s_nop 0
	v_mul_f32_e32 v2, 0x5f7ffffc, v2
	v_mul_f32_e32 v8, 0x2f800000, v2
	v_trunc_f32_e32 v8, v8
	v_fmac_f32_e32 v2, 0xcf800000, v8
	v_cvt_u32_f32_e32 v8, v8
	v_cvt_u32_f32_e32 v2, v2
	v_readfirstlane_b32 s25, v8
	v_readfirstlane_b32 s20, v2
	s_mul_i32 s21, s16, s25
	s_mul_hi_u32 s28, s16, s20
	s_mul_i32 s27, s24, s20
	s_add_i32 s21, s28, s21
	s_mul_i32 s29, s16, s20
	s_add_i32 s21, s21, s27
	s_mul_hi_u32 s28, s20, s29
	s_mul_i32 s30, s20, s21
	s_mul_hi_u32 s27, s20, s21
	s_add_u32 s28, s28, s30
	s_addc_u32 s27, 0, s27
	s_mul_hi_u32 s31, s25, s29
	s_mul_i32 s29, s25, s29
	s_add_u32 s28, s28, s29
	s_mul_hi_u32 s30, s25, s21
	s_addc_u32 s27, s27, s31
	s_addc_u32 s28, s30, 0
	s_mul_i32 s21, s25, s21
	s_add_u32 s21, s27, s21
	s_addc_u32 s27, 0, s28
	s_add_u32 s28, s20, s21
	s_cselect_b64 s[20:21], -1, 0
	s_cmp_lg_u64 s[20:21], 0
	s_addc_u32 s25, s25, s27
	s_mul_i32 s20, s16, s25
	s_mul_hi_u32 s21, s16, s28
	s_add_i32 s20, s21, s20
	s_mul_i32 s24, s24, s28
	s_add_i32 s20, s20, s24
	s_mul_i32 s16, s16, s28
	s_mul_hi_u32 s24, s25, s16
	s_mul_i32 s27, s25, s16
	s_mul_i32 s30, s28, s20
	s_mul_hi_u32 s16, s28, s16
	s_mul_hi_u32 s29, s28, s20
	s_add_u32 s16, s16, s30
	s_addc_u32 s29, 0, s29
	s_add_u32 s16, s16, s27
	s_mul_hi_u32 s21, s25, s20
	s_addc_u32 s16, s29, s24
	s_addc_u32 s21, s21, 0
	s_mul_i32 s20, s25, s20
	s_add_u32 s16, s16, s20
	s_addc_u32 s24, 0, s21
	s_add_u32 s16, s28, s16
	s_cselect_b64 s[20:21], -1, 0
	s_cmp_lg_u64 s[20:21], 0
	s_addc_u32 s20, s25, s24
	s_mul_i32 s24, s26, s20
	s_mul_hi_u32 s25, s26, s16
	s_mul_hi_u32 s21, s26, s20
	s_add_u32 s24, s25, s24
	s_addc_u32 s21, 0, s21
	s_mul_hi_u32 s27, s17, s16
	s_mul_i32 s16, s17, s16
	s_add_u32 s16, s24, s16
	s_mul_hi_u32 s25, s17, s20
	s_addc_u32 s16, s21, s27
	s_addc_u32 s21, s25, 0
	s_mul_i32 s20, s17, s20
	s_add_u32 s16, s16, s20
	s_addc_u32 s20, 0, s21
	s_mul_i32 s20, s70, s20
	s_mul_hi_u32 s21, s70, s16
	s_add_i32 s24, s21, s20
	s_mul_i32 s16, s70, s16
	s_sub_u32 s16, s26, s16
	s_cselect_b64 s[20:21], -1, 0
	s_cmp_lg_u64 s[20:21], 0
	s_subb_u32 s24, s17, s24
	s_sub_u32 s25, s16, s70
	s_cselect_b64 s[20:21], -1, 0
	s_cmp_lg_u64 s[20:21], 0
	s_subb_u32 s27, s24, 0
	;; [unrolled: 4-line block ×3, first 2 shown]
	s_cmp_ge_u32 s25, s70
	s_cselect_b32 s21, -1, 0
	s_cmp_eq_u32 s27, 0
	s_cselect_b32 s21, s21, -1
	s_cmp_lg_u32 s21, 0
	s_cselect_b32 s20, s20, s27
	s_cselect_b32 s25, s28, s25
	s_cmp_ge_u32 s16, s70
	s_cselect_b32 s21, -1, 0
	s_cmp_eq_u32 s24, 0
	s_cselect_b32 s21, s21, -1
	s_cmp_lg_u32 s21, 0
	s_cselect_b32 s21, s20, s24
	s_cselect_b32 s20, s25, s16
	s_cbranch_execnz .LBB140_96
.LBB140_95:                             ;   in Loop: Header=BB140_18 Depth=1
	v_cvt_f32_u32_e32 v2, s70
	s_sub_i32 s16, 0, s70
	v_rcp_iflag_f32_e32 v2, v2
	s_nop 0
	v_mul_f32_e32 v2, 0x4f7ffffe, v2
	v_cvt_u32_f32_e32 v2, v2
	s_nop 0
	v_readfirstlane_b32 s20, v2
	s_mul_i32 s16, s16, s20
	s_mul_hi_u32 s16, s20, s16
	s_add_i32 s20, s20, s16
	s_mul_hi_u32 s16, s26, s20
	s_mul_i32 s16, s16, s70
	s_sub_i32 s16, s26, s16
	s_sub_i32 s20, s16, s70
	s_cmp_ge_u32 s16, s70
	s_cselect_b32 s16, s20, s16
	s_sub_i32 s20, s16, s70
	s_cmp_ge_u32 s16, s70
	s_cselect_b32 s76, s20, s16
	s_mov_b64 s[20:21], s[76:77]
.LBB140_96:                             ;   in Loop: Header=BB140_18 Depth=1
	s_sub_u32 s26, s26, s20
	s_subb_u32 s27, s17, s21
	v_cmp_gt_u64_e32 vcc, s[26:27], v[0:1]
	s_mov_b64 s[20:21], 0
	s_mov_b64 s[16:17], 0
                                        ; implicit-def: $vgpr48
	s_and_saveexec_b64 s[24:25], vcc
	s_cbranch_execz .LBB140_105
; %bb.97:                               ;   in Loop: Header=BB140_18 Depth=1
	v_mov_b32_e32 v2, v37
	v_mov_b64_e32 v[8:9], v[0:1]
                                        ; implicit-def: $sgpr28_sgpr29
	s_branch .LBB140_100
.LBB140_98:                             ;   in Loop: Header=BB140_100 Depth=2
	s_or_b64 exec, exec, s[30:31]
	s_waitcnt lgkmcnt(0)
	s_barrier
	ds_read_b32 v10, v3 offset:3072
	s_mov_b64 s[30:31], -1
	s_mov_b64 s[34:35], -1
	s_waitcnt lgkmcnt(0)
	s_barrier
	v_and_b32_e32 v11, 0x7fff, v10
	v_cmp_ne_u32_e32 vcc, 0, v11
	s_cbranch_vccz .LBB140_103
.LBB140_99:                             ;   in Loop: Header=BB140_100 Depth=2
	s_and_b64 s[30:31], exec, s[30:31]
	s_or_b64 s[16:17], s[30:31], s[16:17]
	s_andn2_b64 s[28:29], s[28:29], exec
	s_and_b64 s[30:31], s[34:35], exec
	s_or_b64 s[28:29], s[28:29], s[30:31]
	s_andn2_b64 exec, exec, s[16:17]
	s_cbranch_execz .LBB140_104
.LBB140_100:                            ;   Parent Loop BB140_18 Depth=1
                                        ; =>  This Inner Loop Header: Depth=2
	v_cmp_gt_u64_e32 vcc, s[18:19], v[8:9]
	s_and_saveexec_b64 s[30:31], vcc
	s_cbranch_execz .LBB140_98
; %bb.101:                              ;   in Loop: Header=BB140_100 Depth=2
	ds_read_u16 v10, v2
	s_waitcnt lgkmcnt(0)
	v_cmp_lt_i16_e32 vcc, -1, v10
	v_lshlrev_b32_e32 v11, 16, v10
	s_nop 0
	v_cndmask_b32_e32 v34, v43, v44, vcc
	v_xor_b32_sdwa v34, v34, v10 dst_sel:DWORD dst_unused:UNUSED_PAD src0_sel:DWORD src1_sel:WORD_0
	v_cmp_o_f32_e32 vcc, v11, v11
	s_nop 1
	v_cndmask_b32_e32 v11, v43, v34, vcc
	v_and_b32_e32 v11, v11, v47
	v_cmp_eq_u32_e32 vcc, v11, v41
	s_and_b64 exec, exec, vcc
	s_cbranch_execz .LBB140_98
; %bb.102:                              ;   in Loop: Header=BB140_100 Depth=2
	v_perm_b32 v10, v10, s49, v46
	ds_write_b32 v3, v10 offset:3072
	s_branch .LBB140_98
.LBB140_103:                            ;   in Loop: Header=BB140_100 Depth=2
	v_lshl_add_u64 v[8:9], v[8:9], 0, s[70:71]
	v_cmp_le_u64_e32 vcc, s[26:27], v[8:9]
	v_add_u32_e32 v2, s85, v2
	s_mov_b64 s[34:35], 0
	s_orn2_b64 s[30:31], vcc, exec
	s_branch .LBB140_99
.LBB140_104:                            ;   in Loop: Header=BB140_18 Depth=1
	s_or_b64 exec, exec, s[16:17]
	v_lshrrev_b32_e32 v48, 16, v10
	s_and_b64 s[16:17], s[28:29], exec
.LBB140_105:                            ;   in Loop: Header=BB140_18 Depth=1
	s_or_b64 exec, exec, s[24:25]
.LBB140_106:                            ;   in Loop: Header=BB140_18 Depth=1
	s_and_b64 vcc, exec, s[20:21]
	s_cbranch_vccz .LBB140_120
; %bb.107:                              ;   in Loop: Header=BB140_18 Depth=1
	s_mov_b32 s82, s77
	s_cmp_lg_u64 s[82:83], 0
	s_cbranch_scc0 .LBB140_151
; %bb.108:                              ;   in Loop: Header=BB140_18 Depth=1
	v_cvt_f32_u32_e32 v2, s70
	s_sub_u32 s14, 0, s70
	s_subb_u32 s15, 0, 0
	v_fmac_f32_e32 v2, 0, v45
	v_rcp_f32_e32 v2, v2
	s_nop 0
	v_mul_f32_e32 v2, 0x5f7ffffc, v2
	v_mul_f32_e32 v8, 0x2f800000, v2
	v_trunc_f32_e32 v8, v8
	v_fmac_f32_e32 v2, 0xcf800000, v8
	v_cvt_u32_f32_e32 v8, v8
	v_cvt_u32_f32_e32 v2, v2
	v_readfirstlane_b32 s18, v8
	v_readfirstlane_b32 s8, v2
	s_mul_i32 s9, s14, s18
	s_mul_hi_u32 s20, s14, s8
	s_mul_i32 s19, s15, s8
	s_add_i32 s9, s20, s9
	s_mul_i32 s21, s14, s8
	s_add_i32 s9, s9, s19
	s_mul_hi_u32 s20, s8, s21
	s_mul_i32 s24, s8, s9
	s_mul_hi_u32 s19, s8, s9
	s_add_u32 s20, s20, s24
	s_addc_u32 s19, 0, s19
	s_mul_hi_u32 s25, s18, s21
	s_mul_i32 s21, s18, s21
	s_add_u32 s20, s20, s21
	s_mul_hi_u32 s24, s18, s9
	s_addc_u32 s19, s19, s25
	s_addc_u32 s20, s24, 0
	s_mul_i32 s9, s18, s9
	s_add_u32 s9, s19, s9
	s_addc_u32 s19, 0, s20
	s_add_u32 s20, s8, s9
	s_cselect_b64 s[8:9], -1, 0
	s_cmp_lg_u64 s[8:9], 0
	s_addc_u32 s18, s18, s19
	s_mul_i32 s8, s14, s18
	s_mul_hi_u32 s9, s14, s20
	s_add_i32 s8, s9, s8
	s_mul_i32 s15, s15, s20
	s_add_i32 s8, s8, s15
	s_mul_i32 s14, s14, s20
	s_mul_hi_u32 s15, s18, s14
	s_mul_i32 s19, s18, s14
	s_mul_i32 s24, s20, s8
	s_mul_hi_u32 s14, s20, s14
	s_mul_hi_u32 s21, s20, s8
	s_add_u32 s14, s14, s24
	s_addc_u32 s21, 0, s21
	s_add_u32 s14, s14, s19
	s_mul_hi_u32 s9, s18, s8
	s_addc_u32 s14, s21, s15
	s_addc_u32 s9, s9, 0
	s_mul_i32 s8, s18, s8
	s_add_u32 s8, s14, s8
	s_addc_u32 s14, 0, s9
	s_add_u32 s15, s20, s8
	s_cselect_b64 s[8:9], -1, 0
	s_cmp_lg_u64 s[8:9], 0
	s_addc_u32 s8, s18, s14
	v_readlane_b32 s20, v69, 21
	s_mul_i32 s14, s20, s8
	s_mul_hi_u32 s18, s20, s15
	s_mul_hi_u32 s9, s20, s8
	s_add_u32 s14, s18, s14
	s_addc_u32 s9, 0, s9
	s_mul_hi_u32 s19, s83, s15
	s_mul_i32 s15, s83, s15
	s_add_u32 s14, s14, s15
	s_mul_hi_u32 s18, s83, s8
	s_addc_u32 s9, s9, s19
	s_addc_u32 s14, s18, 0
	s_mul_i32 s8, s83, s8
	s_add_u32 s8, s9, s8
	s_addc_u32 s9, 0, s14
	s_mul_i32 s9, s70, s9
	s_mul_hi_u32 s14, s70, s8
	s_add_i32 s14, s14, s9
	s_mul_i32 s8, s70, s8
	s_sub_u32 s15, s20, s8
	s_cselect_b64 s[8:9], -1, 0
	s_cmp_lg_u64 s[8:9], 0
	s_subb_u32 s14, s83, s14
	s_sub_u32 s18, s15, s70
	s_cselect_b64 s[8:9], -1, 0
	s_cmp_lg_u64 s[8:9], 0
	s_subb_u32 s19, s14, 0
	;; [unrolled: 4-line block ×3, first 2 shown]
	s_cmp_ge_u32 s18, s70
	s_cselect_b32 s9, -1, 0
	s_cmp_eq_u32 s19, 0
	s_cselect_b32 s9, s9, -1
	s_cmp_lg_u32 s9, 0
	s_cselect_b32 s8, s8, s19
	s_cselect_b32 s18, s20, s18
	s_cmp_ge_u32 s15, s70
	s_cselect_b32 s9, -1, 0
	s_cmp_eq_u32 s14, 0
	s_cselect_b32 s9, s9, -1
	s_cmp_lg_u32 s9, 0
	s_cselect_b32 s9, s8, s14
	s_cselect_b32 s8, s18, s15
	s_cbranch_execnz .LBB140_110
.LBB140_109:                            ;   in Loop: Header=BB140_18 Depth=1
	v_cvt_f32_u32_e32 v2, s70
	s_sub_i32 s8, 0, s70
	v_readlane_b32 s14, v69, 21
	v_rcp_iflag_f32_e32 v2, v2
	s_nop 0
	v_mul_f32_e32 v2, 0x4f7ffffe, v2
	v_cvt_u32_f32_e32 v2, v2
	s_nop 0
	v_readfirstlane_b32 s9, v2
	s_mul_i32 s8, s8, s9
	s_mul_hi_u32 s8, s9, s8
	s_add_i32 s9, s9, s8
	s_mul_hi_u32 s8, s14, s9
	s_mul_i32 s8, s8, s70
	s_sub_i32 s8, s14, s8
	s_sub_i32 s9, s8, s70
	s_cmp_ge_u32 s8, s70
	s_cselect_b32 s8, s9, s8
	s_sub_i32 s9, s8, s70
	s_cmp_ge_u32 s8, s70
	s_cselect_b32 s76, s9, s8
	s_mov_b64 s[8:9], s[76:77]
.LBB140_110:                            ;   in Loop: Header=BB140_18 Depth=1
	v_readlane_b32 s14, v69, 21
	s_sub_u32 s14, s14, s8
	s_subb_u32 s15, s83, s9
	v_cmp_gt_u64_e32 vcc, s[14:15], v[0:1]
                                        ; implicit-def: $vgpr48
	s_and_saveexec_b64 s[8:9], vcc
	s_cbranch_execz .LBB140_119
; %bb.111:                              ;   in Loop: Header=BB140_18 Depth=1
	s_mov_b64 s[18:19], 0
	v_mov_b64_e32 v[8:9], v[12:13]
	v_mov_b64_e32 v[10:11], v[0:1]
                                        ; implicit-def: $sgpr20_sgpr21
	s_branch .LBB140_114
.LBB140_112:                            ;   in Loop: Header=BB140_114 Depth=2
	s_or_b64 exec, exec, s[24:25]
	s_waitcnt lgkmcnt(0)
	s_barrier
	ds_read_b32 v2, v3 offset:3072
	s_mov_b64 s[24:25], -1
	s_mov_b64 s[26:27], -1
	s_waitcnt lgkmcnt(0)
	s_barrier
	v_and_b32_e32 v34, 0x7fff, v2
	v_cmp_ne_u32_e32 vcc, 0, v34
	s_cbranch_vccz .LBB140_117
.LBB140_113:                            ;   in Loop: Header=BB140_114 Depth=2
	s_and_b64 s[24:25], exec, s[24:25]
	s_or_b64 s[18:19], s[24:25], s[18:19]
	s_andn2_b64 s[20:21], s[20:21], exec
	s_and_b64 s[24:25], s[26:27], exec
	s_or_b64 s[20:21], s[20:21], s[24:25]
	s_andn2_b64 exec, exec, s[18:19]
	s_cbranch_execz .LBB140_118
.LBB140_114:                            ;   Parent Loop BB140_18 Depth=1
                                        ; =>  This Inner Loop Header: Depth=2
	v_cmp_gt_u64_e32 vcc, s[56:57], v[10:11]
	s_and_saveexec_b64 s[24:25], vcc
	s_cbranch_execz .LBB140_112
; %bb.115:                              ;   in Loop: Header=BB140_114 Depth=2
	global_load_ushort v2, v[8:9], off
	s_waitcnt vmcnt(0)
	v_cmp_lt_i16_e32 vcc, -1, v2
	v_lshlrev_b32_e32 v34, 16, v2
	s_nop 0
	v_cndmask_b32_e32 v35, v43, v44, vcc
	v_xor_b32_sdwa v35, v35, v2 dst_sel:DWORD dst_unused:UNUSED_PAD src0_sel:DWORD src1_sel:WORD_0
	v_cmp_o_f32_e32 vcc, v34, v34
	s_nop 1
	v_cndmask_b32_e32 v34, v43, v35, vcc
	v_and_b32_e32 v34, v34, v47
	v_cmp_eq_u32_e32 vcc, v34, v41
	s_and_b64 exec, exec, vcc
	s_cbranch_execz .LBB140_112
; %bb.116:                              ;   in Loop: Header=BB140_114 Depth=2
	v_perm_b32 v2, v2, s49, v46
	ds_write_b32 v3, v2 offset:3072
	s_branch .LBB140_112
.LBB140_117:                            ;   in Loop: Header=BB140_114 Depth=2
	v_lshl_add_u64 v[10:11], v[10:11], 0, s[70:71]
	v_cmp_le_u64_e32 vcc, s[14:15], v[10:11]
	v_lshl_add_u64 v[8:9], v[8:9], 0, s[74:75]
	s_mov_b64 s[26:27], 0
	s_orn2_b64 s[24:25], vcc, exec
	s_branch .LBB140_113
.LBB140_118:                            ;   in Loop: Header=BB140_18 Depth=1
	s_or_b64 exec, exec, s[18:19]
	s_andn2_b64 s[14:15], s[16:17], exec
	s_and_b64 s[16:17], s[20:21], exec
	v_lshrrev_b32_e32 v48, 16, v2
	s_or_b64 s[16:17], s[14:15], s[16:17]
.LBB140_119:                            ;   in Loop: Header=BB140_18 Depth=1
	s_or_b64 exec, exec, s[8:9]
	s_mov_b64 s[8:9], 0
	s_mov_b64 s[14:15], -1
.LBB140_120:                            ;   in Loop: Header=BB140_18 Depth=1
	s_orn2_b64 s[18:19], s[16:17], exec
.LBB140_121:                            ;   in Loop: Header=BB140_18 Depth=1
	s_or_b64 exec, exec, s[12:13]
	s_andn2_b64 s[12:13], s[66:67], exec
	s_and_b64 s[14:15], s[14:15], exec
	s_or_b64 s[66:67], s[12:13], s[14:15]
	s_andn2_b64 s[12:13], s[64:65], exec
	s_and_b64 s[8:9], s[8:9], exec
	s_andn2_b64 s[62:63], s[62:63], exec
	s_or_b64 s[64:65], s[12:13], s[8:9]
                                        ; implicit-def: $vgpr8_vgpr9
	s_and_saveexec_b64 s[16:17], s[18:19]
	s_cbranch_execz .LBB140_17
; %bb.122:                              ;   in Loop: Header=BB140_18 Depth=1
	s_xor_b64 s[8:9], s[10:11], -1
	v_mov_b32_e32 v2, 1
	s_mov_b64 s[10:11], 0
	v_mov_b64_e32 v[8:9], 1
	s_and_saveexec_b64 s[0:1], s[8:9]
	s_cbranch_execz .LBB140_131
; %bb.123:                              ;   in Loop: Header=BB140_18 Depth=1
	v_cmp_le_u64_e32 vcc, v[32:33], v[4:5]
	s_and_saveexec_b64 s[8:9], vcc
	s_xor_b64 s[8:9], exec, s[8:9]
	s_cbranch_execz .LBB140_128
; %bb.124:                              ;   in Loop: Header=BB140_18 Depth=1
	ds_read_b64 v[8:9], v3 offset:5120
	v_and_b32_e32 v41, s48, v41
	v_or_b32_e32 v47, s54, v47
	s_waitcnt lgkmcnt(0)
	v_cmp_ne_u64_e32 vcc, 0, v[8:9]
	s_cbranch_vccnz .LBB140_128
; %bb.125:                              ;   in Loop: Header=BB140_18 Depth=1
	s_mov_b64 s[10:11], exec
	v_readlane_b32 s12, v69, 12
	v_readlane_b32 s13, v69, 13
	s_and_b64 s[12:13], s[10:11], s[12:13]
	s_mov_b64 exec, s[12:13]
; %bb.126:                              ;   in Loop: Header=BB140_18 Depth=1
	ds_write_b64 v3, v[4:5] offset:5128
; %bb.127:                              ;   in Loop: Header=BB140_18 Depth=1
	s_or_b64 exec, exec, s[10:11]
	s_waitcnt lgkmcnt(0)
	s_barrier
.LBB140_128:                            ;   in Loop: Header=BB140_18 Depth=1
	s_or_saveexec_b64 s[8:9], s[8:9]
	s_mov_b64 s[10:11], 0
	v_mov_b32_e32 v2, 8
	s_xor_b64 exec, exec, s[8:9]
; %bb.129:                              ;   in Loop: Header=BB140_18 Depth=1
	v_sub_co_u32_e32 v32, vcc, v32, v4
	s_mov_b64 s[10:11], exec
	s_nop 0
	v_subb_co_u32_e32 v33, vcc, v33, v5, vcc
	v_mov_b32_e32 v2, 0
; %bb.130:                              ;   in Loop: Header=BB140_18 Depth=1
	s_or_b64 exec, exec, s[8:9]
	s_and_b64 s[10:11], s[10:11], exec
	v_mov_b64_e32 v[8:9], v[32:33]
.LBB140_131:                            ;   in Loop: Header=BB140_18 Depth=1
	s_or_b64 exec, exec, s[0:1]
	s_mov_b64 s[18:19], -1
	s_mov_b64 s[8:9], -1
                                        ; implicit-def: $sgpr0_sgpr1
                                        ; implicit-def: $sgpr24_sgpr25
	s_and_saveexec_b64 s[12:13], s[10:11]
	s_xor_b64 s[20:21], exec, s[12:13]
	s_cbranch_execz .LBB140_276
; %bb.132:                              ;   in Loop: Header=BB140_18 Depth=1
	v_cmp_eq_u64_e32 vcc, 1, v[6:7]
	v_cmp_eq_u64_e64 s[0:1], 1, v[8:9]
	s_and_b64 s[10:11], vcc, s[0:1]
                                        ; implicit-def: $sgpr24_sgpr25
                                        ; implicit-def: $sgpr0_sgpr1
	s_and_saveexec_b64 s[12:13], s[10:11]
	s_cbranch_execz .LBB140_169
; %bb.133:                              ;   in Loop: Header=BB140_18 Depth=1
	ds_read_b64 v[4:5], v3 offset:5120
	s_waitcnt lgkmcnt(0)
	s_barrier
	v_readfirstlane_b32 s14, v4
	v_readfirstlane_b32 s15, v5
	s_mov_b64 s[0:1], exec
	v_readlane_b32 s8, v69, 14
	v_readlane_b32 s9, v69, 15
	s_and_b64 s[8:9], s[0:1], s[8:9]
	s_mov_b64 exec, s[8:9]
; %bb.134:                              ;   in Loop: Header=BB140_18 Depth=1
	ds_write_b16 v38, v3
; %bb.135:                              ;   in Loop: Header=BB140_18 Depth=1
	s_or_b64 exec, exec, s[0:1]
	v_and_b32_e32 v4, s48, v41
	v_lshl_or_b32 v41, 1, s6, v4
	v_or_b32_e32 v47, s54, v47
	s_mov_b64 s[0:1], -1
	s_mov_b64 s[24:25], 0
	s_cmp_eq_u64 s[14:15], 0
	s_mov_b64 s[8:9], 0
	s_mov_b64 s[26:27], -1
	s_waitcnt lgkmcnt(0)
	s_barrier
                                        ; implicit-def: $vgpr48
	s_cbranch_scc1 .LBB140_154
; %bb.136:                              ;   in Loop: Header=BB140_18 Depth=1
	v_readlane_b32 s8, v69, 20
	s_add_u32 s30, s14, s8
	v_readlane_b32 s8, v69, 22
	s_addc_u32 s9, s15, s8
	s_mov_b32 s8, s77
	s_cmp_lg_u64 s[8:9], 0
	s_cbranch_scc0 .LBB140_196
; %bb.137:                              ;   in Loop: Header=BB140_18 Depth=1
	v_cvt_f32_u32_e32 v4, s70
	s_sub_u32 s8, 0, s70
	s_subb_u32 s28, 0, 0
	v_fmac_f32_e32 v4, 0, v45
	v_rcp_f32_e32 v4, v4
	s_nop 0
	v_mul_f32_e32 v4, 0x5f7ffffc, v4
	v_mul_f32_e32 v5, 0x2f800000, v4
	v_trunc_f32_e32 v5, v5
	v_fmac_f32_e32 v4, 0xcf800000, v5
	v_cvt_u32_f32_e32 v5, v5
	v_cvt_u32_f32_e32 v4, v4
	v_readfirstlane_b32 s29, v5
	v_readfirstlane_b32 s26, v4
	s_mul_i32 s27, s8, s29
	s_mul_hi_u32 s34, s8, s26
	s_mul_i32 s31, s28, s26
	s_add_i32 s27, s34, s27
	s_mul_i32 s35, s8, s26
	s_add_i32 s27, s27, s31
	s_mul_hi_u32 s34, s26, s35
	s_mul_i32 s36, s26, s27
	s_mul_hi_u32 s31, s26, s27
	s_add_u32 s34, s34, s36
	s_addc_u32 s31, 0, s31
	s_mul_hi_u32 s37, s29, s35
	s_mul_i32 s35, s29, s35
	s_add_u32 s34, s34, s35
	s_mul_hi_u32 s36, s29, s27
	s_addc_u32 s31, s31, s37
	s_addc_u32 s34, s36, 0
	s_mul_i32 s27, s29, s27
	s_add_u32 s27, s31, s27
	s_addc_u32 s31, 0, s34
	s_add_u32 s34, s26, s27
	s_cselect_b64 s[26:27], -1, 0
	s_cmp_lg_u64 s[26:27], 0
	s_addc_u32 s29, s29, s31
	s_mul_i32 s26, s8, s29
	s_mul_hi_u32 s27, s8, s34
	s_add_i32 s26, s27, s26
	s_mul_i32 s28, s28, s34
	s_add_i32 s26, s26, s28
	s_mul_i32 s8, s8, s34
	s_mul_hi_u32 s28, s29, s8
	s_mul_i32 s31, s29, s8
	s_mul_i32 s36, s34, s26
	s_mul_hi_u32 s8, s34, s8
	s_mul_hi_u32 s35, s34, s26
	s_add_u32 s8, s8, s36
	s_addc_u32 s35, 0, s35
	s_add_u32 s8, s8, s31
	s_mul_hi_u32 s27, s29, s26
	s_addc_u32 s8, s35, s28
	s_addc_u32 s27, s27, 0
	s_mul_i32 s26, s29, s26
	s_add_u32 s8, s8, s26
	s_addc_u32 s28, 0, s27
	s_add_u32 s8, s34, s8
	s_cselect_b64 s[26:27], -1, 0
	s_cmp_lg_u64 s[26:27], 0
	s_addc_u32 s26, s29, s28
	s_mul_i32 s28, s30, s26
	s_mul_hi_u32 s29, s30, s8
	s_mul_hi_u32 s27, s30, s26
	s_add_u32 s28, s29, s28
	s_addc_u32 s27, 0, s27
	s_mul_hi_u32 s31, s9, s8
	s_mul_i32 s8, s9, s8
	s_add_u32 s8, s28, s8
	s_mul_hi_u32 s29, s9, s26
	s_addc_u32 s8, s27, s31
	s_addc_u32 s27, s29, 0
	s_mul_i32 s26, s9, s26
	s_add_u32 s8, s8, s26
	s_addc_u32 s26, 0, s27
	s_mul_i32 s26, s70, s26
	s_mul_hi_u32 s27, s70, s8
	s_add_i32 s28, s27, s26
	s_mul_i32 s8, s70, s8
	s_sub_u32 s8, s30, s8
	s_cselect_b64 s[26:27], -1, 0
	s_cmp_lg_u64 s[26:27], 0
	s_subb_u32 s28, s9, s28
	s_sub_u32 s29, s8, s70
	s_cselect_b64 s[26:27], -1, 0
	s_cmp_lg_u64 s[26:27], 0
	s_subb_u32 s31, s28, 0
	;; [unrolled: 4-line block ×3, first 2 shown]
	s_cmp_ge_u32 s29, s70
	s_cselect_b32 s27, -1, 0
	s_cmp_eq_u32 s31, 0
	s_cselect_b32 s27, s27, -1
	s_cmp_lg_u32 s27, 0
	s_cselect_b32 s26, s26, s31
	s_cselect_b32 s29, s34, s29
	s_cmp_ge_u32 s8, s70
	s_cselect_b32 s27, -1, 0
	s_cmp_eq_u32 s28, 0
	s_cselect_b32 s27, s27, -1
	s_cmp_lg_u32 s27, 0
	s_cselect_b32 s27, s26, s28
	s_cselect_b32 s26, s29, s8
	s_cbranch_execnz .LBB140_139
.LBB140_138:                            ;   in Loop: Header=BB140_18 Depth=1
	v_cvt_f32_u32_e32 v4, s70
	s_sub_i32 s8, 0, s70
	v_rcp_iflag_f32_e32 v4, v4
	s_nop 0
	v_mul_f32_e32 v4, 0x4f7ffffe, v4
	v_cvt_u32_f32_e32 v4, v4
	s_nop 0
	v_readfirstlane_b32 s26, v4
	s_mul_i32 s8, s8, s26
	s_mul_hi_u32 s8, s26, s8
	s_add_i32 s26, s26, s8
	s_mul_hi_u32 s8, s30, s26
	s_mul_i32 s8, s8, s70
	s_sub_i32 s8, s30, s8
	s_sub_i32 s26, s8, s70
	s_cmp_ge_u32 s8, s70
	s_cselect_b32 s8, s26, s8
	s_sub_i32 s26, s8, s70
	s_cmp_ge_u32 s8, s70
	s_cselect_b32 s76, s26, s8
	s_mov_b64 s[26:27], s[76:77]
.LBB140_139:                            ;   in Loop: Header=BB140_18 Depth=1
	s_sub_u32 s30, s30, s26
	s_subb_u32 s31, s9, s27
	v_cmp_gt_u64_e32 vcc, s[30:31], v[0:1]
	s_mov_b64 s[26:27], 0
	s_mov_b64 s[8:9], 0
                                        ; implicit-def: $vgpr48
	s_and_saveexec_b64 s[28:29], vcc
	s_cbranch_execz .LBB140_153
; %bb.140:                              ;   in Loop: Header=BB140_18 Depth=1
	v_mov_b32_e32 v10, v37
	v_mov_b64_e32 v[4:5], v[0:1]
                                        ; implicit-def: $sgpr34_sgpr35
	s_branch .LBB140_143
.LBB140_141:                            ;   in Loop: Header=BB140_143 Depth=2
	s_or_b64 exec, exec, s[36:37]
	s_waitcnt lgkmcnt(0)
	s_barrier
	ds_read_b32 v11, v3 offset:3072
	s_mov_b64 s[36:37], -1
	s_mov_b64 s[38:39], -1
	s_waitcnt lgkmcnt(0)
	s_barrier
	v_and_b32_e32 v32, 0x7fff, v11
	v_cmp_ne_u32_e32 vcc, 0, v32
	s_cbranch_vccz .LBB140_146
.LBB140_142:                            ;   in Loop: Header=BB140_143 Depth=2
	s_and_b64 s[36:37], exec, s[36:37]
	s_or_b64 s[8:9], s[36:37], s[8:9]
	s_andn2_b64 s[34:35], s[34:35], exec
	s_and_b64 s[36:37], s[38:39], exec
	s_or_b64 s[34:35], s[34:35], s[36:37]
	s_andn2_b64 exec, exec, s[8:9]
	s_cbranch_execz .LBB140_152
.LBB140_143:                            ;   Parent Loop BB140_18 Depth=1
                                        ; =>  This Inner Loop Header: Depth=2
	v_cmp_gt_u64_e32 vcc, s[14:15], v[4:5]
	s_and_saveexec_b64 s[36:37], vcc
	s_cbranch_execz .LBB140_141
; %bb.144:                              ;   in Loop: Header=BB140_143 Depth=2
	ds_read_u16 v11, v10
	s_waitcnt lgkmcnt(0)
	v_cmp_lt_i16_e32 vcc, -1, v11
	v_lshlrev_b32_e32 v32, 16, v11
	s_nop 0
	v_cndmask_b32_e32 v33, v43, v44, vcc
	v_xor_b32_sdwa v33, v33, v11 dst_sel:DWORD dst_unused:UNUSED_PAD src0_sel:DWORD src1_sel:WORD_0
	v_cmp_o_f32_e32 vcc, v32, v32
	s_nop 1
	v_cndmask_b32_e32 v32, v43, v33, vcc
	v_and_b32_e32 v32, v32, v47
	v_cmp_eq_u32_e32 vcc, v32, v41
	s_and_b64 exec, exec, vcc
	s_cbranch_execz .LBB140_141
; %bb.145:                              ;   in Loop: Header=BB140_143 Depth=2
	v_perm_b32 v11, v11, s49, v46
	ds_write_b32 v3, v11 offset:3072
	s_branch .LBB140_141
.LBB140_146:                            ;   in Loop: Header=BB140_143 Depth=2
	v_lshl_add_u64 v[4:5], v[4:5], 0, s[70:71]
	v_cmp_le_u64_e32 vcc, s[30:31], v[4:5]
	v_add_u32_e32 v10, s85, v10
	s_mov_b64 s[38:39], 0
	s_orn2_b64 s[36:37], vcc, exec
	s_branch .LBB140_142
.LBB140_147:                            ;   in Loop: Header=BB140_18 Depth=1
                                        ; implicit-def: $sgpr20_sgpr21
	s_branch .LBB140_95
.LBB140_148:                            ;   in Loop: Header=BB140_18 Depth=1
	s_or_b64 exec, exec, s[10:11]
	s_waitcnt lgkmcnt(0)
	s_barrier
	s_mov_b64 s[0:1], exec
	v_readlane_b32 s2, v69, 12
	v_readlane_b32 s3, v69, 13
	s_and_b64 s[2:3], s[0:1], s[2:3]
	s_mov_b64 exec, s[2:3]
	s_cbranch_execz .LBB140_150
; %bb.149:                              ;   in Loop: Header=BB140_18 Depth=1
	ds_read_b32 v4, v3 offset:5144
	s_waitcnt lgkmcnt(0)
	v_ashrrev_i32_e32 v5, 31, v4
	ds_write_b64 v3, v[4:5] offset:5120
.LBB140_150:                            ;   in Loop: Header=BB140_18 Depth=1
	s_or_b64 exec, exec, s[0:1]
	s_waitcnt lgkmcnt(0)
	s_barrier
	s_mov_b64 s[0:1], -1
	s_and_b64 vcc, exec, s[8:9]
	s_cbranch_vccnz .LBB140_33
	s_branch .LBB140_48
.LBB140_151:                            ;   in Loop: Header=BB140_18 Depth=1
                                        ; implicit-def: $sgpr8_sgpr9
	s_branch .LBB140_109
.LBB140_152:                            ;   in Loop: Header=BB140_18 Depth=1
	s_or_b64 exec, exec, s[8:9]
	v_lshrrev_b32_e32 v48, 16, v11
	s_and_b64 s[8:9], s[34:35], exec
.LBB140_153:                            ;   in Loop: Header=BB140_18 Depth=1
	s_or_b64 exec, exec, s[28:29]
.LBB140_154:                            ;   in Loop: Header=BB140_18 Depth=1
	s_and_b64 vcc, exec, s[26:27]
	s_cbranch_vccz .LBB140_168
; %bb.155:                              ;   in Loop: Header=BB140_18 Depth=1
	s_mov_b32 s82, s77
	s_cmp_lg_u64 s[82:83], 0
	s_cbranch_scc0 .LBB140_197
; %bb.156:                              ;   in Loop: Header=BB140_18 Depth=1
	v_cvt_f32_u32_e32 v4, s70
	s_sub_u32 s14, 0, s70
	s_subb_u32 s15, 0, 0
	v_fmac_f32_e32 v4, 0, v45
	v_rcp_f32_e32 v4, v4
	s_nop 0
	v_mul_f32_e32 v4, 0x5f7ffffc, v4
	v_mul_f32_e32 v5, 0x2f800000, v4
	v_trunc_f32_e32 v5, v5
	v_fmac_f32_e32 v4, 0xcf800000, v5
	v_cvt_u32_f32_e32 v5, v5
	v_cvt_u32_f32_e32 v4, v4
	v_readfirstlane_b32 s24, v5
	v_readfirstlane_b32 s0, v4
	s_mul_i32 s1, s14, s24
	s_mul_hi_u32 s26, s14, s0
	s_mul_i32 s25, s15, s0
	s_add_i32 s1, s26, s1
	s_mul_i32 s27, s14, s0
	s_add_i32 s1, s1, s25
	s_mul_hi_u32 s26, s0, s27
	s_mul_i32 s28, s0, s1
	s_mul_hi_u32 s25, s0, s1
	s_add_u32 s26, s26, s28
	s_addc_u32 s25, 0, s25
	s_mul_hi_u32 s29, s24, s27
	s_mul_i32 s27, s24, s27
	s_add_u32 s26, s26, s27
	s_mul_hi_u32 s28, s24, s1
	s_addc_u32 s25, s25, s29
	s_addc_u32 s26, s28, 0
	s_mul_i32 s1, s24, s1
	s_add_u32 s1, s25, s1
	s_addc_u32 s25, 0, s26
	s_add_u32 s26, s0, s1
	s_cselect_b64 s[0:1], -1, 0
	s_cmp_lg_u64 s[0:1], 0
	s_addc_u32 s24, s24, s25
	s_mul_i32 s0, s14, s24
	s_mul_hi_u32 s1, s14, s26
	s_add_i32 s0, s1, s0
	s_mul_i32 s15, s15, s26
	s_add_i32 s0, s0, s15
	s_mul_i32 s14, s14, s26
	s_mul_hi_u32 s15, s24, s14
	s_mul_i32 s25, s24, s14
	s_mul_i32 s28, s26, s0
	s_mul_hi_u32 s14, s26, s14
	s_mul_hi_u32 s27, s26, s0
	s_add_u32 s14, s14, s28
	s_addc_u32 s27, 0, s27
	s_add_u32 s14, s14, s25
	s_mul_hi_u32 s1, s24, s0
	s_addc_u32 s14, s27, s15
	s_addc_u32 s1, s1, 0
	s_mul_i32 s0, s24, s0
	s_add_u32 s0, s14, s0
	s_addc_u32 s14, 0, s1
	s_add_u32 s15, s26, s0
	s_cselect_b64 s[0:1], -1, 0
	s_cmp_lg_u64 s[0:1], 0
	s_addc_u32 s0, s24, s14
	v_readlane_b32 s26, v69, 21
	s_mul_i32 s14, s26, s0
	s_mul_hi_u32 s24, s26, s15
	s_mul_hi_u32 s1, s26, s0
	s_add_u32 s14, s24, s14
	s_addc_u32 s1, 0, s1
	s_mul_hi_u32 s25, s83, s15
	s_mul_i32 s15, s83, s15
	s_add_u32 s14, s14, s15
	s_mul_hi_u32 s24, s83, s0
	s_addc_u32 s1, s1, s25
	s_addc_u32 s14, s24, 0
	s_mul_i32 s0, s83, s0
	s_add_u32 s0, s1, s0
	s_addc_u32 s1, 0, s14
	s_mul_i32 s1, s70, s1
	s_mul_hi_u32 s14, s70, s0
	s_add_i32 s14, s14, s1
	s_mul_i32 s0, s70, s0
	s_sub_u32 s15, s26, s0
	s_cselect_b64 s[0:1], -1, 0
	s_cmp_lg_u64 s[0:1], 0
	s_subb_u32 s14, s83, s14
	s_sub_u32 s24, s15, s70
	s_cselect_b64 s[0:1], -1, 0
	s_cmp_lg_u64 s[0:1], 0
	s_subb_u32 s25, s14, 0
	;; [unrolled: 4-line block ×3, first 2 shown]
	s_cmp_ge_u32 s24, s70
	s_cselect_b32 s1, -1, 0
	s_cmp_eq_u32 s25, 0
	s_cselect_b32 s1, s1, -1
	s_cmp_lg_u32 s1, 0
	s_cselect_b32 s0, s0, s25
	s_cselect_b32 s24, s26, s24
	s_cmp_ge_u32 s15, s70
	s_cselect_b32 s1, -1, 0
	s_cmp_eq_u32 s14, 0
	s_cselect_b32 s1, s1, -1
	s_cmp_lg_u32 s1, 0
	s_cselect_b32 s1, s0, s14
	s_cselect_b32 s0, s24, s15
	s_cbranch_execnz .LBB140_158
.LBB140_157:                            ;   in Loop: Header=BB140_18 Depth=1
	v_cvt_f32_u32_e32 v4, s70
	s_sub_i32 s0, 0, s70
	v_readlane_b32 s14, v69, 21
	v_rcp_iflag_f32_e32 v4, v4
	s_nop 0
	v_mul_f32_e32 v4, 0x4f7ffffe, v4
	v_cvt_u32_f32_e32 v4, v4
	s_nop 0
	v_readfirstlane_b32 s1, v4
	s_mul_i32 s0, s0, s1
	s_mul_hi_u32 s0, s1, s0
	s_add_i32 s1, s1, s0
	s_mul_hi_u32 s0, s14, s1
	s_mul_i32 s0, s0, s70
	s_sub_i32 s0, s14, s0
	s_sub_i32 s1, s0, s70
	s_cmp_ge_u32 s0, s70
	s_cselect_b32 s0, s1, s0
	s_sub_i32 s1, s0, s70
	s_cmp_ge_u32 s0, s70
	s_cselect_b32 s76, s1, s0
	s_mov_b64 s[0:1], s[76:77]
.LBB140_158:                            ;   in Loop: Header=BB140_18 Depth=1
	v_readlane_b32 s14, v69, 21
	s_sub_u32 s14, s14, s0
	s_subb_u32 s15, s83, s1
	v_cmp_gt_u64_e32 vcc, s[14:15], v[0:1]
                                        ; implicit-def: $vgpr48
	s_and_saveexec_b64 s[0:1], vcc
	s_cbranch_execz .LBB140_167
; %bb.159:                              ;   in Loop: Header=BB140_18 Depth=1
	s_mov_b64 s[24:25], 0
	v_mov_b64_e32 v[4:5], v[12:13]
	v_mov_b64_e32 v[10:11], v[0:1]
                                        ; implicit-def: $sgpr26_sgpr27
	s_branch .LBB140_162
.LBB140_160:                            ;   in Loop: Header=BB140_162 Depth=2
	s_or_b64 exec, exec, s[28:29]
	s_waitcnt lgkmcnt(0)
	s_barrier
	ds_read_b32 v32, v3 offset:3072
	s_mov_b64 s[28:29], -1
	s_mov_b64 s[30:31], -1
	s_waitcnt lgkmcnt(0)
	s_barrier
	v_and_b32_e32 v33, 0x7fff, v32
	v_cmp_eq_u32_e32 vcc, 0, v33
	s_cbranch_vccnz .LBB140_165
.LBB140_161:                            ;   in Loop: Header=BB140_162 Depth=2
	s_and_b64 s[28:29], exec, s[28:29]
	s_or_b64 s[24:25], s[28:29], s[24:25]
	s_andn2_b64 s[26:27], s[26:27], exec
	s_and_b64 s[28:29], s[30:31], exec
	s_or_b64 s[26:27], s[26:27], s[28:29]
	s_andn2_b64 exec, exec, s[24:25]
	s_cbranch_execz .LBB140_166
.LBB140_162:                            ;   Parent Loop BB140_18 Depth=1
                                        ; =>  This Inner Loop Header: Depth=2
	v_cmp_gt_u64_e32 vcc, s[56:57], v[10:11]
	s_and_saveexec_b64 s[28:29], vcc
	s_cbranch_execz .LBB140_160
; %bb.163:                              ;   in Loop: Header=BB140_162 Depth=2
	global_load_ushort v32, v[4:5], off
	s_waitcnt vmcnt(0)
	v_cmp_lt_i16_e32 vcc, -1, v32
	v_lshlrev_b32_e32 v33, 16, v32
	s_nop 0
	v_cndmask_b32_e32 v34, v43, v44, vcc
	v_xor_b32_sdwa v34, v34, v32 dst_sel:DWORD dst_unused:UNUSED_PAD src0_sel:DWORD src1_sel:WORD_0
	v_cmp_o_f32_e32 vcc, v33, v33
	s_nop 1
	v_cndmask_b32_e32 v33, v43, v34, vcc
	v_and_b32_e32 v33, v33, v47
	v_cmp_eq_u32_e32 vcc, v33, v41
	s_and_b64 exec, exec, vcc
	s_cbranch_execz .LBB140_160
; %bb.164:                              ;   in Loop: Header=BB140_162 Depth=2
	v_perm_b32 v32, v32, s49, v46
	ds_write_b32 v3, v32 offset:3072
	s_branch .LBB140_160
.LBB140_165:                            ;   in Loop: Header=BB140_162 Depth=2
	v_lshl_add_u64 v[10:11], v[10:11], 0, s[70:71]
	v_cmp_le_u64_e32 vcc, s[14:15], v[10:11]
	v_lshl_add_u64 v[4:5], v[4:5], 0, s[74:75]
	s_mov_b64 s[30:31], 0
	s_orn2_b64 s[28:29], vcc, exec
	s_branch .LBB140_161
.LBB140_166:                            ;   in Loop: Header=BB140_18 Depth=1
	s_or_b64 exec, exec, s[24:25]
	s_andn2_b64 s[8:9], s[8:9], exec
	s_and_b64 s[14:15], s[26:27], exec
	v_lshrrev_b32_e32 v48, 16, v32
	s_or_b64 s[8:9], s[8:9], s[14:15]
.LBB140_167:                            ;   in Loop: Header=BB140_18 Depth=1
	s_or_b64 exec, exec, s[0:1]
	s_mov_b64 s[0:1], 0
	s_mov_b64 s[24:25], -1
.LBB140_168:                            ;   in Loop: Header=BB140_18 Depth=1
	s_orn2_b64 s[8:9], s[8:9], exec
.LBB140_169:                            ;   in Loop: Header=BB140_18 Depth=1
	s_or_b64 exec, exec, s[12:13]
	s_mov_b64 s[12:13], 0
	s_and_saveexec_b64 s[26:27], s[8:9]
	s_cbranch_execz .LBB140_275
; %bb.170:                              ;   in Loop: Header=BB140_18 Depth=1
	s_xor_b64 s[12:13], s[10:11], -1
	v_mov_b32_e32 v2, 1
	s_mov_b64 s[10:11], 0
	v_mov_b64_e32 v[4:5], 1
	s_and_saveexec_b64 s[8:9], s[12:13]
	s_cbranch_execz .LBB140_180
; %bb.171:                              ;   in Loop: Header=BB140_18 Depth=1
	v_cmp_le_u64_e32 vcc, v[8:9], v[6:7]
	s_and_saveexec_b64 s[10:11], vcc
	s_xor_b64 s[10:11], exec, s[10:11]
	s_cbranch_execz .LBB140_177
; %bb.172:                              ;   in Loop: Header=BB140_18 Depth=1
	ds_read_b64 v[4:5], v3 offset:5120
	v_and_b32_e32 v2, s48, v41
	v_lshl_or_b32 v41, 1, s6, v2
	v_or_b32_e32 v47, s54, v47
	s_waitcnt lgkmcnt(0)
	v_cmp_ne_u64_e32 vcc, 0, v[4:5]
	s_cbranch_vccnz .LBB140_176
; %bb.173:                              ;   in Loop: Header=BB140_18 Depth=1
	s_mov_b64 s[12:13], exec
	v_readlane_b32 s14, v69, 12
	v_readlane_b32 s15, v69, 13
	s_and_b64 s[14:15], s[12:13], s[14:15]
	s_mov_b64 exec, s[14:15]
; %bb.174:                              ;   in Loop: Header=BB140_18 Depth=1
	ds_write_b64 v3, v[6:7] offset:5128
; %bb.175:                              ;   in Loop: Header=BB140_18 Depth=1
	s_or_b64 exec, exec, s[12:13]
	s_waitcnt lgkmcnt(0)
	s_barrier
.LBB140_176:                            ;   in Loop: Header=BB140_18 Depth=1
                                        ; implicit-def: $vgpr4_vgpr5_vgpr6_vgpr7
.LBB140_177:                            ;   in Loop: Header=BB140_18 Depth=1
	s_or_saveexec_b64 s[10:11], s[10:11]
	s_mov_b64 s[12:13], 0
	v_mov_b32_e32 v2, 8
	s_xor_b64 exec, exec, s[10:11]
; %bb.178:                              ;   in Loop: Header=BB140_18 Depth=1
	v_sub_co_u32_e32 v8, vcc, v8, v6
	s_mov_b64 s[12:13], exec
	s_nop 0
	v_subb_co_u32_e32 v9, vcc, v9, v7, vcc
	v_mov_b32_e32 v2, 0
; %bb.179:                              ;   in Loop: Header=BB140_18 Depth=1
	s_or_b64 exec, exec, s[10:11]
	s_and_b64 s[10:11], s[12:13], exec
	v_mov_b64_e32 v[4:5], v[8:9]
.LBB140_180:                            ;   in Loop: Header=BB140_18 Depth=1
	s_or_b64 exec, exec, s[8:9]
	s_mov_b64 s[8:9], -1
                                        ; implicit-def: $sgpr12_sgpr13
                                        ; implicit-def: $sgpr34_sgpr35
	s_and_saveexec_b64 s[28:29], s[10:11]
	s_cbranch_execz .LBB140_274
; %bb.181:                              ;   in Loop: Header=BB140_18 Depth=1
	s_cmp_eq_u64 s[22:23], 1
	s_cselect_b64 s[8:9], -1, 0
	v_cmp_eq_u64_e32 vcc, 1, v[4:5]
	s_and_b64 s[10:11], s[8:9], vcc
	s_mov_b64 s[8:9], -1
                                        ; implicit-def: $sgpr34_sgpr35
                                        ; implicit-def: $sgpr12_sgpr13
	s_and_saveexec_b64 s[36:37], s[10:11]
	s_cbranch_execz .LBB140_215
; %bb.182:                              ;   in Loop: Header=BB140_18 Depth=1
	ds_read_b64 v[6:7], v3 offset:5120
	s_waitcnt lgkmcnt(0)
	s_barrier
	v_readfirstlane_b32 s14, v6
	v_readfirstlane_b32 s15, v7
	s_mov_b64 s[8:9], exec
	v_readlane_b32 s12, v69, 14
	v_readlane_b32 s13, v69, 15
	s_and_b64 s[12:13], s[8:9], s[12:13]
	s_mov_b64 exec, s[12:13]
; %bb.183:                              ;   in Loop: Header=BB140_18 Depth=1
	ds_write_b16 v38, v3
; %bb.184:                              ;   in Loop: Header=BB140_18 Depth=1
	s_or_b64 exec, exec, s[8:9]
	v_and_b32_e32 v6, s48, v41
	v_lshl_or_b32 v41, 2, s6, v6
	v_or_b32_e32 v47, s54, v47
	s_mov_b64 s[12:13], -1
	s_mov_b64 s[34:35], 0
	s_cmp_eq_u64 s[14:15], 0
	s_mov_b64 s[8:9], 0
	s_mov_b64 s[30:31], -1
	s_waitcnt lgkmcnt(0)
	s_barrier
                                        ; implicit-def: $vgpr48
	s_cbranch_scc1 .LBB140_200
; %bb.185:                              ;   in Loop: Header=BB140_18 Depth=1
	v_readlane_b32 s8, v69, 20
	s_add_u32 s40, s14, s8
	v_readlane_b32 s8, v69, 22
	s_addc_u32 s9, s15, s8
	s_mov_b32 s8, s77
	s_cmp_lg_u64 s[8:9], 0
	s_cbranch_scc0 .LBB140_241
; %bb.186:                              ;   in Loop: Header=BB140_18 Depth=1
	v_cvt_f32_u32_e32 v6, s70
	s_sub_u32 s8, 0, s70
	s_subb_u32 s38, 0, 0
	v_fmac_f32_e32 v6, 0, v45
	v_rcp_f32_e32 v6, v6
	s_nop 0
	v_mul_f32_e32 v6, 0x5f7ffffc, v6
	v_mul_f32_e32 v7, 0x2f800000, v6
	v_trunc_f32_e32 v7, v7
	v_fmac_f32_e32 v6, 0xcf800000, v7
	v_cvt_u32_f32_e32 v7, v7
	v_cvt_u32_f32_e32 v6, v6
	v_readfirstlane_b32 s39, v7
	v_readfirstlane_b32 s30, v6
	s_mul_i32 s31, s8, s39
	s_mul_hi_u32 s42, s8, s30
	s_mul_i32 s41, s38, s30
	s_add_i32 s31, s42, s31
	s_mul_i32 s43, s8, s30
	s_add_i32 s31, s31, s41
	s_mul_hi_u32 s42, s30, s43
	s_mul_i32 s44, s30, s31
	s_mul_hi_u32 s41, s30, s31
	s_add_u32 s42, s42, s44
	s_addc_u32 s41, 0, s41
	s_mul_hi_u32 s45, s39, s43
	s_mul_i32 s43, s39, s43
	s_add_u32 s42, s42, s43
	s_mul_hi_u32 s44, s39, s31
	s_addc_u32 s41, s41, s45
	s_addc_u32 s42, s44, 0
	s_mul_i32 s31, s39, s31
	s_add_u32 s31, s41, s31
	s_addc_u32 s41, 0, s42
	s_add_u32 s42, s30, s31
	s_cselect_b64 s[30:31], -1, 0
	s_cmp_lg_u64 s[30:31], 0
	s_addc_u32 s39, s39, s41
	s_mul_i32 s30, s8, s39
	s_mul_hi_u32 s31, s8, s42
	s_add_i32 s30, s31, s30
	s_mul_i32 s38, s38, s42
	s_add_i32 s30, s30, s38
	s_mul_i32 s8, s8, s42
	s_mul_hi_u32 s38, s39, s8
	s_mul_i32 s41, s39, s8
	s_mul_i32 s44, s42, s30
	s_mul_hi_u32 s8, s42, s8
	s_mul_hi_u32 s43, s42, s30
	s_add_u32 s8, s8, s44
	s_addc_u32 s43, 0, s43
	s_add_u32 s8, s8, s41
	s_mul_hi_u32 s31, s39, s30
	s_addc_u32 s8, s43, s38
	s_addc_u32 s31, s31, 0
	s_mul_i32 s30, s39, s30
	s_add_u32 s8, s8, s30
	s_addc_u32 s38, 0, s31
	s_add_u32 s8, s42, s8
	s_cselect_b64 s[30:31], -1, 0
	s_cmp_lg_u64 s[30:31], 0
	s_addc_u32 s30, s39, s38
	s_mul_i32 s38, s40, s30
	s_mul_hi_u32 s39, s40, s8
	s_mul_hi_u32 s31, s40, s30
	s_add_u32 s38, s39, s38
	s_addc_u32 s31, 0, s31
	s_mul_hi_u32 s41, s9, s8
	s_mul_i32 s8, s9, s8
	s_add_u32 s8, s38, s8
	s_mul_hi_u32 s39, s9, s30
	s_addc_u32 s8, s31, s41
	s_addc_u32 s31, s39, 0
	s_mul_i32 s30, s9, s30
	s_add_u32 s8, s8, s30
	s_addc_u32 s30, 0, s31
	s_mul_i32 s30, s70, s30
	s_mul_hi_u32 s31, s70, s8
	s_add_i32 s38, s31, s30
	s_mul_i32 s8, s70, s8
	s_sub_u32 s8, s40, s8
	s_cselect_b64 s[30:31], -1, 0
	s_cmp_lg_u64 s[30:31], 0
	s_subb_u32 s38, s9, s38
	s_sub_u32 s39, s8, s70
	s_cselect_b64 s[30:31], -1, 0
	s_cmp_lg_u64 s[30:31], 0
	s_subb_u32 s41, s38, 0
	;; [unrolled: 4-line block ×3, first 2 shown]
	s_cmp_ge_u32 s39, s70
	s_cselect_b32 s31, -1, 0
	s_cmp_eq_u32 s41, 0
	s_cselect_b32 s31, s31, -1
	s_cmp_lg_u32 s31, 0
	s_cselect_b32 s30, s30, s41
	s_cselect_b32 s39, s42, s39
	s_cmp_ge_u32 s8, s70
	s_cselect_b32 s31, -1, 0
	s_cmp_eq_u32 s38, 0
	s_cselect_b32 s31, s31, -1
	s_cmp_lg_u32 s31, 0
	s_cselect_b32 s31, s30, s38
	s_cselect_b32 s30, s39, s8
	s_cbranch_execnz .LBB140_188
.LBB140_187:                            ;   in Loop: Header=BB140_18 Depth=1
	v_cvt_f32_u32_e32 v6, s70
	s_sub_i32 s8, 0, s70
	v_rcp_iflag_f32_e32 v6, v6
	s_nop 0
	v_mul_f32_e32 v6, 0x4f7ffffe, v6
	v_cvt_u32_f32_e32 v6, v6
	s_nop 0
	v_readfirstlane_b32 s30, v6
	s_mul_i32 s8, s8, s30
	s_mul_hi_u32 s8, s30, s8
	s_add_i32 s30, s30, s8
	s_mul_hi_u32 s8, s40, s30
	s_mul_i32 s8, s8, s70
	s_sub_i32 s8, s40, s8
	s_sub_i32 s30, s8, s70
	s_cmp_ge_u32 s8, s70
	s_cselect_b32 s8, s30, s8
	s_sub_i32 s30, s8, s70
	s_cmp_ge_u32 s8, s70
	s_cselect_b32 s76, s30, s8
	s_mov_b64 s[30:31], s[76:77]
.LBB140_188:                            ;   in Loop: Header=BB140_18 Depth=1
	s_sub_u32 s40, s40, s30
	s_subb_u32 s41, s9, s31
	v_cmp_gt_u64_e32 vcc, s[40:41], v[0:1]
	s_mov_b64 s[30:31], 0
	s_mov_b64 s[8:9], 0
                                        ; implicit-def: $vgpr48
	s_and_saveexec_b64 s[38:39], vcc
	s_cbranch_execz .LBB140_199
; %bb.189:                              ;   in Loop: Header=BB140_18 Depth=1
	v_mov_b32_e32 v8, v37
	v_mov_b64_e32 v[6:7], v[0:1]
                                        ; implicit-def: $sgpr42_sgpr43
	s_branch .LBB140_192
.LBB140_190:                            ;   in Loop: Header=BB140_192 Depth=2
	s_or_b64 exec, exec, s[44:45]
	s_waitcnt lgkmcnt(0)
	s_barrier
	ds_read_b32 v9, v3 offset:3072
	s_mov_b64 s[44:45], -1
	s_mov_b64 s[46:47], -1
	s_waitcnt lgkmcnt(0)
	s_barrier
	v_and_b32_e32 v10, 0x7fff, v9
	v_cmp_ne_u32_e32 vcc, 0, v10
	s_cbranch_vccz .LBB140_195
.LBB140_191:                            ;   in Loop: Header=BB140_192 Depth=2
	s_and_b64 s[44:45], exec, s[44:45]
	s_or_b64 s[8:9], s[44:45], s[8:9]
	s_andn2_b64 s[42:43], s[42:43], exec
	s_and_b64 s[44:45], s[46:47], exec
	s_or_b64 s[42:43], s[42:43], s[44:45]
	s_andn2_b64 exec, exec, s[8:9]
	s_cbranch_execz .LBB140_198
.LBB140_192:                            ;   Parent Loop BB140_18 Depth=1
                                        ; =>  This Inner Loop Header: Depth=2
	v_cmp_gt_u64_e32 vcc, s[14:15], v[6:7]
	s_and_saveexec_b64 s[44:45], vcc
	s_cbranch_execz .LBB140_190
; %bb.193:                              ;   in Loop: Header=BB140_192 Depth=2
	ds_read_u16 v9, v8
	s_waitcnt lgkmcnt(0)
	v_cmp_lt_i16_e32 vcc, -1, v9
	v_lshlrev_b32_e32 v10, 16, v9
	s_nop 0
	v_cndmask_b32_e32 v11, v43, v44, vcc
	v_xor_b32_sdwa v11, v11, v9 dst_sel:DWORD dst_unused:UNUSED_PAD src0_sel:DWORD src1_sel:WORD_0
	v_cmp_o_f32_e32 vcc, v10, v10
	s_nop 1
	v_cndmask_b32_e32 v10, v43, v11, vcc
	v_and_b32_e32 v10, v10, v47
	v_cmp_eq_u32_e32 vcc, v10, v41
	s_and_b64 exec, exec, vcc
	s_cbranch_execz .LBB140_190
; %bb.194:                              ;   in Loop: Header=BB140_192 Depth=2
	v_perm_b32 v9, v9, s49, v46
	ds_write_b32 v3, v9 offset:3072
	s_branch .LBB140_190
.LBB140_195:                            ;   in Loop: Header=BB140_192 Depth=2
	v_lshl_add_u64 v[6:7], v[6:7], 0, s[70:71]
	v_cmp_le_u64_e32 vcc, s[40:41], v[6:7]
	v_add_u32_e32 v8, s85, v8
	s_mov_b64 s[46:47], 0
	s_orn2_b64 s[44:45], vcc, exec
	s_branch .LBB140_191
.LBB140_196:                            ;   in Loop: Header=BB140_18 Depth=1
                                        ; implicit-def: $sgpr26_sgpr27
	s_branch .LBB140_138
.LBB140_197:                            ;   in Loop: Header=BB140_18 Depth=1
                                        ; implicit-def: $sgpr0_sgpr1
	s_branch .LBB140_157
.LBB140_198:                            ;   in Loop: Header=BB140_18 Depth=1
	s_or_b64 exec, exec, s[8:9]
	v_lshrrev_b32_e32 v48, 16, v9
	s_and_b64 s[8:9], s[42:43], exec
.LBB140_199:                            ;   in Loop: Header=BB140_18 Depth=1
	s_or_b64 exec, exec, s[38:39]
.LBB140_200:                            ;   in Loop: Header=BB140_18 Depth=1
	s_and_b64 vcc, exec, s[30:31]
	s_cbranch_vccz .LBB140_214
; %bb.201:                              ;   in Loop: Header=BB140_18 Depth=1
	s_mov_b32 s82, s77
	s_cmp_lg_u64 s[82:83], 0
	s_cbranch_scc0 .LBB140_242
; %bb.202:                              ;   in Loop: Header=BB140_18 Depth=1
	v_cvt_f32_u32_e32 v6, s70
	s_sub_u32 s14, 0, s70
	s_subb_u32 s15, 0, 0
	v_fmac_f32_e32 v6, 0, v45
	v_rcp_f32_e32 v6, v6
	s_nop 0
	v_mul_f32_e32 v6, 0x5f7ffffc, v6
	v_mul_f32_e32 v7, 0x2f800000, v6
	v_trunc_f32_e32 v7, v7
	v_fmac_f32_e32 v6, 0xcf800000, v7
	v_cvt_u32_f32_e32 v7, v7
	v_cvt_u32_f32_e32 v6, v6
	v_readfirstlane_b32 s30, v7
	v_readfirstlane_b32 s12, v6
	s_mul_i32 s13, s14, s30
	s_mul_hi_u32 s34, s14, s12
	s_mul_i32 s31, s15, s12
	s_add_i32 s13, s34, s13
	s_mul_i32 s35, s14, s12
	s_add_i32 s13, s13, s31
	s_mul_hi_u32 s34, s12, s35
	s_mul_i32 s38, s12, s13
	s_mul_hi_u32 s31, s12, s13
	s_add_u32 s34, s34, s38
	s_addc_u32 s31, 0, s31
	s_mul_hi_u32 s39, s30, s35
	s_mul_i32 s35, s30, s35
	s_add_u32 s34, s34, s35
	s_mul_hi_u32 s38, s30, s13
	s_addc_u32 s31, s31, s39
	s_addc_u32 s34, s38, 0
	s_mul_i32 s13, s30, s13
	s_add_u32 s13, s31, s13
	s_addc_u32 s31, 0, s34
	s_add_u32 s34, s12, s13
	s_cselect_b64 s[12:13], -1, 0
	s_cmp_lg_u64 s[12:13], 0
	s_addc_u32 s30, s30, s31
	s_mul_i32 s12, s14, s30
	s_mul_hi_u32 s13, s14, s34
	s_add_i32 s12, s13, s12
	s_mul_i32 s15, s15, s34
	s_add_i32 s12, s12, s15
	s_mul_i32 s14, s14, s34
	s_mul_hi_u32 s15, s30, s14
	s_mul_i32 s31, s30, s14
	s_mul_i32 s38, s34, s12
	s_mul_hi_u32 s14, s34, s14
	s_mul_hi_u32 s35, s34, s12
	s_add_u32 s14, s14, s38
	s_addc_u32 s35, 0, s35
	s_add_u32 s14, s14, s31
	s_mul_hi_u32 s13, s30, s12
	s_addc_u32 s14, s35, s15
	s_addc_u32 s13, s13, 0
	s_mul_i32 s12, s30, s12
	s_add_u32 s12, s14, s12
	s_addc_u32 s14, 0, s13
	s_add_u32 s15, s34, s12
	s_cselect_b64 s[12:13], -1, 0
	s_cmp_lg_u64 s[12:13], 0
	s_addc_u32 s12, s30, s14
	v_readlane_b32 s34, v69, 21
	s_mul_i32 s14, s34, s12
	s_mul_hi_u32 s30, s34, s15
	s_mul_hi_u32 s13, s34, s12
	s_add_u32 s14, s30, s14
	s_addc_u32 s13, 0, s13
	s_mul_hi_u32 s31, s83, s15
	s_mul_i32 s15, s83, s15
	s_add_u32 s14, s14, s15
	s_mul_hi_u32 s30, s83, s12
	s_addc_u32 s13, s13, s31
	s_addc_u32 s14, s30, 0
	s_mul_i32 s12, s83, s12
	s_add_u32 s12, s13, s12
	s_addc_u32 s13, 0, s14
	s_mul_i32 s13, s70, s13
	s_mul_hi_u32 s14, s70, s12
	s_add_i32 s14, s14, s13
	s_mul_i32 s12, s70, s12
	s_sub_u32 s15, s34, s12
	s_cselect_b64 s[12:13], -1, 0
	s_cmp_lg_u64 s[12:13], 0
	s_subb_u32 s14, s83, s14
	s_sub_u32 s30, s15, s70
	s_cselect_b64 s[12:13], -1, 0
	s_cmp_lg_u64 s[12:13], 0
	s_subb_u32 s31, s14, 0
	;; [unrolled: 4-line block ×3, first 2 shown]
	s_cmp_ge_u32 s30, s70
	s_cselect_b32 s13, -1, 0
	s_cmp_eq_u32 s31, 0
	s_cselect_b32 s13, s13, -1
	s_cmp_lg_u32 s13, 0
	s_cselect_b32 s12, s12, s31
	s_cselect_b32 s30, s34, s30
	s_cmp_ge_u32 s15, s70
	s_cselect_b32 s13, -1, 0
	s_cmp_eq_u32 s14, 0
	s_cselect_b32 s13, s13, -1
	s_cmp_lg_u32 s13, 0
	s_cselect_b32 s13, s12, s14
	s_cselect_b32 s12, s30, s15
	s_cbranch_execnz .LBB140_204
.LBB140_203:                            ;   in Loop: Header=BB140_18 Depth=1
	v_cvt_f32_u32_e32 v6, s70
	s_sub_i32 s12, 0, s70
	v_readlane_b32 s14, v69, 21
	v_rcp_iflag_f32_e32 v6, v6
	s_nop 0
	v_mul_f32_e32 v6, 0x4f7ffffe, v6
	v_cvt_u32_f32_e32 v6, v6
	s_nop 0
	v_readfirstlane_b32 s13, v6
	s_mul_i32 s12, s12, s13
	s_mul_hi_u32 s12, s13, s12
	s_add_i32 s13, s13, s12
	s_mul_hi_u32 s12, s14, s13
	s_mul_i32 s12, s12, s70
	s_sub_i32 s12, s14, s12
	s_sub_i32 s13, s12, s70
	s_cmp_ge_u32 s12, s70
	s_cselect_b32 s12, s13, s12
	s_sub_i32 s13, s12, s70
	s_cmp_ge_u32 s12, s70
	s_cselect_b32 s76, s13, s12
	s_mov_b64 s[12:13], s[76:77]
.LBB140_204:                            ;   in Loop: Header=BB140_18 Depth=1
	v_readlane_b32 s14, v69, 21
	s_sub_u32 s14, s14, s12
	s_subb_u32 s15, s83, s13
	v_cmp_gt_u64_e32 vcc, s[14:15], v[0:1]
                                        ; implicit-def: $vgpr48
	s_and_saveexec_b64 s[12:13], vcc
	s_cbranch_execz .LBB140_213
; %bb.205:                              ;   in Loop: Header=BB140_18 Depth=1
	s_mov_b64 s[30:31], 0
	v_mov_b64_e32 v[6:7], v[12:13]
	v_mov_b64_e32 v[8:9], v[0:1]
                                        ; implicit-def: $sgpr34_sgpr35
	s_branch .LBB140_208
.LBB140_206:                            ;   in Loop: Header=BB140_208 Depth=2
	s_or_b64 exec, exec, s[38:39]
	s_waitcnt lgkmcnt(0)
	s_barrier
	ds_read_b32 v10, v3 offset:3072
	s_mov_b64 s[38:39], -1
	s_mov_b64 s[40:41], -1
	s_waitcnt lgkmcnt(0)
	s_barrier
	v_and_b32_e32 v11, 0x7fff, v10
	v_cmp_eq_u32_e32 vcc, 0, v11
	s_cbranch_vccnz .LBB140_211
.LBB140_207:                            ;   in Loop: Header=BB140_208 Depth=2
	s_and_b64 s[38:39], exec, s[38:39]
	s_or_b64 s[30:31], s[38:39], s[30:31]
	s_andn2_b64 s[34:35], s[34:35], exec
	s_and_b64 s[38:39], s[40:41], exec
	s_or_b64 s[34:35], s[34:35], s[38:39]
	s_andn2_b64 exec, exec, s[30:31]
	s_cbranch_execz .LBB140_212
.LBB140_208:                            ;   Parent Loop BB140_18 Depth=1
                                        ; =>  This Inner Loop Header: Depth=2
	v_cmp_gt_u64_e32 vcc, s[56:57], v[8:9]
	s_and_saveexec_b64 s[38:39], vcc
	s_cbranch_execz .LBB140_206
; %bb.209:                              ;   in Loop: Header=BB140_208 Depth=2
	global_load_ushort v10, v[6:7], off
	s_waitcnt vmcnt(0)
	v_cmp_lt_i16_e32 vcc, -1, v10
	v_lshlrev_b32_e32 v11, 16, v10
	s_nop 0
	v_cndmask_b32_e32 v32, v43, v44, vcc
	v_xor_b32_sdwa v32, v32, v10 dst_sel:DWORD dst_unused:UNUSED_PAD src0_sel:DWORD src1_sel:WORD_0
	v_cmp_o_f32_e32 vcc, v11, v11
	s_nop 1
	v_cndmask_b32_e32 v11, v43, v32, vcc
	v_and_b32_e32 v11, v11, v47
	v_cmp_eq_u32_e32 vcc, v11, v41
	s_and_b64 exec, exec, vcc
	s_cbranch_execz .LBB140_206
; %bb.210:                              ;   in Loop: Header=BB140_208 Depth=2
	v_perm_b32 v10, v10, s49, v46
	ds_write_b32 v3, v10 offset:3072
	s_branch .LBB140_206
.LBB140_211:                            ;   in Loop: Header=BB140_208 Depth=2
	v_lshl_add_u64 v[8:9], v[8:9], 0, s[70:71]
	v_cmp_le_u64_e32 vcc, s[14:15], v[8:9]
	v_lshl_add_u64 v[6:7], v[6:7], 0, s[74:75]
	s_mov_b64 s[40:41], 0
	s_orn2_b64 s[38:39], vcc, exec
	s_branch .LBB140_207
.LBB140_212:                            ;   in Loop: Header=BB140_18 Depth=1
	s_or_b64 exec, exec, s[30:31]
	s_andn2_b64 s[8:9], s[8:9], exec
	s_and_b64 s[14:15], s[34:35], exec
	v_lshrrev_b32_e32 v48, 16, v10
	s_or_b64 s[8:9], s[8:9], s[14:15]
.LBB140_213:                            ;   in Loop: Header=BB140_18 Depth=1
	s_or_b64 exec, exec, s[12:13]
	s_mov_b64 s[12:13], 0
	s_mov_b64 s[34:35], -1
.LBB140_214:                            ;   in Loop: Header=BB140_18 Depth=1
	s_orn2_b64 s[8:9], s[8:9], exec
.LBB140_215:                            ;   in Loop: Header=BB140_18 Depth=1
	s_or_b64 exec, exec, s[36:37]
	s_mov_b64 s[14:15], 0
	s_and_saveexec_b64 s[36:37], s[8:9]
	s_cbranch_execz .LBB140_273
; %bb.216:                              ;   in Loop: Header=BB140_18 Depth=1
	s_xor_b64 s[10:11], s[10:11], -1
	v_mov_b32_e32 v2, 1
	s_mov_b64 s[30:31], 0
	v_mov_b64_e32 v[6:7], 1
	s_and_saveexec_b64 s[8:9], s[10:11]
	s_cbranch_execz .LBB140_225
; %bb.217:                              ;   in Loop: Header=BB140_18 Depth=1
	v_cmp_ge_u64_e32 vcc, s[22:23], v[4:5]
	s_and_saveexec_b64 s[10:11], vcc
	s_xor_b64 s[10:11], exec, s[10:11]
	s_cbranch_execz .LBB140_222
; %bb.218:                              ;   in Loop: Header=BB140_18 Depth=1
	ds_read_b64 v[6:7], v3 offset:5120
	v_and_b32_e32 v2, s48, v41
	v_lshl_or_b32 v41, 2, s6, v2
	v_or_b32_e32 v47, s54, v47
	s_waitcnt lgkmcnt(0)
	v_cmp_ne_u64_e32 vcc, 0, v[6:7]
	s_cbranch_vccnz .LBB140_222
; %bb.219:                              ;   in Loop: Header=BB140_18 Depth=1
	s_mov_b64 s[14:15], exec
	v_readlane_b32 s30, v69, 12
	v_readlane_b32 s31, v69, 13
	s_and_b64 s[30:31], s[14:15], s[30:31]
	s_mov_b64 exec, s[30:31]
; %bb.220:                              ;   in Loop: Header=BB140_18 Depth=1
	v_mov_b64_e32 v[6:7], s[22:23]
	ds_write_b64 v3, v[6:7] offset:5128
; %bb.221:                              ;   in Loop: Header=BB140_18 Depth=1
	s_or_b64 exec, exec, s[14:15]
	s_waitcnt lgkmcnt(0)
	s_barrier
.LBB140_222:                            ;   in Loop: Header=BB140_18 Depth=1
	s_or_saveexec_b64 s[10:11], s[10:11]
	s_mov_b64 s[14:15], 0
	v_mov_b32_e32 v2, 8
	s_xor_b64 exec, exec, s[10:11]
; %bb.223:                              ;   in Loop: Header=BB140_18 Depth=1
	v_mov_b32_e32 v2, s23
	v_subrev_co_u32_e32 v4, vcc, s22, v4
	s_mov_b64 s[14:15], exec
	s_nop 0
	v_subb_co_u32_e32 v5, vcc, v5, v2, vcc
	v_mov_b32_e32 v2, 0
; %bb.224:                              ;   in Loop: Header=BB140_18 Depth=1
	s_or_b64 exec, exec, s[10:11]
	s_and_b64 s[30:31], s[14:15], exec
	v_mov_b64_e32 v[6:7], v[4:5]
.LBB140_225:                            ;   in Loop: Header=BB140_18 Depth=1
	s_or_b64 exec, exec, s[8:9]
	s_mov_b64 s[22:23], -1
                                        ; implicit-def: $sgpr14_sgpr15
                                        ; implicit-def: $sgpr8_sgpr9
	s_and_saveexec_b64 s[10:11], s[30:31]
	s_cbranch_execz .LBB140_272
; %bb.226:                              ;   in Loop: Header=BB140_18 Depth=1
	s_cmp_eq_u64 s[2:3], 1
	s_cselect_b64 s[8:9], -1, 0
	v_cmp_eq_u64_e32 vcc, 1, v[6:7]
	s_and_b64 s[22:23], s[8:9], vcc
	s_mov_b64 s[40:41], -1
                                        ; implicit-def: $sgpr14_sgpr15
                                        ; implicit-def: $sgpr8_sgpr9
	s_and_saveexec_b64 s[38:39], s[22:23]
	s_cbranch_execz .LBB140_260
; %bb.227:                              ;   in Loop: Header=BB140_18 Depth=1
	ds_read_b64 v[4:5], v3 offset:5120
	s_waitcnt lgkmcnt(0)
	s_barrier
	v_readfirstlane_b32 s40, v4
	v_readfirstlane_b32 s41, v5
	s_mov_b64 s[8:9], exec
	v_readlane_b32 s14, v69, 14
	v_readlane_b32 s15, v69, 15
	s_and_b64 s[14:15], s[8:9], s[14:15]
	s_mov_b64 exec, s[14:15]
; %bb.228:                              ;   in Loop: Header=BB140_18 Depth=1
	ds_write_b16 v38, v3
; %bb.229:                              ;   in Loop: Header=BB140_18 Depth=1
	s_or_b64 exec, exec, s[8:9]
	v_or_b32_e32 v41, s54, v41
	v_or_b32_e32 v47, s54, v47
	s_mov_b64 s[8:9], -1
	s_mov_b64 s[14:15], 0
	s_cmp_eq_u64 s[40:41], 0
	s_mov_b64 s[30:31], 0
	s_mov_b64 s[42:43], -1
	s_waitcnt lgkmcnt(0)
	s_barrier
                                        ; implicit-def: $vgpr48
	s_cbranch_scc1 .LBB140_245
; %bb.230:                              ;   in Loop: Header=BB140_18 Depth=1
	v_readlane_b32 s30, v69, 20
	s_add_u32 s46, s40, s30
	v_readlane_b32 s30, v69, 22
	s_addc_u32 s31, s41, s30
	s_mov_b32 s30, s77
	s_movk_i32 s82, 0x3f80
	s_cmp_lg_u64 s[30:31], 0
	s_cbranch_scc0 .LBB140_279
; %bb.231:                              ;   in Loop: Header=BB140_18 Depth=1
	v_cvt_f32_u32_e32 v4, s70
	s_sub_u32 s30, 0, s70
	s_subb_u32 s44, 0, 0
	v_fmac_f32_e32 v4, 0, v45
	v_rcp_f32_e32 v4, v4
	s_nop 0
	v_mul_f32_e32 v4, 0x5f7ffffc, v4
	v_mul_f32_e32 v5, 0x2f800000, v4
	v_trunc_f32_e32 v5, v5
	v_fmac_f32_e32 v4, 0xcf800000, v5
	v_cvt_u32_f32_e32 v5, v5
	v_cvt_u32_f32_e32 v4, v4
	v_readfirstlane_b32 s45, v5
	v_readfirstlane_b32 s42, v4
	s_mul_i32 s43, s30, s45
	s_mul_hi_u32 s48, s30, s42
	s_mul_i32 s47, s44, s42
	s_add_i32 s43, s48, s43
	s_mul_i32 s49, s30, s42
	s_add_i32 s43, s43, s47
	s_mul_hi_u32 s48, s42, s49
	s_mul_i32 s50, s42, s43
	s_mul_hi_u32 s47, s42, s43
	s_add_u32 s48, s48, s50
	s_addc_u32 s47, 0, s47
	s_mul_hi_u32 s51, s45, s49
	s_mul_i32 s49, s45, s49
	s_add_u32 s48, s48, s49
	s_mul_hi_u32 s50, s45, s43
	s_addc_u32 s47, s47, s51
	s_addc_u32 s48, s50, 0
	s_mul_i32 s43, s45, s43
	s_add_u32 s43, s47, s43
	s_addc_u32 s47, 0, s48
	s_add_u32 s48, s42, s43
	s_cselect_b64 s[42:43], -1, 0
	s_cmp_lg_u64 s[42:43], 0
	s_addc_u32 s45, s45, s47
	s_mul_i32 s42, s30, s45
	s_mul_hi_u32 s43, s30, s48
	s_add_i32 s42, s43, s42
	s_mul_i32 s44, s44, s48
	s_add_i32 s42, s42, s44
	s_mul_i32 s30, s30, s48
	s_mul_hi_u32 s44, s45, s30
	s_mul_i32 s47, s45, s30
	s_mul_i32 s50, s48, s42
	s_mul_hi_u32 s30, s48, s30
	s_mul_hi_u32 s49, s48, s42
	s_add_u32 s30, s30, s50
	s_addc_u32 s49, 0, s49
	s_add_u32 s30, s30, s47
	s_mul_hi_u32 s43, s45, s42
	s_addc_u32 s30, s49, s44
	s_addc_u32 s43, s43, 0
	s_mul_i32 s42, s45, s42
	s_add_u32 s30, s30, s42
	s_addc_u32 s44, 0, s43
	s_add_u32 s30, s48, s30
	s_cselect_b64 s[42:43], -1, 0
	s_cmp_lg_u64 s[42:43], 0
	s_addc_u32 s42, s45, s44
	s_mul_i32 s44, s46, s42
	s_mul_hi_u32 s45, s46, s30
	s_mul_hi_u32 s43, s46, s42
	s_add_u32 s44, s45, s44
	s_addc_u32 s43, 0, s43
	s_mul_hi_u32 s47, s31, s30
	s_mul_i32 s30, s31, s30
	s_add_u32 s30, s44, s30
	s_mul_hi_u32 s45, s31, s42
	s_addc_u32 s30, s43, s47
	s_addc_u32 s43, s45, 0
	s_mul_i32 s42, s31, s42
	s_add_u32 s30, s30, s42
	s_addc_u32 s42, 0, s43
	s_mul_i32 s42, s70, s42
	s_mul_hi_u32 s43, s70, s30
	s_add_i32 s44, s43, s42
	s_mul_i32 s30, s70, s30
	s_sub_u32 s30, s46, s30
	s_cselect_b64 s[42:43], -1, 0
	s_cmp_lg_u64 s[42:43], 0
	s_subb_u32 s44, s31, s44
	s_sub_u32 s45, s30, s70
	s_cselect_b64 s[42:43], -1, 0
	s_cmp_lg_u64 s[42:43], 0
	s_subb_u32 s47, s44, 0
	;; [unrolled: 4-line block ×3, first 2 shown]
	s_cmp_ge_u32 s45, s70
	s_cselect_b32 s43, -1, 0
	s_cmp_eq_u32 s47, 0
	s_cselect_b32 s43, s43, -1
	s_cmp_lg_u32 s43, 0
	s_cselect_b32 s42, s42, s47
	s_cselect_b32 s45, s48, s45
	s_cmp_ge_u32 s30, s70
	s_cselect_b32 s43, -1, 0
	s_cmp_eq_u32 s44, 0
	s_cselect_b32 s43, s43, -1
	s_cmp_lg_u32 s43, 0
	s_cselect_b32 s43, s42, s44
	s_cselect_b32 s42, s45, s30
	s_cbranch_execnz .LBB140_233
.LBB140_232:                            ;   in Loop: Header=BB140_18 Depth=1
	v_cvt_f32_u32_e32 v4, s70
	s_sub_i32 s30, 0, s70
	v_rcp_iflag_f32_e32 v4, v4
	s_nop 0
	v_mul_f32_e32 v4, 0x4f7ffffe, v4
	v_cvt_u32_f32_e32 v4, v4
	s_nop 0
	v_readfirstlane_b32 s42, v4
	s_mul_i32 s30, s30, s42
	s_mul_hi_u32 s30, s42, s30
	s_add_i32 s42, s42, s30
	s_mul_hi_u32 s30, s46, s42
	s_mul_i32 s30, s30, s70
	s_sub_i32 s30, s46, s30
	s_sub_i32 s42, s30, s70
	s_cmp_ge_u32 s30, s70
	s_cselect_b32 s30, s42, s30
	s_sub_i32 s42, s30, s70
	s_cmp_ge_u32 s30, s70
	s_cselect_b32 s76, s42, s30
	s_mov_b64 s[42:43], s[76:77]
.LBB140_233:                            ;   in Loop: Header=BB140_18 Depth=1
	s_sub_u32 s46, s46, s42
	s_subb_u32 s47, s31, s43
	v_cmp_gt_u64_e32 vcc, s[46:47], v[0:1]
	s_mov_b64 s[42:43], 0
	s_mov_b64 s[30:31], 0
                                        ; implicit-def: $vgpr48
	s_and_saveexec_b64 s[44:45], vcc
	s_cbranch_execz .LBB140_244
; %bb.234:                              ;   in Loop: Header=BB140_18 Depth=1
	v_mov_b32_e32 v8, v37
	v_mov_b64_e32 v[4:5], v[0:1]
                                        ; implicit-def: $sgpr48_sgpr49
	s_branch .LBB140_237
.LBB140_235:                            ;   in Loop: Header=BB140_237 Depth=2
	s_or_b64 exec, exec, s[50:51]
	s_waitcnt lgkmcnt(0)
	s_barrier
	ds_read_b32 v9, v3 offset:3072
	s_mov_b64 s[50:51], -1
	s_mov_b64 s[52:53], -1
	s_waitcnt lgkmcnt(0)
	s_barrier
	v_and_b32_e32 v10, 0x7fff, v9
	v_cmp_ne_u32_e32 vcc, 0, v10
	s_cbranch_vccz .LBB140_240
.LBB140_236:                            ;   in Loop: Header=BB140_237 Depth=2
	s_and_b64 s[50:51], exec, s[50:51]
	s_or_b64 s[30:31], s[50:51], s[30:31]
	s_andn2_b64 s[48:49], s[48:49], exec
	s_and_b64 s[50:51], s[52:53], exec
	s_or_b64 s[48:49], s[48:49], s[50:51]
	s_andn2_b64 exec, exec, s[30:31]
	s_cbranch_execz .LBB140_243
.LBB140_237:                            ;   Parent Loop BB140_18 Depth=1
                                        ; =>  This Inner Loop Header: Depth=2
	v_cmp_gt_u64_e32 vcc, s[40:41], v[4:5]
	s_and_saveexec_b64 s[50:51], vcc
	s_cbranch_execz .LBB140_235
; %bb.238:                              ;   in Loop: Header=BB140_237 Depth=2
	ds_read_u16 v9, v8
	s_waitcnt lgkmcnt(0)
	v_cmp_lt_i16_e32 vcc, -1, v9
	v_lshlrev_b32_e32 v10, 16, v9
	s_nop 0
	v_cndmask_b32_e32 v11, v43, v44, vcc
	v_xor_b32_sdwa v11, v11, v9 dst_sel:DWORD dst_unused:UNUSED_PAD src0_sel:DWORD src1_sel:WORD_0
	v_cmp_o_f32_e32 vcc, v10, v10
	s_nop 1
	v_cndmask_b32_e32 v10, v43, v11, vcc
	v_and_b32_e32 v10, v10, v47
	v_cmp_eq_u32_e32 vcc, v10, v41
	s_and_b64 exec, exec, vcc
	s_cbranch_execz .LBB140_235
; %bb.239:                              ;   in Loop: Header=BB140_237 Depth=2
	v_perm_b32 v9, v9, s82, v46
	ds_write_b32 v3, v9 offset:3072
	s_branch .LBB140_235
.LBB140_240:                            ;   in Loop: Header=BB140_237 Depth=2
	v_lshl_add_u64 v[4:5], v[4:5], 0, s[70:71]
	v_cmp_le_u64_e32 vcc, s[46:47], v[4:5]
	v_add_u32_e32 v8, s85, v8
	s_mov_b64 s[52:53], 0
	s_orn2_b64 s[50:51], vcc, exec
	s_branch .LBB140_236
.LBB140_241:                            ;   in Loop: Header=BB140_18 Depth=1
                                        ; implicit-def: $sgpr30_sgpr31
	s_branch .LBB140_187
.LBB140_242:                            ;   in Loop: Header=BB140_18 Depth=1
                                        ; implicit-def: $sgpr12_sgpr13
	s_branch .LBB140_203
.LBB140_243:                            ;   in Loop: Header=BB140_18 Depth=1
	s_or_b64 exec, exec, s[30:31]
	v_lshrrev_b32_e32 v48, 16, v9
	s_and_b64 s[30:31], s[48:49], exec
	v_readlane_b32 s52, v69, 41
	s_mov_b32 s53, 0x5040100
.LBB140_244:                            ;   in Loop: Header=BB140_18 Depth=1
	s_or_b64 exec, exec, s[44:45]
	s_movk_i32 s49, 0x3f80
.LBB140_245:                            ;   in Loop: Header=BB140_18 Depth=1
	s_and_b64 vcc, exec, s[42:43]
	s_cbranch_vccz .LBB140_259
; %bb.246:                              ;   in Loop: Header=BB140_18 Depth=1
	s_mov_b32 s82, s77
	s_cmp_lg_u64 s[82:83], 0
	s_cbranch_scc0 .LBB140_280
; %bb.247:                              ;   in Loop: Header=BB140_18 Depth=1
	v_cvt_f32_u32_e32 v4, s70
	s_sub_u32 s14, 0, s70
	s_subb_u32 s15, 0, 0
	v_fmac_f32_e32 v4, 0, v45
	v_rcp_f32_e32 v4, v4
	s_nop 0
	v_mul_f32_e32 v4, 0x5f7ffffc, v4
	v_mul_f32_e32 v5, 0x2f800000, v4
	v_trunc_f32_e32 v5, v5
	v_fmac_f32_e32 v4, 0xcf800000, v5
	v_cvt_u32_f32_e32 v5, v5
	v_cvt_u32_f32_e32 v4, v4
	v_readfirstlane_b32 s40, v5
	v_readfirstlane_b32 s8, v4
	s_mul_i32 s9, s14, s40
	s_mul_hi_u32 s42, s14, s8
	s_mul_i32 s41, s15, s8
	s_add_i32 s9, s42, s9
	s_mul_i32 s43, s14, s8
	s_add_i32 s9, s9, s41
	s_mul_hi_u32 s42, s8, s43
	s_mul_i32 s44, s8, s9
	s_mul_hi_u32 s41, s8, s9
	s_add_u32 s42, s42, s44
	s_addc_u32 s41, 0, s41
	s_mul_hi_u32 s45, s40, s43
	s_mul_i32 s43, s40, s43
	s_add_u32 s42, s42, s43
	s_mul_hi_u32 s44, s40, s9
	s_addc_u32 s41, s41, s45
	s_addc_u32 s42, s44, 0
	s_mul_i32 s9, s40, s9
	s_add_u32 s9, s41, s9
	s_addc_u32 s41, 0, s42
	s_add_u32 s42, s8, s9
	s_cselect_b64 s[8:9], -1, 0
	s_cmp_lg_u64 s[8:9], 0
	s_addc_u32 s40, s40, s41
	s_mul_i32 s8, s14, s40
	s_mul_hi_u32 s9, s14, s42
	s_add_i32 s8, s9, s8
	s_mul_i32 s15, s15, s42
	s_add_i32 s8, s8, s15
	s_mul_i32 s14, s14, s42
	s_mul_hi_u32 s15, s40, s14
	s_mul_i32 s41, s40, s14
	s_mul_i32 s44, s42, s8
	s_mul_hi_u32 s14, s42, s14
	s_mul_hi_u32 s43, s42, s8
	s_add_u32 s14, s14, s44
	s_addc_u32 s43, 0, s43
	s_add_u32 s14, s14, s41
	s_mul_hi_u32 s9, s40, s8
	s_addc_u32 s14, s43, s15
	s_addc_u32 s9, s9, 0
	s_mul_i32 s8, s40, s8
	s_add_u32 s8, s14, s8
	s_addc_u32 s14, 0, s9
	s_add_u32 s15, s42, s8
	s_cselect_b64 s[8:9], -1, 0
	s_cmp_lg_u64 s[8:9], 0
	s_addc_u32 s8, s40, s14
	v_readlane_b32 s42, v69, 21
	s_mul_i32 s14, s42, s8
	s_mul_hi_u32 s40, s42, s15
	s_mul_hi_u32 s9, s42, s8
	s_add_u32 s14, s40, s14
	s_addc_u32 s9, 0, s9
	s_mul_hi_u32 s41, s83, s15
	s_mul_i32 s15, s83, s15
	s_add_u32 s14, s14, s15
	s_mul_hi_u32 s40, s83, s8
	s_addc_u32 s9, s9, s41
	s_addc_u32 s14, s40, 0
	s_mul_i32 s8, s83, s8
	s_add_u32 s8, s9, s8
	s_addc_u32 s9, 0, s14
	s_mul_i32 s9, s70, s9
	s_mul_hi_u32 s14, s70, s8
	s_add_i32 s14, s14, s9
	s_mul_i32 s8, s70, s8
	s_sub_u32 s15, s42, s8
	s_cselect_b64 s[8:9], -1, 0
	s_cmp_lg_u64 s[8:9], 0
	s_subb_u32 s14, s83, s14
	s_sub_u32 s40, s15, s70
	s_cselect_b64 s[8:9], -1, 0
	s_cmp_lg_u64 s[8:9], 0
	s_subb_u32 s41, s14, 0
	;; [unrolled: 4-line block ×3, first 2 shown]
	s_cmp_ge_u32 s40, s70
	s_cselect_b32 s9, -1, 0
	s_cmp_eq_u32 s41, 0
	s_cselect_b32 s9, s9, -1
	s_cmp_lg_u32 s9, 0
	s_cselect_b32 s8, s8, s41
	s_cselect_b32 s40, s42, s40
	s_cmp_ge_u32 s15, s70
	s_cselect_b32 s9, -1, 0
	s_cmp_eq_u32 s14, 0
	s_cselect_b32 s9, s9, -1
	s_cmp_lg_u32 s9, 0
	s_cselect_b32 s9, s8, s14
	s_cselect_b32 s8, s40, s15
	s_cbranch_execnz .LBB140_249
.LBB140_248:                            ;   in Loop: Header=BB140_18 Depth=1
	v_cvt_f32_u32_e32 v4, s70
	s_sub_i32 s8, 0, s70
	v_readlane_b32 s14, v69, 21
	v_rcp_iflag_f32_e32 v4, v4
	s_nop 0
	v_mul_f32_e32 v4, 0x4f7ffffe, v4
	v_cvt_u32_f32_e32 v4, v4
	s_nop 0
	v_readfirstlane_b32 s9, v4
	s_mul_i32 s8, s8, s9
	s_mul_hi_u32 s8, s9, s8
	s_add_i32 s9, s9, s8
	s_mul_hi_u32 s8, s14, s9
	s_mul_i32 s8, s8, s70
	s_sub_i32 s8, s14, s8
	s_sub_i32 s9, s8, s70
	s_cmp_ge_u32 s8, s70
	s_cselect_b32 s8, s9, s8
	s_sub_i32 s9, s8, s70
	s_cmp_ge_u32 s8, s70
	s_cselect_b32 s76, s9, s8
	s_mov_b64 s[8:9], s[76:77]
.LBB140_249:                            ;   in Loop: Header=BB140_18 Depth=1
	v_readlane_b32 s14, v69, 21
	s_sub_u32 s14, s14, s8
	s_subb_u32 s15, s83, s9
	v_cmp_gt_u64_e32 vcc, s[14:15], v[0:1]
                                        ; implicit-def: $vgpr48
	s_and_saveexec_b64 s[8:9], vcc
	s_cbranch_execz .LBB140_258
; %bb.250:                              ;   in Loop: Header=BB140_18 Depth=1
	s_mov_b64 s[40:41], 0
	v_mov_b64_e32 v[4:5], v[12:13]
	v_mov_b64_e32 v[8:9], v[0:1]
                                        ; implicit-def: $sgpr42_sgpr43
	s_branch .LBB140_253
.LBB140_251:                            ;   in Loop: Header=BB140_253 Depth=2
	s_or_b64 exec, exec, s[44:45]
	s_waitcnt lgkmcnt(0)
	s_barrier
	ds_read_b32 v10, v3 offset:3072
	s_mov_b64 s[44:45], -1
	s_mov_b64 s[46:47], -1
	s_waitcnt lgkmcnt(0)
	s_barrier
	v_and_b32_e32 v11, 0x7fff, v10
	v_cmp_eq_u32_e32 vcc, 0, v11
	s_cbranch_vccnz .LBB140_256
.LBB140_252:                            ;   in Loop: Header=BB140_253 Depth=2
	s_and_b64 s[44:45], exec, s[44:45]
	s_or_b64 s[40:41], s[44:45], s[40:41]
	s_andn2_b64 s[42:43], s[42:43], exec
	s_and_b64 s[44:45], s[46:47], exec
	s_or_b64 s[42:43], s[42:43], s[44:45]
	s_andn2_b64 exec, exec, s[40:41]
	s_cbranch_execz .LBB140_257
.LBB140_253:                            ;   Parent Loop BB140_18 Depth=1
                                        ; =>  This Inner Loop Header: Depth=2
	v_cmp_gt_u64_e32 vcc, s[56:57], v[8:9]
	s_and_saveexec_b64 s[44:45], vcc
	s_cbranch_execz .LBB140_251
; %bb.254:                              ;   in Loop: Header=BB140_253 Depth=2
	global_load_ushort v10, v[4:5], off
	s_waitcnt vmcnt(0)
	v_cmp_lt_i16_e32 vcc, -1, v10
	v_lshlrev_b32_e32 v11, 16, v10
	s_nop 0
	v_cndmask_b32_e32 v32, v43, v44, vcc
	v_xor_b32_sdwa v32, v32, v10 dst_sel:DWORD dst_unused:UNUSED_PAD src0_sel:DWORD src1_sel:WORD_0
	v_cmp_o_f32_e32 vcc, v11, v11
	s_nop 1
	v_cndmask_b32_e32 v11, v43, v32, vcc
	v_and_b32_e32 v11, v11, v47
	v_cmp_eq_u32_e32 vcc, v11, v41
	s_and_b64 exec, exec, vcc
	s_cbranch_execz .LBB140_251
; %bb.255:                              ;   in Loop: Header=BB140_253 Depth=2
	v_perm_b32 v10, v10, s49, v46
	ds_write_b32 v3, v10 offset:3072
	s_branch .LBB140_251
.LBB140_256:                            ;   in Loop: Header=BB140_253 Depth=2
	v_lshl_add_u64 v[8:9], v[8:9], 0, s[70:71]
	v_cmp_le_u64_e32 vcc, s[14:15], v[8:9]
	v_lshl_add_u64 v[4:5], v[4:5], 0, s[74:75]
	s_mov_b64 s[46:47], 0
	s_orn2_b64 s[44:45], vcc, exec
	s_branch .LBB140_252
.LBB140_257:                            ;   in Loop: Header=BB140_18 Depth=1
	s_or_b64 exec, exec, s[40:41]
	s_andn2_b64 s[14:15], s[30:31], exec
	s_and_b64 s[30:31], s[42:43], exec
	v_lshrrev_b32_e32 v48, 16, v10
	s_or_b64 s[30:31], s[14:15], s[30:31]
.LBB140_258:                            ;   in Loop: Header=BB140_18 Depth=1
	s_or_b64 exec, exec, s[8:9]
	s_mov_b64 s[8:9], 0
	s_mov_b64 s[14:15], -1
.LBB140_259:                            ;   in Loop: Header=BB140_18 Depth=1
	s_orn2_b64 s[40:41], s[30:31], exec
.LBB140_260:                            ;   in Loop: Header=BB140_18 Depth=1
	s_or_b64 exec, exec, s[38:39]
	s_mov_b64 s[38:39], 0
	s_and_saveexec_b64 s[30:31], s[40:41]
	s_cbranch_execz .LBB140_271
; %bb.261:                              ;   in Loop: Header=BB140_18 Depth=1
	s_xor_b64 s[38:39], s[22:23], -1
	v_mov_b64_e32 v[4:5], 1
	v_mov_b32_e32 v2, 1
	s_and_saveexec_b64 s[22:23], s[38:39]
	s_cbranch_execz .LBB140_270
; %bb.262:                              ;   in Loop: Header=BB140_18 Depth=1
	v_cmp_ge_u64_e32 vcc, s[2:3], v[6:7]
	s_and_saveexec_b64 s[38:39], vcc
	s_xor_b64 s[38:39], exec, s[38:39]
	s_cbranch_execz .LBB140_267
; %bb.263:                              ;   in Loop: Header=BB140_18 Depth=1
	ds_read_b64 v[4:5], v3 offset:5120
	v_or_b32_e32 v41, s54, v41
	v_or_b32_e32 v47, s54, v47
	s_waitcnt lgkmcnt(0)
	v_cmp_ne_u64_e32 vcc, 0, v[4:5]
	s_cbranch_vccnz .LBB140_267
; %bb.264:                              ;   in Loop: Header=BB140_18 Depth=1
	s_mov_b64 s[40:41], exec
	v_readlane_b32 s42, v69, 12
	v_readlane_b32 s43, v69, 13
	s_and_b64 s[42:43], s[40:41], s[42:43]
	s_mov_b64 exec, s[42:43]
; %bb.265:                              ;   in Loop: Header=BB140_18 Depth=1
	v_mov_b64_e32 v[4:5], s[2:3]
	ds_write_b64 v3, v[4:5] offset:5128
; %bb.266:                              ;   in Loop: Header=BB140_18 Depth=1
	s_or_b64 exec, exec, s[40:41]
	s_waitcnt lgkmcnt(0)
	s_barrier
.LBB140_267:                            ;   in Loop: Header=BB140_18 Depth=1
	s_andn2_saveexec_b64 s[38:39], s[38:39]
; %bb.268:                              ;   in Loop: Header=BB140_18 Depth=1
	v_mov_b32_e32 v2, s3
	v_subrev_co_u32_e32 v6, vcc, s2, v6
	s_nop 1
	v_subb_co_u32_e32 v7, vcc, v7, v2, vcc
; %bb.269:                              ;   in Loop: Header=BB140_18 Depth=1
	s_or_b64 exec, exec, s[38:39]
	v_mov_b32_e32 v2, 8
	v_mov_b64_e32 v[4:5], v[6:7]
.LBB140_270:                            ;   in Loop: Header=BB140_18 Depth=1
	s_or_b64 exec, exec, s[22:23]
	s_mov_b64 s[38:39], exec
	v_mov_b64_e32 v[6:7], v[4:5]
.LBB140_271:                            ;   in Loop: Header=BB140_18 Depth=1
	s_or_b64 exec, exec, s[30:31]
	s_orn2_b64 s[22:23], s[38:39], exec
.LBB140_272:                            ;   in Loop: Header=BB140_18 Depth=1
	s_or_b64 exec, exec, s[10:11]
	s_andn2_b64 s[2:3], s[34:35], exec
	s_and_b64 s[10:11], s[14:15], exec
	s_or_b64 s[34:35], s[2:3], s[10:11]
	s_andn2_b64 s[2:3], s[12:13], exec
	s_and_b64 s[8:9], s[8:9], exec
	s_or_b64 s[12:13], s[2:3], s[8:9]
	s_and_b64 s[14:15], s[22:23], exec
	v_mov_b64_e32 v[4:5], v[6:7]
.LBB140_273:                            ;   in Loop: Header=BB140_18 Depth=1
	s_or_b64 exec, exec, s[36:37]
	s_orn2_b64 s[8:9], s[14:15], exec
.LBB140_274:                            ;   in Loop: Header=BB140_18 Depth=1
	s_or_b64 exec, exec, s[28:29]
	s_andn2_b64 s[2:3], s[24:25], exec
	s_and_b64 s[10:11], s[34:35], exec
	s_or_b64 s[24:25], s[2:3], s[10:11]
	s_andn2_b64 s[0:1], s[0:1], exec
	s_and_b64 s[2:3], s[12:13], exec
	s_or_b64 s[0:1], s[0:1], s[2:3]
	s_and_b64 s[12:13], s[8:9], exec
	v_mov_b64_e32 v[8:9], v[4:5]
.LBB140_275:                            ;   in Loop: Header=BB140_18 Depth=1
	s_or_b64 exec, exec, s[26:27]
	s_orn2_b64 s[8:9], s[12:13], exec
.LBB140_276:                            ;   in Loop: Header=BB140_18 Depth=1
	s_or_b64 exec, exec, s[20:21]
	s_mov_b64 s[10:11], 0
	s_and_saveexec_b64 s[2:3], s[8:9]
	s_xor_b64 s[2:3], exec, s[2:3]
	s_cbranch_execz .LBB140_16
; %bb.277:                              ;   in Loop: Header=BB140_18 Depth=1
	v_and_b32_e32 v2, 7, v2
	v_cmp_eq_u32_e32 vcc, 0, v2
	s_mov_b64 s[8:9], -1
	s_mov_b64 s[10:11], -1
	s_and_saveexec_b64 s[12:13], vcc
	s_cbranch_execz .LBB140_15
; %bb.278:                              ;   in Loop: Header=BB140_18 Depth=1
	s_xor_b32 s7, s7, 1
	s_add_i32 s14, s6, -2
	s_cmp_eq_u32 s6, 0
	s_cselect_b64 s[8:9], -1, 0
	s_xor_b64 s[10:11], exec, -1
	s_orn2_b64 s[8:9], s[8:9], exec
	s_mov_b32 s6, s14
	s_branch .LBB140_15
.LBB140_279:                            ;   in Loop: Header=BB140_18 Depth=1
                                        ; implicit-def: $sgpr42_sgpr43
	s_branch .LBB140_232
.LBB140_280:                            ;   in Loop: Header=BB140_18 Depth=1
                                        ; implicit-def: $sgpr8_sgpr9
	s_branch .LBB140_248
.LBB140_281:
	s_or_b64 exec, exec, s[94:95]
	s_xor_b64 s[4:5], s[58:59], -1
	s_xor_b64 s[2:3], s[96:97], -1
	;; [unrolled: 1-line block ×3, first 2 shown]
	s_mov_b64 s[0:1], 0
	s_and_saveexec_b64 s[8:9], s[2:3]
	s_xor_b64 s[2:3], exec, s[8:9]
	s_cbranch_execnz .LBB140_286
; %bb.282:
	s_andn2_saveexec_b64 s[2:3], s[2:3]
	s_cbranch_execnz .LBB140_299
.LBB140_283:
	s_or_b64 exec, exec, s[2:3]
	s_and_saveexec_b64 s[2:3], s[0:1]
.LBB140_284:
	; divergent unreachable
.LBB140_285:
	s_endpgm
.LBB140_286:
	s_and_saveexec_b64 s[0:1], s[4:5]
	s_xor_b64 s[4:5], exec, s[0:1]
	s_cbranch_execz .LBB140_297
; %bb.287:
	s_and_saveexec_b64 s[0:1], s[6:7]
	s_xor_b64 s[0:1], exec, s[0:1]
; %bb.288:
	v_and_b32_e32 v2, 0x8000, v41
	v_mov_b32_e32 v3, 0x8000
	v_mov_b32_e32 v4, 0xffff
	v_cmp_eq_u32_e32 vcc, 0, v2
	s_nop 1
	v_cndmask_b32_e32 v2, v3, v4, vcc
	v_xor_b32_e32 v48, v2, v41
; %bb.289:
	s_or_b64 exec, exec, s[0:1]
	v_readlane_b32 s0, v69, 8
	v_readlane_b32 s8, v69, 4
	;; [unrolled: 1-line block ×3, first 2 shown]
	s_mov_b32 s6, s0
	v_readlane_b32 s9, v69, 5
	s_mul_i32 s0, s9, s0
	s_mul_hi_u32 s1, s8, s6
	s_add_i32 s1, s1, s0
	s_mul_i32 s0, s8, s6
	s_lshl_b64 s[0:1], s[0:1], 1
	v_readlane_b32 s6, v69, 6
	v_readlane_b32 s7, v69, 7
	s_add_u32 s0, s6, s0
	s_addc_u32 s1, s7, s1
	v_mov_b32_e32 v2, 0
	global_store_short v2, v48, s[0:1]
	s_mov_b64 s[6:7], exec
	v_readlane_b32 s0, v69, 10
	v_readlane_b32 s1, v69, 11
	s_and_b64 s[0:1], s[6:7], s[0:1]
	s_mov_b64 exec, s[0:1]
	s_cbranch_execz .LBB140_296
; %bb.290:
	v_lshlrev_b32_e32 v4, 16, v48
	v_cmp_u_f32_e32 vcc, v4, v4
	s_mov_b64 s[8:9], 0
	s_xor_b64 s[12:13], vcc, -1
                                        ; implicit-def: $sgpr10_sgpr11
                                        ; implicit-def: $sgpr16_sgpr17
                                        ; implicit-def: $sgpr14_sgpr15
	s_branch .LBB140_292
.LBB140_291:                            ;   in Loop: Header=BB140_292 Depth=1
	s_or_b64 exec, exec, s[0:1]
	s_and_b64 s[0:1], exec, s[16:17]
	s_or_b64 s[8:9], s[0:1], s[8:9]
	s_andn2_b64 s[0:1], s[10:11], exec
	s_and_b64 s[10:11], s[14:15], exec
	s_or_b64 s[10:11], s[0:1], s[10:11]
	s_andn2_b64 exec, exec, s[8:9]
	s_cbranch_execz .LBB140_294
.LBB140_292:                            ; =>This Inner Loop Header: Depth=1
	global_load_ushort v5, v[12:13], off
	v_mov_b64_e32 v[2:3], v[0:1]
	s_or_b64 s[14:15], s[14:15], exec
	s_or_b64 s[16:17], s[16:17], exec
	s_waitcnt vmcnt(0)
	v_lshlrev_b32_e32 v0, 16, v5
	v_cmp_o_f32_e64 s[0:1], v0, v0
	v_cmp_neq_f32_e32 vcc, v0, v4
	s_or_b64 s[0:1], s[12:13], s[0:1]
	s_and_b64 s[18:19], vcc, s[0:1]
                                        ; implicit-def: $vgpr0_vgpr1
	s_and_saveexec_b64 s[0:1], s[18:19]
	s_cbranch_execz .LBB140_291
; %bb.293:                              ;   in Loop: Header=BB140_292 Depth=1
	v_lshl_add_u64 v[0:1], v[2:3], 0, s[70:71]
	v_cmp_le_u64_e32 vcc, s[56:57], v[0:1]
	s_andn2_b64 s[16:17], s[16:17], exec
	s_and_b64 s[18:19], vcc, exec
	v_lshl_add_u64 v[12:13], v[12:13], 0, s[74:75]
	s_andn2_b64 s[14:15], s[14:15], exec
	s_or_b64 s[16:17], s[16:17], s[18:19]
	s_branch .LBB140_291
.LBB140_294:
	s_or_b64 exec, exec, s[8:9]
	s_and_saveexec_b64 s[0:1], s[10:11]
	s_xor_b64 s[0:1], exec, s[0:1]
	s_cbranch_execz .LBB140_296
; %bb.295:
	v_readlane_b32 s0, v69, 8
	v_readlane_b32 s10, v69, 0
	v_readlane_b32 s1, v69, 9
	s_mov_b32 s8, s0
	v_readlane_b32 s11, v69, 1
	s_mul_i32 s0, s11, s0
	s_mul_hi_u32 s1, s10, s8
	s_add_i32 s1, s1, s0
	s_mul_i32 s0, s10, s8
	s_lshl_b64 s[0:1], s[0:1], 3
	v_readlane_b32 s8, v69, 2
	v_readlane_b32 s9, v69, 3
	s_add_u32 s0, s8, s0
	s_addc_u32 s1, s9, s1
	v_mov_b32_e32 v0, 0
	global_store_dwordx2 v0, v[2:3], s[0:1]
.LBB140_296:
	s_or_b64 exec, exec, s[6:7]
.LBB140_297:
	s_or_saveexec_b64 s[0:1], s[4:5]
	s_mov_b64 s[4:5], 0
	s_xor_b64 exec, exec, s[0:1]
	s_cbranch_execnz .LBB140_300
.LBB140_298:
	s_or_b64 exec, exec, s[0:1]
	s_and_b64 s[0:1], s[4:5], exec
	s_andn2_saveexec_b64 s[2:3], s[2:3]
	s_cbranch_execz .LBB140_283
.LBB140_299:
	s_or_b64 s[0:1], s[0:1], exec
	s_trap 2
	s_or_b64 exec, exec, s[2:3]
	s_and_saveexec_b64 s[2:3], s[0:1]
	s_cbranch_execnz .LBB140_284
	s_branch .LBB140_285
.LBB140_300:
	s_mov_b64 s[4:5], exec
	s_trap 2
	s_branch .LBB140_298
	.section	.rodata,"a",@progbits
	.p2align	6, 0x0
	.amdhsa_kernel _ZN2at6native12_GLOBAL__N_112gatherMedianIN3c108BFloat16EmLi1EEEvNS_4cuda6detail10TensorInfoIT_T0_EENS7_IlS9_EENS7_IKS8_S9_EES9_S9_S9_b
		.amdhsa_group_segment_fixed_size 5152
		.amdhsa_private_segment_fixed_size 0
		.amdhsa_kernarg_size 1536
		.amdhsa_user_sgpr_count 2
		.amdhsa_user_sgpr_dispatch_ptr 0
		.amdhsa_user_sgpr_queue_ptr 0
		.amdhsa_user_sgpr_kernarg_segment_ptr 1
		.amdhsa_user_sgpr_dispatch_id 0
		.amdhsa_user_sgpr_kernarg_preload_length 0
		.amdhsa_user_sgpr_kernarg_preload_offset 0
		.amdhsa_user_sgpr_private_segment_size 0
		.amdhsa_uses_dynamic_stack 0
		.amdhsa_enable_private_segment 0
		.amdhsa_system_sgpr_workgroup_id_x 1
		.amdhsa_system_sgpr_workgroup_id_y 1
		.amdhsa_system_sgpr_workgroup_id_z 1
		.amdhsa_system_sgpr_workgroup_info 0
		.amdhsa_system_vgpr_workitem_id 0
		.amdhsa_next_free_vgpr 70
		.amdhsa_next_free_sgpr 100
		.amdhsa_accum_offset 72
		.amdhsa_reserve_vcc 1
		.amdhsa_float_round_mode_32 0
		.amdhsa_float_round_mode_16_64 0
		.amdhsa_float_denorm_mode_32 3
		.amdhsa_float_denorm_mode_16_64 3
		.amdhsa_dx10_clamp 1
		.amdhsa_ieee_mode 1
		.amdhsa_fp16_overflow 0
		.amdhsa_tg_split 0
		.amdhsa_exception_fp_ieee_invalid_op 0
		.amdhsa_exception_fp_denorm_src 0
		.amdhsa_exception_fp_ieee_div_zero 0
		.amdhsa_exception_fp_ieee_overflow 0
		.amdhsa_exception_fp_ieee_underflow 0
		.amdhsa_exception_fp_ieee_inexact 0
		.amdhsa_exception_int_div_zero 0
	.end_amdhsa_kernel
	.section	.text._ZN2at6native12_GLOBAL__N_112gatherMedianIN3c108BFloat16EmLi1EEEvNS_4cuda6detail10TensorInfoIT_T0_EENS7_IlS9_EENS7_IKS8_S9_EES9_S9_S9_b,"axG",@progbits,_ZN2at6native12_GLOBAL__N_112gatherMedianIN3c108BFloat16EmLi1EEEvNS_4cuda6detail10TensorInfoIT_T0_EENS7_IlS9_EENS7_IKS8_S9_EES9_S9_S9_b,comdat
.Lfunc_end140:
	.size	_ZN2at6native12_GLOBAL__N_112gatherMedianIN3c108BFloat16EmLi1EEEvNS_4cuda6detail10TensorInfoIT_T0_EENS7_IlS9_EENS7_IKS8_S9_EES9_S9_S9_b, .Lfunc_end140-_ZN2at6native12_GLOBAL__N_112gatherMedianIN3c108BFloat16EmLi1EEEvNS_4cuda6detail10TensorInfoIT_T0_EENS7_IlS9_EENS7_IKS8_S9_EES9_S9_S9_b
                                        ; -- End function
	.set _ZN2at6native12_GLOBAL__N_112gatherMedianIN3c108BFloat16EmLi1EEEvNS_4cuda6detail10TensorInfoIT_T0_EENS7_IlS9_EENS7_IKS8_S9_EES9_S9_S9_b.num_vgpr, 70
	.set _ZN2at6native12_GLOBAL__N_112gatherMedianIN3c108BFloat16EmLi1EEEvNS_4cuda6detail10TensorInfoIT_T0_EENS7_IlS9_EENS7_IKS8_S9_EES9_S9_S9_b.num_agpr, 0
	.set _ZN2at6native12_GLOBAL__N_112gatherMedianIN3c108BFloat16EmLi1EEEvNS_4cuda6detail10TensorInfoIT_T0_EENS7_IlS9_EENS7_IKS8_S9_EES9_S9_S9_b.numbered_sgpr, 100
	.set _ZN2at6native12_GLOBAL__N_112gatherMedianIN3c108BFloat16EmLi1EEEvNS_4cuda6detail10TensorInfoIT_T0_EENS7_IlS9_EENS7_IKS8_S9_EES9_S9_S9_b.num_named_barrier, 0
	.set _ZN2at6native12_GLOBAL__N_112gatherMedianIN3c108BFloat16EmLi1EEEvNS_4cuda6detail10TensorInfoIT_T0_EENS7_IlS9_EENS7_IKS8_S9_EES9_S9_S9_b.private_seg_size, 0
	.set _ZN2at6native12_GLOBAL__N_112gatherMedianIN3c108BFloat16EmLi1EEEvNS_4cuda6detail10TensorInfoIT_T0_EENS7_IlS9_EENS7_IKS8_S9_EES9_S9_S9_b.uses_vcc, 1
	.set _ZN2at6native12_GLOBAL__N_112gatherMedianIN3c108BFloat16EmLi1EEEvNS_4cuda6detail10TensorInfoIT_T0_EENS7_IlS9_EENS7_IKS8_S9_EES9_S9_S9_b.uses_flat_scratch, 0
	.set _ZN2at6native12_GLOBAL__N_112gatherMedianIN3c108BFloat16EmLi1EEEvNS_4cuda6detail10TensorInfoIT_T0_EENS7_IlS9_EENS7_IKS8_S9_EES9_S9_S9_b.has_dyn_sized_stack, 0
	.set _ZN2at6native12_GLOBAL__N_112gatherMedianIN3c108BFloat16EmLi1EEEvNS_4cuda6detail10TensorInfoIT_T0_EENS7_IlS9_EENS7_IKS8_S9_EES9_S9_S9_b.has_recursion, 0
	.set _ZN2at6native12_GLOBAL__N_112gatherMedianIN3c108BFloat16EmLi1EEEvNS_4cuda6detail10TensorInfoIT_T0_EENS7_IlS9_EENS7_IKS8_S9_EES9_S9_S9_b.has_indirect_call, 0
	.section	.AMDGPU.csdata,"",@progbits
; Kernel info:
; codeLenInByte = 16408
; TotalNumSgprs: 106
; NumVgprs: 70
; NumAgprs: 0
; TotalNumVgprs: 70
; ScratchSize: 0
; MemoryBound: 0
; FloatMode: 240
; IeeeMode: 1
; LDSByteSize: 5152 bytes/workgroup (compile time only)
; SGPRBlocks: 13
; VGPRBlocks: 8
; NumSGPRsForWavesPerEU: 106
; NumVGPRsForWavesPerEU: 70
; AccumOffset: 72
; Occupancy: 7
; WaveLimiterHint : 1
; COMPUTE_PGM_RSRC2:SCRATCH_EN: 0
; COMPUTE_PGM_RSRC2:USER_SGPR: 2
; COMPUTE_PGM_RSRC2:TRAP_HANDLER: 0
; COMPUTE_PGM_RSRC2:TGID_X_EN: 1
; COMPUTE_PGM_RSRC2:TGID_Y_EN: 1
; COMPUTE_PGM_RSRC2:TGID_Z_EN: 1
; COMPUTE_PGM_RSRC2:TIDIG_COMP_CNT: 0
; COMPUTE_PGM_RSRC3_GFX90A:ACCUM_OFFSET: 17
; COMPUTE_PGM_RSRC3_GFX90A:TG_SPLIT: 0
	.section	.text._ZN2at6native12_GLOBAL__N_112gatherMedianIN3c108BFloat16EmLi2EEEvNS_4cuda6detail10TensorInfoIT_T0_EENS7_IlS9_EENS7_IKS8_S9_EES9_S9_S9_b,"axG",@progbits,_ZN2at6native12_GLOBAL__N_112gatherMedianIN3c108BFloat16EmLi2EEEvNS_4cuda6detail10TensorInfoIT_T0_EENS7_IlS9_EENS7_IKS8_S9_EES9_S9_S9_b,comdat
	.globl	_ZN2at6native12_GLOBAL__N_112gatherMedianIN3c108BFloat16EmLi2EEEvNS_4cuda6detail10TensorInfoIT_T0_EENS7_IlS9_EENS7_IKS8_S9_EES9_S9_S9_b ; -- Begin function _ZN2at6native12_GLOBAL__N_112gatherMedianIN3c108BFloat16EmLi2EEEvNS_4cuda6detail10TensorInfoIT_T0_EENS7_IlS9_EENS7_IKS8_S9_EES9_S9_S9_b
	.p2align	8
	.type	_ZN2at6native12_GLOBAL__N_112gatherMedianIN3c108BFloat16EmLi2EEEvNS_4cuda6detail10TensorInfoIT_T0_EENS7_IlS9_EENS7_IKS8_S9_EES9_S9_S9_b,@function
_ZN2at6native12_GLOBAL__N_112gatherMedianIN3c108BFloat16EmLi2EEEvNS_4cuda6detail10TensorInfoIT_T0_EENS7_IlS9_EENS7_IKS8_S9_EES9_S9_S9_b: ; @_ZN2at6native12_GLOBAL__N_112gatherMedianIN3c108BFloat16EmLi2EEEvNS_4cuda6detail10TensorInfoIT_T0_EENS7_IlS9_EENS7_IKS8_S9_EES9_S9_S9_b
; %bb.0:
	s_load_dwordx2 s[10:11], s[0:1], 0x500
	s_load_dwordx4 s[56:59], s[0:1], 0x4e0
	s_add_u32 s12, s0, 0x500
	s_addc_u32 s13, s1, 0
	s_mov_b32 s19, 0
	s_waitcnt lgkmcnt(0)
	s_mul_i32 s4, s11, s4
	s_add_i32 s3, s4, s3
	s_mul_i32 s3, s3, s10
	s_add_i32 s18, s3, s2
	v_mov_b64_e32 v[2:3], s[18:19]
	v_cmp_le_u64_e32 vcc, s[58:59], v[2:3]
	s_cbranch_vccnz .LBB141_295
; %bb.1:
	s_load_dwordx2 s[20:21], s[0:1], 0x10
	s_load_dwordx2 s[72:73], s[0:1], 0x4f0
	;; [unrolled: 1-line block ×4, first 2 shown]
                                        ; implicit-def: $vgpr61 : SGPR spill to VGPR lane
	s_waitcnt lgkmcnt(0)
	v_mov_b64_e32 v[2:3], s[20:21]
	v_cmp_lt_u64_e32 vcc, s[18:19], v[2:3]
	s_and_b64 vcc, exec, vcc
	v_writelane_b32 v61, s4, 0
	s_nop 1
	v_writelane_b32 v61, s5, 1
	s_mov_b64 s[4:5], 0
	v_writelane_b32 v61, s4, 2
	s_nop 1
	v_writelane_b32 v61, s5, 3
	s_mov_b64 s[4:5], 0
	s_cbranch_vccnz .LBB141_3
; %bb.2:
	v_cvt_f32_u32_e32 v1, s20
	s_sub_i32 s3, 0, s20
	v_rcp_iflag_f32_e32 v1, v1
	s_nop 0
	v_mul_f32_e32 v1, 0x4f7ffffe, v1
	v_cvt_u32_f32_e32 v1, v1
	s_nop 0
	v_readfirstlane_b32 s4, v1
	s_mul_i32 s3, s3, s4
	s_mul_hi_u32 s3, s4, s3
	s_add_i32 s4, s4, s3
	s_mul_hi_u32 s3, s18, s4
	s_mul_i32 s5, s3, s20
	s_sub_i32 s5, s18, s5
	s_add_i32 s4, s3, 1
	s_sub_i32 s6, s5, s20
	s_cmp_ge_u32 s5, s20
	s_cselect_b32 s3, s4, s3
	s_cselect_b32 s5, s6, s5
	s_add_i32 s4, s3, 1
	s_cmp_ge_u32 s5, s20
	s_cselect_b32 s4, s4, s3
.LBB141_3:
	v_writelane_b32 v61, s4, 4
	s_nop 1
	v_writelane_b32 v61, s5, 5
	s_load_dwordx2 s[14:15], s[0:1], 0x340
	s_load_dwordx2 s[4:5], s[0:1], 0x1b0
	s_waitcnt lgkmcnt(0)
	v_mov_b64_e32 v[2:3], s[4:5]
	v_cmp_lt_u64_e32 vcc, s[18:19], v[2:3]
	s_cbranch_vccnz .LBB141_5
; %bb.4:
	s_load_dwordx2 s[16:17], s[0:1], 0x1b0
	s_waitcnt lgkmcnt(0)
	v_cvt_f32_u32_e32 v1, s16
	s_sub_i32 s3, 0, s16
	v_rcp_iflag_f32_e32 v1, v1
	s_nop 0
	v_mul_f32_e32 v1, 0x4f7ffffe, v1
	v_cvt_u32_f32_e32 v1, v1
	s_nop 0
	v_readfirstlane_b32 s4, v1
	s_mul_i32 s3, s3, s4
	s_mul_hi_u32 s3, s4, s3
	s_add_i32 s4, s4, s3
	s_mul_hi_u32 s3, s18, s4
	s_mul_i32 s5, s3, s16
	s_sub_i32 s5, s18, s5
	s_add_i32 s4, s3, 1
	s_sub_i32 s6, s5, s16
	s_cmp_ge_u32 s5, s16
	s_cselect_b32 s3, s4, s3
	s_cselect_b32 s5, s6, s5
	s_add_i32 s4, s3, 1
	s_cmp_ge_u32 s5, s16
	s_cselect_b32 s4, s4, s3
	v_writelane_b32 v61, s4, 2
	s_nop 1
	v_writelane_b32 v61, s5, 3
.LBB141_5:
	s_load_dwordx4 s[4:7], s[0:1], 0x410
	v_mov_b64_e32 v[2:3], s[8:9]
	v_cmp_lt_u64_e32 vcc, s[18:19], v[2:3]
	v_writelane_b32 v61, s20, 6
	s_mov_b64 s[16:17], 0
	s_nop 0
	v_writelane_b32 v61, s21, 7
	s_cbranch_vccnz .LBB141_7
; %bb.6:
	v_cvt_f32_u32_e32 v1, s8
	s_sub_i32 s3, 0, s8
	v_rcp_iflag_f32_e32 v1, v1
	s_nop 0
	v_mul_f32_e32 v1, 0x4f7ffffe, v1
	v_cvt_u32_f32_e32 v1, v1
	s_nop 0
	v_readfirstlane_b32 s11, v1
	s_mul_i32 s3, s3, s11
	s_mul_hi_u32 s3, s11, s3
	s_add_i32 s11, s11, s3
	s_mul_hi_u32 s3, s18, s11
	s_mul_i32 s16, s3, s8
	s_sub_i32 s16, s18, s16
	s_add_i32 s11, s3, 1
	s_sub_i32 s17, s16, s8
	s_cmp_ge_u32 s16, s8
	s_cselect_b32 s3, s11, s3
	s_cselect_b32 s16, s17, s16
	s_add_i32 s11, s3, 1
	s_cmp_ge_u32 s16, s8
	s_cselect_b32 s16, s11, s3
.LBB141_7:
	s_load_dwordx2 s[20:21], s[0:1], 0x1a0
	s_mul_i32 s3, s16, s9
	s_mul_hi_u32 s9, s16, s8
	s_add_i32 s9, s9, s3
	s_mul_i32 s3, s16, s8
	s_waitcnt lgkmcnt(0)
	v_writelane_b32 v61, s20, 8
	s_mov_b32 s8, s18
	s_sub_u32 s3, s18, s3
	v_writelane_b32 v61, s21, 9
	s_load_dwordx2 s[20:21], s[0:1], 0x0
	s_mul_i32 s7, s3, s7
	v_mov_b32_e32 v1, 0
	v_mov_b64_e32 v[2:3], 0
	s_waitcnt lgkmcnt(0)
	v_writelane_b32 v61, s20, 10
	s_nop 1
	v_writelane_b32 v61, s21, 11
	v_writelane_b32 v61, s8, 12
	s_nop 1
	v_writelane_b32 v61, s9, 13
	s_subb_u32 s8, 0, s9
	s_mul_hi_u32 s9, s3, s6
	s_mul_i32 s8, s8, s6
	s_mul_i32 s6, s3, s6
	;; [unrolled: 1-line block ×3, first 2 shown]
	s_mul_hi_u32 s5, s16, s4
	s_add_i32 s7, s9, s7
	s_add_i32 s5, s5, s3
	s_mul_i32 s4, s16, s4
	s_add_i32 s7, s7, s8
	s_lshl_b64 s[4:5], s[4:5], 1
	s_add_u32 s3, s14, s4
	s_addc_u32 s8, s15, s5
	s_lshl_b64 s[4:5], s[6:7], 1
	s_add_u32 s80, s3, s4
	s_addc_u32 s81, s8, s5
	v_cmp_gt_u64_e64 s[6:7], s[56:57], v[0:1]
	s_mov_b64 s[4:5], exec
	s_nop 0
	v_writelane_b32 v61, s6, 14
	s_nop 1
	v_writelane_b32 v61, s7, 15
	s_and_b64 s[6:7], s[4:5], s[6:7]
	s_mov_b64 exec, s[6:7]
	s_cbranch_execz .LBB141_11
; %bb.8:
	s_load_dword s3, s[12:13], 0xc
	s_mov_b32 s7, 0
	s_mov_b64 s[8:9], 0
	v_mov_b64_e32 v[2:3], 0
	v_mov_b64_e32 v[4:5], v[0:1]
	s_waitcnt lgkmcnt(0)
	s_and_b32 s6, s3, 0xffff
.LBB141_9:                              ; =>This Inner Loop Header: Depth=1
	v_mul_lo_u32 v8, v5, s72
	v_mul_lo_u32 v9, v4, s73
	v_mad_u64_u32 v[6:7], s[14:15], v4, s72, 0
	v_add3_u32 v7, v7, v9, v8
	v_lshl_add_u64 v[6:7], v[6:7], 1, s[80:81]
	global_load_ushort v6, v[6:7], off
	v_lshl_add_u64 v[4:5], v[4:5], 0, s[6:7]
	v_cmp_le_u64_e32 vcc, s[56:57], v[4:5]
	s_or_b64 s[8:9], vcc, s[8:9]
	v_mov_b32_e32 v7, s7
	s_waitcnt vmcnt(0)
	v_lshlrev_b32_e32 v6, 16, v6
	v_cmp_u_f32_e32 vcc, v6, v6
	s_nop 1
	v_cndmask_b32_e64 v6, 0, 1, vcc
	v_lshl_add_u64 v[2:3], v[2:3], 0, v[6:7]
	s_andn2_b64 exec, exec, s[8:9]
	s_cbranch_execnz .LBB141_9
; %bb.10:
	s_or_b64 exec, exec, s[8:9]
.LBB141_11:
	s_or_b64 exec, exec, s[4:5]
	s_load_dwordx4 s[4:7], s[0:1], 0x270
	s_waitcnt lgkmcnt(0)
	v_writelane_b32 v61, s4, 18
	s_nop 1
	v_writelane_b32 v61, s5, 19
	v_writelane_b32 v61, s6, 20
	v_writelane_b32 v61, s7, 21
	s_load_dwordx4 s[4:7], s[0:1], 0xd0
	s_waitcnt lgkmcnt(0)
	v_writelane_b32 v61, s4, 22
	s_nop 1
	v_writelane_b32 v61, s5, 23
	v_writelane_b32 v61, s6, 24
	;; [unrolled: 1-line block ×3, first 2 shown]
	v_cmp_eq_u32_e64 s[6:7], 0, v0
	s_mov_b64 s[4:5], exec
	s_nop 0
	v_writelane_b32 v61, s6, 16
	s_nop 1
	v_writelane_b32 v61, s7, 17
	s_and_b64 s[6:7], s[4:5], s[6:7]
	s_mov_b64 exec, s[6:7]
; %bb.12:
	v_mov_b32_e32 v4, 0
	v_mov_b32_e32 v5, v4
	ds_write_b64 v4, v[4:5] offset:5136
; %bb.13:
	s_or_b64 exec, exec, s[4:5]
	s_mov_b64 s[6:7], 0
	v_cmp_ne_u64_e32 vcc, 0, v[2:3]
	s_waitcnt lgkmcnt(0)
	s_barrier
	s_and_saveexec_b64 s[4:5], vcc
	s_cbranch_execz .LBB141_18
; %bb.14:
	s_mov_b64 s[8:9], exec
.LBB141_15:                             ; =>This Inner Loop Header: Depth=1
	s_ff1_i32_b64 s3, s[8:9]
	v_readlane_b32 s14, v2, s3
	v_readlane_b32 s11, v3, s3
	s_add_u32 s6, s6, s14
	s_addc_u32 s7, s7, s11
	s_lshl_b64 s[14:15], 1, s3
	s_andn2_b64 s[8:9], s[8:9], s[14:15]
	s_cmp_lg_u64 s[8:9], 0
	s_cbranch_scc1 .LBB141_15
; %bb.16:
	v_mbcnt_lo_u32_b32 v2, exec_lo, 0
	v_mbcnt_hi_u32_b32 v2, exec_hi, v2
	v_cmp_eq_u32_e32 vcc, 0, v2
	s_and_saveexec_b64 s[8:9], vcc
	s_xor_b64 s[8:9], exec, s[8:9]
; %bb.17:
	v_mov_b32_e32 v2, 0
	v_mov_b64_e32 v[4:5], s[6:7]
	ds_add_u64 v2, v[4:5] offset:5136
.LBB141_18:
	s_or_b64 exec, exec, s[4:5]
	v_mov_b32_e32 v3, 0
	s_waitcnt lgkmcnt(0)
	s_barrier
	ds_read_b64 v[4:5], v3 offset:5136
	s_waitcnt lgkmcnt(0)
	v_readfirstlane_b32 s4, v4
	v_readfirstlane_b32 s5, v5
	s_mov_b64 s[6:7], exec
	v_readlane_b32 s8, v61, 16
	v_readlane_b32 s9, v61, 17
	s_and_b64 s[8:9], s[6:7], s[8:9]
	s_mov_b64 exec, s[8:9]
	s_cbranch_execz .LBB141_20
; %bb.19:
	v_mov_b32_e32 v4, 0
	v_mov_b32_e32 v6, s56
	;; [unrolled: 1-line block ×4, first 2 shown]
	ds_write_b32 v4, v4 offset:5144
	ds_write_b128 v4, v[4:7] offset:5120
.LBB141_20:
	s_or_b64 exec, exec, s[6:7]
	s_load_dword s3, s[0:1], 0x4f8
	v_cmp_lt_i64_e64 s[0:1], s[4:5], 1
	v_mbcnt_lo_u32_b32 v2, -1, 0
	v_mbcnt_hi_u32_b32 v28, -1, v2
	v_cmp_gt_u32_e32 vcc, 64, v0
	s_waitcnt lgkmcnt(0)
	s_bitcmp1_b32 s3, 0
	s_cselect_b64 s[6:7], -1, 0
	s_not_b64 s[4:5], s[4:5]
	s_or_b64 s[0:1], s[6:7], s[0:1]
	s_add_u32 s4, s56, s4
	s_addc_u32 s5, s57, s5
	s_lshr_b64 s[4:5], s[4:5], 1
	s_add_u32 s3, s4, 1
	s_addc_u32 s4, s5, 0
	s_and_b64 s[0:1], s[0:1], exec
	v_cmp_gt_i32_e64 s[0:1], 4, v28
	s_cselect_b32 s9, s4, s57
	s_cselect_b32 s8, s3, s56
	s_and_b64 s[98:99], vcc, s[0:1]
	v_cmp_gt_u32_e64 s[0:1], 2, v0
	v_mov_b64_e32 v[4:5], 0x600
	s_nop 0
	v_writelane_b32 v61, s0, 26
	s_barrier
	s_nop 0
	v_writelane_b32 v61, s1, 27
	v_cmp_gt_u64_e64 s[0:1], s[56:57], v[4:5]
	v_mov_b32_e32 v19, -1
	v_not_b32_e32 v18, v0
	v_writelane_b32 v61, s0, 28
	s_mov_b32 s87, 0
	v_lshlrev_b32_e32 v29, 1, v0
	v_writelane_b32 v61, s1, 29
	v_mad_u64_u32 v[4:5], s[0:1], s72, v0, 0
	v_mov_b32_e32 v2, v5
	v_mad_u64_u32 v[6:7], s[0:1], s73, v0, v[2:3]
	s_load_dword s0, s[12:13], 0xc
	v_lshlrev_b32_e32 v2, 2, v28
	v_and_b32_e32 v31, 0x100, v2
	v_lshrrev_b32_e32 v2, 1, v0
	v_mov_b32_e32 v5, v6
	s_waitcnt lgkmcnt(0)
	s_and_b32 s84, s0, 0xffff
	s_bfe_u32 s0, s0, 0xa0006
	v_and_b32_e32 v2, 0x1e0, v2
	v_lshl_add_u64 v[12:13], v[4:5], 1, s[80:81]
	v_lshlrev_b64 v[4:5], v28, -1
	s_cmp_gt_u32 s84, 63
	v_or_b32_e32 v32, 0xc00, v2
	v_add_u32_e32 v2, 2, v0
	v_not_b32_e32 v16, v4
	s_cselect_b64 s[6:7], -1, 0
	s_add_u32 s3, s84, -1
	v_mov_b32_e32 v4, s57
	v_cmp_gt_u64_e32 vcc, s[56:57], v[2:3]
	v_not_b32_e32 v17, v5
	v_writelane_b32 v61, s6, 30
	s_addc_u32 s1, 0, -1
	v_cndmask_b32_e32 v5, 0, v4, vcc
	v_mov_b32_e32 v4, s56
	v_writelane_b32 v61, s7, 31
	s_add_u32 s31, s3, s56
	v_cndmask_b32_e32 v4, v2, v4, vcc
	v_writelane_b32 v61, s3, 32
	s_addc_u32 s93, s1, s57
	v_lshl_add_u64 v[4:5], v[4:5], 0, v[18:19]
	v_writelane_b32 v61, s1, 33
	s_cmp_lt_u32 s2, s10
	v_cmp_lt_u64_e64 s[2:3], 3, v[4:5]
	s_cselect_b32 s1, 12, 18
	v_and_b32_e32 v20, -4, v4
	v_writelane_b32 v61, s2, 34
	v_mov_b32_e32 v21, v5
	s_add_u32 s76, s12, s1
	v_writelane_b32 v61, s3, 35
	v_cmp_ne_u64_e64 s[2:3], v[4:5], v[20:21]
	s_addc_u32 s77, s13, 0
	s_add_i32 s1, s0, -1
	v_writelane_b32 v61, s2, 36
	s_and_b32 s1, s1, 0xffff
	s_mov_b32 s92, s73
	v_writelane_b32 v61, s3, 37
	s_bfe_u32 s2, s84, 0x30006
	s_cmp_gt_u32 s1, 6
	s_cselect_b64 s[6:7], -1, 0
	v_writelane_b32 v61, s6, 38
	v_mov_b32_e32 v2, 0xc00
	v_cmp_eq_u32_e64 s[4:5], 0, v28
	v_writelane_b32 v61, s7, 39
	s_and_b32 s7, s0, 0x3f8
	s_cmp_lg_u32 s2, 0
	v_writelane_b32 v61, s2, 40
	s_cselect_b64 s[0:1], -1, 0
	v_writelane_b32 v61, s0, 41
	v_add_u32_e32 v30, 0xc00, v29
	v_lshlrev_b32_e32 v14, 2, v0
	v_writelane_b32 v61, s1, 42
	v_writelane_b32 v61, s76, 43
	v_mov_b32_e32 v15, v3
	s_mov_b32 s33, 0xffff
	v_writelane_b32 v61, s77, 44
	s_mov_b32 s85, s87
	v_lshl_add_u64 v[22:23], v[20:21], 0, v[0:1]
	s_mov_b32 s68, s72
	s_mov_b32 s30, s72
	s_mov_b32 s94, s73
	s_mov_b32 s91, s72
	s_mov_b32 s95, s73
	v_lshlrev_b32_e32 v33, 3, v0
	v_lshl_or_b32 v34, v28, 3, v2
	s_lshl_b32 s69, s84, 1
	s_mov_b32 s90, 14
	s_mov_b64 s[74:75], 0
	v_mov_b64_e32 v[24:25], s[8:9]
	s_mov_b32 s96, 0x5040100
	v_mov_b64_e32 v[44:45], s[56:57]
	s_movk_i32 s6, 0x3f80
	v_mov_b32_e32 v35, 0xffff
	v_mov_b32_e32 v36, 0x8000
	;; [unrolled: 1-line block ×5, first 2 shown]
	s_mov_b32 s88, 0
	v_mov_b32_e32 v18, 0
	v_mov_b32_e32 v39, 0
	v_writelane_b32 v61, s92, 45
	s_mov_b32 s89, s73
                                        ; implicit-def: $sgpr60_sgpr61
                                        ; implicit-def: $sgpr82_sgpr83
                                        ; implicit-def: $sgpr62_sgpr63
                                        ; implicit-def: $sgpr12_sgpr13
                                        ; implicit-def: $sgpr10_sgpr11
                                        ; implicit-def: $sgpr70_sgpr71
	v_writelane_b32 v61, s94, 46
	s_branch .LBB141_24
.LBB141_21:                             ;   in Loop: Header=BB141_24 Depth=1
	s_or_b64 exec, exec, s[18:19]
	s_and_b64 s[14:15], s[14:15], exec
	s_andn2_b64 s[24:25], s[24:25], exec
	s_andn2_b64 s[0:1], s[0:1], exec
	s_orn2_b64 s[18:19], s[8:9], exec
.LBB141_22:                             ;   in Loop: Header=BB141_24 Depth=1
	s_or_b64 exec, exec, s[2:3]
	s_andn2_b64 s[2:3], s[70:71], exec
	s_and_b64 s[8:9], s[14:15], exec
	s_or_b64 s[70:71], s[2:3], s[8:9]
	s_andn2_b64 s[2:3], s[10:11], exec
	s_and_b64 s[8:9], s[24:25], exec
	s_or_b64 s[10:11], s[2:3], s[8:9]
	s_andn2_b64 s[2:3], s[12:13], exec
	s_and_b64 s[0:1], s[0:1], exec
	s_or_b64 s[12:13], s[2:3], s[0:1]
	s_orn2_b64 s[0:1], s[18:19], exec
.LBB141_23:                             ;   in Loop: Header=BB141_24 Depth=1
	s_or_b64 exec, exec, s[16:17]
	s_and_b64 s[0:1], exec, s[0:1]
	s_or_b64 s[74:75], s[0:1], s[74:75]
	s_andn2_b64 s[0:1], s[62:63], exec
	s_and_b64 s[2:3], s[70:71], exec
	s_or_b64 s[62:63], s[0:1], s[2:3]
	s_andn2_b64 s[0:1], s[82:83], exec
	s_and_b64 s[2:3], s[10:11], exec
	;; [unrolled: 3-line block ×3, first 2 shown]
	s_or_b64 s[60:61], s[0:1], s[2:3]
	v_mov_b64_e32 v[24:25], v[8:9]
	s_andn2_b64 exec, exec, s[74:75]
	s_cbranch_execz .LBB141_291
.LBB141_24:                             ; =>This Loop Header: Depth=1
                                        ;     Child Loop BB141_29 Depth 2
                                        ;     Child Loop BB141_43 Depth 2
                                        ;     Child Loop BB141_47 Depth 2
                                        ;     Child Loop BB141_82 Depth 2
                                        ;     Child Loop BB141_86 Depth 2
                                        ;     Child Loop BB141_71 Depth 2
                                        ;     Child Loop BB141_76 Depth 2
                                        ;     Child Loop BB141_64 Depth 2
                                        ;     Child Loop BB141_93 Depth 2
                                        ;     Child Loop BB141_106 Depth 2
                                        ;     Child Loop BB141_126 Depth 2
                                        ;     Child Loop BB141_155 Depth 2
                                        ;     Child Loop BB141_172 Depth 2
                                        ;     Child Loop BB141_202 Depth 2
                                        ;     Child Loop BB141_219 Depth 2
                                        ;     Child Loop BB141_248 Depth 2
                                        ;     Child Loop BB141_265 Depth 2
	ds_read_b128 v[4:7], v3 offset:5120
	s_waitcnt lgkmcnt(0)
	v_readfirstlane_b32 s65, v5
	v_readfirstlane_b32 s64, v4
	s_cmp_lg_u64 s[64:65], 0
	s_cbranch_scc1 .LBB141_56
; %bb.25:                               ;   in Loop: Header=BB141_24 Depth=1
	v_readlane_b32 s0, v61, 28
	v_readlane_b32 s1, v61, 29
	s_and_b64 vcc, exec, s[0:1]
	s_cbranch_vccz .LBB141_37
; %bb.26:                               ;   in Loop: Header=BB141_24 Depth=1
	s_mov_b64 s[0:1], 0x601
	v_cmp_gt_u64_e32 vcc, s[0:1], v[6:7]
	s_mov_b64 s[8:9], 0
	s_mov_b64 s[0:1], 0
	s_cbranch_vccz .LBB141_38
; %bb.27:                               ;   in Loop: Header=BB141_24 Depth=1
	global_load_ushort v2, v3, s[76:77]
	global_load_ushort v6, v[12:13], off
	s_mov_b64 s[14:15], 0
	v_mov_b64_e32 v[4:5], v[0:1]
	s_waitcnt vmcnt(1)
	v_and_b32_e32 v2, 0xffff, v2
	s_branch .LBB141_29
.LBB141_28:                             ;   in Loop: Header=BB141_29 Depth=2
	s_or_b64 exec, exec, s[2:3]
	v_mov_b32_e32 v6, v7
	s_andn2_b64 exec, exec, s[14:15]
	s_cbranch_execz .LBB141_116
.LBB141_29:                             ;   Parent Loop BB141_24 Depth=1
                                        ; =>  This Inner Loop Header: Depth=2
	v_lshl_add_u64 v[4:5], v[4:5], 0, v[2:3]
	v_cmp_gt_u64_e64 s[0:1], s[56:57], v[4:5]
	v_cmp_le_u64_e32 vcc, s[56:57], v[4:5]
	s_waitcnt lgkmcnt(0)
	v_mov_b32_e32 v8, 0
	v_mov_b32_e32 v7, 0
	s_and_saveexec_b64 s[2:3], s[0:1]
	s_cbranch_execz .LBB141_31
; %bb.30:                               ;   in Loop: Header=BB141_29 Depth=2
	v_mul_lo_u32 v7, v5, s72
	v_mul_lo_u32 v9, v4, s73
	v_mad_u64_u32 v[10:11], s[0:1], v4, s72, 0
	v_add3_u32 v11, v11, v9, v7
	v_lshl_add_u64 v[10:11], v[10:11], 1, s[80:81]
	global_load_ushort v7, v[10:11], off
.LBB141_31:                             ;   in Loop: Header=BB141_29 Depth=2
	s_or_b64 exec, exec, s[2:3]
	s_waitcnt vmcnt(0)
	v_cmp_lt_i16_e64 s[0:1], -1, v6
	v_lshlrev_b32_e32 v10, 16, v6
	s_nop 0
	v_cndmask_b32_e64 v9, v35, v36, s[0:1]
	v_xor_b32_sdwa v9, v9, v6 dst_sel:DWORD dst_unused:UNUSED_PAD src0_sel:DWORD src1_sel:WORD_0
	v_cmp_o_f32_e64 s[0:1], v10, v10
	s_nop 1
	v_cndmask_b32_e64 v9, v35, v9, s[0:1]
	v_and_b32_e32 v9, v9, v39
	v_cmp_eq_u32_e64 s[0:1], v9, v18
	s_cmp_lg_u64 s[0:1], 0
	s_cselect_b64 s[2:3], -1, 0
	s_and_b64 s[2:3], s[4:5], s[2:3]
	s_and_saveexec_b64 s[16:17], s[2:3]
	s_cbranch_execz .LBB141_35
; %bb.32:                               ;   in Loop: Header=BB141_29 Depth=2
	s_mov_b64 s[20:21], exec
	v_mbcnt_lo_u32_b32 v8, s20, 0
	v_mbcnt_hi_u32_b32 v8, s21, v8
	s_bcnt1_i32_b64 s22, s[0:1]
	v_cmp_eq_u32_e64 s[2:3], 0, v8
                                        ; implicit-def: $vgpr9
	s_and_saveexec_b64 s[18:19], s[2:3]
; %bb.33:                               ;   in Loop: Header=BB141_29 Depth=2
	s_bcnt1_i32_b64 s2, s[20:21]
	s_mul_i32 s2, s22, s2
	v_mov_b32_e32 v9, s2
	ds_add_rtn_u32 v9, v3, v9 offset:5144
; %bb.34:                               ;   in Loop: Header=BB141_29 Depth=2
	s_or_b64 exec, exec, s[18:19]
	s_waitcnt lgkmcnt(0)
	v_readfirstlane_b32 s2, v9
	s_nop 1
	v_mov_b32_e32 v9, s2
	v_mad_u32_u24 v8, s22, v8, v9
.LBB141_35:                             ;   in Loop: Header=BB141_29 Depth=2
	s_or_b64 exec, exec, s[16:17]
	ds_bpermute_b32 v8, v31, v8
	s_and_b64 s[2:3], exec, vcc
	s_or_b64 s[14:15], s[2:3], s[14:15]
	s_and_saveexec_b64 s[2:3], s[0:1]
	s_cbranch_execz .LBB141_28
; %bb.36:                               ;   in Loop: Header=BB141_29 Depth=2
	v_and_b32_e32 v10, s0, v16
	v_and_b32_e32 v9, s1, v17
	v_bcnt_u32_b32 v10, v10, 0
	v_bcnt_u32_b32 v9, v9, v10
	v_lshlrev_b32_e32 v9, 1, v9
	s_waitcnt lgkmcnt(0)
	v_lshl_add_u32 v8, v8, 1, v9
	ds_write_b16 v8, v6
	s_branch .LBB141_28
.LBB141_37:                             ;   in Loop: Header=BB141_24 Depth=1
	s_mov_b64 s[8:9], -1
	s_mov_b64 s[0:1], 0
.LBB141_38:                             ;   in Loop: Header=BB141_24 Depth=1
	s_and_b64 vcc, exec, s[8:9]
	s_cbranch_vccz .LBB141_54
.LBB141_39:                             ;   in Loop: Header=BB141_24 Depth=1
	s_mov_b64 s[0:1], exec
	v_readlane_b32 s2, v61, 14
	v_readlane_b32 s3, v61, 15
	s_and_b64 s[2:3], s[0:1], s[2:3]
	s_mov_b64 exec, s[2:3]
	s_cbranch_execz .LBB141_51
; %bb.40:                               ;   in Loop: Header=BB141_24 Depth=1
	global_load_ushort v2, v3, s[76:77]
	global_load_ushort v41, v[12:13], off
	v_mov_b32_e32 v4, v0
	s_waitcnt vmcnt(1)
	v_readfirstlane_b32 s8, v2
	v_add_u32_sdwa v2, v2, v0 dst_sel:DWORD dst_unused:UNUSED_PAD src0_sel:WORD_0 src1_sel:DWORD
	v_cmp_gt_u64_e32 vcc, s[56:57], v[2:3]
	s_and_saveexec_b64 s[2:3], vcc
	s_cbranch_execz .LBB141_50
; %bb.41:                               ;   in Loop: Header=BB141_24 Depth=1
	s_and_b32 s86, s8, 0xffff
	s_cmp_eq_u32 s86, 1
	v_readlane_b32 s14, v61, 34
	s_cselect_b64 s[8:9], -1, 0
	v_readlane_b32 s15, v61, 35
	s_and_b64 s[16:17], s[14:15], s[8:9]
	s_mov_b64 s[14:15], -1
	v_mov_b64_e32 v[8:9], v[0:1]
	v_mov_b64_e32 v[6:7], v[2:3]
                                        ; implicit-def: $vgpr4_vgpr5
	s_and_saveexec_b64 s[8:9], s[16:17]
	s_cbranch_execz .LBB141_45
; %bb.42:                               ;   in Loop: Header=BB141_24 Depth=1
	v_lshl_add_u64 v[8:9], v[2:3], 0, 3
	v_lshl_add_u64 v[6:7], v[2:3], 0, 2
	v_lshl_add_u64 v[4:5], v[2:3], 0, 1
	v_mov_b64_e32 v[10:11], v[8:9]
	s_waitcnt vmcnt(0)
	v_lshlrev_b32_e32 v43, 16, v41
	s_mov_b64 s[14:15], 0
	v_mov_b64_e32 v[26:27], v[20:21]
	v_mov_b32_e32 v42, v29
	v_mov_b64_e32 v[8:9], v[6:7]
	v_mov_b64_e32 v[6:7], v[4:5]
	;; [unrolled: 1-line block ×3, first 2 shown]
.LBB141_43:                             ;   Parent Loop BB141_24 Depth=1
                                        ; =>  This Inner Loop Header: Depth=2
	v_mul_lo_u32 v41, v11, s91
	v_mul_lo_u32 v54, v10, s95
	v_mad_u64_u32 v[46:47], s[16:17], v10, s91, 0
	v_mul_lo_u32 v55, v9, s30
	v_mul_lo_u32 v56, v8, s94
	v_mad_u64_u32 v[48:49], s[16:17], v8, s30, 0
	;; [unrolled: 3-line block ×4, first 2 shown]
	v_add3_u32 v47, v47, v54, v41
	v_add3_u32 v49, v49, v56, v55
	;; [unrolled: 1-line block ×4, first 2 shown]
	v_lshl_add_u64 v[48:49], v[48:49], 1, s[80:81]
	v_lshl_add_u64 v[46:47], v[46:47], 1, s[80:81]
	;; [unrolled: 1-line block ×4, first 2 shown]
	global_load_ushort v48, v[48:49], off
	s_nop 0
	global_load_ushort v41, v[46:47], off
	s_nop 0
	global_load_ushort v46, v[50:51], off
	global_load_ushort v49, v[52:53], off
	v_lshl_add_u64 v[26:27], v[26:27], 0, -4
	v_cmp_eq_u64_e32 vcc, 0, v[26:27]
	v_lshl_add_u64 v[10:11], v[10:11], 0, 4
	v_lshl_add_u64 v[8:9], v[8:9], 0, 4
	v_lshl_add_u64 v[6:7], v[6:7], 0, 4
	v_lshl_add_u64 v[4:5], v[4:5], 0, 4
	s_or_b64 s[14:15], vcc, s[14:15]
	s_waitcnt vmcnt(2)
	v_perm_b32 v50, v41, v48, s96
	s_waitcnt vmcnt(1)
	v_perm_b32 v47, v48, v46, s96
	s_waitcnt vmcnt(0)
	v_alignbit_b32 v46, v49, v43, 16
	ds_write_b64 v42, v[46:47]
	v_add_u32_e32 v42, 8, v42
	v_mov_b32_e32 v43, v50
	s_andn2_b64 exec, exec, s[14:15]
	s_cbranch_execnz .LBB141_43
; %bb.44:                               ;   in Loop: Header=BB141_24 Depth=1
	s_or_b64 exec, exec, s[14:15]
	v_readlane_b32 s14, v61, 36
	v_lshl_add_u64 v[6:7], v[2:3], 0, v[20:21]
	v_readlane_b32 s15, v61, 37
	v_lshl_add_u64 v[4:5], v[6:7], 0, -1
	s_orn2_b64 s[14:15], s[14:15], exec
	v_mov_b64_e32 v[8:9], v[22:23]
.LBB141_45:                             ;   in Loop: Header=BB141_24 Depth=1
	s_or_b64 exec, exec, s[8:9]
	s_and_saveexec_b64 s[8:9], s[14:15]
	s_cbranch_execz .LBB141_49
; %bb.46:                               ;   in Loop: Header=BB141_24 Depth=1
	s_sub_u32 s14, 0, s86
	s_mov_b64 s[16:17], 0
	s_subb_u32 s15, 0, 0
.LBB141_47:                             ;   Parent Loop BB141_24 Depth=1
                                        ; =>  This Inner Loop Header: Depth=2
	v_mov_b64_e32 v[4:5], v[6:7]
	v_mul_lo_u32 v9, v5, s72
	v_mul_lo_u32 v10, v4, s73
	v_mad_u64_u32 v[6:7], s[18:19], v4, s72, 0
	v_add3_u32 v7, v7, v10, v9
	v_lshl_add_u64 v[6:7], v[6:7], 1, s[80:81]
	s_waitcnt vmcnt(0)
	v_mov_b32_e32 v2, v41
	global_load_ushort v41, v[6:7], off
	v_lshlrev_b32_e32 v6, 1, v8
	ds_write_b16 v6, v2
	v_lshl_add_u64 v[6:7], v[4:5], 0, s[86:87]
	v_cmp_le_u64_e32 vcc, s[56:57], v[6:7]
	s_or_b64 s[16:17], vcc, s[16:17]
	v_mov_b64_e32 v[8:9], v[4:5]
	s_andn2_b64 exec, exec, s[16:17]
	s_cbranch_execnz .LBB141_47
; %bb.48:                               ;   in Loop: Header=BB141_24 Depth=1
	s_or_b64 exec, exec, s[16:17]
	v_lshl_add_u64 v[4:5], s[14:15], 0, v[6:7]
.LBB141_49:                             ;   in Loop: Header=BB141_24 Depth=1
	s_or_b64 exec, exec, s[8:9]
.LBB141_50:                             ;   in Loop: Header=BB141_24 Depth=1
	s_or_b64 exec, exec, s[2:3]
	v_lshlrev_b32_e32 v2, 1, v4
	s_waitcnt vmcnt(0)
	ds_write_b16 v2, v41
.LBB141_51:                             ;   in Loop: Header=BB141_24 Depth=1
	s_or_b64 exec, exec, s[0:1]
	s_waitcnt lgkmcnt(0)
	s_barrier
	s_mov_b64 s[0:1], exec
	v_readlane_b32 s2, v61, 16
	v_readlane_b32 s3, v61, 17
	s_and_b64 s[2:3], s[0:1], s[2:3]
	s_mov_b64 exec, s[2:3]
; %bb.52:                               ;   in Loop: Header=BB141_24 Depth=1
	ds_write_b64 v3, v[44:45] offset:5120
; %bb.53:                               ;   in Loop: Header=BB141_24 Depth=1
	s_or_b64 exec, exec, s[0:1]
	s_mov_b64 s[0:1], -1
	s_waitcnt lgkmcnt(0)
	s_barrier
.LBB141_54:                             ;   in Loop: Header=BB141_24 Depth=1
	s_mov_b64 s[64:65], 0
	s_and_b64 vcc, exec, s[0:1]
	s_cbranch_vccz .LBB141_56
; %bb.55:                               ;   in Loop: Header=BB141_24 Depth=1
	ds_read_b64 v[4:5], v3 offset:5120
	s_waitcnt lgkmcnt(0)
	v_readfirstlane_b32 s64, v4
.LBB141_56:                             ;   in Loop: Header=BB141_24 Depth=1
	s_cmp_lt_i32 s64, 1
	s_mov_b64 s[0:1], -1
                                        ; implicit-def: $vgpr4_vgpr5
                                        ; implicit-def: $vgpr8_vgpr9
	s_cbranch_scc1 .LBB141_66
; %bb.57:                               ;   in Loop: Header=BB141_24 Depth=1
	s_and_b64 vcc, exec, s[0:1]
	s_cbranch_vccnz .LBB141_80
.LBB141_58:                             ;   in Loop: Header=BB141_24 Depth=1
	s_lshl_b32 s2, s88, 6
	s_and_saveexec_b64 s[0:1], s[4:5]
	s_cbranch_execz .LBB141_60
.LBB141_59:                             ;   in Loop: Header=BB141_24 Depth=1
	v_lshl_add_u32 v2, s2, 3, v32
	ds_write_b128 v2, v[4:7]
	ds_write_b128 v2, v[8:11] offset:16
.LBB141_60:                             ;   in Loop: Header=BB141_24 Depth=1
	s_or_b64 exec, exec, s[0:1]
	s_waitcnt lgkmcnt(0)
	s_barrier
	s_and_saveexec_b64 s[0:1], s[98:99]
	s_cbranch_execz .LBB141_95
; %bb.61:                               ;   in Loop: Header=BB141_24 Depth=1
	v_readlane_b32 s8, v61, 30
	v_readlane_b32 s9, v61, 31
	s_andn2_b64 vcc, exec, s[8:9]
	v_mov_b64_e32 v[4:5], 0
	s_cbranch_vccnz .LBB141_94
; %bb.62:                               ;   in Loop: Header=BB141_24 Depth=1
	v_readlane_b32 s8, v61, 38
	v_readlane_b32 s9, v61, 39
	s_andn2_b64 vcc, exec, s[8:9]
	s_cbranch_vccnz .LBB141_90
; %bb.63:                               ;   in Loop: Header=BB141_24 Depth=1
	v_lshl_add_u32 v2, s88, 9, v34
	v_mov_b64_e32 v[4:5], 0
	s_mov_b32 s3, 0
.LBB141_64:                             ;   Parent Loop BB141_24 Depth=1
                                        ; =>  This Inner Loop Header: Depth=2
	ds_read2_b64 v[6:9], v2 offset1:4
	ds_read2_b64 v[46:49], v2 offset0:8 offset1:12
	ds_read2_b64 v[50:53], v2 offset0:16 offset1:20
	;; [unrolled: 1-line block ×3, first 2 shown]
	s_add_i32 s3, s3, 8
	s_waitcnt lgkmcnt(3)
	v_lshl_add_u64 v[4:5], v[6:7], 0, v[4:5]
	v_lshl_add_u64 v[4:5], v[8:9], 0, v[4:5]
	s_waitcnt lgkmcnt(2)
	v_lshl_add_u64 v[4:5], v[46:47], 0, v[4:5]
	v_lshl_add_u64 v[4:5], v[48:49], 0, v[4:5]
	s_waitcnt lgkmcnt(1)
	v_lshl_add_u64 v[4:5], v[50:51], 0, v[4:5]
	v_lshl_add_u64 v[4:5], v[52:53], 0, v[4:5]
	s_waitcnt lgkmcnt(0)
	v_lshl_add_u64 v[4:5], v[54:55], 0, v[4:5]
	v_add_u32_e32 v2, 0x100, v2
	s_cmp_eq_u32 s7, s3
	v_lshl_add_u64 v[4:5], v[56:57], 0, v[4:5]
	s_cbranch_scc0 .LBB141_64
; %bb.65:                               ;   in Loop: Header=BB141_24 Depth=1
	s_mov_b32 s3, s7
	s_branch .LBB141_91
.LBB141_66:                             ;   in Loop: Header=BB141_24 Depth=1
	global_load_ushort v2, v3, s[76:77]
	s_mov_b32 s0, s87
	s_waitcnt vmcnt(0)
	v_readfirstlane_b32 s1, v2
	s_and_b32 s1, 0xffff, s1
	s_lshl_b32 s86, s1, 2
	s_mov_b32 s1, s57
	s_cmp_lg_u64 s[0:1], 0
	s_cbranch_scc0 .LBB141_89
; %bb.67:                               ;   in Loop: Header=BB141_24 Depth=1
	v_cvt_f32_u32_e32 v4, s86
	s_sub_u32 s2, 0, s86
	s_subb_u32 s3, 0, 0
	v_fmac_f32_e32 v4, 0, v37
	v_rcp_f32_e32 v4, v4
	s_nop 0
	v_mul_f32_e32 v4, 0x5f7ffffc, v4
	v_mul_f32_e32 v5, 0x2f800000, v4
	v_trunc_f32_e32 v5, v5
	v_fmac_f32_e32 v4, 0xcf800000, v5
	v_cvt_u32_f32_e32 v5, v5
	v_cvt_u32_f32_e32 v4, v4
	v_readfirstlane_b32 s8, v5
	v_readfirstlane_b32 s0, v4
	s_mul_i32 s1, s2, s8
	s_mul_hi_u32 s14, s2, s0
	s_mul_i32 s9, s3, s0
	s_add_i32 s1, s14, s1
	s_mul_i32 s15, s2, s0
	s_add_i32 s1, s1, s9
	s_mul_hi_u32 s14, s0, s15
	s_mul_i32 s16, s0, s1
	s_mul_hi_u32 s9, s0, s1
	s_add_u32 s14, s14, s16
	s_addc_u32 s9, 0, s9
	s_mul_hi_u32 s17, s8, s15
	s_mul_i32 s15, s8, s15
	s_add_u32 s14, s14, s15
	s_mul_hi_u32 s16, s8, s1
	s_addc_u32 s9, s9, s17
	s_addc_u32 s14, s16, 0
	s_mul_i32 s1, s8, s1
	s_add_u32 s1, s9, s1
	s_addc_u32 s9, 0, s14
	s_add_u32 s14, s0, s1
	s_cselect_b64 s[0:1], -1, 0
	s_cmp_lg_u64 s[0:1], 0
	s_addc_u32 s8, s8, s9
	s_mul_i32 s0, s2, s8
	s_mul_hi_u32 s1, s2, s14
	s_add_i32 s0, s1, s0
	s_mul_i32 s3, s3, s14
	s_add_i32 s0, s0, s3
	s_mul_i32 s2, s2, s14
	s_mul_hi_u32 s3, s8, s2
	s_mul_i32 s9, s8, s2
	s_mul_i32 s16, s14, s0
	s_mul_hi_u32 s2, s14, s2
	s_mul_hi_u32 s15, s14, s0
	s_add_u32 s2, s2, s16
	s_addc_u32 s15, 0, s15
	s_add_u32 s2, s2, s9
	s_mul_hi_u32 s1, s8, s0
	s_addc_u32 s2, s15, s3
	s_addc_u32 s1, s1, 0
	s_mul_i32 s0, s8, s0
	s_add_u32 s0, s2, s0
	s_addc_u32 s2, 0, s1
	s_add_u32 s3, s14, s0
	s_cselect_b64 s[0:1], -1, 0
	s_cmp_lg_u64 s[0:1], 0
	s_addc_u32 s0, s8, s2
	s_mul_i32 s2, s56, s0
	s_mul_hi_u32 s8, s56, s3
	s_mul_hi_u32 s1, s56, s0
	s_add_u32 s2, s8, s2
	s_addc_u32 s1, 0, s1
	s_mul_hi_u32 s9, s57, s3
	s_mul_i32 s3, s57, s3
	s_add_u32 s2, s2, s3
	s_mul_hi_u32 s8, s57, s0
	s_addc_u32 s1, s1, s9
	s_addc_u32 s2, s8, 0
	s_mul_i32 s0, s57, s0
	s_add_u32 s0, s1, s0
	s_addc_u32 s1, 0, s2
	s_mul_i32 s1, s86, s1
	s_mul_hi_u32 s2, s86, s0
	s_add_i32 s2, s2, s1
	s_mul_i32 s0, s86, s0
	s_sub_u32 s3, s56, s0
	s_cselect_b64 s[0:1], -1, 0
	s_cmp_lg_u64 s[0:1], 0
	s_subb_u32 s2, s57, s2
	s_sub_u32 s8, s3, s86
	s_cselect_b64 s[0:1], -1, 0
	s_cmp_lg_u64 s[0:1], 0
	s_subb_u32 s9, s2, 0
	;; [unrolled: 4-line block ×3, first 2 shown]
	s_cmp_ge_u32 s8, s86
	s_cselect_b32 s1, -1, 0
	s_cmp_eq_u32 s9, 0
	s_cselect_b32 s1, s1, -1
	s_cmp_lg_u32 s1, 0
	s_cselect_b32 s0, s0, s9
	s_cselect_b32 s8, s14, s8
	s_cmp_ge_u32 s3, s86
	s_cselect_b32 s1, -1, 0
	s_cmp_eq_u32 s2, 0
	s_cselect_b32 s1, s1, -1
	s_cmp_lg_u32 s1, 0
	s_cselect_b32 s1, s0, s2
	s_cselect_b32 s0, s8, s3
	s_cbranch_execnz .LBB141_69
.LBB141_68:                             ;   in Loop: Header=BB141_24 Depth=1
	v_cvt_f32_u32_e32 v4, s86
	s_sub_i32 s0, 0, s86
	v_rcp_iflag_f32_e32 v4, v4
	s_nop 0
	v_mul_f32_e32 v4, 0x4f7ffffe, v4
	v_cvt_u32_f32_e32 v4, v4
	s_nop 0
	v_readfirstlane_b32 s1, v4
	s_mul_i32 s0, s0, s1
	s_mul_hi_u32 s0, s1, s0
	s_add_i32 s1, s1, s0
	s_mul_hi_u32 s0, s56, s1
	s_mul_i32 s0, s0, s86
	s_sub_i32 s0, s56, s0
	s_sub_i32 s1, s0, s86
	s_cmp_ge_u32 s0, s86
	s_cselect_b32 s0, s1, s0
	s_sub_i32 s1, s0, s86
	s_cmp_ge_u32 s0, s86
	s_cselect_b32 s0, s1, s0
	s_mov_b32 s1, s87
.LBB141_69:                             ;   in Loop: Header=BB141_24 Depth=1
	s_sub_u32 s54, s56, s0
	s_subb_u32 s55, s57, s1
	v_cmp_gt_u64_e32 vcc, s[54:55], v[14:15]
	v_mov_b64_e32 v[4:5], 0
	v_mov_b64_e32 v[6:7], 0
	;; [unrolled: 1-line block ×4, first 2 shown]
	s_and_saveexec_b64 s[66:67], vcc
	s_cbranch_execz .LBB141_73
; %bb.70:                               ;   in Loop: Header=BB141_24 Depth=1
	s_mov_b64 s[78:79], 0
	s_mov_b64 s[58:59], 0
	s_mov_b64 s[76:77], 0
	s_mov_b64 s[14:15], 0
	s_mov_b64 s[96:97], 0
	v_mov_b64_e32 v[26:27], v[14:15]
.LBB141_71:                             ;   Parent Loop BB141_24 Depth=1
                                        ; =>  This Inner Loop Header: Depth=2
	v_mul_lo_u32 v6, v27, s72
	v_mul_lo_u32 v7, v26, s73
	v_mad_u64_u32 v[4:5], s[0:1], v26, s72, 0
	v_add3_u32 v5, v5, v7, v6
	v_lshl_add_u64 v[4:5], v[4:5], 1, s[80:81]
	s_lshl_b64 s[0:1], s[72:73], 1
	global_load_ushort v6, v[4:5], off
	v_lshl_add_u64 v[4:5], v[4:5], 0, s[0:1]
	global_load_ushort v7, v[4:5], off
	v_lshl_add_u64 v[4:5], v[4:5], 0, s[0:1]
	;; [unrolled: 2-line block ×4, first 2 shown]
	v_cmp_le_u64_e32 vcc, s[54:55], v[26:27]
	s_waitcnt vmcnt(3)
	v_cmp_lt_i16_e64 s[0:1], -1, v6
	v_lshlrev_b32_e32 v5, 16, v6
	s_nop 0
	v_cndmask_b32_e64 v9, v35, v36, s[0:1]
	v_xor_b32_sdwa v6, v9, v6 dst_sel:DWORD dst_unused:UNUSED_PAD src0_sel:DWORD src1_sel:WORD_0
	v_cmp_o_f32_e64 s[0:1], v5, v5
	s_waitcnt vmcnt(2)
	v_cmp_lt_i16_e64 s[2:3], -1, v7
	v_lshlrev_b32_e32 v10, 16, v7
	v_cndmask_b32_e64 v6, v35, v6, s[0:1]
	v_cndmask_b32_e64 v5, v35, v36, s[2:3]
	s_waitcnt vmcnt(1)
	v_cmp_lt_i16_e64 s[0:1], -1, v8
	v_lshlrev_b32_e32 v9, 16, v8
	v_xor_b32_sdwa v5, v5, v7 dst_sel:DWORD dst_unused:UNUSED_PAD src0_sel:DWORD src1_sel:WORD_0
	v_cndmask_b32_e64 v7, v35, v36, s[0:1]
	s_waitcnt vmcnt(0)
	v_cmp_lt_i16_e64 s[0:1], -1, v4
	v_cmp_o_f32_e64 s[2:3], v10, v10
	v_lshlrev_b32_e32 v10, 16, v4
	v_xor_b32_sdwa v7, v7, v8 dst_sel:DWORD dst_unused:UNUSED_PAD src0_sel:DWORD src1_sel:WORD_0
	v_cndmask_b32_e64 v8, v35, v36, s[0:1]
	v_and_b32_e32 v11, v6, v39
	v_bfe_u32 v6, v6, s90, 2
	v_cmp_o_f32_e64 s[0:1], v9, v9
	v_cndmask_b32_e64 v5, v35, v5, s[2:3]
	v_xor_b32_sdwa v4, v8, v4 dst_sel:DWORD dst_unused:UNUSED_PAD src0_sel:DWORD src1_sel:WORD_0
	v_cndmask_b32_e64 v7, v35, v7, s[0:1]
	v_cmp_eq_u32_e64 s[0:1], v11, v18
	v_cmp_eq_u32_e64 s[2:3], 0, v6
	v_cmp_o_f32_e64 s[16:17], v10, v10
	v_and_b32_e32 v8, v5, v39
	v_bfe_u32 v5, v5, s90, 2
	v_cmp_eq_u32_e64 s[34:35], 1, v6
	v_cmp_eq_u32_e64 s[36:37], 2, v6
	;; [unrolled: 1-line block ×3, first 2 shown]
	v_cndmask_b32_e64 v4, v35, v4, s[16:17]
	v_and_b32_e32 v6, v7, v39
	v_bfe_u32 v7, v7, s90, 2
	s_and_b64 s[2:3], s[0:1], s[2:3]
	v_cmp_eq_u32_e64 s[16:17], v8, v18
	v_cmp_eq_u32_e64 s[26:27], 0, v5
	;; [unrolled: 1-line block ×5, first 2 shown]
	v_cndmask_b32_e64 v5, 0, 1, s[2:3]
	v_cmp_eq_u32_e64 s[22:23], v6, v18
	v_and_b32_e32 v6, v4, v39
	v_bfe_u32 v4, v4, s90, 2
	v_cmp_eq_u32_e64 s[2:3], 0, v7
	s_and_b64 s[8:9], s[16:17], s[26:27]
	v_cmp_eq_u32_e64 s[26:27], v6, v18
	v_cmp_eq_u32_e64 s[48:49], 0, v4
	s_and_b64 s[2:3], s[22:23], s[2:3]
	v_cmp_ne_u32_e64 s[46:47], 0, v5
	v_cndmask_b32_e64 v5, 0, 1, s[8:9]
	v_cmp_eq_u32_e64 s[50:51], 1, v4
	v_cmp_eq_u32_e64 s[52:53], 2, v4
	;; [unrolled: 1-line block ×3, first 2 shown]
	v_cndmask_b32_e64 v4, 0, 1, s[2:3]
	s_and_b64 s[8:9], s[26:27], s[48:49]
	v_cmp_ne_u32_e64 s[2:3], 0, v4
	v_cndmask_b32_e64 v4, 0, 1, s[8:9]
	s_bcnt1_i32_b64 s65, s[46:47]
	v_cmp_ne_u32_e64 s[46:47], 0, v5
	s_bcnt1_i32_b64 s8, s[2:3]
	v_cmp_ne_u32_e64 s[2:3], 0, v4
	s_bcnt1_i32_b64 s46, s[46:47]
	s_bcnt1_i32_b64 s2, s[2:3]
	s_add_u32 s3, s65, s96
	s_addc_u32 s9, 0, s97
	s_add_u32 s3, s3, s46
	s_addc_u32 s9, s9, 0
	;; [unrolled: 2-line block ×4, first 2 shown]
	s_and_b64 s[2:3], s[0:1], s[34:35]
	v_cmp_eq_u32_e64 s[42:43], 1, v7
	v_cndmask_b32_e64 v6, 0, 1, s[2:3]
	s_and_b64 s[2:3], s[16:17], s[38:39]
	v_cmp_eq_u32_e64 s[44:45], 2, v7
	v_cmp_eq_u32_e64 s[24:25], 3, v7
	v_cndmask_b32_e64 v7, 0, 1, s[2:3]
	s_and_b64 s[2:3], s[22:23], s[42:43]
	v_cndmask_b32_e64 v8, 0, 1, s[2:3]
	s_and_b64 s[2:3], s[26:27], s[50:51]
	v_cndmask_b32_e64 v9, 0, 1, s[2:3]
	v_cmp_ne_u32_e64 s[2:3], 0, v6
	v_cmp_ne_u32_e64 s[34:35], 0, v7
	;; [unrolled: 1-line block ×4, first 2 shown]
	s_bcnt1_i32_b64 s2, s[2:3]
	s_bcnt1_i32_b64 s3, s[34:35]
	;; [unrolled: 1-line block ×4, first 2 shown]
	s_add_u32 s2, s2, s14
	s_addc_u32 s14, 0, s15
	s_add_u32 s2, s2, s3
	s_addc_u32 s3, s14, 0
	s_add_u32 s2, s2, s8
	s_addc_u32 s3, s3, 0
	s_add_u32 s14, s2, s9
	s_addc_u32 s15, s3, 0
	s_and_b64 s[2:3], s[0:1], s[36:37]
	v_cndmask_b32_e64 v8, 0, 1, s[2:3]
	s_and_b64 s[2:3], s[16:17], s[40:41]
	v_cndmask_b32_e64 v9, 0, 1, s[2:3]
	;; [unrolled: 2-line block ×4, first 2 shown]
	v_cmp_ne_u32_e64 s[2:3], 0, v8
	v_cmp_ne_u32_e64 s[34:35], 0, v9
	;; [unrolled: 1-line block ×4, first 2 shown]
	s_bcnt1_i32_b64 s2, s[2:3]
	s_bcnt1_i32_b64 s3, s[34:35]
	;; [unrolled: 1-line block ×4, first 2 shown]
	s_add_u32 s2, s2, s76
	s_addc_u32 s34, 0, s77
	s_add_u32 s2, s2, s3
	s_addc_u32 s3, s34, 0
	;; [unrolled: 2-line block ×4, first 2 shown]
	s_and_b64 s[0:1], s[0:1], s[18:19]
	v_cndmask_b32_e64 v10, 0, 1, s[0:1]
	s_and_b64 s[0:1], s[16:17], s[20:21]
	v_cndmask_b32_e64 v11, 0, 1, s[0:1]
	;; [unrolled: 2-line block ×4, first 2 shown]
	v_cmp_ne_u32_e64 s[0:1], 0, v10
	v_cmp_ne_u32_e64 s[2:3], 0, v11
	;; [unrolled: 1-line block ×4, first 2 shown]
	s_bcnt1_i32_b64 s0, s[0:1]
	s_bcnt1_i32_b64 s1, s[2:3]
	s_bcnt1_i32_b64 s2, s[16:17]
	s_bcnt1_i32_b64 s3, s[18:19]
	s_add_u32 s0, s0, s58
	s_addc_u32 s8, 0, s59
	s_add_u32 s0, s0, s1
	s_addc_u32 s1, s8, 0
	;; [unrolled: 2-line block ×4, first 2 shown]
	v_mov_b64_e32 v[4:5], s[96:97]
	v_mov_b64_e32 v[6:7], s[14:15]
	;; [unrolled: 1-line block ×3, first 2 shown]
	s_or_b64 s[78:79], vcc, s[78:79]
	v_mov_b64_e32 v[10:11], s[58:59]
	s_andn2_b64 exec, exec, s[78:79]
	s_cbranch_execnz .LBB141_71
; %bb.72:                               ;   in Loop: Header=BB141_24 Depth=1
	s_or_b64 exec, exec, s[78:79]
	v_readlane_b32 s76, v61, 43
	v_readlane_b32 s77, v61, 44
	;; [unrolled: 1-line block ×3, first 2 shown]
	s_mov_b32 s95, s89
	s_mov_b32 s96, 0x5040100
.LBB141_73:                             ;   in Loop: Header=BB141_24 Depth=1
	s_or_b64 exec, exec, s[66:67]
	v_lshl_add_u64 v[26:27], s[54:55], 0, v[0:1]
	v_and_b32_e32 v2, 0xffff, v2
	v_cmp_gt_u64_e32 vcc, s[56:57], v[26:27]
	s_and_saveexec_b64 s[2:3], vcc
	s_cbranch_execz .LBB141_79
; %bb.74:                               ;   in Loop: Header=BB141_24 Depth=1
	v_mul_lo_u32 v41, v27, s72
	v_mul_lo_u32 v46, v26, s73
	v_mad_u64_u32 v[42:43], s[0:1], v26, s72, 0
	v_add3_u32 v43, v43, v46, v41
	v_lshl_add_u64 v[42:43], v[42:43], 1, s[80:81]
	global_load_ushort v42, v[42:43], off
	s_mov_b64 s[8:9], 0
	s_branch .LBB141_76
.LBB141_75:                             ;   in Loop: Header=BB141_76 Depth=2
	s_or_b64 exec, exec, s[14:15]
	s_and_b64 s[0:1], exec, vcc
	s_waitcnt vmcnt(0)
	v_cmp_lt_i16_e32 vcc, -1, v42
	v_lshlrev_b32_e32 v46, 16, v42
	s_or_b64 s[8:9], s[0:1], s[8:9]
	v_cndmask_b32_e32 v43, v35, v36, vcc
	v_xor_b32_sdwa v42, v43, v42 dst_sel:DWORD dst_unused:UNUSED_PAD src0_sel:DWORD src1_sel:WORD_0
	v_cmp_o_f32_e32 vcc, v46, v46
	s_nop 1
	v_cndmask_b32_e32 v42, v35, v42, vcc
	v_and_b32_e32 v43, v42, v39
	v_bfe_u32 v42, v42, s90, 2
	v_cmp_eq_u32_e32 vcc, v43, v18
	v_cmp_eq_u32_e64 s[0:1], 0, v42
	s_and_b64 s[0:1], vcc, s[0:1]
	s_nop 0
	v_cndmask_b32_e64 v43, 0, 1, s[0:1]
	v_cmp_ne_u32_e64 s[0:1], 0, v43
	s_bcnt1_i32_b64 s86, s[0:1]
	v_cmp_eq_u32_e64 s[0:1], 1, v42
	s_and_b64 s[0:1], vcc, s[0:1]
	v_lshl_add_u64 v[4:5], s[86:87], 0, v[4:5]
	v_cndmask_b32_e64 v43, 0, 1, s[0:1]
	v_cmp_ne_u32_e64 s[0:1], 0, v43
	s_bcnt1_i32_b64 s86, s[0:1]
	v_cmp_eq_u32_e64 s[0:1], 2, v42
	s_and_b64 s[0:1], vcc, s[0:1]
	v_lshl_add_u64 v[6:7], s[86:87], 0, v[6:7]
	;; [unrolled: 6-line block ×3, first 2 shown]
	v_cndmask_b32_e64 v42, 0, 1, s[0:1]
	v_cmp_ne_u32_e32 vcc, 0, v42
	s_bcnt1_i32_b64 s86, vcc
	v_lshl_add_u64 v[10:11], s[86:87], 0, v[10:11]
	v_mov_b32_e32 v42, v41
	s_andn2_b64 exec, exec, s[8:9]
	s_cbranch_execz .LBB141_78
.LBB141_76:                             ;   Parent Loop BB141_24 Depth=1
                                        ; =>  This Inner Loop Header: Depth=2
	v_lshl_add_u64 v[26:27], v[26:27], 0, v[2:3]
	v_cmp_gt_u64_e64 s[0:1], s[56:57], v[26:27]
	v_cmp_le_u64_e32 vcc, s[56:57], v[26:27]
	v_mov_b32_e32 v41, 0
	s_and_saveexec_b64 s[14:15], s[0:1]
	s_cbranch_execz .LBB141_75
; %bb.77:                               ;   in Loop: Header=BB141_76 Depth=2
	v_mul_lo_u32 v41, v27, s72
	v_mul_lo_u32 v43, v26, s73
	v_mad_u64_u32 v[46:47], s[0:1], v26, s72, 0
	v_add3_u32 v47, v47, v43, v41
	v_lshl_add_u64 v[46:47], v[46:47], 1, s[80:81]
	global_load_ushort v41, v[46:47], off
	s_branch .LBB141_75
.LBB141_78:                             ;   in Loop: Header=BB141_24 Depth=1
	s_or_b64 exec, exec, s[8:9]
.LBB141_79:                             ;   in Loop: Header=BB141_24 Depth=1
	s_or_b64 exec, exec, s[2:3]
	s_branch .LBB141_58
.LBB141_80:                             ;   in Loop: Header=BB141_24 Depth=1
	global_load_ushort v2, v3, s[76:77]
	v_mov_b64_e32 v[8:9], 0
	s_waitcnt vmcnt(0)
	v_readfirstlane_b32 s0, v2
	s_and_b32 s65, 0xffff, s0
	s_lshl_b32 s86, s65, 2
	v_cvt_f32_u32_e32 v4, s86
	s_sub_i32 s0, 0, s86
	v_rcp_iflag_f32_e32 v6, v4
	v_mov_b64_e32 v[4:5], 0
	v_mul_f32_e32 v6, 0x4f7ffffe, v6
	v_cvt_u32_f32_e32 v10, v6
	v_mov_b64_e32 v[6:7], 0
	v_readfirstlane_b32 s1, v10
	s_mul_i32 s0, s0, s1
	s_mul_hi_u32 s0, s1, s0
	s_add_i32 s1, s1, s0
	s_mul_hi_u32 s0, s64, s1
	s_mul_i32 s1, s0, s86
	s_sub_i32 s1, s64, s1
	s_add_i32 s2, s0, 1
	s_sub_i32 s3, s1, s86
	s_cmp_ge_u32 s1, s86
	s_cselect_b32 s0, s2, s0
	s_cselect_b32 s1, s3, s1
	s_add_i32 s2, s0, 1
	s_cmp_ge_u32 s1, s86
	s_cselect_b32 s0, s2, s0
	s_mul_hi_u32 s67, s65, s0
	s_mul_i32 s66, s65, s0
	s_lshl_b64 s[78:79], s[66:67], 2
	v_cmp_gt_u64_e32 vcc, s[78:79], v[14:15]
	v_mov_b64_e32 v[10:11], 0
	s_and_saveexec_b64 s[14:15], vcc
	s_cbranch_execz .LBB141_84
; %bb.81:                               ;   in Loop: Header=BB141_24 Depth=1
	s_mov_b64 s[94:95], s[98:99]
	s_lshl_b32 s67, s65, 3
	s_mov_b64 s[58:59], 0
	v_mov_b32_e32 v41, v33
	s_mov_b64 s[76:77], 0
	s_mov_b64 s[96:97], 0
	;; [unrolled: 1-line block ×4, first 2 shown]
	v_mov_b64_e32 v[26:27], v[14:15]
.LBB141_82:                             ;   Parent Loop BB141_24 Depth=1
                                        ; =>  This Inner Loop Header: Depth=2
	ds_read_b64 v[4:5], v41
	v_lshl_add_u64 v[26:27], v[26:27], 0, s[86:87]
	v_cmp_le_u64_e32 vcc, s[78:79], v[26:27]
	v_add_u32_e32 v41, s67, v41
	s_waitcnt lgkmcnt(0)
	v_cmp_lt_i16_e64 s[0:1], -1, v4
	v_lshlrev_b32_e32 v6, 16, v4
	s_nop 0
	v_cndmask_b32_e64 v10, v35, v36, s[0:1]
	v_cmp_gt_i16_sdwa s[0:1], v4, v19 src0_sel:WORD_1 src1_sel:DWORD
	v_and_b32_e32 v7, 0xffff0000, v4
	v_cmp_o_f32_e64 s[18:19], v6, v6
	v_cndmask_b32_e64 v11, v35, v36, s[0:1]
	v_cmp_lt_i16_e64 s[0:1], -1, v5
	v_xor_b32_sdwa v11, v11, v4 dst_sel:DWORD dst_unused:UNUSED_PAD src0_sel:DWORD src1_sel:WORD_1
	v_bitop3_b32 v4, v10, v4, s33 bitop3:0x78
	v_cndmask_b32_e64 v42, v35, v36, s[0:1]
	v_cmp_gt_i16_sdwa s[0:1], v5, v19 src0_sel:WORD_1 src1_sel:DWORD
	v_lshlrev_b32_e32 v8, 16, v5
	v_cndmask_b32_e64 v4, v35, v4, s[18:19]
	v_cndmask_b32_e64 v43, v35, v36, s[0:1]
	v_cmp_o_f32_e64 s[0:1], v7, v7
	v_and_b32_e32 v9, 0xffff0000, v5
	v_bitop3_b32 v7, v42, v5, s33 bitop3:0x78
	v_cmp_o_f32_e64 s[2:3], v8, v8
	v_cndmask_b32_e64 v6, v35, v11, s[0:1]
	v_and_b32_e32 v8, v4, v39
	v_bfe_u32 v4, v4, s90, 2
	v_xor_b32_sdwa v5, v43, v5 dst_sel:DWORD dst_unused:UNUSED_PAD src0_sel:DWORD src1_sel:WORD_1
	v_cmp_o_f32_e64 s[16:17], v9, v9
	v_cndmask_b32_e64 v7, v35, v7, s[2:3]
	v_and_b32_e32 v9, v6, v39
	v_bfe_u32 v6, v6, s90, 2
	v_cmp_eq_u32_e64 s[20:21], v8, v18
	v_cmp_eq_u32_e64 s[2:3], 0, v4
	v_cndmask_b32_e64 v5, v35, v5, s[16:17]
	v_and_b32_e32 v10, v7, v39
	v_bfe_u32 v7, v7, s90, 2
	v_cmp_eq_u32_e64 s[18:19], v9, v18
	v_cmp_eq_u32_e64 s[34:35], 0, v6
	s_and_b64 s[2:3], s[20:21], s[2:3]
	v_and_b32_e32 v11, v5, v39
	v_bfe_u32 v5, v5, s90, 2
	v_cmp_eq_u32_e64 s[16:17], v10, v18
	v_cmp_eq_u32_e64 s[36:37], 0, v7
	;; [unrolled: 1-line block ×5, first 2 shown]
	v_cndmask_b32_e64 v4, 0, 1, s[2:3]
	s_and_b64 s[2:3], s[18:19], s[34:35]
	v_cmp_eq_u32_e64 s[0:1], v11, v18
	v_cmp_eq_u32_e64 s[38:39], 0, v5
	;; [unrolled: 1-line block ×5, first 2 shown]
	v_cndmask_b32_e64 v5, 0, 1, s[2:3]
	s_and_b64 s[2:3], s[16:17], s[36:37]
	v_cmp_eq_u32_e64 s[42:43], 1, v6
	v_cmp_eq_u32_e64 s[50:51], 2, v6
	;; [unrolled: 1-line block ×3, first 2 shown]
	v_cndmask_b32_e64 v6, 0, 1, s[2:3]
	s_and_b64 s[2:3], s[0:1], s[38:39]
	v_cmp_eq_u32_e64 s[44:45], 1, v7
	v_cmp_eq_u32_e64 s[52:53], 2, v7
	;; [unrolled: 1-line block ×3, first 2 shown]
	v_cndmask_b32_e64 v7, 0, 1, s[2:3]
	v_cmp_ne_u32_e64 s[2:3], 0, v4
	v_cmp_ne_u32_e64 s[34:35], 0, v5
	v_cmp_ne_u32_e64 s[36:37], 0, v6
	v_cmp_ne_u32_e64 s[38:39], 0, v7
	s_bcnt1_i32_b64 s2, s[2:3]
	s_bcnt1_i32_b64 s3, s[34:35]
	;; [unrolled: 1-line block ×4, first 2 shown]
	s_add_u32 s2, s2, s8
	s_addc_u32 s8, 0, s9
	s_add_u32 s2, s2, s3
	s_addc_u32 s3, s8, 0
	;; [unrolled: 2-line block ×4, first 2 shown]
	s_and_b64 s[2:3], s[20:21], s[40:41]
	v_cndmask_b32_e64 v6, 0, 1, s[2:3]
	s_and_b64 s[2:3], s[18:19], s[42:43]
	v_cndmask_b32_e64 v7, 0, 1, s[2:3]
	s_and_b64 s[2:3], s[16:17], s[44:45]
	v_cndmask_b32_e64 v8, 0, 1, s[2:3]
	s_and_b64 s[2:3], s[0:1], s[46:47]
	v_cndmask_b32_e64 v9, 0, 1, s[2:3]
	v_cmp_ne_u32_e64 s[2:3], 0, v6
	v_cmp_ne_u32_e64 s[34:35], 0, v7
	;; [unrolled: 1-line block ×4, first 2 shown]
	s_bcnt1_i32_b64 s2, s[2:3]
	s_bcnt1_i32_b64 s3, s[34:35]
	;; [unrolled: 1-line block ×4, first 2 shown]
	s_add_u32 s2, s2, s98
	s_addc_u32 s36, 0, s99
	s_add_u32 s2, s2, s3
	s_addc_u32 s3, s36, 0
	;; [unrolled: 2-line block ×4, first 2 shown]
	s_and_b64 s[2:3], s[20:21], s[48:49]
	v_cndmask_b32_e64 v8, 0, 1, s[2:3]
	s_and_b64 s[2:3], s[18:19], s[50:51]
	v_cndmask_b32_e64 v9, 0, 1, s[2:3]
	;; [unrolled: 2-line block ×4, first 2 shown]
	v_cmp_ne_u32_e64 s[2:3], 0, v8
	v_cmp_ne_u32_e64 s[34:35], 0, v9
	;; [unrolled: 1-line block ×4, first 2 shown]
	s_bcnt1_i32_b64 s2, s[2:3]
	s_bcnt1_i32_b64 s3, s[34:35]
	;; [unrolled: 1-line block ×4, first 2 shown]
	s_add_u32 s2, s2, s96
	s_addc_u32 s36, 0, s97
	s_add_u32 s2, s2, s3
	s_addc_u32 s3, s36, 0
	;; [unrolled: 2-line block ×4, first 2 shown]
	s_and_b64 s[2:3], s[20:21], s[28:29]
	v_cndmask_b32_e64 v10, 0, 1, s[2:3]
	s_and_b64 s[2:3], s[18:19], s[26:27]
	v_cndmask_b32_e64 v11, 0, 1, s[2:3]
	s_and_b64 s[2:3], s[16:17], s[24:25]
	s_and_b64 s[0:1], s[0:1], s[22:23]
	v_cndmask_b32_e64 v42, 0, 1, s[2:3]
	v_cndmask_b32_e64 v43, 0, 1, s[0:1]
	v_cmp_ne_u32_e64 s[0:1], 0, v10
	v_cmp_ne_u32_e64 s[2:3], 0, v11
	;; [unrolled: 1-line block ×4, first 2 shown]
	s_bcnt1_i32_b64 s0, s[0:1]
	s_bcnt1_i32_b64 s1, s[2:3]
	;; [unrolled: 1-line block ×4, first 2 shown]
	s_add_u32 s0, s0, s76
	s_addc_u32 s16, 0, s77
	s_add_u32 s0, s0, s1
	s_addc_u32 s1, s16, 0
	;; [unrolled: 2-line block ×4, first 2 shown]
	v_mov_b64_e32 v[4:5], s[8:9]
	v_mov_b64_e32 v[6:7], s[98:99]
	;; [unrolled: 1-line block ×3, first 2 shown]
	s_or_b64 s[58:59], vcc, s[58:59]
	v_mov_b64_e32 v[10:11], s[76:77]
	s_andn2_b64 exec, exec, s[58:59]
	s_cbranch_execnz .LBB141_82
; %bb.83:                               ;   in Loop: Header=BB141_24 Depth=1
	s_or_b64 exec, exec, s[58:59]
	v_readlane_b32 s76, v61, 43
	s_mov_b64 s[98:99], s[94:95]
	v_readlane_b32 s77, v61, 44
	v_readlane_b32 s94, v61, 46
	s_mov_b32 s95, s89
	s_mov_b32 s96, 0x5040100
.LBB141_84:                             ;   in Loop: Header=BB141_24 Depth=1
	s_or_b64 exec, exec, s[14:15]
	s_and_b32 s8, s64, 0x7fffffff
	s_mov_b32 s9, s87
	v_lshl_add_u64 v[26:27], s[78:79], 0, v[0:1]
	v_and_b32_e32 v2, 0xffff, v2
	v_cmp_gt_u64_e32 vcc, s[8:9], v[26:27]
	s_and_saveexec_b64 s[14:15], vcc
	s_cbranch_execz .LBB141_88
; %bb.85:                               ;   in Loop: Header=BB141_24 Depth=1
	v_lshl_add_u32 v41, s66, 3, v29
	s_lshl_b32 s24, s65, 1
	s_mov_b64 s[22:23], 0
.LBB141_86:                             ;   Parent Loop BB141_24 Depth=1
                                        ; =>  This Inner Loop Header: Depth=2
	ds_read_u16 v42, v41
	v_lshl_add_u64 v[26:27], v[26:27], 0, v[2:3]
	v_cmp_le_u64_e32 vcc, s[8:9], v[26:27]
	v_add_u32_e32 v41, s24, v41
	s_waitcnt lgkmcnt(0)
	v_cmp_lt_i16_e64 s[0:1], -1, v42
	v_lshlrev_b32_e32 v43, 16, v42
	s_nop 0
	v_cndmask_b32_e64 v46, v35, v36, s[0:1]
	v_xor_b32_sdwa v42, v46, v42 dst_sel:DWORD dst_unused:UNUSED_PAD src0_sel:DWORD src1_sel:WORD_0
	v_cmp_o_f32_e64 s[0:1], v43, v43
	s_nop 1
	v_cndmask_b32_e64 v42, v35, v42, s[0:1]
	v_and_b32_e32 v43, v42, v39
	v_bfe_u32 v42, v42, s90, 2
	v_cmp_eq_u32_e64 s[0:1], v43, v18
	v_cmp_eq_u32_e64 s[2:3], 0, v42
	v_cmp_eq_u32_e64 s[16:17], 1, v42
	s_and_b64 s[2:3], s[0:1], s[2:3]
	v_cmp_eq_u32_e64 s[18:19], 2, v42
	v_cmp_eq_u32_e64 s[20:21], 3, v42
	v_cndmask_b32_e64 v42, 0, 1, s[2:3]
	s_and_b64 s[2:3], s[0:1], s[16:17]
	v_cndmask_b32_e64 v43, 0, 1, s[2:3]
	s_and_b64 s[2:3], s[0:1], s[18:19]
	s_and_b64 s[0:1], s[0:1], s[20:21]
	v_cndmask_b32_e64 v47, 0, 1, s[0:1]
	v_cmp_ne_u32_e64 s[0:1], 0, v42
	v_cndmask_b32_e64 v46, 0, 1, s[2:3]
	v_cmp_ne_u32_e64 s[2:3], 0, v43
	s_bcnt1_i32_b64 s86, s[0:1]
	v_cmp_ne_u32_e64 s[16:17], 0, v46
	v_lshl_add_u64 v[4:5], s[86:87], 0, v[4:5]
	s_bcnt1_i32_b64 s86, s[2:3]
	v_cmp_ne_u32_e64 s[18:19], 0, v47
	v_lshl_add_u64 v[6:7], s[86:87], 0, v[6:7]
	s_bcnt1_i32_b64 s86, s[16:17]
	v_lshl_add_u64 v[8:9], s[86:87], 0, v[8:9]
	s_bcnt1_i32_b64 s86, s[18:19]
	s_or_b64 s[22:23], vcc, s[22:23]
	v_lshl_add_u64 v[10:11], s[86:87], 0, v[10:11]
	s_andn2_b64 exec, exec, s[22:23]
	s_cbranch_execnz .LBB141_86
; %bb.87:                               ;   in Loop: Header=BB141_24 Depth=1
	s_or_b64 exec, exec, s[22:23]
.LBB141_88:                             ;   in Loop: Header=BB141_24 Depth=1
	s_or_b64 exec, exec, s[14:15]
	s_lshl_b32 s2, s88, 6
	s_and_saveexec_b64 s[0:1], s[4:5]
	s_cbranch_execnz .LBB141_59
	s_branch .LBB141_60
.LBB141_89:                             ;   in Loop: Header=BB141_24 Depth=1
                                        ; implicit-def: $sgpr0_sgpr1
	s_branch .LBB141_68
.LBB141_90:                             ;   in Loop: Header=BB141_24 Depth=1
	s_mov_b32 s3, 0
	v_mov_b64_e32 v[4:5], 0
.LBB141_91:                             ;   in Loop: Header=BB141_24 Depth=1
	v_readlane_b32 s8, v61, 41
	v_readlane_b32 s9, v61, 42
	s_andn2_b64 vcc, exec, s[8:9]
	s_cbranch_vccnz .LBB141_94
; %bb.92:                               ;   in Loop: Header=BB141_24 Depth=1
	s_lshl_b32 s8, s88, 9
	s_lshl_b32 s3, s3, 5
	s_add_i32 s8, s8, s3
	v_add_u32_e32 v2, s8, v34
	v_readlane_b32 s3, v61, 40
.LBB141_93:                             ;   Parent Loop BB141_24 Depth=1
                                        ; =>  This Inner Loop Header: Depth=2
	ds_read_b64 v[6:7], v2
	s_add_i32 s3, s3, -1
	v_add_u32_e32 v2, 32, v2
	s_cmp_lg_u32 s3, 0
	s_waitcnt lgkmcnt(0)
	v_lshl_add_u64 v[4:5], v[6:7], 0, v[4:5]
	s_cbranch_scc1 .LBB141_93
.LBB141_94:                             ;   in Loop: Header=BB141_24 Depth=1
	v_add_lshl_u32 v2, s2, v28, 3
	ds_write_b64 v2, v[4:5] offset:3072
.LBB141_95:                             ;   in Loop: Header=BB141_24 Depth=1
	s_or_b64 exec, exec, s[0:1]
	s_lshl_b32 s0, s2, 3
	v_mov_b32_e32 v2, s0
	s_waitcnt lgkmcnt(0)
	s_barrier
	ds_read_b128 v[8:11], v2 offset:3088
	ds_read_b128 v[4:7], v2 offset:3072
	s_lshl_b32 s66, 3, s90
	v_cmp_eq_u64_e64 s[0:1], 1, v[24:25]
	s_not_b32 s54, s66
	s_waitcnt lgkmcnt(1)
	v_readfirstlane_b32 s22, v8
	s_waitcnt lgkmcnt(0)
	v_cmp_eq_u64_e32 vcc, 1, v[4:5]
	v_readfirstlane_b32 s23, v9
	v_readfirstlane_b32 s2, v10
	;; [unrolled: 1-line block ×3, first 2 shown]
	s_and_b64 s[18:19], vcc, s[0:1]
	s_mov_b64 s[0:1], -1
	s_mov_b64 s[20:21], -1
                                        ; implicit-def: $sgpr14_sgpr15
                                        ; implicit-def: $sgpr8_sgpr9
	s_and_saveexec_b64 s[16:17], s[18:19]
	s_cbranch_execz .LBB141_133
; %bb.96:                               ;   in Loop: Header=BB141_24 Depth=1
	ds_read_b64 v[8:9], v3 offset:5120
	s_waitcnt lgkmcnt(0)
	s_barrier
	v_readfirstlane_b32 s24, v8
	v_readfirstlane_b32 s25, v9
	s_mov_b64 s[8:9], exec
	v_readlane_b32 s14, v61, 26
	v_readlane_b32 s15, v61, 27
	s_and_b64 s[14:15], s[8:9], s[14:15]
	s_mov_b64 exec, s[14:15]
; %bb.97:                               ;   in Loop: Header=BB141_24 Depth=1
	ds_write_b16 v30, v3
; %bb.98:                               ;   in Loop: Header=BB141_24 Depth=1
	s_or_b64 exec, exec, s[8:9]
	v_and_b32_e32 v18, s54, v18
	v_or_b32_e32 v39, s66, v39
	s_mov_b64 s[8:9], -1
	s_mov_b64 s[14:15], 0
	s_cmp_eq_u64 s[24:25], 0
	s_mov_b64 s[20:21], 0
	s_mov_b64 s[26:27], -1
	s_waitcnt lgkmcnt(0)
	s_barrier
                                        ; implicit-def: $vgpr40
	s_cbranch_scc1 .LBB141_112
; %bb.99:                               ;   in Loop: Header=BB141_24 Depth=1
	v_readlane_b32 s20, v61, 32
	s_add_u32 s34, s24, s20
	v_readlane_b32 s20, v61, 33
	s_addc_u32 s21, s25, s20
	s_mov_b32 s20, s87
	s_cmp_lg_u64 s[20:21], 0
	s_cbranch_scc0 .LBB141_115
; %bb.100:                              ;   in Loop: Header=BB141_24 Depth=1
	v_cvt_f32_u32_e32 v2, s84
	s_sub_u32 s20, 0, s84
	s_subb_u32 s28, 0, 0
	v_fmac_f32_e32 v2, 0, v37
	v_rcp_f32_e32 v2, v2
	s_nop 0
	v_mul_f32_e32 v2, 0x5f7ffffc, v2
	v_mul_f32_e32 v8, 0x2f800000, v2
	v_trunc_f32_e32 v8, v8
	v_fmac_f32_e32 v2, 0xcf800000, v8
	v_cvt_u32_f32_e32 v8, v8
	v_cvt_u32_f32_e32 v2, v2
	v_readfirstlane_b32 s29, v8
	v_readfirstlane_b32 s26, v2
	s_mul_i32 s27, s20, s29
	s_mul_hi_u32 s36, s20, s26
	s_mul_i32 s35, s28, s26
	s_add_i32 s27, s36, s27
	s_mul_i32 s37, s20, s26
	s_add_i32 s27, s27, s35
	s_mul_hi_u32 s36, s26, s37
	s_mul_i32 s38, s26, s27
	s_mul_hi_u32 s35, s26, s27
	s_add_u32 s36, s36, s38
	s_addc_u32 s35, 0, s35
	s_mul_hi_u32 s39, s29, s37
	s_mul_i32 s37, s29, s37
	s_add_u32 s36, s36, s37
	s_mul_hi_u32 s38, s29, s27
	s_addc_u32 s35, s35, s39
	s_addc_u32 s36, s38, 0
	s_mul_i32 s27, s29, s27
	s_add_u32 s27, s35, s27
	s_addc_u32 s35, 0, s36
	s_add_u32 s36, s26, s27
	s_cselect_b64 s[26:27], -1, 0
	s_cmp_lg_u64 s[26:27], 0
	s_addc_u32 s29, s29, s35
	s_mul_i32 s26, s20, s29
	s_mul_hi_u32 s27, s20, s36
	s_add_i32 s26, s27, s26
	s_mul_i32 s28, s28, s36
	s_add_i32 s26, s26, s28
	s_mul_i32 s20, s20, s36
	s_mul_hi_u32 s28, s29, s20
	s_mul_i32 s35, s29, s20
	s_mul_i32 s38, s36, s26
	s_mul_hi_u32 s20, s36, s20
	s_mul_hi_u32 s37, s36, s26
	s_add_u32 s20, s20, s38
	s_addc_u32 s37, 0, s37
	s_add_u32 s20, s20, s35
	s_mul_hi_u32 s27, s29, s26
	s_addc_u32 s20, s37, s28
	s_addc_u32 s27, s27, 0
	s_mul_i32 s26, s29, s26
	s_add_u32 s20, s20, s26
	s_addc_u32 s28, 0, s27
	s_add_u32 s20, s36, s20
	s_cselect_b64 s[26:27], -1, 0
	s_cmp_lg_u64 s[26:27], 0
	s_addc_u32 s26, s29, s28
	s_mul_i32 s28, s34, s26
	s_mul_hi_u32 s29, s34, s20
	s_mul_hi_u32 s27, s34, s26
	s_add_u32 s28, s29, s28
	s_addc_u32 s27, 0, s27
	s_mul_hi_u32 s35, s21, s20
	s_mul_i32 s20, s21, s20
	s_add_u32 s20, s28, s20
	s_mul_hi_u32 s29, s21, s26
	s_addc_u32 s20, s27, s35
	s_addc_u32 s27, s29, 0
	s_mul_i32 s26, s21, s26
	s_add_u32 s20, s20, s26
	s_addc_u32 s26, 0, s27
	s_mul_i32 s26, s84, s26
	s_mul_hi_u32 s27, s84, s20
	s_add_i32 s28, s27, s26
	s_mul_i32 s20, s84, s20
	s_sub_u32 s20, s34, s20
	s_cselect_b64 s[26:27], -1, 0
	s_cmp_lg_u64 s[26:27], 0
	s_subb_u32 s28, s21, s28
	s_sub_u32 s29, s20, s84
	s_cselect_b64 s[26:27], -1, 0
	s_cmp_lg_u64 s[26:27], 0
	s_subb_u32 s35, s28, 0
	;; [unrolled: 4-line block ×3, first 2 shown]
	s_cmp_ge_u32 s29, s84
	s_cselect_b32 s27, -1, 0
	s_cmp_eq_u32 s35, 0
	s_cselect_b32 s27, s27, -1
	s_cmp_lg_u32 s27, 0
	s_cselect_b32 s26, s26, s35
	s_cselect_b32 s29, s36, s29
	s_cmp_ge_u32 s20, s84
	s_cselect_b32 s27, -1, 0
	s_cmp_eq_u32 s28, 0
	s_cselect_b32 s27, s27, -1
	s_cmp_lg_u32 s27, 0
	s_cselect_b32 s27, s26, s28
	s_cselect_b32 s26, s29, s20
	s_cbranch_execnz .LBB141_102
.LBB141_101:                            ;   in Loop: Header=BB141_24 Depth=1
	v_cvt_f32_u32_e32 v2, s84
	s_sub_i32 s20, 0, s84
	v_rcp_iflag_f32_e32 v2, v2
	s_nop 0
	v_mul_f32_e32 v2, 0x4f7ffffe, v2
	v_cvt_u32_f32_e32 v2, v2
	s_nop 0
	v_readfirstlane_b32 s26, v2
	s_mul_i32 s20, s20, s26
	s_mul_hi_u32 s20, s26, s20
	s_add_i32 s26, s26, s20
	s_mul_hi_u32 s20, s34, s26
	s_mul_i32 s20, s20, s84
	s_sub_i32 s20, s34, s20
	s_sub_i32 s26, s20, s84
	s_cmp_ge_u32 s20, s84
	s_cselect_b32 s20, s26, s20
	s_sub_i32 s26, s20, s84
	s_cmp_ge_u32 s20, s84
	s_cselect_b32 s86, s26, s20
	s_mov_b64 s[26:27], s[86:87]
.LBB141_102:                            ;   in Loop: Header=BB141_24 Depth=1
	s_sub_u32 s34, s34, s26
	s_subb_u32 s35, s21, s27
	v_cmp_gt_u64_e32 vcc, s[34:35], v[0:1]
	s_mov_b64 s[26:27], 0
	s_mov_b64 s[20:21], 0
                                        ; implicit-def: $vgpr40
	s_and_saveexec_b64 s[28:29], vcc
	s_cbranch_execz .LBB141_111
; %bb.103:                              ;   in Loop: Header=BB141_24 Depth=1
	v_mov_b32_e32 v2, v29
	v_mov_b64_e32 v[8:9], v[0:1]
                                        ; implicit-def: $sgpr36_sgpr37
	s_branch .LBB141_106
.LBB141_104:                            ;   in Loop: Header=BB141_106 Depth=2
	s_or_b64 exec, exec, s[38:39]
	s_waitcnt lgkmcnt(0)
	s_barrier
	ds_read_b32 v10, v3 offset:3072
	s_mov_b64 s[38:39], -1
	s_mov_b64 s[40:41], -1
	s_waitcnt lgkmcnt(0)
	s_barrier
	v_and_b32_e32 v11, 0x7fff, v10
	v_cmp_ne_u32_e32 vcc, 0, v11
	s_cbranch_vccz .LBB141_109
.LBB141_105:                            ;   in Loop: Header=BB141_106 Depth=2
	s_and_b64 s[38:39], exec, s[38:39]
	s_or_b64 s[20:21], s[38:39], s[20:21]
	s_andn2_b64 s[36:37], s[36:37], exec
	s_and_b64 s[38:39], s[40:41], exec
	s_or_b64 s[36:37], s[36:37], s[38:39]
	s_andn2_b64 exec, exec, s[20:21]
	s_cbranch_execz .LBB141_110
.LBB141_106:                            ;   Parent Loop BB141_24 Depth=1
                                        ; =>  This Inner Loop Header: Depth=2
	v_cmp_gt_u64_e32 vcc, s[24:25], v[8:9]
	s_and_saveexec_b64 s[38:39], vcc
	s_cbranch_execz .LBB141_104
; %bb.107:                              ;   in Loop: Header=BB141_106 Depth=2
	ds_read_u16 v10, v2
	s_waitcnt lgkmcnt(0)
	v_cmp_lt_i16_e32 vcc, -1, v10
	v_lshlrev_b32_e32 v11, 16, v10
	s_nop 0
	v_cndmask_b32_e32 v26, v35, v36, vcc
	v_xor_b32_sdwa v26, v26, v10 dst_sel:DWORD dst_unused:UNUSED_PAD src0_sel:DWORD src1_sel:WORD_0
	v_cmp_o_f32_e32 vcc, v11, v11
	s_nop 1
	v_cndmask_b32_e32 v11, v35, v26, vcc
	v_and_b32_e32 v11, v11, v39
	v_cmp_eq_u32_e32 vcc, v11, v18
	s_and_b64 exec, exec, vcc
	s_cbranch_execz .LBB141_104
; %bb.108:                              ;   in Loop: Header=BB141_106 Depth=2
	v_perm_b32 v10, v10, s6, v38
	ds_write_b32 v3, v10 offset:3072
	s_branch .LBB141_104
.LBB141_109:                            ;   in Loop: Header=BB141_106 Depth=2
	v_lshl_add_u64 v[8:9], v[8:9], 0, s[84:85]
	v_cmp_le_u64_e32 vcc, s[34:35], v[8:9]
	v_add_u32_e32 v2, s69, v2
	s_mov_b64 s[40:41], 0
	s_orn2_b64 s[38:39], vcc, exec
	s_branch .LBB141_105
.LBB141_110:                            ;   in Loop: Header=BB141_24 Depth=1
	s_or_b64 exec, exec, s[20:21]
	v_lshrrev_b32_e32 v40, 16, v10
	s_and_b64 s[20:21], s[36:37], exec
.LBB141_111:                            ;   in Loop: Header=BB141_24 Depth=1
	s_or_b64 exec, exec, s[28:29]
.LBB141_112:                            ;   in Loop: Header=BB141_24 Depth=1
	s_and_b64 vcc, exec, s[26:27]
	s_cbranch_vccz .LBB141_132
; %bb.113:                              ;   in Loop: Header=BB141_24 Depth=1
	s_mov_b32 s92, s87
	s_cmp_lg_u64 s[92:93], 0
	s_cbranch_scc0 .LBB141_119
; %bb.114:                              ;   in Loop: Header=BB141_24 Depth=1
	v_cvt_f32_u32_e32 v2, s84
	s_sub_u32 s14, 0, s84
	s_subb_u32 s15, 0, 0
	v_fmac_f32_e32 v2, 0, v37
	v_rcp_f32_e32 v2, v2
	s_nop 0
	v_mul_f32_e32 v2, 0x5f7ffffc, v2
	v_mul_f32_e32 v8, 0x2f800000, v2
	v_trunc_f32_e32 v8, v8
	v_fmac_f32_e32 v2, 0xcf800000, v8
	v_cvt_u32_f32_e32 v8, v8
	v_cvt_u32_f32_e32 v2, v2
	v_readfirstlane_b32 s24, v8
	v_readfirstlane_b32 s8, v2
	s_mul_i32 s9, s14, s24
	s_mul_hi_u32 s26, s14, s8
	s_mul_i32 s25, s15, s8
	s_add_i32 s9, s26, s9
	s_mul_i32 s27, s14, s8
	s_add_i32 s9, s9, s25
	s_mul_hi_u32 s26, s8, s27
	s_mul_i32 s28, s8, s9
	s_mul_hi_u32 s25, s8, s9
	s_add_u32 s26, s26, s28
	s_addc_u32 s25, 0, s25
	s_mul_hi_u32 s29, s24, s27
	s_mul_i32 s27, s24, s27
	s_add_u32 s26, s26, s27
	s_mul_hi_u32 s28, s24, s9
	s_addc_u32 s25, s25, s29
	s_addc_u32 s26, s28, 0
	s_mul_i32 s9, s24, s9
	s_add_u32 s9, s25, s9
	s_addc_u32 s25, 0, s26
	s_add_u32 s26, s8, s9
	s_cselect_b64 s[8:9], -1, 0
	s_cmp_lg_u64 s[8:9], 0
	s_addc_u32 s24, s24, s25
	s_mul_i32 s8, s14, s24
	s_mul_hi_u32 s9, s14, s26
	s_add_i32 s8, s9, s8
	s_mul_i32 s15, s15, s26
	s_add_i32 s8, s8, s15
	s_mul_i32 s14, s14, s26
	s_mul_hi_u32 s15, s24, s14
	s_mul_i32 s25, s24, s14
	s_mul_i32 s28, s26, s8
	s_mul_hi_u32 s14, s26, s14
	s_mul_hi_u32 s27, s26, s8
	s_add_u32 s14, s14, s28
	s_addc_u32 s27, 0, s27
	s_add_u32 s14, s14, s25
	s_mul_hi_u32 s9, s24, s8
	s_addc_u32 s14, s27, s15
	s_addc_u32 s9, s9, 0
	s_mul_i32 s8, s24, s8
	s_add_u32 s8, s14, s8
	s_addc_u32 s14, 0, s9
	s_add_u32 s15, s26, s8
	s_cselect_b64 s[8:9], -1, 0
	s_cmp_lg_u64 s[8:9], 0
	s_addc_u32 s8, s24, s14
	s_mul_i32 s14, s31, s8
	s_mul_hi_u32 s24, s31, s15
	s_mul_hi_u32 s9, s31, s8
	s_add_u32 s14, s24, s14
	s_addc_u32 s9, 0, s9
	s_mul_hi_u32 s25, s93, s15
	s_mul_i32 s15, s93, s15
	s_add_u32 s14, s14, s15
	s_mul_hi_u32 s24, s93, s8
	s_addc_u32 s9, s9, s25
	s_addc_u32 s14, s24, 0
	s_mul_i32 s8, s93, s8
	s_add_u32 s8, s9, s8
	s_addc_u32 s9, 0, s14
	s_mul_i32 s9, s84, s9
	s_mul_hi_u32 s14, s84, s8
	s_add_i32 s14, s14, s9
	s_mul_i32 s8, s84, s8
	s_sub_u32 s15, s31, s8
	s_cselect_b64 s[8:9], -1, 0
	s_cmp_lg_u64 s[8:9], 0
	s_subb_u32 s14, s93, s14
	s_sub_u32 s24, s15, s84
	s_cselect_b64 s[8:9], -1, 0
	s_cmp_lg_u64 s[8:9], 0
	s_subb_u32 s25, s14, 0
	;; [unrolled: 4-line block ×3, first 2 shown]
	s_cmp_ge_u32 s24, s84
	s_cselect_b32 s9, -1, 0
	s_cmp_eq_u32 s25, 0
	s_cselect_b32 s9, s9, -1
	s_cmp_lg_u32 s9, 0
	s_cselect_b32 s8, s8, s25
	s_cselect_b32 s24, s26, s24
	s_cmp_ge_u32 s15, s84
	s_cselect_b32 s9, -1, 0
	s_cmp_eq_u32 s14, 0
	s_cselect_b32 s9, s9, -1
	s_cmp_lg_u32 s9, 0
	s_cselect_b32 s9, s8, s14
	s_cselect_b32 s8, s24, s15
	s_mov_b64 s[14:15], 0
	s_branch .LBB141_120
.LBB141_115:                            ;   in Loop: Header=BB141_24 Depth=1
                                        ; implicit-def: $sgpr26_sgpr27
	s_branch .LBB141_101
.LBB141_116:                            ;   in Loop: Header=BB141_24 Depth=1
	s_or_b64 exec, exec, s[14:15]
	s_waitcnt lgkmcnt(0)
	s_barrier
	s_mov_b64 s[0:1], exec
	v_readlane_b32 s2, v61, 16
	v_readlane_b32 s3, v61, 17
	s_and_b64 s[2:3], s[0:1], s[2:3]
	s_mov_b64 exec, s[2:3]
	s_cbranch_execz .LBB141_118
; %bb.117:                              ;   in Loop: Header=BB141_24 Depth=1
	ds_read_b32 v4, v3 offset:5144
	s_waitcnt lgkmcnt(0)
	v_ashrrev_i32_e32 v5, 31, v4
	ds_write_b64 v3, v[4:5] offset:5120
.LBB141_118:                            ;   in Loop: Header=BB141_24 Depth=1
	s_or_b64 exec, exec, s[0:1]
	s_waitcnt lgkmcnt(0)
	s_barrier
	s_mov_b64 s[0:1], -1
	s_and_b64 vcc, exec, s[8:9]
	s_cbranch_vccnz .LBB141_39
	s_branch .LBB141_54
.LBB141_119:                            ;   in Loop: Header=BB141_24 Depth=1
	s_mov_b64 s[14:15], -1
                                        ; implicit-def: $sgpr8_sgpr9
.LBB141_120:                            ;   in Loop: Header=BB141_24 Depth=1
	s_andn2_b64 vcc, exec, s[14:15]
	v_readlane_b32 s92, v61, 45
	s_cbranch_vccnz .LBB141_122
; %bb.121:                              ;   in Loop: Header=BB141_24 Depth=1
	v_cvt_f32_u32_e32 v2, s84
	s_sub_i32 s8, 0, s84
	v_rcp_iflag_f32_e32 v2, v2
	s_nop 0
	v_mul_f32_e32 v2, 0x4f7ffffe, v2
	v_cvt_u32_f32_e32 v2, v2
	s_nop 0
	v_readfirstlane_b32 s9, v2
	s_mul_i32 s8, s8, s9
	s_mul_hi_u32 s8, s9, s8
	s_add_i32 s9, s9, s8
	s_mul_hi_u32 s8, s31, s9
	s_mul_i32 s8, s8, s84
	s_sub_i32 s8, s31, s8
	s_sub_i32 s9, s8, s84
	s_cmp_ge_u32 s8, s84
	s_cselect_b32 s8, s9, s8
	s_sub_i32 s9, s8, s84
	s_cmp_ge_u32 s8, s84
	s_cselect_b32 s86, s9, s8
	s_mov_b64 s[8:9], s[86:87]
.LBB141_122:                            ;   in Loop: Header=BB141_24 Depth=1
	s_sub_u32 s14, s31, s8
	s_subb_u32 s15, s93, s9
	v_cmp_gt_u64_e32 vcc, s[14:15], v[0:1]
                                        ; implicit-def: $vgpr40
	s_and_saveexec_b64 s[8:9], vcc
	s_cbranch_execz .LBB141_131
; %bb.123:                              ;   in Loop: Header=BB141_24 Depth=1
	s_mov_b64 s[24:25], 0
	v_mov_b64_e32 v[8:9], v[0:1]
                                        ; implicit-def: $sgpr26_sgpr27
	s_branch .LBB141_126
.LBB141_124:                            ;   in Loop: Header=BB141_126 Depth=2
	s_or_b64 exec, exec, s[28:29]
	s_waitcnt lgkmcnt(0)
	s_barrier
	ds_read_b32 v2, v3 offset:3072
	s_mov_b64 s[28:29], -1
	s_mov_b64 s[34:35], -1
	s_waitcnt lgkmcnt(0)
	s_barrier
	v_and_b32_e32 v10, 0x7fff, v2
	v_cmp_ne_u32_e32 vcc, 0, v10
	s_cbranch_vccz .LBB141_129
.LBB141_125:                            ;   in Loop: Header=BB141_126 Depth=2
	s_and_b64 s[28:29], exec, s[28:29]
	s_or_b64 s[24:25], s[28:29], s[24:25]
	s_andn2_b64 s[26:27], s[26:27], exec
	s_and_b64 s[28:29], s[34:35], exec
	s_or_b64 s[26:27], s[26:27], s[28:29]
	s_andn2_b64 exec, exec, s[24:25]
	s_cbranch_execz .LBB141_130
.LBB141_126:                            ;   Parent Loop BB141_24 Depth=1
                                        ; =>  This Inner Loop Header: Depth=2
	v_cmp_gt_u64_e32 vcc, s[56:57], v[8:9]
	s_and_saveexec_b64 s[28:29], vcc
	s_cbranch_execz .LBB141_124
; %bb.127:                              ;   in Loop: Header=BB141_126 Depth=2
	v_mul_lo_u32 v2, v9, s72
	v_mul_lo_u32 v26, v8, s73
	v_mad_u64_u32 v[10:11], s[34:35], v8, s72, 0
	v_add3_u32 v11, v11, v26, v2
	v_lshl_add_u64 v[10:11], v[10:11], 1, s[80:81]
	global_load_ushort v2, v[10:11], off
	s_waitcnt vmcnt(0)
	v_cmp_lt_i16_e32 vcc, -1, v2
	v_lshlrev_b32_e32 v10, 16, v2
	s_nop 0
	v_cndmask_b32_e32 v11, v35, v36, vcc
	v_xor_b32_sdwa v11, v11, v2 dst_sel:DWORD dst_unused:UNUSED_PAD src0_sel:DWORD src1_sel:WORD_0
	v_cmp_o_f32_e32 vcc, v10, v10
	s_nop 1
	v_cndmask_b32_e32 v10, v35, v11, vcc
	v_and_b32_e32 v10, v10, v39
	v_cmp_eq_u32_e32 vcc, v10, v18
	s_and_b64 exec, exec, vcc
	s_cbranch_execz .LBB141_124
; %bb.128:                              ;   in Loop: Header=BB141_126 Depth=2
	v_perm_b32 v2, v2, s6, v38
	ds_write_b32 v3, v2 offset:3072
	s_branch .LBB141_124
.LBB141_129:                            ;   in Loop: Header=BB141_126 Depth=2
	v_lshl_add_u64 v[8:9], v[8:9], 0, s[84:85]
	v_cmp_le_u64_e32 vcc, s[14:15], v[8:9]
	s_mov_b64 s[34:35], 0
	s_orn2_b64 s[28:29], vcc, exec
	s_branch .LBB141_125
.LBB141_130:                            ;   in Loop: Header=BB141_24 Depth=1
	s_or_b64 exec, exec, s[24:25]
	s_andn2_b64 s[14:15], s[20:21], exec
	s_and_b64 s[20:21], s[26:27], exec
	v_lshrrev_b32_e32 v40, 16, v2
	s_or_b64 s[20:21], s[14:15], s[20:21]
.LBB141_131:                            ;   in Loop: Header=BB141_24 Depth=1
	s_or_b64 exec, exec, s[8:9]
	s_mov_b64 s[8:9], 0
	s_mov_b64 s[14:15], -1
.LBB141_132:                            ;   in Loop: Header=BB141_24 Depth=1
	s_orn2_b64 s[20:21], s[20:21], exec
.LBB141_133:                            ;   in Loop: Header=BB141_24 Depth=1
	s_or_b64 exec, exec, s[16:17]
	s_andn2_b64 s[10:11], s[10:11], exec
	s_and_b64 s[14:15], s[14:15], exec
	s_andn2_b64 s[12:13], s[12:13], exec
	s_and_b64 s[8:9], s[8:9], exec
	s_andn2_b64 s[70:71], s[70:71], exec
	s_or_b64 s[10:11], s[10:11], s[14:15]
	s_or_b64 s[12:13], s[12:13], s[8:9]
                                        ; implicit-def: $vgpr8_vgpr9
	s_and_saveexec_b64 s[16:17], s[20:21]
	s_cbranch_execz .LBB141_23
; %bb.134:                              ;   in Loop: Header=BB141_24 Depth=1
	s_xor_b64 s[8:9], s[18:19], -1
	v_mov_b32_e32 v2, 1
	s_mov_b64 s[14:15], 0
	v_mov_b64_e32 v[8:9], 1
	s_and_saveexec_b64 s[0:1], s[8:9]
	s_cbranch_execz .LBB141_143
; %bb.135:                              ;   in Loop: Header=BB141_24 Depth=1
	v_cmp_le_u64_e32 vcc, v[24:25], v[4:5]
	s_and_saveexec_b64 s[8:9], vcc
	s_xor_b64 s[8:9], exec, s[8:9]
	s_cbranch_execz .LBB141_140
; %bb.136:                              ;   in Loop: Header=BB141_24 Depth=1
	ds_read_b64 v[8:9], v3 offset:5120
	v_and_b32_e32 v18, s54, v18
	v_or_b32_e32 v39, s66, v39
	s_waitcnt lgkmcnt(0)
	v_cmp_ne_u64_e32 vcc, 0, v[8:9]
	s_cbranch_vccnz .LBB141_140
; %bb.137:                              ;   in Loop: Header=BB141_24 Depth=1
	s_mov_b64 s[14:15], exec
	v_readlane_b32 s18, v61, 16
	v_readlane_b32 s19, v61, 17
	s_and_b64 s[18:19], s[14:15], s[18:19]
	s_mov_b64 exec, s[18:19]
; %bb.138:                              ;   in Loop: Header=BB141_24 Depth=1
	ds_write_b64 v3, v[4:5] offset:5128
; %bb.139:                              ;   in Loop: Header=BB141_24 Depth=1
	s_or_b64 exec, exec, s[14:15]
	s_waitcnt lgkmcnt(0)
	s_barrier
.LBB141_140:                            ;   in Loop: Header=BB141_24 Depth=1
	s_or_saveexec_b64 s[8:9], s[8:9]
	s_mov_b64 s[14:15], 0
	v_mov_b32_e32 v2, 8
	s_xor_b64 exec, exec, s[8:9]
; %bb.141:                              ;   in Loop: Header=BB141_24 Depth=1
	v_sub_co_u32_e32 v24, vcc, v24, v4
	s_mov_b64 s[14:15], exec
	s_nop 0
	v_subb_co_u32_e32 v25, vcc, v25, v5, vcc
	v_mov_b32_e32 v2, 0
; %bb.142:                              ;   in Loop: Header=BB141_24 Depth=1
	s_or_b64 exec, exec, s[8:9]
	s_and_b64 s[14:15], s[14:15], exec
	v_mov_b64_e32 v[8:9], v[24:25]
.LBB141_143:                            ;   in Loop: Header=BB141_24 Depth=1
	s_or_b64 exec, exec, s[0:1]
	s_mov_b64 s[18:19], -1
	s_mov_b64 s[8:9], -1
                                        ; implicit-def: $sgpr0_sgpr1
                                        ; implicit-def: $sgpr24_sgpr25
	s_and_saveexec_b64 s[20:21], s[14:15]
	s_xor_b64 s[20:21], exec, s[20:21]
	s_cbranch_execz .LBB141_288
; %bb.144:                              ;   in Loop: Header=BB141_24 Depth=1
	v_cmp_eq_u64_e32 vcc, 1, v[6:7]
	v_cmp_eq_u64_e64 s[0:1], 1, v[8:9]
	s_and_b64 s[28:29], vcc, s[0:1]
                                        ; implicit-def: $sgpr24_sgpr25
                                        ; implicit-def: $sgpr0_sgpr1
	s_and_saveexec_b64 s[26:27], s[28:29]
	s_cbranch_execz .LBB141_179
; %bb.145:                              ;   in Loop: Header=BB141_24 Depth=1
	ds_read_b64 v[4:5], v3 offset:5120
	s_waitcnt lgkmcnt(0)
	s_barrier
	v_readfirstlane_b32 s14, v4
	v_readfirstlane_b32 s15, v5
	s_mov_b64 s[0:1], exec
	v_readlane_b32 s8, v61, 26
	v_readlane_b32 s9, v61, 27
	s_and_b64 s[8:9], s[0:1], s[8:9]
	s_mov_b64 exec, s[8:9]
; %bb.146:                              ;   in Loop: Header=BB141_24 Depth=1
	ds_write_b16 v30, v3
; %bb.147:                              ;   in Loop: Header=BB141_24 Depth=1
	s_or_b64 exec, exec, s[0:1]
	v_and_b32_e32 v4, s54, v18
	v_lshl_or_b32 v18, 1, s90, v4
	v_or_b32_e32 v39, s66, v39
	s_mov_b64 s[0:1], -1
	s_mov_b64 s[24:25], 0
	s_cmp_eq_u64 s[14:15], 0
	s_mov_b64 s[8:9], 0
	s_mov_b64 s[34:35], -1
	s_waitcnt lgkmcnt(0)
	s_barrier
                                        ; implicit-def: $vgpr40
	s_cbranch_scc1 .LBB141_161
; %bb.148:                              ;   in Loop: Header=BB141_24 Depth=1
	v_readlane_b32 s8, v61, 32
	s_add_u32 s38, s14, s8
	v_readlane_b32 s8, v61, 33
	s_addc_u32 s9, s15, s8
	s_mov_b32 s8, s87
	s_cmp_lg_u64 s[8:9], 0
	s_cbranch_scc0 .LBB141_164
; %bb.149:                              ;   in Loop: Header=BB141_24 Depth=1
	v_cvt_f32_u32_e32 v4, s84
	s_sub_u32 s8, 0, s84
	s_subb_u32 s36, 0, 0
	v_fmac_f32_e32 v4, 0, v37
	v_rcp_f32_e32 v4, v4
	s_nop 0
	v_mul_f32_e32 v4, 0x5f7ffffc, v4
	v_mul_f32_e32 v5, 0x2f800000, v4
	v_trunc_f32_e32 v5, v5
	v_fmac_f32_e32 v4, 0xcf800000, v5
	v_cvt_u32_f32_e32 v5, v5
	v_cvt_u32_f32_e32 v4, v4
	v_readfirstlane_b32 s37, v5
	v_readfirstlane_b32 s34, v4
	s_mul_i32 s35, s8, s37
	s_mul_hi_u32 s40, s8, s34
	s_mul_i32 s39, s36, s34
	s_add_i32 s35, s40, s35
	s_mul_i32 s41, s8, s34
	s_add_i32 s35, s35, s39
	s_mul_hi_u32 s40, s34, s41
	s_mul_i32 s42, s34, s35
	s_mul_hi_u32 s39, s34, s35
	s_add_u32 s40, s40, s42
	s_addc_u32 s39, 0, s39
	s_mul_hi_u32 s43, s37, s41
	s_mul_i32 s41, s37, s41
	s_add_u32 s40, s40, s41
	s_mul_hi_u32 s42, s37, s35
	s_addc_u32 s39, s39, s43
	s_addc_u32 s40, s42, 0
	s_mul_i32 s35, s37, s35
	s_add_u32 s35, s39, s35
	s_addc_u32 s39, 0, s40
	s_add_u32 s40, s34, s35
	s_cselect_b64 s[34:35], -1, 0
	s_cmp_lg_u64 s[34:35], 0
	s_addc_u32 s37, s37, s39
	s_mul_i32 s34, s8, s37
	s_mul_hi_u32 s35, s8, s40
	s_add_i32 s34, s35, s34
	s_mul_i32 s36, s36, s40
	s_add_i32 s34, s34, s36
	s_mul_i32 s8, s8, s40
	s_mul_hi_u32 s36, s37, s8
	s_mul_i32 s39, s37, s8
	s_mul_i32 s42, s40, s34
	s_mul_hi_u32 s8, s40, s8
	s_mul_hi_u32 s41, s40, s34
	s_add_u32 s8, s8, s42
	s_addc_u32 s41, 0, s41
	s_add_u32 s8, s8, s39
	s_mul_hi_u32 s35, s37, s34
	s_addc_u32 s8, s41, s36
	s_addc_u32 s35, s35, 0
	s_mul_i32 s34, s37, s34
	s_add_u32 s8, s8, s34
	s_addc_u32 s36, 0, s35
	s_add_u32 s8, s40, s8
	s_cselect_b64 s[34:35], -1, 0
	s_cmp_lg_u64 s[34:35], 0
	s_addc_u32 s34, s37, s36
	s_mul_i32 s36, s38, s34
	s_mul_hi_u32 s37, s38, s8
	s_mul_hi_u32 s35, s38, s34
	s_add_u32 s36, s37, s36
	s_addc_u32 s35, 0, s35
	s_mul_hi_u32 s39, s9, s8
	s_mul_i32 s8, s9, s8
	s_add_u32 s8, s36, s8
	s_mul_hi_u32 s37, s9, s34
	s_addc_u32 s8, s35, s39
	s_addc_u32 s35, s37, 0
	s_mul_i32 s34, s9, s34
	s_add_u32 s8, s8, s34
	s_addc_u32 s34, 0, s35
	s_mul_i32 s34, s84, s34
	s_mul_hi_u32 s35, s84, s8
	s_add_i32 s36, s35, s34
	s_mul_i32 s8, s84, s8
	s_sub_u32 s8, s38, s8
	s_cselect_b64 s[34:35], -1, 0
	s_cmp_lg_u64 s[34:35], 0
	s_subb_u32 s36, s9, s36
	s_sub_u32 s37, s8, s84
	s_cselect_b64 s[34:35], -1, 0
	s_cmp_lg_u64 s[34:35], 0
	s_subb_u32 s39, s36, 0
	;; [unrolled: 4-line block ×3, first 2 shown]
	s_cmp_ge_u32 s37, s84
	s_cselect_b32 s35, -1, 0
	s_cmp_eq_u32 s39, 0
	s_cselect_b32 s35, s35, -1
	s_cmp_lg_u32 s35, 0
	s_cselect_b32 s34, s34, s39
	s_cselect_b32 s37, s40, s37
	s_cmp_ge_u32 s8, s84
	s_cselect_b32 s35, -1, 0
	s_cmp_eq_u32 s36, 0
	s_cselect_b32 s35, s35, -1
	s_cmp_lg_u32 s35, 0
	s_cselect_b32 s35, s34, s36
	s_cselect_b32 s34, s37, s8
	s_cbranch_execnz .LBB141_151
.LBB141_150:                            ;   in Loop: Header=BB141_24 Depth=1
	v_cvt_f32_u32_e32 v4, s84
	s_sub_i32 s8, 0, s84
	v_rcp_iflag_f32_e32 v4, v4
	s_nop 0
	v_mul_f32_e32 v4, 0x4f7ffffe, v4
	v_cvt_u32_f32_e32 v4, v4
	s_nop 0
	v_readfirstlane_b32 s34, v4
	s_mul_i32 s8, s8, s34
	s_mul_hi_u32 s8, s34, s8
	s_add_i32 s34, s34, s8
	s_mul_hi_u32 s8, s38, s34
	s_mul_i32 s8, s8, s84
	s_sub_i32 s8, s38, s8
	s_sub_i32 s34, s8, s84
	s_cmp_ge_u32 s8, s84
	s_cselect_b32 s8, s34, s8
	s_sub_i32 s34, s8, s84
	s_cmp_ge_u32 s8, s84
	s_cselect_b32 s86, s34, s8
	s_mov_b64 s[34:35], s[86:87]
.LBB141_151:                            ;   in Loop: Header=BB141_24 Depth=1
	s_sub_u32 s38, s38, s34
	s_subb_u32 s39, s9, s35
	v_cmp_gt_u64_e32 vcc, s[38:39], v[0:1]
	s_mov_b64 s[34:35], 0
	s_mov_b64 s[8:9], 0
                                        ; implicit-def: $vgpr40
	s_and_saveexec_b64 s[36:37], vcc
	s_cbranch_execz .LBB141_160
; %bb.152:                              ;   in Loop: Header=BB141_24 Depth=1
	v_mov_b32_e32 v10, v29
	v_mov_b64_e32 v[4:5], v[0:1]
                                        ; implicit-def: $sgpr40_sgpr41
	s_branch .LBB141_155
.LBB141_153:                            ;   in Loop: Header=BB141_155 Depth=2
	s_or_b64 exec, exec, s[42:43]
	s_waitcnt lgkmcnt(0)
	s_barrier
	ds_read_b32 v11, v3 offset:3072
	s_mov_b64 s[42:43], -1
	s_mov_b64 s[44:45], -1
	s_waitcnt lgkmcnt(0)
	s_barrier
	v_and_b32_e32 v24, 0x7fff, v11
	v_cmp_ne_u32_e32 vcc, 0, v24
	s_cbranch_vccz .LBB141_158
.LBB141_154:                            ;   in Loop: Header=BB141_155 Depth=2
	s_and_b64 s[42:43], exec, s[42:43]
	s_or_b64 s[8:9], s[42:43], s[8:9]
	s_andn2_b64 s[40:41], s[40:41], exec
	s_and_b64 s[42:43], s[44:45], exec
	s_or_b64 s[40:41], s[40:41], s[42:43]
	s_andn2_b64 exec, exec, s[8:9]
	s_cbranch_execz .LBB141_159
.LBB141_155:                            ;   Parent Loop BB141_24 Depth=1
                                        ; =>  This Inner Loop Header: Depth=2
	v_cmp_gt_u64_e32 vcc, s[14:15], v[4:5]
	s_and_saveexec_b64 s[42:43], vcc
	s_cbranch_execz .LBB141_153
; %bb.156:                              ;   in Loop: Header=BB141_155 Depth=2
	ds_read_u16 v11, v10
	s_waitcnt lgkmcnt(0)
	v_cmp_lt_i16_e32 vcc, -1, v11
	v_lshlrev_b32_e32 v24, 16, v11
	s_nop 0
	v_cndmask_b32_e32 v25, v35, v36, vcc
	v_xor_b32_sdwa v25, v25, v11 dst_sel:DWORD dst_unused:UNUSED_PAD src0_sel:DWORD src1_sel:WORD_0
	v_cmp_o_f32_e32 vcc, v24, v24
	s_nop 1
	v_cndmask_b32_e32 v24, v35, v25, vcc
	v_and_b32_e32 v24, v24, v39
	v_cmp_eq_u32_e32 vcc, v24, v18
	s_and_b64 exec, exec, vcc
	s_cbranch_execz .LBB141_153
; %bb.157:                              ;   in Loop: Header=BB141_155 Depth=2
	v_perm_b32 v11, v11, s6, v38
	ds_write_b32 v3, v11 offset:3072
	s_branch .LBB141_153
.LBB141_158:                            ;   in Loop: Header=BB141_155 Depth=2
	v_lshl_add_u64 v[4:5], v[4:5], 0, s[84:85]
	v_cmp_le_u64_e32 vcc, s[38:39], v[4:5]
	v_add_u32_e32 v10, s69, v10
	s_mov_b64 s[44:45], 0
	s_orn2_b64 s[42:43], vcc, exec
	s_branch .LBB141_154
.LBB141_159:                            ;   in Loop: Header=BB141_24 Depth=1
	s_or_b64 exec, exec, s[8:9]
	v_lshrrev_b32_e32 v40, 16, v11
	s_and_b64 s[8:9], s[40:41], exec
.LBB141_160:                            ;   in Loop: Header=BB141_24 Depth=1
	s_or_b64 exec, exec, s[36:37]
.LBB141_161:                            ;   in Loop: Header=BB141_24 Depth=1
	s_and_b64 vcc, exec, s[34:35]
	s_cbranch_vccz .LBB141_178
; %bb.162:                              ;   in Loop: Header=BB141_24 Depth=1
	s_mov_b32 s92, s87
	s_cmp_lg_u64 s[92:93], 0
	s_cbranch_scc0 .LBB141_165
; %bb.163:                              ;   in Loop: Header=BB141_24 Depth=1
	v_cvt_f32_u32_e32 v4, s84
	s_sub_u32 s14, 0, s84
	s_subb_u32 s15, 0, 0
	v_fmac_f32_e32 v4, 0, v37
	v_rcp_f32_e32 v4, v4
	s_nop 0
	v_mul_f32_e32 v4, 0x5f7ffffc, v4
	v_mul_f32_e32 v5, 0x2f800000, v4
	v_trunc_f32_e32 v5, v5
	v_fmac_f32_e32 v4, 0xcf800000, v5
	v_cvt_u32_f32_e32 v5, v5
	v_cvt_u32_f32_e32 v4, v4
	v_readfirstlane_b32 s24, v5
	v_readfirstlane_b32 s0, v4
	s_mul_i32 s1, s14, s24
	s_mul_hi_u32 s34, s14, s0
	s_mul_i32 s25, s15, s0
	s_add_i32 s1, s34, s1
	s_mul_i32 s35, s14, s0
	s_add_i32 s1, s1, s25
	s_mul_hi_u32 s34, s0, s35
	s_mul_i32 s36, s0, s1
	s_mul_hi_u32 s25, s0, s1
	s_add_u32 s34, s34, s36
	s_addc_u32 s25, 0, s25
	s_mul_hi_u32 s37, s24, s35
	s_mul_i32 s35, s24, s35
	s_add_u32 s34, s34, s35
	s_mul_hi_u32 s36, s24, s1
	s_addc_u32 s25, s25, s37
	s_addc_u32 s34, s36, 0
	s_mul_i32 s1, s24, s1
	s_add_u32 s1, s25, s1
	s_addc_u32 s25, 0, s34
	s_add_u32 s34, s0, s1
	s_cselect_b64 s[0:1], -1, 0
	s_cmp_lg_u64 s[0:1], 0
	s_addc_u32 s24, s24, s25
	s_mul_i32 s0, s14, s24
	s_mul_hi_u32 s1, s14, s34
	s_add_i32 s0, s1, s0
	s_mul_i32 s15, s15, s34
	s_add_i32 s0, s0, s15
	s_mul_i32 s14, s14, s34
	s_mul_hi_u32 s15, s24, s14
	s_mul_i32 s25, s24, s14
	s_mul_i32 s36, s34, s0
	s_mul_hi_u32 s14, s34, s14
	s_mul_hi_u32 s35, s34, s0
	s_add_u32 s14, s14, s36
	s_addc_u32 s35, 0, s35
	s_add_u32 s14, s14, s25
	s_mul_hi_u32 s1, s24, s0
	s_addc_u32 s14, s35, s15
	s_addc_u32 s1, s1, 0
	s_mul_i32 s0, s24, s0
	s_add_u32 s0, s14, s0
	s_addc_u32 s14, 0, s1
	s_add_u32 s15, s34, s0
	s_cselect_b64 s[0:1], -1, 0
	s_cmp_lg_u64 s[0:1], 0
	s_addc_u32 s0, s24, s14
	s_mul_i32 s14, s31, s0
	s_mul_hi_u32 s24, s31, s15
	s_mul_hi_u32 s1, s31, s0
	s_add_u32 s14, s24, s14
	s_addc_u32 s1, 0, s1
	s_mul_hi_u32 s25, s93, s15
	s_mul_i32 s15, s93, s15
	s_add_u32 s14, s14, s15
	s_mul_hi_u32 s24, s93, s0
	s_addc_u32 s1, s1, s25
	s_addc_u32 s14, s24, 0
	s_mul_i32 s0, s93, s0
	s_add_u32 s0, s1, s0
	s_addc_u32 s1, 0, s14
	s_mul_i32 s1, s84, s1
	s_mul_hi_u32 s14, s84, s0
	s_add_i32 s14, s14, s1
	s_mul_i32 s0, s84, s0
	s_sub_u32 s15, s31, s0
	s_cselect_b64 s[0:1], -1, 0
	s_cmp_lg_u64 s[0:1], 0
	s_subb_u32 s14, s93, s14
	s_sub_u32 s24, s15, s84
	s_cselect_b64 s[0:1], -1, 0
	s_cmp_lg_u64 s[0:1], 0
	s_subb_u32 s25, s14, 0
	;; [unrolled: 4-line block ×3, first 2 shown]
	s_cmp_ge_u32 s24, s84
	s_cselect_b32 s1, -1, 0
	s_cmp_eq_u32 s25, 0
	s_cselect_b32 s1, s1, -1
	s_cmp_lg_u32 s1, 0
	s_cselect_b32 s0, s0, s25
	s_cselect_b32 s24, s34, s24
	s_cmp_ge_u32 s15, s84
	s_cselect_b32 s1, -1, 0
	s_cmp_eq_u32 s14, 0
	s_cselect_b32 s1, s1, -1
	s_cmp_lg_u32 s1, 0
	s_cselect_b32 s1, s0, s14
	s_cselect_b32 s0, s24, s15
	s_mov_b64 s[14:15], 0
	s_branch .LBB141_166
.LBB141_164:                            ;   in Loop: Header=BB141_24 Depth=1
                                        ; implicit-def: $sgpr34_sgpr35
	s_branch .LBB141_150
.LBB141_165:                            ;   in Loop: Header=BB141_24 Depth=1
	s_mov_b64 s[14:15], -1
                                        ; implicit-def: $sgpr0_sgpr1
.LBB141_166:                            ;   in Loop: Header=BB141_24 Depth=1
	s_andn2_b64 vcc, exec, s[14:15]
	v_readlane_b32 s92, v61, 45
	s_cbranch_vccnz .LBB141_168
; %bb.167:                              ;   in Loop: Header=BB141_24 Depth=1
	v_cvt_f32_u32_e32 v4, s84
	s_sub_i32 s0, 0, s84
	v_rcp_iflag_f32_e32 v4, v4
	s_nop 0
	v_mul_f32_e32 v4, 0x4f7ffffe, v4
	v_cvt_u32_f32_e32 v4, v4
	s_nop 0
	v_readfirstlane_b32 s1, v4
	s_mul_i32 s0, s0, s1
	s_mul_hi_u32 s0, s1, s0
	s_add_i32 s1, s1, s0
	s_mul_hi_u32 s0, s31, s1
	s_mul_i32 s0, s0, s84
	s_sub_i32 s0, s31, s0
	s_sub_i32 s1, s0, s84
	s_cmp_ge_u32 s0, s84
	s_cselect_b32 s0, s1, s0
	s_sub_i32 s1, s0, s84
	s_cmp_ge_u32 s0, s84
	s_cselect_b32 s86, s1, s0
	s_mov_b64 s[0:1], s[86:87]
.LBB141_168:                            ;   in Loop: Header=BB141_24 Depth=1
	s_sub_u32 s14, s31, s0
	s_subb_u32 s15, s93, s1
	v_cmp_gt_u64_e32 vcc, s[14:15], v[0:1]
                                        ; implicit-def: $vgpr40
	s_and_saveexec_b64 s[0:1], vcc
	s_cbranch_execz .LBB141_177
; %bb.169:                              ;   in Loop: Header=BB141_24 Depth=1
	s_mov_b64 s[24:25], 0
	v_mov_b64_e32 v[4:5], v[0:1]
                                        ; implicit-def: $sgpr34_sgpr35
	s_branch .LBB141_172
.LBB141_170:                            ;   in Loop: Header=BB141_172 Depth=2
	s_or_b64 exec, exec, s[36:37]
	s_waitcnt lgkmcnt(0)
	s_barrier
	ds_read_b32 v10, v3 offset:3072
	s_mov_b64 s[36:37], -1
	s_mov_b64 s[38:39], -1
	s_waitcnt lgkmcnt(0)
	s_barrier
	v_and_b32_e32 v11, 0x7fff, v10
	v_cmp_eq_u32_e32 vcc, 0, v11
	s_cbranch_vccnz .LBB141_175
.LBB141_171:                            ;   in Loop: Header=BB141_172 Depth=2
	s_and_b64 s[36:37], exec, s[36:37]
	s_or_b64 s[24:25], s[36:37], s[24:25]
	s_andn2_b64 s[34:35], s[34:35], exec
	s_and_b64 s[36:37], s[38:39], exec
	s_or_b64 s[34:35], s[34:35], s[36:37]
	s_andn2_b64 exec, exec, s[24:25]
	s_cbranch_execz .LBB141_176
.LBB141_172:                            ;   Parent Loop BB141_24 Depth=1
                                        ; =>  This Inner Loop Header: Depth=2
	v_cmp_gt_u64_e32 vcc, s[56:57], v[4:5]
	s_and_saveexec_b64 s[36:37], vcc
	s_cbranch_execz .LBB141_170
; %bb.173:                              ;   in Loop: Header=BB141_172 Depth=2
	v_mul_lo_u32 v24, v5, s72
	v_mul_lo_u32 v25, v4, s73
	v_mad_u64_u32 v[10:11], s[38:39], v4, s72, 0
	v_add3_u32 v11, v11, v25, v24
	v_lshl_add_u64 v[10:11], v[10:11], 1, s[80:81]
	global_load_ushort v10, v[10:11], off
	s_waitcnt vmcnt(0)
	v_cmp_lt_i16_e32 vcc, -1, v10
	v_lshlrev_b32_e32 v11, 16, v10
	s_nop 0
	v_cndmask_b32_e32 v24, v35, v36, vcc
	v_xor_b32_sdwa v24, v24, v10 dst_sel:DWORD dst_unused:UNUSED_PAD src0_sel:DWORD src1_sel:WORD_0
	v_cmp_o_f32_e32 vcc, v11, v11
	s_nop 1
	v_cndmask_b32_e32 v11, v35, v24, vcc
	v_and_b32_e32 v11, v11, v39
	v_cmp_eq_u32_e32 vcc, v11, v18
	s_and_b64 exec, exec, vcc
	s_cbranch_execz .LBB141_170
; %bb.174:                              ;   in Loop: Header=BB141_172 Depth=2
	v_perm_b32 v10, v10, s6, v38
	ds_write_b32 v3, v10 offset:3072
	s_branch .LBB141_170
.LBB141_175:                            ;   in Loop: Header=BB141_172 Depth=2
	v_lshl_add_u64 v[4:5], v[4:5], 0, s[84:85]
	v_cmp_le_u64_e32 vcc, s[14:15], v[4:5]
	s_mov_b64 s[38:39], 0
	s_orn2_b64 s[36:37], vcc, exec
	s_branch .LBB141_171
.LBB141_176:                            ;   in Loop: Header=BB141_24 Depth=1
	s_or_b64 exec, exec, s[24:25]
	s_andn2_b64 s[8:9], s[8:9], exec
	s_and_b64 s[14:15], s[34:35], exec
	v_lshrrev_b32_e32 v40, 16, v10
	s_or_b64 s[8:9], s[8:9], s[14:15]
.LBB141_177:                            ;   in Loop: Header=BB141_24 Depth=1
	s_or_b64 exec, exec, s[0:1]
	s_mov_b64 s[0:1], 0
	s_mov_b64 s[24:25], -1
.LBB141_178:                            ;   in Loop: Header=BB141_24 Depth=1
	s_orn2_b64 s[8:9], s[8:9], exec
.LBB141_179:                            ;   in Loop: Header=BB141_24 Depth=1
	s_or_b64 exec, exec, s[26:27]
	s_mov_b64 s[14:15], 0
	s_and_saveexec_b64 s[26:27], s[8:9]
	s_cbranch_execz .LBB141_287
; %bb.180:                              ;   in Loop: Header=BB141_24 Depth=1
	s_xor_b64 s[28:29], s[28:29], -1
	v_mov_b32_e32 v2, 1
	v_mov_b64_e32 v[4:5], 1
	s_and_saveexec_b64 s[8:9], s[28:29]
	s_cbranch_execz .LBB141_190
; %bb.181:                              ;   in Loop: Header=BB141_24 Depth=1
	v_cmp_le_u64_e32 vcc, v[8:9], v[6:7]
	s_and_saveexec_b64 s[14:15], vcc
	s_xor_b64 s[14:15], exec, s[14:15]
	s_cbranch_execz .LBB141_187
; %bb.182:                              ;   in Loop: Header=BB141_24 Depth=1
	ds_read_b64 v[4:5], v3 offset:5120
	v_and_b32_e32 v2, s54, v18
	v_lshl_or_b32 v18, 1, s90, v2
	v_or_b32_e32 v39, s66, v39
	s_waitcnt lgkmcnt(0)
	v_cmp_ne_u64_e32 vcc, 0, v[4:5]
	s_cbranch_vccnz .LBB141_186
; %bb.183:                              ;   in Loop: Header=BB141_24 Depth=1
	s_mov_b64 s[28:29], exec
	v_readlane_b32 s34, v61, 16
	v_readlane_b32 s35, v61, 17
	s_and_b64 s[34:35], s[28:29], s[34:35]
	s_mov_b64 exec, s[34:35]
; %bb.184:                              ;   in Loop: Header=BB141_24 Depth=1
	ds_write_b64 v3, v[6:7] offset:5128
; %bb.185:                              ;   in Loop: Header=BB141_24 Depth=1
	s_or_b64 exec, exec, s[28:29]
	s_waitcnt lgkmcnt(0)
	s_barrier
.LBB141_186:                            ;   in Loop: Header=BB141_24 Depth=1
                                        ; implicit-def: $vgpr4_vgpr5_vgpr6_vgpr7
.LBB141_187:                            ;   in Loop: Header=BB141_24 Depth=1
	s_or_saveexec_b64 s[14:15], s[14:15]
	s_mov_b64 s[28:29], 0
	v_mov_b32_e32 v2, 8
	s_xor_b64 exec, exec, s[14:15]
; %bb.188:                              ;   in Loop: Header=BB141_24 Depth=1
	v_sub_co_u32_e32 v8, vcc, v8, v6
	s_mov_b64 s[28:29], exec
	s_nop 0
	v_subb_co_u32_e32 v9, vcc, v9, v7, vcc
	v_mov_b32_e32 v2, 0
; %bb.189:                              ;   in Loop: Header=BB141_24 Depth=1
	s_or_b64 exec, exec, s[14:15]
	s_and_b64 s[14:15], s[28:29], exec
	v_mov_b64_e32 v[4:5], v[8:9]
.LBB141_190:                            ;   in Loop: Header=BB141_24 Depth=1
	s_or_b64 exec, exec, s[8:9]
	s_mov_b64 s[8:9], -1
                                        ; implicit-def: $sgpr34_sgpr35
                                        ; implicit-def: $sgpr36_sgpr37
	s_and_saveexec_b64 s[28:29], s[14:15]
	s_cbranch_execz .LBB141_286
; %bb.191:                              ;   in Loop: Header=BB141_24 Depth=1
	s_cmp_eq_u64 s[22:23], 1
	s_cselect_b64 s[8:9], -1, 0
	v_cmp_eq_u64_e32 vcc, 1, v[4:5]
	s_and_b64 s[40:41], s[8:9], vcc
	s_mov_b64 s[8:9], -1
                                        ; implicit-def: $sgpr36_sgpr37
                                        ; implicit-def: $sgpr34_sgpr35
	s_and_saveexec_b64 s[38:39], s[40:41]
	s_cbranch_execz .LBB141_226
; %bb.192:                              ;   in Loop: Header=BB141_24 Depth=1
	ds_read_b64 v[6:7], v3 offset:5120
	s_waitcnt lgkmcnt(0)
	s_barrier
	v_readfirstlane_b32 s14, v6
	v_readfirstlane_b32 s15, v7
	s_mov_b64 s[8:9], exec
	v_readlane_b32 s34, v61, 26
	v_readlane_b32 s35, v61, 27
	s_and_b64 s[34:35], s[8:9], s[34:35]
	s_mov_b64 exec, s[34:35]
; %bb.193:                              ;   in Loop: Header=BB141_24 Depth=1
	ds_write_b16 v30, v3
; %bb.194:                              ;   in Loop: Header=BB141_24 Depth=1
	s_or_b64 exec, exec, s[8:9]
	v_and_b32_e32 v6, s54, v18
	v_lshl_or_b32 v18, 2, s90, v6
	v_or_b32_e32 v39, s66, v39
	s_mov_b64 s[34:35], -1
	s_mov_b64 s[36:37], 0
	s_cmp_eq_u64 s[14:15], 0
	s_mov_b64 s[8:9], 0
	s_mov_b64 s[42:43], -1
	s_waitcnt lgkmcnt(0)
	s_barrier
                                        ; implicit-def: $vgpr40
	s_cbranch_scc1 .LBB141_208
; %bb.195:                              ;   in Loop: Header=BB141_24 Depth=1
	v_readlane_b32 s8, v61, 32
	s_add_u32 s46, s14, s8
	v_readlane_b32 s8, v61, 33
	s_addc_u32 s9, s15, s8
	s_mov_b32 s8, s87
	s_cmp_lg_u64 s[8:9], 0
	s_cbranch_scc0 .LBB141_211
; %bb.196:                              ;   in Loop: Header=BB141_24 Depth=1
	v_cvt_f32_u32_e32 v6, s84
	s_sub_u32 s8, 0, s84
	s_subb_u32 s44, 0, 0
	v_fmac_f32_e32 v6, 0, v37
	v_rcp_f32_e32 v6, v6
	s_nop 0
	v_mul_f32_e32 v6, 0x5f7ffffc, v6
	v_mul_f32_e32 v7, 0x2f800000, v6
	v_trunc_f32_e32 v7, v7
	v_fmac_f32_e32 v6, 0xcf800000, v7
	v_cvt_u32_f32_e32 v7, v7
	v_cvt_u32_f32_e32 v6, v6
	v_readfirstlane_b32 s45, v7
	v_readfirstlane_b32 s42, v6
	s_mul_i32 s43, s8, s45
	s_mul_hi_u32 s48, s8, s42
	s_mul_i32 s47, s44, s42
	s_add_i32 s43, s48, s43
	s_mul_i32 s49, s8, s42
	s_add_i32 s43, s43, s47
	s_mul_hi_u32 s48, s42, s49
	s_mul_i32 s50, s42, s43
	s_mul_hi_u32 s47, s42, s43
	s_add_u32 s48, s48, s50
	s_addc_u32 s47, 0, s47
	s_mul_hi_u32 s51, s45, s49
	s_mul_i32 s49, s45, s49
	s_add_u32 s48, s48, s49
	s_mul_hi_u32 s50, s45, s43
	s_addc_u32 s47, s47, s51
	s_addc_u32 s48, s50, 0
	s_mul_i32 s43, s45, s43
	s_add_u32 s43, s47, s43
	s_addc_u32 s47, 0, s48
	s_add_u32 s48, s42, s43
	s_cselect_b64 s[42:43], -1, 0
	s_cmp_lg_u64 s[42:43], 0
	s_addc_u32 s45, s45, s47
	s_mul_i32 s42, s8, s45
	s_mul_hi_u32 s43, s8, s48
	s_add_i32 s42, s43, s42
	s_mul_i32 s44, s44, s48
	s_add_i32 s42, s42, s44
	s_mul_i32 s8, s8, s48
	s_mul_hi_u32 s44, s45, s8
	s_mul_i32 s47, s45, s8
	s_mul_i32 s50, s48, s42
	s_mul_hi_u32 s8, s48, s8
	s_mul_hi_u32 s49, s48, s42
	s_add_u32 s8, s8, s50
	s_addc_u32 s49, 0, s49
	s_add_u32 s8, s8, s47
	s_mul_hi_u32 s43, s45, s42
	s_addc_u32 s8, s49, s44
	s_addc_u32 s43, s43, 0
	s_mul_i32 s42, s45, s42
	s_add_u32 s8, s8, s42
	s_addc_u32 s44, 0, s43
	s_add_u32 s8, s48, s8
	s_cselect_b64 s[42:43], -1, 0
	s_cmp_lg_u64 s[42:43], 0
	s_addc_u32 s42, s45, s44
	s_mul_i32 s44, s46, s42
	s_mul_hi_u32 s45, s46, s8
	s_mul_hi_u32 s43, s46, s42
	s_add_u32 s44, s45, s44
	s_addc_u32 s43, 0, s43
	s_mul_hi_u32 s47, s9, s8
	s_mul_i32 s8, s9, s8
	s_add_u32 s8, s44, s8
	s_mul_hi_u32 s45, s9, s42
	s_addc_u32 s8, s43, s47
	s_addc_u32 s43, s45, 0
	s_mul_i32 s42, s9, s42
	s_add_u32 s8, s8, s42
	s_addc_u32 s42, 0, s43
	s_mul_i32 s42, s84, s42
	s_mul_hi_u32 s43, s84, s8
	s_add_i32 s44, s43, s42
	s_mul_i32 s8, s84, s8
	s_sub_u32 s8, s46, s8
	s_cselect_b64 s[42:43], -1, 0
	s_cmp_lg_u64 s[42:43], 0
	s_subb_u32 s44, s9, s44
	s_sub_u32 s45, s8, s84
	s_cselect_b64 s[42:43], -1, 0
	s_cmp_lg_u64 s[42:43], 0
	s_subb_u32 s47, s44, 0
	;; [unrolled: 4-line block ×3, first 2 shown]
	s_cmp_ge_u32 s45, s84
	s_cselect_b32 s43, -1, 0
	s_cmp_eq_u32 s47, 0
	s_cselect_b32 s43, s43, -1
	s_cmp_lg_u32 s43, 0
	s_cselect_b32 s42, s42, s47
	s_cselect_b32 s45, s48, s45
	s_cmp_ge_u32 s8, s84
	s_cselect_b32 s43, -1, 0
	s_cmp_eq_u32 s44, 0
	s_cselect_b32 s43, s43, -1
	s_cmp_lg_u32 s43, 0
	s_cselect_b32 s43, s42, s44
	s_cselect_b32 s42, s45, s8
	s_cbranch_execnz .LBB141_198
.LBB141_197:                            ;   in Loop: Header=BB141_24 Depth=1
	v_cvt_f32_u32_e32 v6, s84
	s_sub_i32 s8, 0, s84
	v_rcp_iflag_f32_e32 v6, v6
	s_nop 0
	v_mul_f32_e32 v6, 0x4f7ffffe, v6
	v_cvt_u32_f32_e32 v6, v6
	s_nop 0
	v_readfirstlane_b32 s42, v6
	s_mul_i32 s8, s8, s42
	s_mul_hi_u32 s8, s42, s8
	s_add_i32 s42, s42, s8
	s_mul_hi_u32 s8, s46, s42
	s_mul_i32 s8, s8, s84
	s_sub_i32 s8, s46, s8
	s_sub_i32 s42, s8, s84
	s_cmp_ge_u32 s8, s84
	s_cselect_b32 s8, s42, s8
	s_sub_i32 s42, s8, s84
	s_cmp_ge_u32 s8, s84
	s_cselect_b32 s86, s42, s8
	s_mov_b64 s[42:43], s[86:87]
.LBB141_198:                            ;   in Loop: Header=BB141_24 Depth=1
	s_sub_u32 s46, s46, s42
	s_subb_u32 s47, s9, s43
	v_cmp_gt_u64_e32 vcc, s[46:47], v[0:1]
	s_mov_b64 s[42:43], 0
	s_mov_b64 s[8:9], 0
                                        ; implicit-def: $vgpr40
	s_and_saveexec_b64 s[44:45], vcc
	s_cbranch_execz .LBB141_207
; %bb.199:                              ;   in Loop: Header=BB141_24 Depth=1
	v_mov_b32_e32 v8, v29
	v_mov_b64_e32 v[6:7], v[0:1]
                                        ; implicit-def: $sgpr48_sgpr49
	s_branch .LBB141_202
.LBB141_200:                            ;   in Loop: Header=BB141_202 Depth=2
	s_or_b64 exec, exec, s[50:51]
	s_waitcnt lgkmcnt(0)
	s_barrier
	ds_read_b32 v9, v3 offset:3072
	s_mov_b64 s[50:51], -1
	s_mov_b64 s[52:53], -1
	s_waitcnt lgkmcnt(0)
	s_barrier
	v_and_b32_e32 v10, 0x7fff, v9
	v_cmp_ne_u32_e32 vcc, 0, v10
	s_cbranch_vccz .LBB141_205
.LBB141_201:                            ;   in Loop: Header=BB141_202 Depth=2
	s_and_b64 s[50:51], exec, s[50:51]
	s_or_b64 s[8:9], s[50:51], s[8:9]
	s_andn2_b64 s[48:49], s[48:49], exec
	s_and_b64 s[50:51], s[52:53], exec
	s_or_b64 s[48:49], s[48:49], s[50:51]
	s_andn2_b64 exec, exec, s[8:9]
	s_cbranch_execz .LBB141_206
.LBB141_202:                            ;   Parent Loop BB141_24 Depth=1
                                        ; =>  This Inner Loop Header: Depth=2
	v_cmp_gt_u64_e32 vcc, s[14:15], v[6:7]
	s_and_saveexec_b64 s[50:51], vcc
	s_cbranch_execz .LBB141_200
; %bb.203:                              ;   in Loop: Header=BB141_202 Depth=2
	ds_read_u16 v9, v8
	s_waitcnt lgkmcnt(0)
	v_cmp_lt_i16_e32 vcc, -1, v9
	v_lshlrev_b32_e32 v10, 16, v9
	s_nop 0
	v_cndmask_b32_e32 v11, v35, v36, vcc
	v_xor_b32_sdwa v11, v11, v9 dst_sel:DWORD dst_unused:UNUSED_PAD src0_sel:DWORD src1_sel:WORD_0
	v_cmp_o_f32_e32 vcc, v10, v10
	s_nop 1
	v_cndmask_b32_e32 v10, v35, v11, vcc
	v_and_b32_e32 v10, v10, v39
	v_cmp_eq_u32_e32 vcc, v10, v18
	s_and_b64 exec, exec, vcc
	s_cbranch_execz .LBB141_200
; %bb.204:                              ;   in Loop: Header=BB141_202 Depth=2
	v_perm_b32 v9, v9, s6, v38
	ds_write_b32 v3, v9 offset:3072
	s_branch .LBB141_200
.LBB141_205:                            ;   in Loop: Header=BB141_202 Depth=2
	v_lshl_add_u64 v[6:7], v[6:7], 0, s[84:85]
	v_cmp_le_u64_e32 vcc, s[46:47], v[6:7]
	v_add_u32_e32 v8, s69, v8
	s_mov_b64 s[52:53], 0
	s_orn2_b64 s[50:51], vcc, exec
	s_branch .LBB141_201
.LBB141_206:                            ;   in Loop: Header=BB141_24 Depth=1
	s_or_b64 exec, exec, s[8:9]
	v_lshrrev_b32_e32 v40, 16, v9
	s_and_b64 s[8:9], s[48:49], exec
.LBB141_207:                            ;   in Loop: Header=BB141_24 Depth=1
	s_or_b64 exec, exec, s[44:45]
.LBB141_208:                            ;   in Loop: Header=BB141_24 Depth=1
	s_and_b64 vcc, exec, s[42:43]
	s_cbranch_vccz .LBB141_225
; %bb.209:                              ;   in Loop: Header=BB141_24 Depth=1
	s_mov_b32 s92, s87
	s_cmp_lg_u64 s[92:93], 0
	s_cbranch_scc0 .LBB141_212
; %bb.210:                              ;   in Loop: Header=BB141_24 Depth=1
	v_cvt_f32_u32_e32 v6, s84
	s_sub_u32 s34, 0, s84
	s_subb_u32 s35, 0, 0
	v_fmac_f32_e32 v6, 0, v37
	v_rcp_f32_e32 v6, v6
	s_nop 0
	v_mul_f32_e32 v6, 0x5f7ffffc, v6
	v_mul_f32_e32 v7, 0x2f800000, v6
	v_trunc_f32_e32 v7, v7
	v_fmac_f32_e32 v6, 0xcf800000, v7
	v_cvt_u32_f32_e32 v7, v7
	v_cvt_u32_f32_e32 v6, v6
	v_readfirstlane_b32 s36, v7
	v_readfirstlane_b32 s14, v6
	s_mul_i32 s15, s34, s36
	s_mul_hi_u32 s42, s34, s14
	s_mul_i32 s37, s35, s14
	s_add_i32 s15, s42, s15
	s_mul_i32 s43, s34, s14
	s_add_i32 s15, s15, s37
	s_mul_hi_u32 s42, s14, s43
	s_mul_i32 s44, s14, s15
	s_mul_hi_u32 s37, s14, s15
	s_add_u32 s42, s42, s44
	s_addc_u32 s37, 0, s37
	s_mul_hi_u32 s45, s36, s43
	s_mul_i32 s43, s36, s43
	s_add_u32 s42, s42, s43
	s_mul_hi_u32 s44, s36, s15
	s_addc_u32 s37, s37, s45
	s_addc_u32 s42, s44, 0
	s_mul_i32 s15, s36, s15
	s_add_u32 s15, s37, s15
	s_addc_u32 s37, 0, s42
	s_add_u32 s42, s14, s15
	s_cselect_b64 s[14:15], -1, 0
	s_cmp_lg_u64 s[14:15], 0
	s_addc_u32 s36, s36, s37
	s_mul_i32 s14, s34, s36
	s_mul_hi_u32 s15, s34, s42
	s_add_i32 s14, s15, s14
	s_mul_i32 s35, s35, s42
	s_add_i32 s14, s14, s35
	s_mul_i32 s34, s34, s42
	s_mul_hi_u32 s35, s36, s34
	s_mul_i32 s37, s36, s34
	s_mul_i32 s44, s42, s14
	s_mul_hi_u32 s34, s42, s34
	s_mul_hi_u32 s43, s42, s14
	s_add_u32 s34, s34, s44
	s_addc_u32 s43, 0, s43
	s_add_u32 s34, s34, s37
	s_mul_hi_u32 s15, s36, s14
	s_addc_u32 s34, s43, s35
	s_addc_u32 s15, s15, 0
	s_mul_i32 s14, s36, s14
	s_add_u32 s14, s34, s14
	s_addc_u32 s34, 0, s15
	s_add_u32 s35, s42, s14
	s_cselect_b64 s[14:15], -1, 0
	s_cmp_lg_u64 s[14:15], 0
	s_addc_u32 s14, s36, s34
	s_mul_i32 s34, s31, s14
	s_mul_hi_u32 s36, s31, s35
	s_mul_hi_u32 s15, s31, s14
	s_add_u32 s34, s36, s34
	s_addc_u32 s15, 0, s15
	s_mul_hi_u32 s37, s93, s35
	s_mul_i32 s35, s93, s35
	s_add_u32 s34, s34, s35
	s_mul_hi_u32 s36, s93, s14
	s_addc_u32 s15, s15, s37
	s_addc_u32 s34, s36, 0
	s_mul_i32 s14, s93, s14
	s_add_u32 s14, s15, s14
	s_addc_u32 s15, 0, s34
	s_mul_i32 s15, s84, s15
	s_mul_hi_u32 s34, s84, s14
	s_add_i32 s34, s34, s15
	s_mul_i32 s14, s84, s14
	s_sub_u32 s35, s31, s14
	s_cselect_b64 s[14:15], -1, 0
	s_cmp_lg_u64 s[14:15], 0
	s_subb_u32 s34, s93, s34
	s_sub_u32 s36, s35, s84
	s_cselect_b64 s[14:15], -1, 0
	s_cmp_lg_u64 s[14:15], 0
	s_subb_u32 s37, s34, 0
	;; [unrolled: 4-line block ×3, first 2 shown]
	s_cmp_ge_u32 s36, s84
	s_cselect_b32 s15, -1, 0
	s_cmp_eq_u32 s37, 0
	s_cselect_b32 s15, s15, -1
	s_cmp_lg_u32 s15, 0
	s_cselect_b32 s14, s14, s37
	s_cselect_b32 s36, s42, s36
	s_cmp_ge_u32 s35, s84
	s_cselect_b32 s15, -1, 0
	s_cmp_eq_u32 s34, 0
	s_cselect_b32 s15, s15, -1
	s_cmp_lg_u32 s15, 0
	s_cselect_b32 s15, s14, s34
	s_cselect_b32 s14, s36, s35
	s_mov_b64 s[34:35], 0
	s_branch .LBB141_213
.LBB141_211:                            ;   in Loop: Header=BB141_24 Depth=1
                                        ; implicit-def: $sgpr42_sgpr43
	s_branch .LBB141_197
.LBB141_212:                            ;   in Loop: Header=BB141_24 Depth=1
	s_mov_b64 s[34:35], -1
                                        ; implicit-def: $sgpr14_sgpr15
.LBB141_213:                            ;   in Loop: Header=BB141_24 Depth=1
	s_andn2_b64 vcc, exec, s[34:35]
	v_readlane_b32 s92, v61, 45
	s_cbranch_vccnz .LBB141_215
; %bb.214:                              ;   in Loop: Header=BB141_24 Depth=1
	v_cvt_f32_u32_e32 v6, s84
	s_sub_i32 s14, 0, s84
	v_rcp_iflag_f32_e32 v6, v6
	s_nop 0
	v_mul_f32_e32 v6, 0x4f7ffffe, v6
	v_cvt_u32_f32_e32 v6, v6
	s_nop 0
	v_readfirstlane_b32 s15, v6
	s_mul_i32 s14, s14, s15
	s_mul_hi_u32 s14, s15, s14
	s_add_i32 s15, s15, s14
	s_mul_hi_u32 s14, s31, s15
	s_mul_i32 s14, s14, s84
	s_sub_i32 s14, s31, s14
	s_sub_i32 s15, s14, s84
	s_cmp_ge_u32 s14, s84
	s_cselect_b32 s14, s15, s14
	s_sub_i32 s15, s14, s84
	s_cmp_ge_u32 s14, s84
	s_cselect_b32 s86, s15, s14
	s_mov_b64 s[14:15], s[86:87]
.LBB141_215:                            ;   in Loop: Header=BB141_24 Depth=1
	s_sub_u32 s34, s31, s14
	s_subb_u32 s35, s93, s15
	v_cmp_gt_u64_e32 vcc, s[34:35], v[0:1]
                                        ; implicit-def: $vgpr40
	s_and_saveexec_b64 s[14:15], vcc
	s_cbranch_execz .LBB141_224
; %bb.216:                              ;   in Loop: Header=BB141_24 Depth=1
	s_mov_b64 s[36:37], 0
	v_mov_b64_e32 v[6:7], v[0:1]
                                        ; implicit-def: $sgpr42_sgpr43
	s_branch .LBB141_219
.LBB141_217:                            ;   in Loop: Header=BB141_219 Depth=2
	s_or_b64 exec, exec, s[44:45]
	s_waitcnt lgkmcnt(0)
	s_barrier
	ds_read_b32 v8, v3 offset:3072
	s_mov_b64 s[44:45], -1
	s_mov_b64 s[46:47], -1
	s_waitcnt lgkmcnt(0)
	s_barrier
	v_and_b32_e32 v9, 0x7fff, v8
	v_cmp_eq_u32_e32 vcc, 0, v9
	s_cbranch_vccnz .LBB141_222
.LBB141_218:                            ;   in Loop: Header=BB141_219 Depth=2
	s_and_b64 s[44:45], exec, s[44:45]
	s_or_b64 s[36:37], s[44:45], s[36:37]
	s_andn2_b64 s[42:43], s[42:43], exec
	s_and_b64 s[44:45], s[46:47], exec
	s_or_b64 s[42:43], s[42:43], s[44:45]
	s_andn2_b64 exec, exec, s[36:37]
	s_cbranch_execz .LBB141_223
.LBB141_219:                            ;   Parent Loop BB141_24 Depth=1
                                        ; =>  This Inner Loop Header: Depth=2
	v_cmp_gt_u64_e32 vcc, s[56:57], v[6:7]
	s_and_saveexec_b64 s[44:45], vcc
	s_cbranch_execz .LBB141_217
; %bb.220:                              ;   in Loop: Header=BB141_219 Depth=2
	v_mul_lo_u32 v10, v7, s72
	v_mul_lo_u32 v11, v6, s73
	v_mad_u64_u32 v[8:9], s[46:47], v6, s72, 0
	v_add3_u32 v9, v9, v11, v10
	v_lshl_add_u64 v[8:9], v[8:9], 1, s[80:81]
	global_load_ushort v8, v[8:9], off
	s_waitcnt vmcnt(0)
	v_cmp_lt_i16_e32 vcc, -1, v8
	v_lshlrev_b32_e32 v9, 16, v8
	s_nop 0
	v_cndmask_b32_e32 v10, v35, v36, vcc
	v_xor_b32_sdwa v10, v10, v8 dst_sel:DWORD dst_unused:UNUSED_PAD src0_sel:DWORD src1_sel:WORD_0
	v_cmp_o_f32_e32 vcc, v9, v9
	s_nop 1
	v_cndmask_b32_e32 v9, v35, v10, vcc
	v_and_b32_e32 v9, v9, v39
	v_cmp_eq_u32_e32 vcc, v9, v18
	s_and_b64 exec, exec, vcc
	s_cbranch_execz .LBB141_217
; %bb.221:                              ;   in Loop: Header=BB141_219 Depth=2
	v_perm_b32 v8, v8, s6, v38
	ds_write_b32 v3, v8 offset:3072
	s_branch .LBB141_217
.LBB141_222:                            ;   in Loop: Header=BB141_219 Depth=2
	v_lshl_add_u64 v[6:7], v[6:7], 0, s[84:85]
	v_cmp_le_u64_e32 vcc, s[34:35], v[6:7]
	s_mov_b64 s[46:47], 0
	s_orn2_b64 s[44:45], vcc, exec
	s_branch .LBB141_218
.LBB141_223:                            ;   in Loop: Header=BB141_24 Depth=1
	s_or_b64 exec, exec, s[36:37]
	s_andn2_b64 s[8:9], s[8:9], exec
	s_and_b64 s[34:35], s[42:43], exec
	v_lshrrev_b32_e32 v40, 16, v8
	s_or_b64 s[8:9], s[8:9], s[34:35]
.LBB141_224:                            ;   in Loop: Header=BB141_24 Depth=1
	s_or_b64 exec, exec, s[14:15]
	s_mov_b64 s[34:35], 0
	s_mov_b64 s[36:37], -1
.LBB141_225:                            ;   in Loop: Header=BB141_24 Depth=1
	s_orn2_b64 s[8:9], s[8:9], exec
.LBB141_226:                            ;   in Loop: Header=BB141_24 Depth=1
	s_or_b64 exec, exec, s[38:39]
	s_mov_b64 s[14:15], 0
	s_and_saveexec_b64 s[38:39], s[8:9]
	s_cbranch_execz .LBB141_285
; %bb.227:                              ;   in Loop: Header=BB141_24 Depth=1
	s_xor_b64 s[40:41], s[40:41], -1
	v_mov_b32_e32 v2, 1
	v_mov_b64_e32 v[6:7], 1
	s_and_saveexec_b64 s[8:9], s[40:41]
	s_cbranch_execz .LBB141_236
; %bb.228:                              ;   in Loop: Header=BB141_24 Depth=1
	v_cmp_ge_u64_e32 vcc, s[22:23], v[4:5]
	s_and_saveexec_b64 s[14:15], vcc
	s_xor_b64 s[14:15], exec, s[14:15]
	s_cbranch_execz .LBB141_233
; %bb.229:                              ;   in Loop: Header=BB141_24 Depth=1
	ds_read_b64 v[6:7], v3 offset:5120
	v_and_b32_e32 v2, s54, v18
	v_lshl_or_b32 v18, 2, s90, v2
	v_or_b32_e32 v39, s66, v39
	s_waitcnt lgkmcnt(0)
	v_cmp_ne_u64_e32 vcc, 0, v[6:7]
	s_cbranch_vccnz .LBB141_233
; %bb.230:                              ;   in Loop: Header=BB141_24 Depth=1
	s_mov_b64 s[40:41], exec
	v_readlane_b32 s42, v61, 16
	v_readlane_b32 s43, v61, 17
	s_and_b64 s[42:43], s[40:41], s[42:43]
	s_mov_b64 exec, s[42:43]
; %bb.231:                              ;   in Loop: Header=BB141_24 Depth=1
	v_mov_b64_e32 v[6:7], s[22:23]
	ds_write_b64 v3, v[6:7] offset:5128
; %bb.232:                              ;   in Loop: Header=BB141_24 Depth=1
	s_or_b64 exec, exec, s[40:41]
	s_waitcnt lgkmcnt(0)
	s_barrier
.LBB141_233:                            ;   in Loop: Header=BB141_24 Depth=1
	s_or_saveexec_b64 s[14:15], s[14:15]
	s_mov_b64 s[40:41], 0
	v_mov_b32_e32 v2, 8
	s_xor_b64 exec, exec, s[14:15]
; %bb.234:                              ;   in Loop: Header=BB141_24 Depth=1
	v_mov_b32_e32 v2, s23
	v_subrev_co_u32_e32 v4, vcc, s22, v4
	s_mov_b64 s[40:41], exec
	s_nop 0
	v_subb_co_u32_e32 v5, vcc, v5, v2, vcc
	v_mov_b32_e32 v2, 0
; %bb.235:                              ;   in Loop: Header=BB141_24 Depth=1
	s_or_b64 exec, exec, s[14:15]
	s_and_b64 s[14:15], s[40:41], exec
	v_mov_b64_e32 v[6:7], v[4:5]
.LBB141_236:                            ;   in Loop: Header=BB141_24 Depth=1
	s_or_b64 exec, exec, s[8:9]
	s_mov_b64 s[8:9], -1
                                        ; implicit-def: $sgpr46_sgpr47
                                        ; implicit-def: $sgpr44_sgpr45
	s_and_saveexec_b64 s[22:23], s[14:15]
	s_cbranch_execz .LBB141_284
; %bb.237:                              ;   in Loop: Header=BB141_24 Depth=1
	s_cmp_eq_u64 s[2:3], 1
	s_cselect_b64 s[8:9], -1, 0
	v_cmp_eq_u64_e32 vcc, 1, v[6:7]
	s_and_b64 s[40:41], s[8:9], vcc
	s_mov_b64 s[14:15], -1
                                        ; implicit-def: $sgpr46_sgpr47
                                        ; implicit-def: $sgpr44_sgpr45
	s_and_saveexec_b64 s[42:43], s[40:41]
	s_cbranch_execz .LBB141_272
; %bb.238:                              ;   in Loop: Header=BB141_24 Depth=1
	ds_read_b64 v[4:5], v3 offset:5120
	s_waitcnt lgkmcnt(0)
	s_barrier
	v_readfirstlane_b32 s14, v4
	v_readfirstlane_b32 s15, v5
	s_mov_b64 s[8:9], exec
	v_readlane_b32 s44, v61, 26
	v_readlane_b32 s45, v61, 27
	s_and_b64 s[44:45], s[8:9], s[44:45]
	s_mov_b64 exec, s[44:45]
; %bb.239:                              ;   in Loop: Header=BB141_24 Depth=1
	ds_write_b16 v30, v3
; %bb.240:                              ;   in Loop: Header=BB141_24 Depth=1
	s_or_b64 exec, exec, s[8:9]
	v_or_b32_e32 v18, s66, v18
	v_or_b32_e32 v39, s66, v39
	s_mov_b64 s[44:45], -1
	s_mov_b64 s[46:47], 0
	s_cmp_eq_u64 s[14:15], 0
	s_mov_b64 s[8:9], 0
	s_mov_b64 s[48:49], -1
	s_waitcnt lgkmcnt(0)
	s_barrier
                                        ; implicit-def: $vgpr40
	s_cbranch_scc1 .LBB141_254
; %bb.241:                              ;   in Loop: Header=BB141_24 Depth=1
	v_readlane_b32 s8, v61, 32
	s_add_u32 s52, s14, s8
	v_readlane_b32 s8, v61, 33
	s_addc_u32 s9, s15, s8
	s_mov_b32 s8, s87
	s_cmp_lg_u64 s[8:9], 0
	s_cbranch_scc0 .LBB141_257
; %bb.242:                              ;   in Loop: Header=BB141_24 Depth=1
	v_cvt_f32_u32_e32 v4, s84
	s_sub_u32 s8, 0, s84
	s_subb_u32 s50, 0, 0
	v_fmac_f32_e32 v4, 0, v37
	v_rcp_f32_e32 v4, v4
	s_nop 0
	v_mul_f32_e32 v4, 0x5f7ffffc, v4
	v_mul_f32_e32 v5, 0x2f800000, v4
	v_trunc_f32_e32 v5, v5
	v_fmac_f32_e32 v4, 0xcf800000, v5
	v_cvt_u32_f32_e32 v5, v5
	v_cvt_u32_f32_e32 v4, v4
	v_readfirstlane_b32 s51, v5
	v_readfirstlane_b32 s48, v4
	s_mul_i32 s49, s8, s51
	s_mul_hi_u32 s54, s8, s48
	s_mul_i32 s53, s50, s48
	s_add_i32 s49, s54, s49
	s_mul_i32 s55, s8, s48
	s_add_i32 s49, s49, s53
	s_mul_hi_u32 s54, s48, s55
	s_mul_i32 s58, s48, s49
	s_mul_hi_u32 s53, s48, s49
	s_add_u32 s54, s54, s58
	s_addc_u32 s53, 0, s53
	s_mul_hi_u32 s59, s51, s55
	s_mul_i32 s55, s51, s55
	s_add_u32 s54, s54, s55
	s_mul_hi_u32 s58, s51, s49
	s_addc_u32 s53, s53, s59
	s_addc_u32 s54, s58, 0
	s_mul_i32 s49, s51, s49
	s_add_u32 s49, s53, s49
	s_addc_u32 s53, 0, s54
	s_add_u32 s54, s48, s49
	s_cselect_b64 s[48:49], -1, 0
	s_cmp_lg_u64 s[48:49], 0
	s_addc_u32 s51, s51, s53
	s_mul_i32 s48, s8, s51
	s_mul_hi_u32 s49, s8, s54
	s_add_i32 s48, s49, s48
	s_mul_i32 s50, s50, s54
	s_add_i32 s48, s48, s50
	s_mul_i32 s8, s8, s54
	s_mul_hi_u32 s50, s51, s8
	s_mul_i32 s53, s51, s8
	s_mul_i32 s58, s54, s48
	s_mul_hi_u32 s8, s54, s8
	s_mul_hi_u32 s55, s54, s48
	s_add_u32 s8, s8, s58
	s_addc_u32 s55, 0, s55
	s_add_u32 s8, s8, s53
	s_mul_hi_u32 s49, s51, s48
	s_addc_u32 s8, s55, s50
	s_addc_u32 s49, s49, 0
	s_mul_i32 s48, s51, s48
	s_add_u32 s8, s8, s48
	s_addc_u32 s50, 0, s49
	s_add_u32 s8, s54, s8
	s_cselect_b64 s[48:49], -1, 0
	s_cmp_lg_u64 s[48:49], 0
	s_addc_u32 s48, s51, s50
	s_mul_i32 s50, s52, s48
	s_mul_hi_u32 s51, s52, s8
	s_mul_hi_u32 s49, s52, s48
	s_add_u32 s50, s51, s50
	s_addc_u32 s49, 0, s49
	s_mul_hi_u32 s53, s9, s8
	s_mul_i32 s8, s9, s8
	s_add_u32 s8, s50, s8
	s_mul_hi_u32 s51, s9, s48
	s_addc_u32 s8, s49, s53
	s_addc_u32 s49, s51, 0
	s_mul_i32 s48, s9, s48
	s_add_u32 s8, s8, s48
	s_addc_u32 s48, 0, s49
	s_mul_i32 s48, s84, s48
	s_mul_hi_u32 s49, s84, s8
	s_add_i32 s50, s49, s48
	s_mul_i32 s8, s84, s8
	s_sub_u32 s8, s52, s8
	s_cselect_b64 s[48:49], -1, 0
	s_cmp_lg_u64 s[48:49], 0
	s_subb_u32 s50, s9, s50
	s_sub_u32 s51, s8, s84
	s_cselect_b64 s[48:49], -1, 0
	s_cmp_lg_u64 s[48:49], 0
	s_subb_u32 s53, s50, 0
	;; [unrolled: 4-line block ×3, first 2 shown]
	s_cmp_ge_u32 s51, s84
	s_cselect_b32 s49, -1, 0
	s_cmp_eq_u32 s53, 0
	s_cselect_b32 s49, s49, -1
	s_cmp_lg_u32 s49, 0
	s_cselect_b32 s48, s48, s53
	s_cselect_b32 s51, s54, s51
	s_cmp_ge_u32 s8, s84
	s_cselect_b32 s49, -1, 0
	s_cmp_eq_u32 s50, 0
	s_cselect_b32 s49, s49, -1
	s_cmp_lg_u32 s49, 0
	s_cselect_b32 s49, s48, s50
	s_cselect_b32 s48, s51, s8
	s_cbranch_execnz .LBB141_244
.LBB141_243:                            ;   in Loop: Header=BB141_24 Depth=1
	v_cvt_f32_u32_e32 v4, s84
	s_sub_i32 s8, 0, s84
	v_rcp_iflag_f32_e32 v4, v4
	s_nop 0
	v_mul_f32_e32 v4, 0x4f7ffffe, v4
	v_cvt_u32_f32_e32 v4, v4
	s_nop 0
	v_readfirstlane_b32 s48, v4
	s_mul_i32 s8, s8, s48
	s_mul_hi_u32 s8, s48, s8
	s_add_i32 s48, s48, s8
	s_mul_hi_u32 s8, s52, s48
	s_mul_i32 s8, s8, s84
	s_sub_i32 s8, s52, s8
	s_sub_i32 s48, s8, s84
	s_cmp_ge_u32 s8, s84
	s_cselect_b32 s8, s48, s8
	s_sub_i32 s48, s8, s84
	s_cmp_ge_u32 s8, s84
	s_cselect_b32 s86, s48, s8
	s_mov_b64 s[48:49], s[86:87]
.LBB141_244:                            ;   in Loop: Header=BB141_24 Depth=1
	s_sub_u32 s52, s52, s48
	s_subb_u32 s53, s9, s49
	v_cmp_gt_u64_e32 vcc, s[52:53], v[0:1]
	s_mov_b64 s[48:49], 0
	s_mov_b64 s[8:9], 0
                                        ; implicit-def: $vgpr40
	s_and_saveexec_b64 s[50:51], vcc
	s_cbranch_execz .LBB141_253
; %bb.245:                              ;   in Loop: Header=BB141_24 Depth=1
	v_mov_b32_e32 v8, v29
	v_mov_b64_e32 v[4:5], v[0:1]
                                        ; implicit-def: $sgpr54_sgpr55
	s_branch .LBB141_248
.LBB141_246:                            ;   in Loop: Header=BB141_248 Depth=2
	s_or_b64 exec, exec, s[58:59]
	s_waitcnt lgkmcnt(0)
	s_barrier
	ds_read_b32 v9, v3 offset:3072
	s_mov_b64 s[58:59], -1
	s_mov_b64 s[64:65], -1
	s_waitcnt lgkmcnt(0)
	s_barrier
	v_and_b32_e32 v10, 0x7fff, v9
	v_cmp_ne_u32_e32 vcc, 0, v10
	s_cbranch_vccz .LBB141_251
.LBB141_247:                            ;   in Loop: Header=BB141_248 Depth=2
	s_and_b64 s[58:59], exec, s[58:59]
	s_or_b64 s[8:9], s[58:59], s[8:9]
	s_andn2_b64 s[54:55], s[54:55], exec
	s_and_b64 s[58:59], s[64:65], exec
	s_or_b64 s[54:55], s[54:55], s[58:59]
	s_andn2_b64 exec, exec, s[8:9]
	s_cbranch_execz .LBB141_252
.LBB141_248:                            ;   Parent Loop BB141_24 Depth=1
                                        ; =>  This Inner Loop Header: Depth=2
	v_cmp_gt_u64_e32 vcc, s[14:15], v[4:5]
	s_and_saveexec_b64 s[58:59], vcc
	s_cbranch_execz .LBB141_246
; %bb.249:                              ;   in Loop: Header=BB141_248 Depth=2
	ds_read_u16 v9, v8
	s_waitcnt lgkmcnt(0)
	v_cmp_lt_i16_e32 vcc, -1, v9
	v_lshlrev_b32_e32 v10, 16, v9
	s_nop 0
	v_cndmask_b32_e32 v11, v35, v36, vcc
	v_xor_b32_sdwa v11, v11, v9 dst_sel:DWORD dst_unused:UNUSED_PAD src0_sel:DWORD src1_sel:WORD_0
	v_cmp_o_f32_e32 vcc, v10, v10
	s_nop 1
	v_cndmask_b32_e32 v10, v35, v11, vcc
	v_and_b32_e32 v10, v10, v39
	v_cmp_eq_u32_e32 vcc, v10, v18
	s_and_b64 exec, exec, vcc
	s_cbranch_execz .LBB141_246
; %bb.250:                              ;   in Loop: Header=BB141_248 Depth=2
	v_perm_b32 v9, v9, s6, v38
	ds_write_b32 v3, v9 offset:3072
	s_branch .LBB141_246
.LBB141_251:                            ;   in Loop: Header=BB141_248 Depth=2
	v_lshl_add_u64 v[4:5], v[4:5], 0, s[84:85]
	v_cmp_le_u64_e32 vcc, s[52:53], v[4:5]
	v_add_u32_e32 v8, s69, v8
	s_mov_b64 s[64:65], 0
	s_orn2_b64 s[58:59], vcc, exec
	s_branch .LBB141_247
.LBB141_252:                            ;   in Loop: Header=BB141_24 Depth=1
	s_or_b64 exec, exec, s[8:9]
	v_lshrrev_b32_e32 v40, 16, v9
	s_and_b64 s[8:9], s[54:55], exec
.LBB141_253:                            ;   in Loop: Header=BB141_24 Depth=1
	s_or_b64 exec, exec, s[50:51]
.LBB141_254:                            ;   in Loop: Header=BB141_24 Depth=1
	s_and_b64 vcc, exec, s[48:49]
	s_cbranch_vccz .LBB141_271
; %bb.255:                              ;   in Loop: Header=BB141_24 Depth=1
	s_mov_b32 s92, s87
	s_cmp_lg_u64 s[92:93], 0
	s_cbranch_scc0 .LBB141_258
; %bb.256:                              ;   in Loop: Header=BB141_24 Depth=1
	v_cvt_f32_u32_e32 v4, s84
	s_sub_u32 s44, 0, s84
	s_subb_u32 s45, 0, 0
	v_fmac_f32_e32 v4, 0, v37
	v_rcp_f32_e32 v4, v4
	s_nop 0
	v_mul_f32_e32 v4, 0x5f7ffffc, v4
	v_mul_f32_e32 v5, 0x2f800000, v4
	v_trunc_f32_e32 v5, v5
	v_fmac_f32_e32 v4, 0xcf800000, v5
	v_cvt_u32_f32_e32 v5, v5
	v_cvt_u32_f32_e32 v4, v4
	v_readfirstlane_b32 s46, v5
	v_readfirstlane_b32 s14, v4
	s_mul_i32 s15, s44, s46
	s_mul_hi_u32 s48, s44, s14
	s_mul_i32 s47, s45, s14
	s_add_i32 s15, s48, s15
	s_mul_i32 s49, s44, s14
	s_add_i32 s15, s15, s47
	s_mul_hi_u32 s48, s14, s49
	s_mul_i32 s50, s14, s15
	s_mul_hi_u32 s47, s14, s15
	s_add_u32 s48, s48, s50
	s_addc_u32 s47, 0, s47
	s_mul_hi_u32 s51, s46, s49
	s_mul_i32 s49, s46, s49
	s_add_u32 s48, s48, s49
	s_mul_hi_u32 s50, s46, s15
	s_addc_u32 s47, s47, s51
	s_addc_u32 s48, s50, 0
	s_mul_i32 s15, s46, s15
	s_add_u32 s15, s47, s15
	s_addc_u32 s47, 0, s48
	s_add_u32 s48, s14, s15
	s_cselect_b64 s[14:15], -1, 0
	s_cmp_lg_u64 s[14:15], 0
	s_addc_u32 s46, s46, s47
	s_mul_i32 s14, s44, s46
	s_mul_hi_u32 s15, s44, s48
	s_add_i32 s14, s15, s14
	s_mul_i32 s45, s45, s48
	s_add_i32 s14, s14, s45
	s_mul_i32 s44, s44, s48
	s_mul_hi_u32 s45, s46, s44
	s_mul_i32 s47, s46, s44
	s_mul_i32 s50, s48, s14
	s_mul_hi_u32 s44, s48, s44
	s_mul_hi_u32 s49, s48, s14
	s_add_u32 s44, s44, s50
	s_addc_u32 s49, 0, s49
	s_add_u32 s44, s44, s47
	s_mul_hi_u32 s15, s46, s14
	s_addc_u32 s44, s49, s45
	s_addc_u32 s15, s15, 0
	s_mul_i32 s14, s46, s14
	s_add_u32 s14, s44, s14
	s_addc_u32 s44, 0, s15
	s_add_u32 s45, s48, s14
	s_cselect_b64 s[14:15], -1, 0
	s_cmp_lg_u64 s[14:15], 0
	s_addc_u32 s14, s46, s44
	s_mul_i32 s44, s31, s14
	s_mul_hi_u32 s46, s31, s45
	s_mul_hi_u32 s15, s31, s14
	s_add_u32 s44, s46, s44
	s_addc_u32 s15, 0, s15
	s_mul_hi_u32 s47, s93, s45
	s_mul_i32 s45, s93, s45
	s_add_u32 s44, s44, s45
	s_mul_hi_u32 s46, s93, s14
	s_addc_u32 s15, s15, s47
	s_addc_u32 s44, s46, 0
	s_mul_i32 s14, s93, s14
	s_add_u32 s14, s15, s14
	s_addc_u32 s15, 0, s44
	s_mul_i32 s15, s84, s15
	s_mul_hi_u32 s44, s84, s14
	s_add_i32 s44, s44, s15
	s_mul_i32 s14, s84, s14
	s_sub_u32 s45, s31, s14
	s_cselect_b64 s[14:15], -1, 0
	s_cmp_lg_u64 s[14:15], 0
	s_subb_u32 s44, s93, s44
	s_sub_u32 s46, s45, s84
	s_cselect_b64 s[14:15], -1, 0
	s_cmp_lg_u64 s[14:15], 0
	s_subb_u32 s47, s44, 0
	;; [unrolled: 4-line block ×3, first 2 shown]
	s_cmp_ge_u32 s46, s84
	s_cselect_b32 s15, -1, 0
	s_cmp_eq_u32 s47, 0
	s_cselect_b32 s15, s15, -1
	s_cmp_lg_u32 s15, 0
	s_cselect_b32 s14, s14, s47
	s_cselect_b32 s46, s48, s46
	s_cmp_ge_u32 s45, s84
	s_cselect_b32 s15, -1, 0
	s_cmp_eq_u32 s44, 0
	s_cselect_b32 s15, s15, -1
	s_cmp_lg_u32 s15, 0
	s_cselect_b32 s15, s14, s44
	s_cselect_b32 s14, s46, s45
	s_mov_b64 s[44:45], 0
	s_branch .LBB141_259
.LBB141_257:                            ;   in Loop: Header=BB141_24 Depth=1
                                        ; implicit-def: $sgpr48_sgpr49
	s_branch .LBB141_243
.LBB141_258:                            ;   in Loop: Header=BB141_24 Depth=1
	s_mov_b64 s[44:45], -1
                                        ; implicit-def: $sgpr14_sgpr15
.LBB141_259:                            ;   in Loop: Header=BB141_24 Depth=1
	s_andn2_b64 vcc, exec, s[44:45]
	v_readlane_b32 s92, v61, 45
	s_cbranch_vccnz .LBB141_261
; %bb.260:                              ;   in Loop: Header=BB141_24 Depth=1
	v_cvt_f32_u32_e32 v4, s84
	s_sub_i32 s14, 0, s84
	v_rcp_iflag_f32_e32 v4, v4
	s_nop 0
	v_mul_f32_e32 v4, 0x4f7ffffe, v4
	v_cvt_u32_f32_e32 v4, v4
	s_nop 0
	v_readfirstlane_b32 s15, v4
	s_mul_i32 s14, s14, s15
	s_mul_hi_u32 s14, s15, s14
	s_add_i32 s15, s15, s14
	s_mul_hi_u32 s14, s31, s15
	s_mul_i32 s14, s14, s84
	s_sub_i32 s14, s31, s14
	s_sub_i32 s15, s14, s84
	s_cmp_ge_u32 s14, s84
	s_cselect_b32 s14, s15, s14
	s_sub_i32 s15, s14, s84
	s_cmp_ge_u32 s14, s84
	s_cselect_b32 s86, s15, s14
	s_mov_b64 s[14:15], s[86:87]
.LBB141_261:                            ;   in Loop: Header=BB141_24 Depth=1
	s_sub_u32 s44, s31, s14
	s_subb_u32 s45, s93, s15
	v_cmp_gt_u64_e32 vcc, s[44:45], v[0:1]
                                        ; implicit-def: $vgpr40
	s_and_saveexec_b64 s[14:15], vcc
	s_cbranch_execz .LBB141_270
; %bb.262:                              ;   in Loop: Header=BB141_24 Depth=1
	s_mov_b64 s[46:47], 0
	v_mov_b64_e32 v[4:5], v[0:1]
                                        ; implicit-def: $sgpr48_sgpr49
	s_branch .LBB141_265
.LBB141_263:                            ;   in Loop: Header=BB141_265 Depth=2
	s_or_b64 exec, exec, s[50:51]
	s_waitcnt lgkmcnt(0)
	s_barrier
	ds_read_b32 v8, v3 offset:3072
	s_mov_b64 s[50:51], -1
	s_mov_b64 s[52:53], -1
	s_waitcnt lgkmcnt(0)
	s_barrier
	v_and_b32_e32 v9, 0x7fff, v8
	v_cmp_eq_u32_e32 vcc, 0, v9
	s_cbranch_vccnz .LBB141_268
.LBB141_264:                            ;   in Loop: Header=BB141_265 Depth=2
	s_and_b64 s[50:51], exec, s[50:51]
	s_or_b64 s[46:47], s[50:51], s[46:47]
	s_andn2_b64 s[48:49], s[48:49], exec
	s_and_b64 s[50:51], s[52:53], exec
	s_or_b64 s[48:49], s[48:49], s[50:51]
	s_andn2_b64 exec, exec, s[46:47]
	s_cbranch_execz .LBB141_269
.LBB141_265:                            ;   Parent Loop BB141_24 Depth=1
                                        ; =>  This Inner Loop Header: Depth=2
	v_cmp_gt_u64_e32 vcc, s[56:57], v[4:5]
	s_and_saveexec_b64 s[50:51], vcc
	s_cbranch_execz .LBB141_263
; %bb.266:                              ;   in Loop: Header=BB141_265 Depth=2
	v_mul_lo_u32 v10, v5, s72
	v_mul_lo_u32 v11, v4, s73
	v_mad_u64_u32 v[8:9], s[52:53], v4, s72, 0
	v_add3_u32 v9, v9, v11, v10
	v_lshl_add_u64 v[8:9], v[8:9], 1, s[80:81]
	global_load_ushort v8, v[8:9], off
	s_waitcnt vmcnt(0)
	v_cmp_lt_i16_e32 vcc, -1, v8
	v_lshlrev_b32_e32 v9, 16, v8
	s_nop 0
	v_cndmask_b32_e32 v10, v35, v36, vcc
	v_xor_b32_sdwa v10, v10, v8 dst_sel:DWORD dst_unused:UNUSED_PAD src0_sel:DWORD src1_sel:WORD_0
	v_cmp_o_f32_e32 vcc, v9, v9
	s_nop 1
	v_cndmask_b32_e32 v9, v35, v10, vcc
	v_and_b32_e32 v9, v9, v39
	v_cmp_eq_u32_e32 vcc, v9, v18
	s_and_b64 exec, exec, vcc
	s_cbranch_execz .LBB141_263
; %bb.267:                              ;   in Loop: Header=BB141_265 Depth=2
	v_perm_b32 v8, v8, s6, v38
	ds_write_b32 v3, v8 offset:3072
	s_branch .LBB141_263
.LBB141_268:                            ;   in Loop: Header=BB141_265 Depth=2
	v_lshl_add_u64 v[4:5], v[4:5], 0, s[84:85]
	v_cmp_le_u64_e32 vcc, s[44:45], v[4:5]
	s_mov_b64 s[52:53], 0
	s_orn2_b64 s[50:51], vcc, exec
	s_branch .LBB141_264
.LBB141_269:                            ;   in Loop: Header=BB141_24 Depth=1
	s_or_b64 exec, exec, s[46:47]
	s_andn2_b64 s[8:9], s[8:9], exec
	s_and_b64 s[44:45], s[48:49], exec
	v_lshrrev_b32_e32 v40, 16, v8
	s_or_b64 s[8:9], s[8:9], s[44:45]
.LBB141_270:                            ;   in Loop: Header=BB141_24 Depth=1
	s_or_b64 exec, exec, s[14:15]
	s_mov_b64 s[44:45], 0
	s_mov_b64 s[46:47], -1
.LBB141_271:                            ;   in Loop: Header=BB141_24 Depth=1
	s_orn2_b64 s[14:15], s[8:9], exec
.LBB141_272:                            ;   in Loop: Header=BB141_24 Depth=1
	s_or_b64 exec, exec, s[42:43]
	s_mov_b64 s[42:43], 0
	s_and_saveexec_b64 s[8:9], s[14:15]
	s_cbranch_execz .LBB141_283
; %bb.273:                              ;   in Loop: Header=BB141_24 Depth=1
	s_xor_b64 s[40:41], s[40:41], -1
	v_mov_b64_e32 v[4:5], 1
	v_mov_b32_e32 v2, 1
	s_and_saveexec_b64 s[14:15], s[40:41]
	s_cbranch_execz .LBB141_282
; %bb.274:                              ;   in Loop: Header=BB141_24 Depth=1
	v_cmp_ge_u64_e32 vcc, s[2:3], v[6:7]
	s_and_saveexec_b64 s[40:41], vcc
	s_xor_b64 s[40:41], exec, s[40:41]
	s_cbranch_execz .LBB141_279
; %bb.275:                              ;   in Loop: Header=BB141_24 Depth=1
	ds_read_b64 v[4:5], v3 offset:5120
	v_or_b32_e32 v18, s66, v18
	v_or_b32_e32 v39, s66, v39
	s_waitcnt lgkmcnt(0)
	v_cmp_ne_u64_e32 vcc, 0, v[4:5]
	s_cbranch_vccnz .LBB141_279
; %bb.276:                              ;   in Loop: Header=BB141_24 Depth=1
	s_mov_b64 s[42:43], exec
	v_readlane_b32 s48, v61, 16
	v_readlane_b32 s49, v61, 17
	s_and_b64 s[48:49], s[42:43], s[48:49]
	s_mov_b64 exec, s[48:49]
; %bb.277:                              ;   in Loop: Header=BB141_24 Depth=1
	v_mov_b64_e32 v[4:5], s[2:3]
	ds_write_b64 v3, v[4:5] offset:5128
; %bb.278:                              ;   in Loop: Header=BB141_24 Depth=1
	s_or_b64 exec, exec, s[42:43]
	s_waitcnt lgkmcnt(0)
	s_barrier
.LBB141_279:                            ;   in Loop: Header=BB141_24 Depth=1
	s_andn2_saveexec_b64 s[40:41], s[40:41]
; %bb.280:                              ;   in Loop: Header=BB141_24 Depth=1
	v_mov_b32_e32 v2, s3
	v_subrev_co_u32_e32 v6, vcc, s2, v6
	s_nop 1
	v_subb_co_u32_e32 v7, vcc, v7, v2, vcc
; %bb.281:                              ;   in Loop: Header=BB141_24 Depth=1
	s_or_b64 exec, exec, s[40:41]
	v_mov_b32_e32 v2, 8
	v_mov_b64_e32 v[4:5], v[6:7]
.LBB141_282:                            ;   in Loop: Header=BB141_24 Depth=1
	s_or_b64 exec, exec, s[14:15]
	s_mov_b64 s[42:43], exec
	v_mov_b64_e32 v[6:7], v[4:5]
.LBB141_283:                            ;   in Loop: Header=BB141_24 Depth=1
	s_or_b64 exec, exec, s[8:9]
	s_orn2_b64 s[8:9], s[42:43], exec
.LBB141_284:                            ;   in Loop: Header=BB141_24 Depth=1
	s_or_b64 exec, exec, s[22:23]
	s_andn2_b64 s[2:3], s[36:37], exec
	s_and_b64 s[14:15], s[46:47], exec
	s_or_b64 s[36:37], s[2:3], s[14:15]
	s_andn2_b64 s[2:3], s[34:35], exec
	s_and_b64 s[14:15], s[44:45], exec
	s_or_b64 s[34:35], s[2:3], s[14:15]
	s_and_b64 s[14:15], s[8:9], exec
	v_mov_b64_e32 v[4:5], v[6:7]
.LBB141_285:                            ;   in Loop: Header=BB141_24 Depth=1
	s_or_b64 exec, exec, s[38:39]
	s_orn2_b64 s[8:9], s[14:15], exec
.LBB141_286:                            ;   in Loop: Header=BB141_24 Depth=1
	s_or_b64 exec, exec, s[28:29]
	s_andn2_b64 s[2:3], s[24:25], exec
	s_and_b64 s[14:15], s[36:37], exec
	s_or_b64 s[24:25], s[2:3], s[14:15]
	s_andn2_b64 s[0:1], s[0:1], exec
	s_and_b64 s[2:3], s[34:35], exec
	s_or_b64 s[0:1], s[0:1], s[2:3]
	s_and_b64 s[14:15], s[8:9], exec
	v_mov_b64_e32 v[8:9], v[4:5]
.LBB141_287:                            ;   in Loop: Header=BB141_24 Depth=1
	s_or_b64 exec, exec, s[26:27]
	s_orn2_b64 s[8:9], s[14:15], exec
.LBB141_288:                            ;   in Loop: Header=BB141_24 Depth=1
	s_or_b64 exec, exec, s[20:21]
	s_mov_b64 s[14:15], 0
	s_and_saveexec_b64 s[2:3], s[8:9]
	s_xor_b64 s[2:3], exec, s[2:3]
	s_cbranch_execz .LBB141_22
; %bb.289:                              ;   in Loop: Header=BB141_24 Depth=1
	v_and_b32_e32 v2, 7, v2
	v_cmp_eq_u32_e32 vcc, 0, v2
	s_mov_b64 s[8:9], -1
	s_mov_b64 s[14:15], -1
	s_and_saveexec_b64 s[18:19], vcc
	s_cbranch_execz .LBB141_21
; %bb.290:                              ;   in Loop: Header=BB141_24 Depth=1
	s_xor_b32 s88, s88, 1
	s_add_i32 s20, s90, -2
	s_cmp_eq_u32 s90, 0
	s_cselect_b64 s[8:9], -1, 0
	s_xor_b64 s[14:15], exec, -1
	s_orn2_b64 s[8:9], s[8:9], exec
	s_mov_b32 s90, s20
	s_branch .LBB141_21
.LBB141_291:
	s_or_b64 exec, exec, s[74:75]
	s_xor_b64 s[4:5], s[82:83], -1
	s_xor_b64 s[2:3], s[60:61], -1
	;; [unrolled: 1-line block ×3, first 2 shown]
	s_mov_b64 s[0:1], 0
	s_and_saveexec_b64 s[8:9], s[2:3]
	s_xor_b64 s[2:3], exec, s[8:9]
	s_cbranch_execnz .LBB141_296
; %bb.292:
	s_andn2_saveexec_b64 s[2:3], s[2:3]
	s_cbranch_execnz .LBB141_309
.LBB141_293:
	s_or_b64 exec, exec, s[2:3]
	s_and_saveexec_b64 s[2:3], s[0:1]
.LBB141_294:
	; divergent unreachable
.LBB141_295:
	s_endpgm
.LBB141_296:
	s_and_saveexec_b64 s[0:1], s[4:5]
	s_xor_b64 s[4:5], exec, s[0:1]
	s_cbranch_execz .LBB141_307
; %bb.297:
	s_and_saveexec_b64 s[0:1], s[6:7]
	s_xor_b64 s[0:1], exec, s[0:1]
; %bb.298:
	v_and_b32_e32 v2, 0x8000, v18
	v_mov_b32_e32 v3, 0x8000
	v_mov_b32_e32 v4, 0xffff
	v_cmp_eq_u32_e32 vcc, 0, v2
	s_nop 1
	v_cndmask_b32_e32 v2, v3, v4, vcc
	v_xor_b32_e32 v40, v2, v18
; %bb.299:
	s_or_b64 exec, exec, s[0:1]
	v_readlane_b32 s6, v61, 6
	v_readlane_b32 s0, v61, 4
	;; [unrolled: 1-line block ×4, first 2 shown]
	s_mov_b32 s8, s0
	s_mul_i32 s0, s0, s7
	s_mul_hi_u32 s1, s8, s6
	s_add_i32 s1, s1, s0
	s_mul_i32 s0, s8, s6
	v_readlane_b32 s6, v61, 12
	v_readlane_b32 s12, v61, 22
	;; [unrolled: 1-line block ×3, first 2 shown]
	s_sub_u32 s0, s6, s0
	v_readlane_b32 s14, v61, 24
	v_readlane_b32 s15, v61, 25
	s_subb_u32 s1, 0, s1
	s_mul_i32 s6, s0, s15
	s_mul_hi_u32 s7, s0, s14
	v_readlane_b32 s13, v61, 23
	s_add_i32 s6, s7, s6
	s_mul_i32 s1, s1, s14
	s_add_i32 s1, s6, s1
	s_mul_i32 s6, s8, s13
	s_mul_hi_u32 s7, s8, s12
	s_add_i32 s7, s7, s6
	s_mul_i32 s6, s8, s12
	s_lshl_b64 s[6:7], s[6:7], 1
	v_readlane_b32 s8, v61, 10
	s_mul_i32 s0, s0, s14
	v_readlane_b32 s9, v61, 11
	s_add_u32 s6, s8, s6
	s_addc_u32 s7, s9, s7
	s_lshl_b64 s[0:1], s[0:1], 1
	s_add_u32 s0, s6, s0
	s_addc_u32 s1, s7, s1
	v_mov_b32_e32 v2, 0
	global_store_short v2, v40, s[0:1]
	s_mov_b64 s[6:7], exec
	v_readlane_b32 s0, v61, 14
	v_readlane_b32 s1, v61, 15
	s_and_b64 s[0:1], s[6:7], s[0:1]
	s_mov_b64 exec, s[0:1]
	s_cbranch_execz .LBB141_306
; %bb.300:
	v_lshlrev_b32_e32 v4, 16, v40
	v_cmp_u_f32_e32 vcc, v4, v4
	s_mov_b64 s[8:9], 0
	s_xor_b64 s[12:13], vcc, -1
                                        ; implicit-def: $sgpr10_sgpr11
                                        ; implicit-def: $sgpr16_sgpr17
                                        ; implicit-def: $sgpr14_sgpr15
	s_branch .LBB141_302
.LBB141_301:                            ;   in Loop: Header=BB141_302 Depth=1
	s_or_b64 exec, exec, s[0:1]
	s_and_b64 s[0:1], exec, s[16:17]
	s_or_b64 s[8:9], s[0:1], s[8:9]
	s_andn2_b64 s[0:1], s[10:11], exec
	s_and_b64 s[10:11], s[14:15], exec
	s_or_b64 s[10:11], s[0:1], s[10:11]
	s_andn2_b64 exec, exec, s[8:9]
	s_cbranch_execz .LBB141_304
.LBB141_302:                            ; =>This Inner Loop Header: Depth=1
	v_mov_b64_e32 v[2:3], v[0:1]
	v_mul_lo_u32 v5, v3, s72
	v_mul_lo_u32 v6, v2, s73
	v_mad_u64_u32 v[0:1], s[0:1], v2, s72, 0
	v_add3_u32 v1, v1, v6, v5
	v_lshl_add_u64 v[0:1], v[0:1], 1, s[80:81]
	global_load_ushort v0, v[0:1], off
	s_or_b64 s[14:15], s[14:15], exec
	s_or_b64 s[16:17], s[16:17], exec
	s_waitcnt vmcnt(0)
	v_lshlrev_b32_e32 v0, 16, v0
	v_cmp_o_f32_e64 s[0:1], v0, v0
	v_cmp_neq_f32_e32 vcc, v0, v4
	s_or_b64 s[0:1], s[12:13], s[0:1]
	s_and_b64 s[18:19], vcc, s[0:1]
                                        ; implicit-def: $vgpr0_vgpr1
	s_and_saveexec_b64 s[0:1], s[18:19]
	s_cbranch_execz .LBB141_301
; %bb.303:                              ;   in Loop: Header=BB141_302 Depth=1
	v_lshl_add_u64 v[0:1], v[2:3], 0, s[84:85]
	v_cmp_le_u64_e32 vcc, s[56:57], v[0:1]
	s_andn2_b64 s[16:17], s[16:17], exec
	s_and_b64 s[18:19], vcc, exec
	s_andn2_b64 s[14:15], s[14:15], exec
	s_or_b64 s[16:17], s[16:17], s[18:19]
	s_branch .LBB141_301
.LBB141_304:
	s_or_b64 exec, exec, s[8:9]
	s_and_saveexec_b64 s[0:1], s[10:11]
	s_xor_b64 s[0:1], exec, s[0:1]
	s_cbranch_execz .LBB141_306
; %bb.305:
	v_readlane_b32 s8, v61, 0
	v_readlane_b32 s0, v61, 2
	;; [unrolled: 1-line block ×4, first 2 shown]
	s_mov_b32 s10, s0
	s_mul_i32 s0, s0, s9
	s_mul_hi_u32 s1, s10, s8
	s_add_i32 s1, s1, s0
	s_mul_i32 s0, s10, s8
	v_readlane_b32 s8, v61, 12
	v_readlane_b32 s12, v61, 18
	;; [unrolled: 1-line block ×3, first 2 shown]
	s_sub_u32 s0, s8, s0
	v_readlane_b32 s14, v61, 20
	v_readlane_b32 s15, v61, 21
	s_subb_u32 s1, 0, s1
	s_mul_i32 s8, s0, s15
	s_mul_hi_u32 s9, s0, s14
	v_readlane_b32 s13, v61, 19
	s_add_i32 s8, s9, s8
	s_mul_i32 s1, s1, s14
	s_add_i32 s1, s8, s1
	s_mul_i32 s8, s10, s13
	s_mul_hi_u32 s9, s10, s12
	s_add_i32 s9, s9, s8
	s_mul_i32 s8, s10, s12
	s_lshl_b64 s[8:9], s[8:9], 3
	v_readlane_b32 s10, v61, 8
	s_mul_i32 s0, s0, s14
	v_readlane_b32 s11, v61, 9
	s_add_u32 s8, s10, s8
	s_addc_u32 s9, s11, s9
	s_lshl_b64 s[0:1], s[0:1], 3
	s_add_u32 s0, s8, s0
	s_addc_u32 s1, s9, s1
	v_mov_b32_e32 v0, 0
	global_store_dwordx2 v0, v[2:3], s[0:1]
.LBB141_306:
	s_or_b64 exec, exec, s[6:7]
.LBB141_307:
	s_or_saveexec_b64 s[0:1], s[4:5]
	s_mov_b64 s[4:5], 0
	s_xor_b64 exec, exec, s[0:1]
	s_cbranch_execnz .LBB141_310
.LBB141_308:
	s_or_b64 exec, exec, s[0:1]
	s_and_b64 s[0:1], s[4:5], exec
	s_andn2_saveexec_b64 s[2:3], s[2:3]
	s_cbranch_execz .LBB141_293
.LBB141_309:
	s_or_b64 s[0:1], s[0:1], exec
	s_trap 2
	s_or_b64 exec, exec, s[2:3]
	s_and_saveexec_b64 s[2:3], s[0:1]
	s_cbranch_execnz .LBB141_294
	s_branch .LBB141_295
.LBB141_310:
	s_mov_b64 s[4:5], exec
	s_trap 2
	s_branch .LBB141_308
	.section	.rodata,"a",@progbits
	.p2align	6, 0x0
	.amdhsa_kernel _ZN2at6native12_GLOBAL__N_112gatherMedianIN3c108BFloat16EmLi2EEEvNS_4cuda6detail10TensorInfoIT_T0_EENS7_IlS9_EENS7_IKS8_S9_EES9_S9_S9_b
		.amdhsa_group_segment_fixed_size 5152
		.amdhsa_private_segment_fixed_size 0
		.amdhsa_kernarg_size 1536
		.amdhsa_user_sgpr_count 2
		.amdhsa_user_sgpr_dispatch_ptr 0
		.amdhsa_user_sgpr_queue_ptr 0
		.amdhsa_user_sgpr_kernarg_segment_ptr 1
		.amdhsa_user_sgpr_dispatch_id 0
		.amdhsa_user_sgpr_kernarg_preload_length 0
		.amdhsa_user_sgpr_kernarg_preload_offset 0
		.amdhsa_user_sgpr_private_segment_size 0
		.amdhsa_uses_dynamic_stack 0
		.amdhsa_enable_private_segment 0
		.amdhsa_system_sgpr_workgroup_id_x 1
		.amdhsa_system_sgpr_workgroup_id_y 1
		.amdhsa_system_sgpr_workgroup_id_z 1
		.amdhsa_system_sgpr_workgroup_info 0
		.amdhsa_system_vgpr_workitem_id 0
		.amdhsa_next_free_vgpr 62
		.amdhsa_next_free_sgpr 100
		.amdhsa_accum_offset 64
		.amdhsa_reserve_vcc 1
		.amdhsa_float_round_mode_32 0
		.amdhsa_float_round_mode_16_64 0
		.amdhsa_float_denorm_mode_32 3
		.amdhsa_float_denorm_mode_16_64 3
		.amdhsa_dx10_clamp 1
		.amdhsa_ieee_mode 1
		.amdhsa_fp16_overflow 0
		.amdhsa_tg_split 0
		.amdhsa_exception_fp_ieee_invalid_op 0
		.amdhsa_exception_fp_denorm_src 0
		.amdhsa_exception_fp_ieee_div_zero 0
		.amdhsa_exception_fp_ieee_overflow 0
		.amdhsa_exception_fp_ieee_underflow 0
		.amdhsa_exception_fp_ieee_inexact 0
		.amdhsa_exception_int_div_zero 0
	.end_amdhsa_kernel
	.section	.text._ZN2at6native12_GLOBAL__N_112gatherMedianIN3c108BFloat16EmLi2EEEvNS_4cuda6detail10TensorInfoIT_T0_EENS7_IlS9_EENS7_IKS8_S9_EES9_S9_S9_b,"axG",@progbits,_ZN2at6native12_GLOBAL__N_112gatherMedianIN3c108BFloat16EmLi2EEEvNS_4cuda6detail10TensorInfoIT_T0_EENS7_IlS9_EENS7_IKS8_S9_EES9_S9_S9_b,comdat
.Lfunc_end141:
	.size	_ZN2at6native12_GLOBAL__N_112gatherMedianIN3c108BFloat16EmLi2EEEvNS_4cuda6detail10TensorInfoIT_T0_EENS7_IlS9_EENS7_IKS8_S9_EES9_S9_S9_b, .Lfunc_end141-_ZN2at6native12_GLOBAL__N_112gatherMedianIN3c108BFloat16EmLi2EEEvNS_4cuda6detail10TensorInfoIT_T0_EENS7_IlS9_EENS7_IKS8_S9_EES9_S9_S9_b
                                        ; -- End function
	.set _ZN2at6native12_GLOBAL__N_112gatherMedianIN3c108BFloat16EmLi2EEEvNS_4cuda6detail10TensorInfoIT_T0_EENS7_IlS9_EENS7_IKS8_S9_EES9_S9_S9_b.num_vgpr, 62
	.set _ZN2at6native12_GLOBAL__N_112gatherMedianIN3c108BFloat16EmLi2EEEvNS_4cuda6detail10TensorInfoIT_T0_EENS7_IlS9_EENS7_IKS8_S9_EES9_S9_S9_b.num_agpr, 0
	.set _ZN2at6native12_GLOBAL__N_112gatherMedianIN3c108BFloat16EmLi2EEEvNS_4cuda6detail10TensorInfoIT_T0_EENS7_IlS9_EENS7_IKS8_S9_EES9_S9_S9_b.numbered_sgpr, 100
	.set _ZN2at6native12_GLOBAL__N_112gatherMedianIN3c108BFloat16EmLi2EEEvNS_4cuda6detail10TensorInfoIT_T0_EENS7_IlS9_EENS7_IKS8_S9_EES9_S9_S9_b.num_named_barrier, 0
	.set _ZN2at6native12_GLOBAL__N_112gatherMedianIN3c108BFloat16EmLi2EEEvNS_4cuda6detail10TensorInfoIT_T0_EENS7_IlS9_EENS7_IKS8_S9_EES9_S9_S9_b.private_seg_size, 0
	.set _ZN2at6native12_GLOBAL__N_112gatherMedianIN3c108BFloat16EmLi2EEEvNS_4cuda6detail10TensorInfoIT_T0_EENS7_IlS9_EENS7_IKS8_S9_EES9_S9_S9_b.uses_vcc, 1
	.set _ZN2at6native12_GLOBAL__N_112gatherMedianIN3c108BFloat16EmLi2EEEvNS_4cuda6detail10TensorInfoIT_T0_EENS7_IlS9_EENS7_IKS8_S9_EES9_S9_S9_b.uses_flat_scratch, 0
	.set _ZN2at6native12_GLOBAL__N_112gatherMedianIN3c108BFloat16EmLi2EEEvNS_4cuda6detail10TensorInfoIT_T0_EENS7_IlS9_EENS7_IKS8_S9_EES9_S9_S9_b.has_dyn_sized_stack, 0
	.set _ZN2at6native12_GLOBAL__N_112gatherMedianIN3c108BFloat16EmLi2EEEvNS_4cuda6detail10TensorInfoIT_T0_EENS7_IlS9_EENS7_IKS8_S9_EES9_S9_S9_b.has_recursion, 0
	.set _ZN2at6native12_GLOBAL__N_112gatherMedianIN3c108BFloat16EmLi2EEEvNS_4cuda6detail10TensorInfoIT_T0_EENS7_IlS9_EENS7_IKS8_S9_EES9_S9_S9_b.has_indirect_call, 0
	.section	.AMDGPU.csdata,"",@progbits
; Kernel info:
; codeLenInByte = 16924
; TotalNumSgprs: 106
; NumVgprs: 62
; NumAgprs: 0
; TotalNumVgprs: 62
; ScratchSize: 0
; MemoryBound: 0
; FloatMode: 240
; IeeeMode: 1
; LDSByteSize: 5152 bytes/workgroup (compile time only)
; SGPRBlocks: 13
; VGPRBlocks: 7
; NumSGPRsForWavesPerEU: 106
; NumVGPRsForWavesPerEU: 62
; AccumOffset: 64
; Occupancy: 7
; WaveLimiterHint : 1
; COMPUTE_PGM_RSRC2:SCRATCH_EN: 0
; COMPUTE_PGM_RSRC2:USER_SGPR: 2
; COMPUTE_PGM_RSRC2:TRAP_HANDLER: 0
; COMPUTE_PGM_RSRC2:TGID_X_EN: 1
; COMPUTE_PGM_RSRC2:TGID_Y_EN: 1
; COMPUTE_PGM_RSRC2:TGID_Z_EN: 1
; COMPUTE_PGM_RSRC2:TIDIG_COMP_CNT: 0
; COMPUTE_PGM_RSRC3_GFX90A:ACCUM_OFFSET: 15
; COMPUTE_PGM_RSRC3_GFX90A:TG_SPLIT: 0
	.section	.text._ZN2at6native12_GLOBAL__N_112gatherMedianIN3c108BFloat16EmLi3EEEvNS_4cuda6detail10TensorInfoIT_T0_EENS7_IlS9_EENS7_IKS8_S9_EES9_S9_S9_b,"axG",@progbits,_ZN2at6native12_GLOBAL__N_112gatherMedianIN3c108BFloat16EmLi3EEEvNS_4cuda6detail10TensorInfoIT_T0_EENS7_IlS9_EENS7_IKS8_S9_EES9_S9_S9_b,comdat
	.globl	_ZN2at6native12_GLOBAL__N_112gatherMedianIN3c108BFloat16EmLi3EEEvNS_4cuda6detail10TensorInfoIT_T0_EENS7_IlS9_EENS7_IKS8_S9_EES9_S9_S9_b ; -- Begin function _ZN2at6native12_GLOBAL__N_112gatherMedianIN3c108BFloat16EmLi3EEEvNS_4cuda6detail10TensorInfoIT_T0_EENS7_IlS9_EENS7_IKS8_S9_EES9_S9_S9_b
	.p2align	8
	.type	_ZN2at6native12_GLOBAL__N_112gatherMedianIN3c108BFloat16EmLi3EEEvNS_4cuda6detail10TensorInfoIT_T0_EENS7_IlS9_EENS7_IKS8_S9_EES9_S9_S9_b,@function
_ZN2at6native12_GLOBAL__N_112gatherMedianIN3c108BFloat16EmLi3EEEvNS_4cuda6detail10TensorInfoIT_T0_EENS7_IlS9_EENS7_IKS8_S9_EES9_S9_S9_b: ; @_ZN2at6native12_GLOBAL__N_112gatherMedianIN3c108BFloat16EmLi3EEEvNS_4cuda6detail10TensorInfoIT_T0_EENS7_IlS9_EENS7_IKS8_S9_EES9_S9_S9_b
; %bb.0:
	s_load_dwordx2 s[12:13], s[0:1], 0x500
	s_load_dwordx4 s[56:59], s[0:1], 0x4e0
	s_add_u32 s16, s0, 0x500
	s_addc_u32 s17, s1, 0
	s_mov_b32 s25, 0
	s_waitcnt lgkmcnt(0)
	s_mul_i32 s4, s13, s4
	s_add_i32 s3, s4, s3
	s_mul_i32 s3, s3, s12
	s_add_i32 s24, s3, s2
	v_mov_b64_e32 v[2:3], s[24:25]
	v_cmp_le_u64_e32 vcc, s[58:59], v[2:3]
	s_cbranch_vccnz .LBB142_297
; %bb.1:
	s_load_dwordx4 s[8:11], s[0:1], 0x10
	s_mov_b64 s[18:19], 0
	s_mov_b64 s[14:15], 0
	s_waitcnt lgkmcnt(0)
	v_mov_b64_e32 v[2:3], s[10:11]
	v_cmp_lt_u64_e32 vcc, s[24:25], v[2:3]
	s_cbranch_vccnz .LBB142_3
; %bb.2:
	v_cvt_f32_u32_e32 v1, s10
	s_sub_i32 s3, 0, s10
	s_mov_b32 s15, 0
	v_rcp_iflag_f32_e32 v1, v1
	s_nop 0
	v_mul_f32_e32 v1, 0x4f7ffffe, v1
	v_cvt_u32_f32_e32 v1, v1
	s_nop 0
	v_readfirstlane_b32 s4, v1
	s_mul_i32 s3, s3, s4
	s_mul_hi_u32 s3, s4, s3
	s_add_i32 s4, s4, s3
	s_mul_hi_u32 s3, s24, s4
	s_mul_i32 s5, s3, s10
	s_sub_i32 s5, s24, s5
	s_add_i32 s4, s3, 1
	s_sub_i32 s6, s5, s10
	s_cmp_ge_u32 s5, s10
	s_cselect_b32 s3, s4, s3
	s_cselect_b32 s5, s6, s5
	s_add_i32 s4, s3, 1
	s_cmp_ge_u32 s5, s10
	s_cselect_b32 s14, s4, s3
.LBB142_3:
	s_load_dwordx4 s[20:23], s[0:1], 0x1b0
                                        ; implicit-def: $vgpr61 : SGPR spill to VGPR lane
	v_mov_b64_e32 v[2:3], s[8:9]
	v_cmp_lt_u64_e32 vcc, s[14:15], v[2:3]
	s_and_b64 vcc, exec, vcc
	s_waitcnt lgkmcnt(0)
	v_writelane_b32 v61, s20, 0
	s_nop 1
	v_writelane_b32 v61, s21, 1
	v_writelane_b32 v61, s22, 2
	;; [unrolled: 1-line block ×3, first 2 shown]
	s_cbranch_vccnz .LBB142_5
; %bb.4:
	v_cvt_f32_u32_e32 v1, s8
	s_sub_i32 s3, 0, s8
	s_load_dwordx4 s[20:23], s[0:1], 0x1b0
	v_rcp_iflag_f32_e32 v1, v1
	s_nop 0
	v_mul_f32_e32 v1, 0x4f7ffffe, v1
	v_cvt_u32_f32_e32 v1, v1
	s_nop 0
	v_readfirstlane_b32 s4, v1
	s_mul_i32 s3, s3, s4
	s_mul_hi_u32 s3, s4, s3
	s_add_i32 s4, s4, s3
	s_mul_hi_u32 s3, s14, s4
	s_mul_i32 s5, s3, s8
	s_sub_i32 s5, s14, s5
	s_add_i32 s4, s3, 1
	s_sub_i32 s6, s5, s8
	s_cmp_ge_u32 s5, s8
	s_cselect_b32 s3, s4, s3
	s_cselect_b32 s5, s6, s5
	s_add_i32 s4, s3, 1
	s_cmp_ge_u32 s5, s8
	s_cselect_b32 s18, s4, s3
.LBB142_5:
	v_writelane_b32 v61, s18, 4
	s_waitcnt lgkmcnt(0)
	v_mov_b64_e32 v[2:3], s[22:23]
	v_cmp_lt_u64_e32 vcc, s[24:25], v[2:3]
	v_writelane_b32 v61, s19, 5
	v_writelane_b32 v61, s14, 6
	s_mov_b64 s[4:5], 0
	s_and_b64 vcc, exec, vcc
	v_writelane_b32 v61, s15, 7
	v_writelane_b32 v61, s8, 8
	s_mov_b64 s[6:7], 0
	s_nop 0
	v_writelane_b32 v61, s9, 9
	v_writelane_b32 v61, s10, 10
	;; [unrolled: 1-line block ×4, first 2 shown]
	s_nop 1
	v_writelane_b32 v61, s5, 13
	s_cbranch_vccnz .LBB142_7
; %bb.6:
	v_cvt_f32_u32_e32 v1, s22
	s_sub_i32 s3, 0, s22
	s_mov_b32 s7, 0
	v_rcp_iflag_f32_e32 v1, v1
	s_nop 0
	v_mul_f32_e32 v1, 0x4f7ffffe, v1
	v_cvt_u32_f32_e32 v1, v1
	s_nop 0
	v_readfirstlane_b32 s4, v1
	s_mul_i32 s3, s3, s4
	s_mul_hi_u32 s3, s4, s3
	s_add_i32 s4, s4, s3
	s_mul_hi_u32 s3, s24, s4
	s_mul_i32 s5, s3, s22
	s_sub_i32 s5, s24, s5
	s_add_i32 s4, s3, 1
	s_sub_i32 s6, s5, s22
	s_cmp_ge_u32 s5, s22
	s_cselect_b32 s3, s4, s3
	s_cselect_b32 s5, s6, s5
	s_add_i32 s4, s3, 1
	s_cmp_ge_u32 s5, s22
	s_cselect_b32 s6, s4, s3
.LBB142_7:
	s_mov_b64 s[18:19], s[6:7]
	s_load_dwordx2 s[14:15], s[0:1], 0x420
	s_load_dwordx4 s[4:7], s[0:1], 0x410
	s_load_dwordx4 s[8:11], s[0:1], 0x350
	s_load_dwordx2 s[82:83], s[0:1], 0x4f0
	v_mov_b64_e32 v[2:3], s[20:21]
	v_writelane_b32 v61, s18, 14
	s_nop 1
	v_cmp_lt_u64_e32 vcc, s[18:19], v[2:3]
	v_writelane_b32 v61, s19, 15
	s_cbranch_vccnz .LBB142_9
; %bb.8:
	s_load_dwordx4 s[20:23], s[0:1], 0x1b0
	s_waitcnt lgkmcnt(0)
	v_readlane_b32 s22, v61, 14
	v_readlane_b32 s23, v61, 15
	v_cvt_f32_u32_e32 v1, s20
	s_sub_i32 s3, 0, s20
	v_rcp_iflag_f32_e32 v1, v1
	s_nop 0
	v_mul_f32_e32 v1, 0x4f7ffffe, v1
	v_cvt_u32_f32_e32 v1, v1
	s_nop 0
	v_readfirstlane_b32 s13, v1
	s_mul_i32 s3, s3, s13
	s_mul_hi_u32 s3, s13, s3
	s_add_i32 s13, s13, s3
	s_mul_hi_u32 s3, s22, s13
	s_mul_i32 s18, s3, s20
	s_sub_i32 s18, s22, s18
	s_add_i32 s13, s3, 1
	s_sub_i32 s19, s18, s20
	s_cmp_ge_u32 s18, s20
	s_cselect_b32 s3, s13, s3
	s_cselect_b32 s18, s19, s18
	s_add_i32 s13, s3, 1
	s_cmp_ge_u32 s18, s20
	s_cselect_b32 s18, s13, s3
	v_writelane_b32 v61, s18, 12
	s_nop 1
	v_writelane_b32 v61, s19, 13
.LBB142_9:
	s_load_dwordx2 s[18:19], s[0:1], 0x340
	s_waitcnt lgkmcnt(0)
	v_mov_b64_e32 v[2:3], s[10:11]
	v_cmp_lt_u64_e32 vcc, s[24:25], v[2:3]
	s_mov_b64 s[20:21], 0
	s_mov_b64 s[22:23], 0
	s_cbranch_vccnz .LBB142_11
; %bb.10:
	v_cvt_f32_u32_e32 v1, s10
	s_sub_i32 s3, 0, s10
	s_mov_b32 s23, 0
	v_rcp_iflag_f32_e32 v1, v1
	s_nop 0
	v_mul_f32_e32 v1, 0x4f7ffffe, v1
	v_cvt_u32_f32_e32 v1, v1
	s_nop 0
	v_readfirstlane_b32 s13, v1
	s_mul_i32 s3, s3, s13
	s_mul_hi_u32 s3, s13, s3
	s_add_i32 s13, s13, s3
	s_mul_hi_u32 s3, s24, s13
	s_mul_i32 s21, s3, s10
	s_sub_i32 s21, s24, s21
	s_add_i32 s13, s3, 1
	s_sub_i32 s22, s21, s10
	s_cmp_ge_u32 s21, s10
	s_cselect_b32 s3, s13, s3
	s_cselect_b32 s21, s22, s21
	s_add_i32 s13, s3, 1
	s_cmp_ge_u32 s21, s10
	s_cselect_b32 s22, s13, s3
.LBB142_11:
	s_load_dwordx2 s[26:27], s[0:1], 0x280
	s_load_dwordx4 s[28:31], s[0:1], 0x270
	v_mov_b64_e32 v[2:3], s[8:9]
	v_cmp_lt_u64_e32 vcc, s[22:23], v[2:3]
	s_and_b64 vcc, exec, vcc
	s_waitcnt lgkmcnt(0)
	v_writelane_b32 v61, s26, 16
	s_nop 1
	v_writelane_b32 v61, s27, 17
	v_writelane_b32 v61, s28, 18
	s_load_dwordx2 s[26:27], s[0:1], 0xe0
	s_nop 0
	v_writelane_b32 v61, s29, 19
	v_writelane_b32 v61, s30, 20
	;; [unrolled: 1-line block ×3, first 2 shown]
	s_load_dwordx4 s[28:31], s[0:1], 0xd0
	s_waitcnt lgkmcnt(0)
	v_writelane_b32 v61, s26, 22
	s_nop 1
	v_writelane_b32 v61, s27, 23
	v_writelane_b32 v61, s28, 24
	s_nop 1
	v_writelane_b32 v61, s29, 25
	v_writelane_b32 v61, s30, 26
	;; [unrolled: 1-line block ×3, first 2 shown]
	s_cbranch_vccnz .LBB142_13
; %bb.12:
	v_cvt_f32_u32_e32 v1, s8
	s_sub_i32 s3, 0, s8
	v_rcp_iflag_f32_e32 v1, v1
	s_nop 0
	v_mul_f32_e32 v1, 0x4f7ffffe, v1
	v_cvt_u32_f32_e32 v1, v1
	s_nop 0
	v_readfirstlane_b32 s13, v1
	s_mul_i32 s3, s3, s13
	s_mul_hi_u32 s3, s13, s3
	s_add_i32 s13, s13, s3
	s_mul_hi_u32 s3, s22, s13
	s_mul_i32 s20, s3, s8
	s_sub_i32 s20, s22, s20
	s_add_i32 s13, s3, 1
	s_sub_i32 s21, s20, s8
	s_cmp_ge_u32 s20, s8
	s_cselect_b32 s3, s13, s3
	s_cselect_b32 s20, s21, s20
	s_add_i32 s13, s3, 1
	s_cmp_ge_u32 s20, s8
	s_cselect_b32 s20, s13, s3
.LBB142_13:
	s_load_dwordx2 s[26:27], s[0:1], 0x1a0
	s_mul_i32 s3, s22, s11
	s_mul_hi_u32 s11, s22, s10
	s_add_i32 s11, s11, s3
	s_mul_i32 s3, s22, s10
	s_waitcnt lgkmcnt(0)
	v_writelane_b32 v61, s26, 28
	s_mov_b32 s10, s24
	s_sub_u32 s3, s24, s3
	v_writelane_b32 v61, s27, 29
	s_load_dwordx2 s[26:27], s[0:1], 0x0
	s_mul_hi_u32 s13, s3, s14
	v_mov_b32_e32 v1, 0
	v_mov_b64_e32 v[2:3], 0
	s_waitcnt lgkmcnt(0)
	v_writelane_b32 v61, s26, 30
	s_nop 1
	v_writelane_b32 v61, s27, 31
	v_writelane_b32 v61, s10, 32
	s_nop 1
	v_writelane_b32 v61, s11, 33
	s_subb_u32 s10, 0, s11
	s_mul_i32 s11, s3, s15
	s_add_i32 s11, s13, s11
	s_mul_i32 s10, s10, s14
	s_add_i32 s11, s11, s10
	s_mul_i32 s10, s3, s14
	s_mul_i32 s3, s20, s9
	s_mul_hi_u32 s9, s20, s8
	s_add_i32 s9, s9, s3
	s_mul_i32 s3, s20, s8
	s_sub_u32 s3, s22, s3
	s_subb_u32 s8, s23, s9
	s_mul_i32 s7, s3, s7
	s_mul_hi_u32 s9, s3, s6
	s_mul_i32 s8, s8, s6
	s_mul_i32 s6, s3, s6
	s_mul_i32 s3, s20, s5
	s_mul_hi_u32 s5, s20, s4
	s_add_i32 s7, s9, s7
	s_add_i32 s5, s5, s3
	s_mul_i32 s4, s20, s4
	s_add_i32 s7, s7, s8
	s_lshl_b64 s[4:5], s[4:5], 1
	s_add_u32 s3, s18, s4
	s_addc_u32 s8, s19, s5
	s_lshl_b64 s[4:5], s[6:7], 1
	s_add_u32 s3, s3, s4
	s_addc_u32 s6, s8, s5
	;; [unrolled: 3-line block ×3, first 2 shown]
	v_cmp_gt_u64_e64 s[6:7], s[56:57], v[0:1]
	s_mov_b64 s[4:5], exec
	s_nop 0
	v_writelane_b32 v61, s6, 34
	s_nop 1
	v_writelane_b32 v61, s7, 35
	s_and_b64 s[6:7], s[4:5], s[6:7]
	s_mov_b64 exec, s[6:7]
	s_cbranch_execz .LBB142_17
; %bb.14:
	s_load_dword s3, s[16:17], 0xc
	s_mov_b32 s7, 0
	s_mov_b64 s[8:9], 0
	v_mov_b64_e32 v[2:3], 0
	v_mov_b64_e32 v[4:5], v[0:1]
	s_waitcnt lgkmcnt(0)
	s_and_b32 s6, s3, 0xffff
.LBB142_15:                             ; =>This Inner Loop Header: Depth=1
	v_mul_lo_u32 v8, v5, s82
	v_mul_lo_u32 v9, v4, s83
	v_mad_u64_u32 v[6:7], s[10:11], v4, s82, 0
	v_add3_u32 v7, v7, v9, v8
	v_lshl_add_u64 v[6:7], v[6:7], 1, s[90:91]
	global_load_ushort v6, v[6:7], off
	v_lshl_add_u64 v[4:5], v[4:5], 0, s[6:7]
	v_cmp_le_u64_e32 vcc, s[56:57], v[4:5]
	s_or_b64 s[8:9], vcc, s[8:9]
	v_mov_b32_e32 v7, s7
	s_waitcnt vmcnt(0)
	v_lshlrev_b32_e32 v6, 16, v6
	v_cmp_u_f32_e32 vcc, v6, v6
	s_nop 1
	v_cndmask_b32_e64 v6, 0, 1, vcc
	v_lshl_add_u64 v[2:3], v[2:3], 0, v[6:7]
	s_andn2_b64 exec, exec, s[8:9]
	s_cbranch_execnz .LBB142_15
; %bb.16:
	s_or_b64 exec, exec, s[8:9]
.LBB142_17:
	s_or_b64 exec, exec, s[4:5]
	v_cmp_eq_u32_e64 s[6:7], 0, v0
	s_mov_b64 s[4:5], exec
	s_nop 0
	v_writelane_b32 v61, s6, 36
	s_nop 1
	v_writelane_b32 v61, s7, 37
	s_and_b64 s[6:7], s[4:5], s[6:7]
	s_mov_b64 exec, s[6:7]
; %bb.18:
	v_mov_b32_e32 v4, 0
	v_mov_b32_e32 v5, v4
	ds_write_b64 v4, v[4:5] offset:5136
; %bb.19:
	s_or_b64 exec, exec, s[4:5]
	s_mov_b64 s[6:7], 0
	v_cmp_ne_u64_e32 vcc, 0, v[2:3]
	s_waitcnt lgkmcnt(0)
	s_barrier
	s_and_saveexec_b64 s[4:5], vcc
	s_cbranch_execz .LBB142_24
; %bb.20:
	s_mov_b64 s[8:9], exec
.LBB142_21:                             ; =>This Inner Loop Header: Depth=1
	s_ff1_i32_b64 s3, s[8:9]
	v_readlane_b32 s11, v2, s3
	v_readlane_b32 s10, v3, s3
	s_add_u32 s6, s6, s11
	s_addc_u32 s7, s7, s10
	s_lshl_b64 s[10:11], 1, s3
	s_andn2_b64 s[8:9], s[8:9], s[10:11]
	s_cmp_lg_u64 s[8:9], 0
	s_cbranch_scc1 .LBB142_21
; %bb.22:
	v_mbcnt_lo_u32_b32 v2, exec_lo, 0
	v_mbcnt_hi_u32_b32 v2, exec_hi, v2
	v_cmp_eq_u32_e32 vcc, 0, v2
	s_and_saveexec_b64 s[8:9], vcc
	s_xor_b64 s[8:9], exec, s[8:9]
; %bb.23:
	v_mov_b32_e32 v2, 0
	v_mov_b64_e32 v[4:5], s[6:7]
	ds_add_u64 v2, v[4:5] offset:5136
.LBB142_24:
	s_or_b64 exec, exec, s[4:5]
	v_mov_b32_e32 v3, 0
	s_waitcnt lgkmcnt(0)
	s_barrier
	ds_read_b64 v[4:5], v3 offset:5136
	s_waitcnt lgkmcnt(0)
	v_readfirstlane_b32 s4, v4
	v_readfirstlane_b32 s5, v5
	s_mov_b64 s[6:7], exec
	v_readlane_b32 s8, v61, 36
	v_readlane_b32 s9, v61, 37
	s_and_b64 s[8:9], s[6:7], s[8:9]
	s_mov_b64 exec, s[8:9]
	s_cbranch_execz .LBB142_26
; %bb.25:
	v_mov_b32_e32 v4, 0
	v_mov_b32_e32 v6, s56
	;; [unrolled: 1-line block ×4, first 2 shown]
	ds_write_b32 v4, v4 offset:5144
	ds_write_b128 v4, v[4:7] offset:5120
.LBB142_26:
	s_or_b64 exec, exec, s[6:7]
	s_load_dword s3, s[0:1], 0x4f8
	v_cmp_lt_i64_e64 s[0:1], s[4:5], 1
	v_mbcnt_lo_u32_b32 v2, -1, 0
	v_mbcnt_hi_u32_b32 v28, -1, v2
	v_cmp_gt_u32_e32 vcc, 64, v0
	s_waitcnt lgkmcnt(0)
	s_bitcmp1_b32 s3, 0
	s_cselect_b64 s[6:7], -1, 0
	s_not_b64 s[4:5], s[4:5]
	s_or_b64 s[0:1], s[6:7], s[0:1]
	s_add_u32 s4, s56, s4
	s_addc_u32 s5, s57, s5
	s_lshr_b64 s[4:5], s[4:5], 1
	s_add_u32 s3, s4, 1
	s_addc_u32 s4, s5, 0
	s_and_b64 s[0:1], s[0:1], exec
	v_cmp_gt_i32_e64 s[0:1], 4, v28
	s_cselect_b32 s9, s4, s57
	s_cselect_b32 s8, s3, s56
	s_and_b64 s[66:67], vcc, s[0:1]
	v_cmp_gt_u32_e64 s[0:1], 2, v0
	v_mov_b64_e32 v[4:5], 0x600
	s_nop 0
	v_writelane_b32 v61, s0, 38
	s_barrier
	s_nop 0
	v_writelane_b32 v61, s1, 39
	v_cmp_gt_u64_e64 s[0:1], s[56:57], v[4:5]
	v_mov_b32_e32 v19, -1
	v_not_b32_e32 v18, v0
	v_writelane_b32 v61, s0, 40
	s_mov_b32 s99, 0
	v_lshlrev_b32_e32 v29, 1, v0
	v_writelane_b32 v61, s1, 41
	v_mad_u64_u32 v[4:5], s[0:1], s82, v0, 0
	v_mov_b32_e32 v2, v5
	v_mad_u64_u32 v[6:7], s[0:1], s83, v0, v[2:3]
	s_load_dword s0, s[16:17], 0xc
	v_lshlrev_b32_e32 v2, 2, v28
	v_and_b32_e32 v31, 0x100, v2
	v_lshrrev_b32_e32 v2, 1, v0
	v_mov_b32_e32 v5, v6
	s_waitcnt lgkmcnt(0)
	s_and_b32 s96, s0, 0xffff
	s_bfe_u32 s0, s0, 0xa0006
	v_and_b32_e32 v2, 0x1e0, v2
	v_lshl_add_u64 v[12:13], v[4:5], 1, s[90:91]
	v_lshlrev_b64 v[4:5], v28, -1
	s_cmp_gt_u32 s96, 63
	v_or_b32_e32 v32, 0xc00, v2
	v_add_u32_e32 v2, 2, v0
	v_not_b32_e32 v16, v4
	s_cselect_b64 s[6:7], -1, 0
	s_add_u32 s3, s96, -1
	v_mov_b32_e32 v4, s57
	v_cmp_gt_u64_e32 vcc, s[56:57], v[2:3]
	v_not_b32_e32 v17, v5
	v_writelane_b32 v61, s6, 42
	s_addc_u32 s1, 0, -1
	v_cndmask_b32_e32 v5, 0, v4, vcc
	v_mov_b32_e32 v4, s56
	v_writelane_b32 v61, s7, 43
	s_add_u32 s31, s3, s56
	v_cndmask_b32_e32 v4, v2, v4, vcc
	v_writelane_b32 v61, s3, 44
	s_addc_u32 s69, s1, s57
	v_lshl_add_u64 v[4:5], v[4:5], 0, v[18:19]
	v_writelane_b32 v61, s1, 45
	s_cmp_lt_u32 s2, s12
	v_cmp_lt_u64_e64 s[2:3], 3, v[4:5]
	s_cselect_b32 s1, 12, 18
	v_and_b32_e32 v20, -4, v4
	v_writelane_b32 v61, s2, 46
	v_mov_b32_e32 v21, v5
	s_add_u32 s70, s16, s1
	v_writelane_b32 v61, s3, 47
	v_cmp_ne_u64_e64 s[2:3], v[4:5], v[20:21]
	s_addc_u32 s71, s17, 0
	s_add_i32 s1, s0, -1
	v_writelane_b32 v61, s2, 48
	s_and_b32 s1, s1, 0xffff
	s_mov_b32 s65, s83
	v_writelane_b32 v61, s3, 49
	s_bfe_u32 s2, s96, 0x30006
	s_cmp_gt_u32 s1, 6
	s_cselect_b64 s[6:7], -1, 0
	v_writelane_b32 v61, s6, 50
	v_mov_b32_e32 v2, 0xc00
	v_cmp_eq_u32_e64 s[4:5], 0, v28
	v_writelane_b32 v61, s7, 51
	s_and_b32 s7, s0, 0x3f8
	s_cmp_lg_u32 s2, 0
	v_writelane_b32 v61, s2, 52
	s_cselect_b64 s[0:1], -1, 0
	v_writelane_b32 v61, s0, 53
	v_add_u32_e32 v30, 0xc00, v29
	v_lshlrev_b32_e32 v14, 2, v0
	v_writelane_b32 v61, s1, 54
	v_writelane_b32 v61, s66, 55
	v_mov_b32_e32 v15, v3
	s_mov_b32 s33, 0xffff
	v_writelane_b32 v61, s67, 56
	s_mov_b32 s97, s99
	v_lshl_add_u64 v[22:23], v[20:21], 0, v[0:1]
	s_mov_b32 s76, s82
	s_mov_b32 s30, s82
	;; [unrolled: 1-line block ×5, first 2 shown]
	v_lshlrev_b32_e32 v33, 3, v0
	v_lshl_or_b32 v34, v28, 3, v2
	s_lshl_b32 s77, s96, 1
	s_mov_b32 s86, 14
	s_mov_b64 s[12:13], 0
	v_mov_b64_e32 v[24:25], s[8:9]
	s_mov_b32 s94, 0x5040100
	v_mov_b64_e32 v[44:45], s[56:57]
	s_movk_i32 s6, 0x3f80
	v_mov_b32_e32 v35, 0xffff
	v_mov_b32_e32 v36, 0x8000
	;; [unrolled: 1-line block ×5, first 2 shown]
	s_mov_b32 s88, 0
	v_mov_b32_e32 v18, 0
	v_mov_b32_e32 v39, 0
	v_writelane_b32 v61, s65, 57
	s_mov_b32 s89, s83
                                        ; implicit-def: $sgpr92_sgpr93
                                        ; implicit-def: $sgpr72_sgpr73
                                        ; implicit-def: $sgpr10_sgpr11
                                        ; implicit-def: $sgpr84_sgpr85
                                        ; implicit-def: $sgpr58_sgpr59
                                        ; implicit-def: $sgpr74_sgpr75
	v_writelane_b32 v61, s78, 58
	s_branch .LBB142_30
.LBB142_27:                             ;   in Loop: Header=BB142_30 Depth=1
	s_or_b64 exec, exec, s[18:19]
	s_and_b64 s[14:15], s[14:15], exec
	s_andn2_b64 s[24:25], s[24:25], exec
	s_andn2_b64 s[0:1], s[0:1], exec
	s_orn2_b64 s[18:19], s[8:9], exec
.LBB142_28:                             ;   in Loop: Header=BB142_30 Depth=1
	s_or_b64 exec, exec, s[2:3]
	s_andn2_b64 s[2:3], s[74:75], exec
	s_and_b64 s[8:9], s[14:15], exec
	s_or_b64 s[74:75], s[2:3], s[8:9]
	s_andn2_b64 s[2:3], s[58:59], exec
	s_and_b64 s[8:9], s[24:25], exec
	s_or_b64 s[58:59], s[2:3], s[8:9]
	;; [unrolled: 3-line block ×3, first 2 shown]
	s_orn2_b64 s[0:1], s[18:19], exec
.LBB142_29:                             ;   in Loop: Header=BB142_30 Depth=1
	s_or_b64 exec, exec, s[16:17]
	s_and_b64 s[0:1], exec, s[0:1]
	s_or_b64 s[12:13], s[0:1], s[12:13]
	s_andn2_b64 s[0:1], s[10:11], exec
	s_and_b64 s[2:3], s[74:75], exec
	s_or_b64 s[10:11], s[0:1], s[2:3]
	s_andn2_b64 s[0:1], s[72:73], exec
	s_and_b64 s[2:3], s[58:59], exec
	;; [unrolled: 3-line block ×3, first 2 shown]
	s_or_b64 s[92:93], s[0:1], s[2:3]
	v_mov_b64_e32 v[24:25], v[8:9]
	s_andn2_b64 exec, exec, s[12:13]
	s_cbranch_execz .LBB142_293
.LBB142_30:                             ; =>This Loop Header: Depth=1
                                        ;     Child Loop BB142_35 Depth 2
                                        ;     Child Loop BB142_49 Depth 2
	;; [unrolled: 1-line block ×17, first 2 shown]
	ds_read_b128 v[4:7], v3 offset:5120
	s_waitcnt lgkmcnt(0)
	v_readfirstlane_b32 s81, v5
	v_readfirstlane_b32 s80, v4
	s_cmp_lg_u64 s[80:81], 0
	s_cbranch_scc1 .LBB142_62
; %bb.31:                               ;   in Loop: Header=BB142_30 Depth=1
	v_readlane_b32 s0, v61, 40
	v_readlane_b32 s1, v61, 41
	s_and_b64 vcc, exec, s[0:1]
	s_cbranch_vccz .LBB142_43
; %bb.32:                               ;   in Loop: Header=BB142_30 Depth=1
	s_mov_b64 s[0:1], 0x601
	v_cmp_gt_u64_e32 vcc, s[0:1], v[6:7]
	s_mov_b64 s[8:9], 0
	s_mov_b64 s[0:1], 0
	s_cbranch_vccz .LBB142_44
; %bb.33:                               ;   in Loop: Header=BB142_30 Depth=1
	global_load_ushort v2, v3, s[70:71]
	global_load_ushort v6, v[12:13], off
	s_mov_b64 s[14:15], 0
	v_mov_b64_e32 v[4:5], v[0:1]
	s_waitcnt vmcnt(1)
	v_and_b32_e32 v2, 0xffff, v2
	s_branch .LBB142_35
.LBB142_34:                             ;   in Loop: Header=BB142_35 Depth=2
	s_or_b64 exec, exec, s[2:3]
	v_mov_b32_e32 v6, v7
	s_andn2_b64 exec, exec, s[14:15]
	s_cbranch_execz .LBB142_160
.LBB142_35:                             ;   Parent Loop BB142_30 Depth=1
                                        ; =>  This Inner Loop Header: Depth=2
	v_lshl_add_u64 v[4:5], v[4:5], 0, v[2:3]
	v_cmp_gt_u64_e64 s[0:1], s[56:57], v[4:5]
	v_cmp_le_u64_e32 vcc, s[56:57], v[4:5]
	s_waitcnt lgkmcnt(0)
	v_mov_b32_e32 v8, 0
	v_mov_b32_e32 v7, 0
	s_and_saveexec_b64 s[2:3], s[0:1]
	s_cbranch_execz .LBB142_37
; %bb.36:                               ;   in Loop: Header=BB142_35 Depth=2
	v_mul_lo_u32 v7, v5, s82
	v_mul_lo_u32 v9, v4, s83
	v_mad_u64_u32 v[10:11], s[0:1], v4, s82, 0
	v_add3_u32 v11, v11, v9, v7
	v_lshl_add_u64 v[10:11], v[10:11], 1, s[90:91]
	global_load_ushort v7, v[10:11], off
.LBB142_37:                             ;   in Loop: Header=BB142_35 Depth=2
	s_or_b64 exec, exec, s[2:3]
	s_waitcnt vmcnt(0)
	v_cmp_lt_i16_e64 s[0:1], -1, v6
	v_lshlrev_b32_e32 v10, 16, v6
	s_nop 0
	v_cndmask_b32_e64 v9, v35, v36, s[0:1]
	v_xor_b32_sdwa v9, v9, v6 dst_sel:DWORD dst_unused:UNUSED_PAD src0_sel:DWORD src1_sel:WORD_0
	v_cmp_o_f32_e64 s[0:1], v10, v10
	s_nop 1
	v_cndmask_b32_e64 v9, v35, v9, s[0:1]
	v_and_b32_e32 v9, v9, v39
	v_cmp_eq_u32_e64 s[0:1], v9, v18
	s_cmp_lg_u64 s[0:1], 0
	s_cselect_b64 s[2:3], -1, 0
	s_and_b64 s[2:3], s[4:5], s[2:3]
	s_and_saveexec_b64 s[16:17], s[2:3]
	s_cbranch_execz .LBB142_41
; %bb.38:                               ;   in Loop: Header=BB142_35 Depth=2
	s_mov_b64 s[20:21], exec
	v_mbcnt_lo_u32_b32 v8, s20, 0
	v_mbcnt_hi_u32_b32 v8, s21, v8
	s_bcnt1_i32_b64 s22, s[0:1]
	v_cmp_eq_u32_e64 s[2:3], 0, v8
                                        ; implicit-def: $vgpr9
	s_and_saveexec_b64 s[18:19], s[2:3]
; %bb.39:                               ;   in Loop: Header=BB142_35 Depth=2
	s_bcnt1_i32_b64 s2, s[20:21]
	s_mul_i32 s2, s22, s2
	v_mov_b32_e32 v9, s2
	ds_add_rtn_u32 v9, v3, v9 offset:5144
; %bb.40:                               ;   in Loop: Header=BB142_35 Depth=2
	s_or_b64 exec, exec, s[18:19]
	s_waitcnt lgkmcnt(0)
	v_readfirstlane_b32 s2, v9
	s_nop 1
	v_mov_b32_e32 v9, s2
	v_mad_u32_u24 v8, s22, v8, v9
.LBB142_41:                             ;   in Loop: Header=BB142_35 Depth=2
	s_or_b64 exec, exec, s[16:17]
	ds_bpermute_b32 v8, v31, v8
	s_and_b64 s[2:3], exec, vcc
	s_or_b64 s[14:15], s[2:3], s[14:15]
	s_and_saveexec_b64 s[2:3], s[0:1]
	s_cbranch_execz .LBB142_34
; %bb.42:                               ;   in Loop: Header=BB142_35 Depth=2
	v_and_b32_e32 v10, s0, v16
	v_and_b32_e32 v9, s1, v17
	v_bcnt_u32_b32 v10, v10, 0
	v_bcnt_u32_b32 v9, v9, v10
	v_lshlrev_b32_e32 v9, 1, v9
	s_waitcnt lgkmcnt(0)
	v_lshl_add_u32 v8, v8, 1, v9
	ds_write_b16 v8, v6
	s_branch .LBB142_34
.LBB142_43:                             ;   in Loop: Header=BB142_30 Depth=1
	s_mov_b64 s[8:9], -1
	s_mov_b64 s[0:1], 0
.LBB142_44:                             ;   in Loop: Header=BB142_30 Depth=1
	s_and_b64 vcc, exec, s[8:9]
	s_cbranch_vccz .LBB142_60
.LBB142_45:                             ;   in Loop: Header=BB142_30 Depth=1
	s_mov_b64 s[0:1], exec
	v_readlane_b32 s2, v61, 34
	v_readlane_b32 s3, v61, 35
	s_and_b64 s[2:3], s[0:1], s[2:3]
	s_mov_b64 exec, s[2:3]
	s_cbranch_execz .LBB142_57
; %bb.46:                               ;   in Loop: Header=BB142_30 Depth=1
	global_load_ushort v2, v3, s[70:71]
	global_load_ushort v41, v[12:13], off
	v_mov_b32_e32 v4, v0
	s_waitcnt vmcnt(1)
	v_readfirstlane_b32 s8, v2
	v_add_u32_sdwa v2, v2, v0 dst_sel:DWORD dst_unused:UNUSED_PAD src0_sel:WORD_0 src1_sel:DWORD
	v_cmp_gt_u64_e32 vcc, s[56:57], v[2:3]
	s_and_saveexec_b64 s[2:3], vcc
	s_cbranch_execz .LBB142_56
; %bb.47:                               ;   in Loop: Header=BB142_30 Depth=1
	s_and_b32 s98, s8, 0xffff
	s_cmp_eq_u32 s98, 1
	v_readlane_b32 s14, v61, 46
	s_cselect_b64 s[8:9], -1, 0
	v_readlane_b32 s15, v61, 47
	s_and_b64 s[16:17], s[14:15], s[8:9]
	s_mov_b64 s[14:15], -1
	v_mov_b64_e32 v[8:9], v[0:1]
	v_mov_b64_e32 v[6:7], v[2:3]
                                        ; implicit-def: $vgpr4_vgpr5
	s_and_saveexec_b64 s[8:9], s[16:17]
	s_cbranch_execz .LBB142_51
; %bb.48:                               ;   in Loop: Header=BB142_30 Depth=1
	v_lshl_add_u64 v[8:9], v[2:3], 0, 3
	v_lshl_add_u64 v[6:7], v[2:3], 0, 2
	v_lshl_add_u64 v[4:5], v[2:3], 0, 1
	v_mov_b64_e32 v[10:11], v[8:9]
	s_waitcnt vmcnt(0)
	v_lshlrev_b32_e32 v43, 16, v41
	s_mov_b64 s[14:15], 0
	v_mov_b64_e32 v[26:27], v[20:21]
	v_mov_b32_e32 v42, v29
	v_mov_b64_e32 v[8:9], v[6:7]
	v_mov_b64_e32 v[6:7], v[4:5]
	;; [unrolled: 1-line block ×3, first 2 shown]
.LBB142_49:                             ;   Parent Loop BB142_30 Depth=1
                                        ; =>  This Inner Loop Header: Depth=2
	v_mul_lo_u32 v41, v11, s87
	v_mul_lo_u32 v54, v10, s79
	v_mad_u64_u32 v[46:47], s[16:17], v10, s87, 0
	v_mul_lo_u32 v55, v9, s30
	v_mul_lo_u32 v56, v8, s78
	v_mad_u64_u32 v[48:49], s[16:17], v8, s30, 0
	;; [unrolled: 3-line block ×4, first 2 shown]
	v_add3_u32 v47, v47, v54, v41
	v_add3_u32 v49, v49, v56, v55
	;; [unrolled: 1-line block ×4, first 2 shown]
	v_lshl_add_u64 v[48:49], v[48:49], 1, s[90:91]
	v_lshl_add_u64 v[46:47], v[46:47], 1, s[90:91]
	v_lshl_add_u64 v[52:53], v[52:53], 1, s[90:91]
	v_lshl_add_u64 v[50:51], v[50:51], 1, s[90:91]
	global_load_ushort v48, v[48:49], off
	s_nop 0
	global_load_ushort v41, v[46:47], off
	s_nop 0
	global_load_ushort v46, v[50:51], off
	global_load_ushort v49, v[52:53], off
	v_lshl_add_u64 v[26:27], v[26:27], 0, -4
	v_cmp_eq_u64_e32 vcc, 0, v[26:27]
	v_lshl_add_u64 v[10:11], v[10:11], 0, 4
	v_lshl_add_u64 v[8:9], v[8:9], 0, 4
	;; [unrolled: 1-line block ×4, first 2 shown]
	s_or_b64 s[14:15], vcc, s[14:15]
	s_waitcnt vmcnt(2)
	v_perm_b32 v50, v41, v48, s94
	s_waitcnt vmcnt(1)
	v_perm_b32 v47, v48, v46, s94
	s_waitcnt vmcnt(0)
	v_alignbit_b32 v46, v49, v43, 16
	ds_write_b64 v42, v[46:47]
	v_add_u32_e32 v42, 8, v42
	v_mov_b32_e32 v43, v50
	s_andn2_b64 exec, exec, s[14:15]
	s_cbranch_execnz .LBB142_49
; %bb.50:                               ;   in Loop: Header=BB142_30 Depth=1
	s_or_b64 exec, exec, s[14:15]
	v_readlane_b32 s14, v61, 48
	v_lshl_add_u64 v[6:7], v[2:3], 0, v[20:21]
	v_readlane_b32 s15, v61, 49
	v_lshl_add_u64 v[4:5], v[6:7], 0, -1
	s_orn2_b64 s[14:15], s[14:15], exec
	v_mov_b64_e32 v[8:9], v[22:23]
.LBB142_51:                             ;   in Loop: Header=BB142_30 Depth=1
	s_or_b64 exec, exec, s[8:9]
	s_and_saveexec_b64 s[8:9], s[14:15]
	s_cbranch_execz .LBB142_55
; %bb.52:                               ;   in Loop: Header=BB142_30 Depth=1
	s_sub_u32 s14, 0, s98
	s_mov_b64 s[16:17], 0
	s_subb_u32 s15, 0, 0
.LBB142_53:                             ;   Parent Loop BB142_30 Depth=1
                                        ; =>  This Inner Loop Header: Depth=2
	v_mov_b64_e32 v[4:5], v[6:7]
	v_mul_lo_u32 v9, v5, s82
	v_mul_lo_u32 v10, v4, s83
	v_mad_u64_u32 v[6:7], s[18:19], v4, s82, 0
	v_add3_u32 v7, v7, v10, v9
	v_lshl_add_u64 v[6:7], v[6:7], 1, s[90:91]
	s_waitcnt vmcnt(0)
	v_mov_b32_e32 v2, v41
	global_load_ushort v41, v[6:7], off
	v_lshlrev_b32_e32 v6, 1, v8
	ds_write_b16 v6, v2
	v_lshl_add_u64 v[6:7], v[4:5], 0, s[98:99]
	v_cmp_le_u64_e32 vcc, s[56:57], v[6:7]
	s_or_b64 s[16:17], vcc, s[16:17]
	v_mov_b64_e32 v[8:9], v[4:5]
	s_andn2_b64 exec, exec, s[16:17]
	s_cbranch_execnz .LBB142_53
; %bb.54:                               ;   in Loop: Header=BB142_30 Depth=1
	s_or_b64 exec, exec, s[16:17]
	v_lshl_add_u64 v[4:5], s[14:15], 0, v[6:7]
.LBB142_55:                             ;   in Loop: Header=BB142_30 Depth=1
	s_or_b64 exec, exec, s[8:9]
.LBB142_56:                             ;   in Loop: Header=BB142_30 Depth=1
	s_or_b64 exec, exec, s[2:3]
	v_lshlrev_b32_e32 v2, 1, v4
	s_waitcnt vmcnt(0)
	ds_write_b16 v2, v41
.LBB142_57:                             ;   in Loop: Header=BB142_30 Depth=1
	s_or_b64 exec, exec, s[0:1]
	s_waitcnt lgkmcnt(0)
	s_barrier
	s_mov_b64 s[0:1], exec
	v_readlane_b32 s2, v61, 36
	v_readlane_b32 s3, v61, 37
	s_and_b64 s[2:3], s[0:1], s[2:3]
	s_mov_b64 exec, s[2:3]
; %bb.58:                               ;   in Loop: Header=BB142_30 Depth=1
	ds_write_b64 v3, v[44:45] offset:5120
; %bb.59:                               ;   in Loop: Header=BB142_30 Depth=1
	s_or_b64 exec, exec, s[0:1]
	s_mov_b64 s[0:1], -1
	s_waitcnt lgkmcnt(0)
	s_barrier
.LBB142_60:                             ;   in Loop: Header=BB142_30 Depth=1
	s_mov_b64 s[80:81], 0
	s_and_b64 vcc, exec, s[0:1]
	s_cbranch_vccz .LBB142_62
; %bb.61:                               ;   in Loop: Header=BB142_30 Depth=1
	ds_read_b64 v[4:5], v3 offset:5120
	s_waitcnt lgkmcnt(0)
	v_readfirstlane_b32 s80, v4
.LBB142_62:                             ;   in Loop: Header=BB142_30 Depth=1
	s_cmp_lt_i32 s80, 1
	s_mov_b64 s[0:1], -1
                                        ; implicit-def: $vgpr4_vgpr5
                                        ; implicit-def: $vgpr8_vgpr9
	s_cbranch_scc1 .LBB142_72
; %bb.63:                               ;   in Loop: Header=BB142_30 Depth=1
	s_and_b64 vcc, exec, s[0:1]
	s_cbranch_vccnz .LBB142_86
.LBB142_64:                             ;   in Loop: Header=BB142_30 Depth=1
	s_lshl_b32 s2, s88, 6
	s_and_saveexec_b64 s[0:1], s[4:5]
	s_cbranch_execz .LBB142_66
.LBB142_65:                             ;   in Loop: Header=BB142_30 Depth=1
	v_lshl_add_u32 v2, s2, 3, v32
	ds_write_b128 v2, v[4:7]
	ds_write_b128 v2, v[8:11] offset:16
.LBB142_66:                             ;   in Loop: Header=BB142_30 Depth=1
	s_or_b64 exec, exec, s[0:1]
	s_waitcnt lgkmcnt(0)
	s_barrier
	s_and_saveexec_b64 s[0:1], s[66:67]
	s_cbranch_execz .LBB142_101
; %bb.67:                               ;   in Loop: Header=BB142_30 Depth=1
	v_readlane_b32 s8, v61, 42
	v_readlane_b32 s9, v61, 43
	s_andn2_b64 vcc, exec, s[8:9]
	v_mov_b64_e32 v[4:5], 0
	s_cbranch_vccnz .LBB142_100
; %bb.68:                               ;   in Loop: Header=BB142_30 Depth=1
	v_readlane_b32 s8, v61, 50
	v_readlane_b32 s9, v61, 51
	s_andn2_b64 vcc, exec, s[8:9]
	s_cbranch_vccnz .LBB142_96
; %bb.69:                               ;   in Loop: Header=BB142_30 Depth=1
	v_lshl_add_u32 v2, s88, 9, v34
	v_mov_b64_e32 v[4:5], 0
	s_mov_b32 s3, 0
.LBB142_70:                             ;   Parent Loop BB142_30 Depth=1
                                        ; =>  This Inner Loop Header: Depth=2
	ds_read2_b64 v[6:9], v2 offset1:4
	ds_read2_b64 v[46:49], v2 offset0:8 offset1:12
	ds_read2_b64 v[50:53], v2 offset0:16 offset1:20
	;; [unrolled: 1-line block ×3, first 2 shown]
	s_add_i32 s3, s3, 8
	s_waitcnt lgkmcnt(3)
	v_lshl_add_u64 v[4:5], v[6:7], 0, v[4:5]
	v_lshl_add_u64 v[4:5], v[8:9], 0, v[4:5]
	s_waitcnt lgkmcnt(2)
	v_lshl_add_u64 v[4:5], v[46:47], 0, v[4:5]
	v_lshl_add_u64 v[4:5], v[48:49], 0, v[4:5]
	;; [unrolled: 3-line block ×3, first 2 shown]
	s_waitcnt lgkmcnt(0)
	v_lshl_add_u64 v[4:5], v[54:55], 0, v[4:5]
	v_add_u32_e32 v2, 0x100, v2
	s_cmp_eq_u32 s7, s3
	v_lshl_add_u64 v[4:5], v[56:57], 0, v[4:5]
	s_cbranch_scc0 .LBB142_70
; %bb.71:                               ;   in Loop: Header=BB142_30 Depth=1
	s_mov_b32 s3, s7
	s_branch .LBB142_97
.LBB142_72:                             ;   in Loop: Header=BB142_30 Depth=1
	global_load_ushort v2, v3, s[70:71]
	s_mov_b32 s0, s99
	s_waitcnt vmcnt(0)
	v_readfirstlane_b32 s1, v2
	s_and_b32 s1, 0xffff, s1
	s_lshl_b32 s98, s1, 2
	s_mov_b32 s1, s57
	s_cmp_lg_u64 s[0:1], 0
	s_cbranch_scc0 .LBB142_95
; %bb.73:                               ;   in Loop: Header=BB142_30 Depth=1
	v_cvt_f32_u32_e32 v4, s98
	s_sub_u32 s2, 0, s98
	s_subb_u32 s3, 0, 0
	v_fmac_f32_e32 v4, 0, v37
	v_rcp_f32_e32 v4, v4
	s_nop 0
	v_mul_f32_e32 v4, 0x5f7ffffc, v4
	v_mul_f32_e32 v5, 0x2f800000, v4
	v_trunc_f32_e32 v5, v5
	v_fmac_f32_e32 v4, 0xcf800000, v5
	v_cvt_u32_f32_e32 v5, v5
	v_cvt_u32_f32_e32 v4, v4
	v_readfirstlane_b32 s8, v5
	v_readfirstlane_b32 s0, v4
	s_mul_i32 s1, s2, s8
	s_mul_hi_u32 s14, s2, s0
	s_mul_i32 s9, s3, s0
	s_add_i32 s1, s14, s1
	s_mul_i32 s15, s2, s0
	s_add_i32 s1, s1, s9
	s_mul_hi_u32 s14, s0, s15
	s_mul_i32 s16, s0, s1
	s_mul_hi_u32 s9, s0, s1
	s_add_u32 s14, s14, s16
	s_addc_u32 s9, 0, s9
	s_mul_hi_u32 s17, s8, s15
	s_mul_i32 s15, s8, s15
	s_add_u32 s14, s14, s15
	s_mul_hi_u32 s16, s8, s1
	s_addc_u32 s9, s9, s17
	s_addc_u32 s14, s16, 0
	s_mul_i32 s1, s8, s1
	s_add_u32 s1, s9, s1
	s_addc_u32 s9, 0, s14
	s_add_u32 s14, s0, s1
	s_cselect_b64 s[0:1], -1, 0
	s_cmp_lg_u64 s[0:1], 0
	s_addc_u32 s8, s8, s9
	s_mul_i32 s0, s2, s8
	s_mul_hi_u32 s1, s2, s14
	s_add_i32 s0, s1, s0
	s_mul_i32 s3, s3, s14
	s_add_i32 s0, s0, s3
	s_mul_i32 s2, s2, s14
	s_mul_hi_u32 s3, s8, s2
	s_mul_i32 s9, s8, s2
	s_mul_i32 s16, s14, s0
	s_mul_hi_u32 s2, s14, s2
	s_mul_hi_u32 s15, s14, s0
	s_add_u32 s2, s2, s16
	s_addc_u32 s15, 0, s15
	s_add_u32 s2, s2, s9
	s_mul_hi_u32 s1, s8, s0
	s_addc_u32 s2, s15, s3
	s_addc_u32 s1, s1, 0
	s_mul_i32 s0, s8, s0
	s_add_u32 s0, s2, s0
	s_addc_u32 s2, 0, s1
	s_add_u32 s3, s14, s0
	s_cselect_b64 s[0:1], -1, 0
	s_cmp_lg_u64 s[0:1], 0
	s_addc_u32 s0, s8, s2
	s_mul_i32 s2, s56, s0
	s_mul_hi_u32 s8, s56, s3
	s_mul_hi_u32 s1, s56, s0
	s_add_u32 s2, s8, s2
	s_addc_u32 s1, 0, s1
	s_mul_hi_u32 s9, s57, s3
	s_mul_i32 s3, s57, s3
	s_add_u32 s2, s2, s3
	s_mul_hi_u32 s8, s57, s0
	s_addc_u32 s1, s1, s9
	s_addc_u32 s2, s8, 0
	s_mul_i32 s0, s57, s0
	s_add_u32 s0, s1, s0
	s_addc_u32 s1, 0, s2
	s_mul_i32 s1, s98, s1
	s_mul_hi_u32 s2, s98, s0
	s_add_i32 s2, s2, s1
	s_mul_i32 s0, s98, s0
	s_sub_u32 s3, s56, s0
	s_cselect_b64 s[0:1], -1, 0
	s_cmp_lg_u64 s[0:1], 0
	s_subb_u32 s2, s57, s2
	s_sub_u32 s8, s3, s98
	s_cselect_b64 s[0:1], -1, 0
	s_cmp_lg_u64 s[0:1], 0
	s_subb_u32 s9, s2, 0
	;; [unrolled: 4-line block ×3, first 2 shown]
	s_cmp_ge_u32 s8, s98
	s_cselect_b32 s1, -1, 0
	s_cmp_eq_u32 s9, 0
	s_cselect_b32 s1, s1, -1
	s_cmp_lg_u32 s1, 0
	s_cselect_b32 s0, s0, s9
	s_cselect_b32 s8, s14, s8
	s_cmp_ge_u32 s3, s98
	s_cselect_b32 s1, -1, 0
	s_cmp_eq_u32 s2, 0
	s_cselect_b32 s1, s1, -1
	s_cmp_lg_u32 s1, 0
	s_cselect_b32 s1, s0, s2
	s_cselect_b32 s0, s8, s3
	s_cbranch_execnz .LBB142_75
.LBB142_74:                             ;   in Loop: Header=BB142_30 Depth=1
	v_cvt_f32_u32_e32 v4, s98
	s_sub_i32 s0, 0, s98
	v_rcp_iflag_f32_e32 v4, v4
	s_nop 0
	v_mul_f32_e32 v4, 0x4f7ffffe, v4
	v_cvt_u32_f32_e32 v4, v4
	s_nop 0
	v_readfirstlane_b32 s1, v4
	s_mul_i32 s0, s0, s1
	s_mul_hi_u32 s0, s1, s0
	s_add_i32 s1, s1, s0
	s_mul_hi_u32 s0, s56, s1
	s_mul_i32 s0, s0, s98
	s_sub_i32 s0, s56, s0
	s_sub_i32 s1, s0, s98
	s_cmp_ge_u32 s0, s98
	s_cselect_b32 s0, s1, s0
	s_sub_i32 s1, s0, s98
	s_cmp_ge_u32 s0, s98
	s_cselect_b32 s0, s1, s0
	s_mov_b32 s1, s99
.LBB142_75:                             ;   in Loop: Header=BB142_30 Depth=1
	s_sub_u32 s54, s56, s0
	s_subb_u32 s55, s57, s1
	v_cmp_gt_u64_e32 vcc, s[54:55], v[14:15]
	v_mov_b64_e32 v[4:5], 0
	v_mov_b64_e32 v[6:7], 0
	;; [unrolled: 1-line block ×4, first 2 shown]
	s_and_saveexec_b64 s[14:15], vcc
	s_cbranch_execz .LBB142_79
; %bb.76:                               ;   in Loop: Header=BB142_30 Depth=1
	s_mov_b64 s[60:61], 0
	s_mov_b64 s[62:63], 0
	;; [unrolled: 1-line block ×5, first 2 shown]
	v_mov_b64_e32 v[26:27], v[14:15]
.LBB142_77:                             ;   Parent Loop BB142_30 Depth=1
                                        ; =>  This Inner Loop Header: Depth=2
	v_mul_lo_u32 v6, v27, s82
	v_mul_lo_u32 v7, v26, s83
	v_mad_u64_u32 v[4:5], s[0:1], v26, s82, 0
	v_add3_u32 v5, v5, v7, v6
	v_lshl_add_u64 v[4:5], v[4:5], 1, s[90:91]
	s_lshl_b64 s[0:1], s[82:83], 1
	global_load_ushort v6, v[4:5], off
	v_lshl_add_u64 v[4:5], v[4:5], 0, s[0:1]
	global_load_ushort v7, v[4:5], off
	v_lshl_add_u64 v[4:5], v[4:5], 0, s[0:1]
	;; [unrolled: 2-line block ×4, first 2 shown]
	v_cmp_le_u64_e32 vcc, s[54:55], v[26:27]
	s_waitcnt vmcnt(3)
	v_cmp_lt_i16_e64 s[0:1], -1, v6
	v_lshlrev_b32_e32 v5, 16, v6
	s_nop 0
	v_cndmask_b32_e64 v9, v35, v36, s[0:1]
	v_xor_b32_sdwa v6, v9, v6 dst_sel:DWORD dst_unused:UNUSED_PAD src0_sel:DWORD src1_sel:WORD_0
	v_cmp_o_f32_e64 s[0:1], v5, v5
	s_waitcnt vmcnt(2)
	v_cmp_lt_i16_e64 s[2:3], -1, v7
	v_lshlrev_b32_e32 v10, 16, v7
	v_cndmask_b32_e64 v6, v35, v6, s[0:1]
	v_cndmask_b32_e64 v5, v35, v36, s[2:3]
	s_waitcnt vmcnt(1)
	v_cmp_lt_i16_e64 s[0:1], -1, v8
	v_lshlrev_b32_e32 v9, 16, v8
	v_xor_b32_sdwa v5, v5, v7 dst_sel:DWORD dst_unused:UNUSED_PAD src0_sel:DWORD src1_sel:WORD_0
	v_cndmask_b32_e64 v7, v35, v36, s[0:1]
	s_waitcnt vmcnt(0)
	v_cmp_lt_i16_e64 s[0:1], -1, v4
	v_cmp_o_f32_e64 s[2:3], v10, v10
	v_lshlrev_b32_e32 v10, 16, v4
	v_xor_b32_sdwa v7, v7, v8 dst_sel:DWORD dst_unused:UNUSED_PAD src0_sel:DWORD src1_sel:WORD_0
	v_cndmask_b32_e64 v8, v35, v36, s[0:1]
	v_and_b32_e32 v11, v6, v39
	v_bfe_u32 v6, v6, s86, 2
	v_cmp_o_f32_e64 s[0:1], v9, v9
	v_cndmask_b32_e64 v5, v35, v5, s[2:3]
	v_xor_b32_sdwa v4, v8, v4 dst_sel:DWORD dst_unused:UNUSED_PAD src0_sel:DWORD src1_sel:WORD_0
	v_cndmask_b32_e64 v7, v35, v7, s[0:1]
	v_cmp_eq_u32_e64 s[0:1], v11, v18
	v_cmp_eq_u32_e64 s[2:3], 0, v6
	v_cmp_o_f32_e64 s[16:17], v10, v10
	v_and_b32_e32 v8, v5, v39
	v_bfe_u32 v5, v5, s86, 2
	v_cmp_eq_u32_e64 s[34:35], 1, v6
	v_cmp_eq_u32_e64 s[36:37], 2, v6
	;; [unrolled: 1-line block ×3, first 2 shown]
	v_cndmask_b32_e64 v4, v35, v4, s[16:17]
	v_and_b32_e32 v6, v7, v39
	v_bfe_u32 v7, v7, s86, 2
	s_and_b64 s[2:3], s[0:1], s[2:3]
	v_cmp_eq_u32_e64 s[16:17], v8, v18
	v_cmp_eq_u32_e64 s[26:27], 0, v5
	;; [unrolled: 1-line block ×5, first 2 shown]
	v_cndmask_b32_e64 v5, 0, 1, s[2:3]
	v_cmp_eq_u32_e64 s[22:23], v6, v18
	v_and_b32_e32 v6, v4, v39
	v_bfe_u32 v4, v4, s86, 2
	v_cmp_eq_u32_e64 s[2:3], 0, v7
	s_and_b64 s[8:9], s[16:17], s[26:27]
	v_cmp_eq_u32_e64 s[26:27], v6, v18
	v_cmp_eq_u32_e64 s[48:49], 0, v4
	s_and_b64 s[2:3], s[22:23], s[2:3]
	v_cmp_ne_u32_e64 s[46:47], 0, v5
	v_cndmask_b32_e64 v5, 0, 1, s[8:9]
	v_cmp_eq_u32_e64 s[50:51], 1, v4
	v_cmp_eq_u32_e64 s[52:53], 2, v4
	v_cmp_eq_u32_e64 s[28:29], 3, v4
	v_cndmask_b32_e64 v4, 0, 1, s[2:3]
	s_and_b64 s[8:9], s[26:27], s[48:49]
	v_cmp_ne_u32_e64 s[2:3], 0, v4
	v_cndmask_b32_e64 v4, 0, 1, s[8:9]
	s_bcnt1_i32_b64 s66, s[46:47]
	v_cmp_ne_u32_e64 s[46:47], 0, v5
	s_bcnt1_i32_b64 s8, s[2:3]
	v_cmp_ne_u32_e64 s[2:3], 0, v4
	s_bcnt1_i32_b64 s46, s[46:47]
	s_bcnt1_i32_b64 s2, s[2:3]
	s_add_u32 s3, s66, s64
	s_addc_u32 s9, 0, s65
	s_add_u32 s3, s3, s46
	s_addc_u32 s9, s9, 0
	;; [unrolled: 2-line block ×4, first 2 shown]
	s_and_b64 s[2:3], s[0:1], s[34:35]
	v_cmp_eq_u32_e64 s[42:43], 1, v7
	v_cndmask_b32_e64 v6, 0, 1, s[2:3]
	s_and_b64 s[2:3], s[16:17], s[38:39]
	v_cmp_eq_u32_e64 s[44:45], 2, v7
	v_cmp_eq_u32_e64 s[24:25], 3, v7
	v_cndmask_b32_e64 v7, 0, 1, s[2:3]
	s_and_b64 s[2:3], s[22:23], s[42:43]
	v_cndmask_b32_e64 v8, 0, 1, s[2:3]
	s_and_b64 s[2:3], s[26:27], s[50:51]
	v_cndmask_b32_e64 v9, 0, 1, s[2:3]
	v_cmp_ne_u32_e64 s[2:3], 0, v6
	v_cmp_ne_u32_e64 s[34:35], 0, v7
	;; [unrolled: 1-line block ×4, first 2 shown]
	s_bcnt1_i32_b64 s2, s[2:3]
	s_bcnt1_i32_b64 s3, s[34:35]
	;; [unrolled: 1-line block ×4, first 2 shown]
	s_add_u32 s2, s2, s78
	s_addc_u32 s34, 0, s79
	s_add_u32 s2, s2, s3
	s_addc_u32 s3, s34, 0
	;; [unrolled: 2-line block ×4, first 2 shown]
	s_and_b64 s[2:3], s[0:1], s[36:37]
	v_cndmask_b32_e64 v8, 0, 1, s[2:3]
	s_and_b64 s[2:3], s[16:17], s[40:41]
	v_cndmask_b32_e64 v9, 0, 1, s[2:3]
	;; [unrolled: 2-line block ×4, first 2 shown]
	v_cmp_ne_u32_e64 s[2:3], 0, v8
	v_cmp_ne_u32_e64 s[34:35], 0, v9
	;; [unrolled: 1-line block ×4, first 2 shown]
	s_bcnt1_i32_b64 s2, s[2:3]
	s_bcnt1_i32_b64 s3, s[34:35]
	;; [unrolled: 1-line block ×4, first 2 shown]
	s_add_u32 s2, s2, s94
	s_addc_u32 s34, 0, s95
	s_add_u32 s2, s2, s3
	s_addc_u32 s3, s34, 0
	;; [unrolled: 2-line block ×4, first 2 shown]
	s_and_b64 s[0:1], s[0:1], s[18:19]
	v_cndmask_b32_e64 v10, 0, 1, s[0:1]
	s_and_b64 s[0:1], s[16:17], s[20:21]
	v_cndmask_b32_e64 v11, 0, 1, s[0:1]
	;; [unrolled: 2-line block ×4, first 2 shown]
	v_cmp_ne_u32_e64 s[0:1], 0, v10
	v_cmp_ne_u32_e64 s[2:3], 0, v11
	;; [unrolled: 1-line block ×4, first 2 shown]
	s_bcnt1_i32_b64 s0, s[0:1]
	s_bcnt1_i32_b64 s1, s[2:3]
	;; [unrolled: 1-line block ×4, first 2 shown]
	s_add_u32 s0, s0, s62
	s_addc_u32 s8, 0, s63
	s_add_u32 s0, s0, s1
	s_addc_u32 s1, s8, 0
	;; [unrolled: 2-line block ×4, first 2 shown]
	v_mov_b64_e32 v[4:5], s[64:65]
	v_mov_b64_e32 v[6:7], s[78:79]
	;; [unrolled: 1-line block ×3, first 2 shown]
	s_or_b64 s[60:61], vcc, s[60:61]
	v_mov_b64_e32 v[10:11], s[62:63]
	s_andn2_b64 exec, exec, s[60:61]
	s_cbranch_execnz .LBB142_77
; %bb.78:                               ;   in Loop: Header=BB142_30 Depth=1
	s_or_b64 exec, exec, s[60:61]
	v_readlane_b32 s66, v61, 55
	v_readlane_b32 s67, v61, 56
	;; [unrolled: 1-line block ×4, first 2 shown]
	s_mov_b32 s79, s89
	s_mov_b32 s94, 0x5040100
.LBB142_79:                             ;   in Loop: Header=BB142_30 Depth=1
	s_or_b64 exec, exec, s[14:15]
	v_lshl_add_u64 v[26:27], s[54:55], 0, v[0:1]
	v_and_b32_e32 v2, 0xffff, v2
	v_cmp_gt_u64_e32 vcc, s[56:57], v[26:27]
	s_and_saveexec_b64 s[2:3], vcc
	s_cbranch_execz .LBB142_85
; %bb.80:                               ;   in Loop: Header=BB142_30 Depth=1
	v_mul_lo_u32 v41, v27, s82
	v_mul_lo_u32 v46, v26, s83
	v_mad_u64_u32 v[42:43], s[0:1], v26, s82, 0
	v_add3_u32 v43, v43, v46, v41
	v_lshl_add_u64 v[42:43], v[42:43], 1, s[90:91]
	global_load_ushort v42, v[42:43], off
	s_mov_b64 s[8:9], 0
	s_branch .LBB142_82
.LBB142_81:                             ;   in Loop: Header=BB142_82 Depth=2
	s_or_b64 exec, exec, s[14:15]
	s_and_b64 s[0:1], exec, vcc
	s_waitcnt vmcnt(0)
	v_cmp_lt_i16_e32 vcc, -1, v42
	v_lshlrev_b32_e32 v46, 16, v42
	s_or_b64 s[8:9], s[0:1], s[8:9]
	v_cndmask_b32_e32 v43, v35, v36, vcc
	v_xor_b32_sdwa v42, v43, v42 dst_sel:DWORD dst_unused:UNUSED_PAD src0_sel:DWORD src1_sel:WORD_0
	v_cmp_o_f32_e32 vcc, v46, v46
	s_nop 1
	v_cndmask_b32_e32 v42, v35, v42, vcc
	v_and_b32_e32 v43, v42, v39
	v_bfe_u32 v42, v42, s86, 2
	v_cmp_eq_u32_e32 vcc, v43, v18
	v_cmp_eq_u32_e64 s[0:1], 0, v42
	s_and_b64 s[0:1], vcc, s[0:1]
	s_nop 0
	v_cndmask_b32_e64 v43, 0, 1, s[0:1]
	v_cmp_ne_u32_e64 s[0:1], 0, v43
	s_bcnt1_i32_b64 s98, s[0:1]
	v_cmp_eq_u32_e64 s[0:1], 1, v42
	s_and_b64 s[0:1], vcc, s[0:1]
	v_lshl_add_u64 v[4:5], s[98:99], 0, v[4:5]
	v_cndmask_b32_e64 v43, 0, 1, s[0:1]
	v_cmp_ne_u32_e64 s[0:1], 0, v43
	s_bcnt1_i32_b64 s98, s[0:1]
	v_cmp_eq_u32_e64 s[0:1], 2, v42
	s_and_b64 s[0:1], vcc, s[0:1]
	v_lshl_add_u64 v[6:7], s[98:99], 0, v[6:7]
	;; [unrolled: 6-line block ×3, first 2 shown]
	v_cndmask_b32_e64 v42, 0, 1, s[0:1]
	v_cmp_ne_u32_e32 vcc, 0, v42
	s_bcnt1_i32_b64 s98, vcc
	v_lshl_add_u64 v[10:11], s[98:99], 0, v[10:11]
	v_mov_b32_e32 v42, v41
	s_andn2_b64 exec, exec, s[8:9]
	s_cbranch_execz .LBB142_84
.LBB142_82:                             ;   Parent Loop BB142_30 Depth=1
                                        ; =>  This Inner Loop Header: Depth=2
	v_lshl_add_u64 v[26:27], v[26:27], 0, v[2:3]
	v_cmp_gt_u64_e64 s[0:1], s[56:57], v[26:27]
	v_cmp_le_u64_e32 vcc, s[56:57], v[26:27]
	v_mov_b32_e32 v41, 0
	s_and_saveexec_b64 s[14:15], s[0:1]
	s_cbranch_execz .LBB142_81
; %bb.83:                               ;   in Loop: Header=BB142_82 Depth=2
	v_mul_lo_u32 v41, v27, s82
	v_mul_lo_u32 v43, v26, s83
	v_mad_u64_u32 v[46:47], s[0:1], v26, s82, 0
	v_add3_u32 v47, v47, v43, v41
	v_lshl_add_u64 v[46:47], v[46:47], 1, s[90:91]
	global_load_ushort v41, v[46:47], off
	s_branch .LBB142_81
.LBB142_84:                             ;   in Loop: Header=BB142_30 Depth=1
	s_or_b64 exec, exec, s[8:9]
.LBB142_85:                             ;   in Loop: Header=BB142_30 Depth=1
	s_or_b64 exec, exec, s[2:3]
	s_branch .LBB142_64
.LBB142_86:                             ;   in Loop: Header=BB142_30 Depth=1
	global_load_ushort v2, v3, s[70:71]
	v_mov_b64_e32 v[8:9], 0
	s_waitcnt vmcnt(0)
	v_readfirstlane_b32 s0, v2
	s_and_b32 s68, 0xffff, s0
	s_lshl_b32 s98, s68, 2
	v_cvt_f32_u32_e32 v4, s98
	s_sub_i32 s0, 0, s98
	v_rcp_iflag_f32_e32 v6, v4
	v_mov_b64_e32 v[4:5], 0
	v_mul_f32_e32 v6, 0x4f7ffffe, v6
	v_cvt_u32_f32_e32 v10, v6
	v_mov_b64_e32 v[6:7], 0
	v_readfirstlane_b32 s1, v10
	s_mul_i32 s0, s0, s1
	s_mul_hi_u32 s0, s1, s0
	s_add_i32 s1, s1, s0
	s_mul_hi_u32 s0, s80, s1
	s_mul_i32 s1, s0, s98
	s_sub_i32 s1, s80, s1
	s_add_i32 s2, s0, 1
	s_sub_i32 s3, s1, s98
	s_cmp_ge_u32 s1, s98
	s_cselect_b32 s0, s2, s0
	s_cselect_b32 s1, s3, s1
	s_add_i32 s2, s0, 1
	s_cmp_ge_u32 s1, s98
	s_cselect_b32 s0, s2, s0
	s_mul_hi_u32 s15, s68, s0
	s_mul_i32 s14, s68, s0
	s_lshl_b64 s[60:61], s[14:15], 2
	v_cmp_gt_u64_e32 vcc, s[60:61], v[14:15]
	v_mov_b64_e32 v[10:11], 0
	s_and_saveexec_b64 s[62:63], vcc
	s_cbranch_execz .LBB142_90
; %bb.87:                               ;   in Loop: Header=BB142_30 Depth=1
	s_lshl_b32 s15, s68, 3
	s_mov_b64 s[64:65], 0
	v_mov_b32_e32 v41, v33
	s_mov_b64 s[66:67], 0
	s_mov_b64 s[78:79], 0
	;; [unrolled: 1-line block ×4, first 2 shown]
	v_mov_b64_e32 v[26:27], v[14:15]
.LBB142_88:                             ;   Parent Loop BB142_30 Depth=1
                                        ; =>  This Inner Loop Header: Depth=2
	ds_read_b64 v[4:5], v41
	v_lshl_add_u64 v[26:27], v[26:27], 0, s[98:99]
	v_cmp_le_u64_e32 vcc, s[60:61], v[26:27]
	v_add_u32_e32 v41, s15, v41
	s_waitcnt lgkmcnt(0)
	v_cmp_lt_i16_e64 s[0:1], -1, v4
	v_lshlrev_b32_e32 v6, 16, v4
	s_nop 0
	v_cndmask_b32_e64 v10, v35, v36, s[0:1]
	v_cmp_gt_i16_sdwa s[0:1], v4, v19 src0_sel:WORD_1 src1_sel:DWORD
	v_and_b32_e32 v7, 0xffff0000, v4
	v_cmp_o_f32_e64 s[18:19], v6, v6
	v_cndmask_b32_e64 v11, v35, v36, s[0:1]
	v_cmp_lt_i16_e64 s[0:1], -1, v5
	v_xor_b32_sdwa v11, v11, v4 dst_sel:DWORD dst_unused:UNUSED_PAD src0_sel:DWORD src1_sel:WORD_1
	v_bitop3_b32 v4, v10, v4, s33 bitop3:0x78
	v_cndmask_b32_e64 v42, v35, v36, s[0:1]
	v_cmp_gt_i16_sdwa s[0:1], v5, v19 src0_sel:WORD_1 src1_sel:DWORD
	v_lshlrev_b32_e32 v8, 16, v5
	v_cndmask_b32_e64 v4, v35, v4, s[18:19]
	v_cndmask_b32_e64 v43, v35, v36, s[0:1]
	v_cmp_o_f32_e64 s[0:1], v7, v7
	v_and_b32_e32 v9, 0xffff0000, v5
	v_bitop3_b32 v7, v42, v5, s33 bitop3:0x78
	v_cmp_o_f32_e64 s[2:3], v8, v8
	v_cndmask_b32_e64 v6, v35, v11, s[0:1]
	v_and_b32_e32 v8, v4, v39
	v_bfe_u32 v4, v4, s86, 2
	v_xor_b32_sdwa v5, v43, v5 dst_sel:DWORD dst_unused:UNUSED_PAD src0_sel:DWORD src1_sel:WORD_1
	v_cmp_o_f32_e64 s[16:17], v9, v9
	v_cndmask_b32_e64 v7, v35, v7, s[2:3]
	v_and_b32_e32 v9, v6, v39
	v_bfe_u32 v6, v6, s86, 2
	v_cmp_eq_u32_e64 s[20:21], v8, v18
	v_cmp_eq_u32_e64 s[2:3], 0, v4
	v_cndmask_b32_e64 v5, v35, v5, s[16:17]
	v_and_b32_e32 v10, v7, v39
	v_bfe_u32 v7, v7, s86, 2
	v_cmp_eq_u32_e64 s[18:19], v9, v18
	v_cmp_eq_u32_e64 s[34:35], 0, v6
	s_and_b64 s[2:3], s[20:21], s[2:3]
	v_and_b32_e32 v11, v5, v39
	v_bfe_u32 v5, v5, s86, 2
	v_cmp_eq_u32_e64 s[16:17], v10, v18
	v_cmp_eq_u32_e64 s[36:37], 0, v7
	;; [unrolled: 1-line block ×5, first 2 shown]
	v_cndmask_b32_e64 v4, 0, 1, s[2:3]
	s_and_b64 s[2:3], s[18:19], s[34:35]
	v_cmp_eq_u32_e64 s[0:1], v11, v18
	v_cmp_eq_u32_e64 s[38:39], 0, v5
	;; [unrolled: 1-line block ×5, first 2 shown]
	v_cndmask_b32_e64 v5, 0, 1, s[2:3]
	s_and_b64 s[2:3], s[16:17], s[36:37]
	v_cmp_eq_u32_e64 s[42:43], 1, v6
	v_cmp_eq_u32_e64 s[50:51], 2, v6
	v_cmp_eq_u32_e64 s[26:27], 3, v6
	v_cndmask_b32_e64 v6, 0, 1, s[2:3]
	s_and_b64 s[2:3], s[0:1], s[38:39]
	v_cmp_eq_u32_e64 s[44:45], 1, v7
	v_cmp_eq_u32_e64 s[52:53], 2, v7
	;; [unrolled: 1-line block ×3, first 2 shown]
	v_cndmask_b32_e64 v7, 0, 1, s[2:3]
	v_cmp_ne_u32_e64 s[2:3], 0, v4
	v_cmp_ne_u32_e64 s[34:35], 0, v5
	;; [unrolled: 1-line block ×4, first 2 shown]
	s_bcnt1_i32_b64 s2, s[2:3]
	s_bcnt1_i32_b64 s3, s[34:35]
	;; [unrolled: 1-line block ×4, first 2 shown]
	s_add_u32 s2, s2, s8
	s_addc_u32 s8, 0, s9
	s_add_u32 s2, s2, s3
	s_addc_u32 s3, s8, 0
	;; [unrolled: 2-line block ×4, first 2 shown]
	s_and_b64 s[2:3], s[20:21], s[40:41]
	v_cndmask_b32_e64 v6, 0, 1, s[2:3]
	s_and_b64 s[2:3], s[18:19], s[42:43]
	v_cndmask_b32_e64 v7, 0, 1, s[2:3]
	;; [unrolled: 2-line block ×4, first 2 shown]
	v_cmp_ne_u32_e64 s[2:3], 0, v6
	v_cmp_ne_u32_e64 s[34:35], 0, v7
	;; [unrolled: 1-line block ×4, first 2 shown]
	s_bcnt1_i32_b64 s2, s[2:3]
	s_bcnt1_i32_b64 s3, s[34:35]
	;; [unrolled: 1-line block ×4, first 2 shown]
	s_add_u32 s2, s2, s94
	s_addc_u32 s36, 0, s95
	s_add_u32 s2, s2, s3
	s_addc_u32 s3, s36, 0
	;; [unrolled: 2-line block ×4, first 2 shown]
	s_and_b64 s[2:3], s[20:21], s[48:49]
	v_cndmask_b32_e64 v8, 0, 1, s[2:3]
	s_and_b64 s[2:3], s[18:19], s[50:51]
	v_cndmask_b32_e64 v9, 0, 1, s[2:3]
	;; [unrolled: 2-line block ×4, first 2 shown]
	v_cmp_ne_u32_e64 s[2:3], 0, v8
	v_cmp_ne_u32_e64 s[34:35], 0, v9
	;; [unrolled: 1-line block ×4, first 2 shown]
	s_bcnt1_i32_b64 s2, s[2:3]
	s_bcnt1_i32_b64 s3, s[34:35]
	;; [unrolled: 1-line block ×4, first 2 shown]
	s_add_u32 s2, s2, s78
	s_addc_u32 s36, 0, s79
	s_add_u32 s2, s2, s3
	s_addc_u32 s3, s36, 0
	;; [unrolled: 2-line block ×4, first 2 shown]
	s_and_b64 s[2:3], s[20:21], s[28:29]
	v_cndmask_b32_e64 v10, 0, 1, s[2:3]
	s_and_b64 s[2:3], s[18:19], s[26:27]
	v_cndmask_b32_e64 v11, 0, 1, s[2:3]
	s_and_b64 s[2:3], s[16:17], s[24:25]
	s_and_b64 s[0:1], s[0:1], s[22:23]
	v_cndmask_b32_e64 v42, 0, 1, s[2:3]
	v_cndmask_b32_e64 v43, 0, 1, s[0:1]
	v_cmp_ne_u32_e64 s[0:1], 0, v10
	v_cmp_ne_u32_e64 s[2:3], 0, v11
	;; [unrolled: 1-line block ×4, first 2 shown]
	s_bcnt1_i32_b64 s0, s[0:1]
	s_bcnt1_i32_b64 s1, s[2:3]
	;; [unrolled: 1-line block ×4, first 2 shown]
	s_add_u32 s0, s0, s66
	s_addc_u32 s16, 0, s67
	s_add_u32 s0, s0, s1
	s_addc_u32 s1, s16, 0
	;; [unrolled: 2-line block ×4, first 2 shown]
	v_mov_b64_e32 v[4:5], s[8:9]
	v_mov_b64_e32 v[6:7], s[94:95]
	;; [unrolled: 1-line block ×3, first 2 shown]
	s_or_b64 s[64:65], vcc, s[64:65]
	v_mov_b64_e32 v[10:11], s[66:67]
	s_andn2_b64 exec, exec, s[64:65]
	s_cbranch_execnz .LBB142_88
; %bb.89:                               ;   in Loop: Header=BB142_30 Depth=1
	s_or_b64 exec, exec, s[64:65]
	v_readlane_b32 s66, v61, 55
	v_readlane_b32 s67, v61, 56
	;; [unrolled: 1-line block ×4, first 2 shown]
	s_mov_b32 s79, s89
	s_mov_b32 s94, 0x5040100
.LBB142_90:                             ;   in Loop: Header=BB142_30 Depth=1
	s_or_b64 exec, exec, s[62:63]
	s_and_b32 s8, s80, 0x7fffffff
	s_mov_b32 s9, s99
	v_lshl_add_u64 v[26:27], s[60:61], 0, v[0:1]
	v_and_b32_e32 v2, 0xffff, v2
	v_cmp_gt_u64_e32 vcc, s[8:9], v[26:27]
	s_and_saveexec_b64 s[22:23], vcc
	s_cbranch_execz .LBB142_94
; %bb.91:                               ;   in Loop: Header=BB142_30 Depth=1
	v_lshl_add_u32 v41, s14, 3, v29
	s_lshl_b32 s24, s68, 1
	s_mov_b64 s[14:15], 0
.LBB142_92:                             ;   Parent Loop BB142_30 Depth=1
                                        ; =>  This Inner Loop Header: Depth=2
	ds_read_u16 v42, v41
	v_lshl_add_u64 v[26:27], v[26:27], 0, v[2:3]
	v_cmp_le_u64_e32 vcc, s[8:9], v[26:27]
	v_add_u32_e32 v41, s24, v41
	s_waitcnt lgkmcnt(0)
	v_cmp_lt_i16_e64 s[0:1], -1, v42
	v_lshlrev_b32_e32 v43, 16, v42
	s_nop 0
	v_cndmask_b32_e64 v46, v35, v36, s[0:1]
	v_xor_b32_sdwa v42, v46, v42 dst_sel:DWORD dst_unused:UNUSED_PAD src0_sel:DWORD src1_sel:WORD_0
	v_cmp_o_f32_e64 s[0:1], v43, v43
	s_nop 1
	v_cndmask_b32_e64 v42, v35, v42, s[0:1]
	v_and_b32_e32 v43, v42, v39
	v_bfe_u32 v42, v42, s86, 2
	v_cmp_eq_u32_e64 s[0:1], v43, v18
	v_cmp_eq_u32_e64 s[2:3], 0, v42
	;; [unrolled: 1-line block ×3, first 2 shown]
	s_and_b64 s[2:3], s[0:1], s[2:3]
	v_cmp_eq_u32_e64 s[18:19], 2, v42
	v_cmp_eq_u32_e64 s[20:21], 3, v42
	v_cndmask_b32_e64 v42, 0, 1, s[2:3]
	s_and_b64 s[2:3], s[0:1], s[16:17]
	v_cndmask_b32_e64 v43, 0, 1, s[2:3]
	s_and_b64 s[2:3], s[0:1], s[18:19]
	s_and_b64 s[0:1], s[0:1], s[20:21]
	v_cndmask_b32_e64 v47, 0, 1, s[0:1]
	v_cmp_ne_u32_e64 s[0:1], 0, v42
	v_cndmask_b32_e64 v46, 0, 1, s[2:3]
	v_cmp_ne_u32_e64 s[2:3], 0, v43
	s_bcnt1_i32_b64 s98, s[0:1]
	v_cmp_ne_u32_e64 s[16:17], 0, v46
	v_lshl_add_u64 v[4:5], s[98:99], 0, v[4:5]
	s_bcnt1_i32_b64 s98, s[2:3]
	v_cmp_ne_u32_e64 s[18:19], 0, v47
	v_lshl_add_u64 v[6:7], s[98:99], 0, v[6:7]
	s_bcnt1_i32_b64 s98, s[16:17]
	v_lshl_add_u64 v[8:9], s[98:99], 0, v[8:9]
	s_bcnt1_i32_b64 s98, s[18:19]
	s_or_b64 s[14:15], vcc, s[14:15]
	v_lshl_add_u64 v[10:11], s[98:99], 0, v[10:11]
	s_andn2_b64 exec, exec, s[14:15]
	s_cbranch_execnz .LBB142_92
; %bb.93:                               ;   in Loop: Header=BB142_30 Depth=1
	s_or_b64 exec, exec, s[14:15]
.LBB142_94:                             ;   in Loop: Header=BB142_30 Depth=1
	s_or_b64 exec, exec, s[22:23]
	s_lshl_b32 s2, s88, 6
	s_and_saveexec_b64 s[0:1], s[4:5]
	s_cbranch_execnz .LBB142_65
	s_branch .LBB142_66
.LBB142_95:                             ;   in Loop: Header=BB142_30 Depth=1
                                        ; implicit-def: $sgpr0_sgpr1
	s_branch .LBB142_74
.LBB142_96:                             ;   in Loop: Header=BB142_30 Depth=1
	s_mov_b32 s3, 0
	v_mov_b64_e32 v[4:5], 0
.LBB142_97:                             ;   in Loop: Header=BB142_30 Depth=1
	v_readlane_b32 s8, v61, 53
	v_readlane_b32 s9, v61, 54
	s_andn2_b64 vcc, exec, s[8:9]
	s_cbranch_vccnz .LBB142_100
; %bb.98:                               ;   in Loop: Header=BB142_30 Depth=1
	s_lshl_b32 s8, s88, 9
	s_lshl_b32 s3, s3, 5
	s_add_i32 s8, s8, s3
	v_add_u32_e32 v2, s8, v34
	v_readlane_b32 s3, v61, 52
.LBB142_99:                             ;   Parent Loop BB142_30 Depth=1
                                        ; =>  This Inner Loop Header: Depth=2
	ds_read_b64 v[6:7], v2
	s_add_i32 s3, s3, -1
	v_add_u32_e32 v2, 32, v2
	s_cmp_lg_u32 s3, 0
	s_waitcnt lgkmcnt(0)
	v_lshl_add_u64 v[4:5], v[6:7], 0, v[4:5]
	s_cbranch_scc1 .LBB142_99
.LBB142_100:                            ;   in Loop: Header=BB142_30 Depth=1
	v_add_lshl_u32 v2, s2, v28, 3
	ds_write_b64 v2, v[4:5] offset:3072
.LBB142_101:                            ;   in Loop: Header=BB142_30 Depth=1
	s_or_b64 exec, exec, s[0:1]
	s_lshl_b32 s0, s2, 3
	v_mov_b32_e32 v2, s0
	s_waitcnt lgkmcnt(0)
	s_barrier
	ds_read_b128 v[8:11], v2 offset:3088
	ds_read_b128 v[4:7], v2 offset:3072
	s_lshl_b32 s64, 3, s86
	v_cmp_eq_u64_e64 s[0:1], 1, v[24:25]
	s_not_b32 s54, s64
	s_waitcnt lgkmcnt(1)
	v_readfirstlane_b32 s22, v8
	s_waitcnt lgkmcnt(0)
	v_cmp_eq_u64_e32 vcc, 1, v[4:5]
	v_readfirstlane_b32 s23, v9
	v_readfirstlane_b32 s2, v10
	;; [unrolled: 1-line block ×3, first 2 shown]
	s_and_b64 s[18:19], vcc, s[0:1]
	s_mov_b64 s[0:1], -1
	s_mov_b64 s[20:21], -1
                                        ; implicit-def: $sgpr14_sgpr15
                                        ; implicit-def: $sgpr8_sgpr9
	s_and_saveexec_b64 s[16:17], s[18:19]
	s_cbranch_execz .LBB142_133
; %bb.102:                              ;   in Loop: Header=BB142_30 Depth=1
	ds_read_b64 v[8:9], v3 offset:5120
	s_waitcnt lgkmcnt(0)
	s_barrier
	v_readfirstlane_b32 s24, v8
	v_readfirstlane_b32 s25, v9
	s_mov_b64 s[8:9], exec
	v_readlane_b32 s14, v61, 38
	v_readlane_b32 s15, v61, 39
	s_and_b64 s[14:15], s[8:9], s[14:15]
	s_mov_b64 exec, s[14:15]
; %bb.103:                              ;   in Loop: Header=BB142_30 Depth=1
	ds_write_b16 v30, v3
; %bb.104:                              ;   in Loop: Header=BB142_30 Depth=1
	s_or_b64 exec, exec, s[8:9]
	v_and_b32_e32 v18, s54, v18
	v_or_b32_e32 v39, s64, v39
	s_mov_b64 s[8:9], -1
	s_mov_b64 s[14:15], 0
	s_cmp_eq_u64 s[24:25], 0
	s_mov_b64 s[20:21], 0
	s_mov_b64 s[26:27], -1
	s_waitcnt lgkmcnt(0)
	s_barrier
                                        ; implicit-def: $vgpr40
	s_cbranch_scc1 .LBB142_118
; %bb.105:                              ;   in Loop: Header=BB142_30 Depth=1
	v_readlane_b32 s20, v61, 44
	s_add_u32 s34, s24, s20
	v_readlane_b32 s20, v61, 45
	s_addc_u32 s21, s25, s20
	s_mov_b32 s20, s99
	s_cmp_lg_u64 s[20:21], 0
	s_cbranch_scc0 .LBB142_159
; %bb.106:                              ;   in Loop: Header=BB142_30 Depth=1
	v_cvt_f32_u32_e32 v2, s96
	s_sub_u32 s20, 0, s96
	s_subb_u32 s28, 0, 0
	v_fmac_f32_e32 v2, 0, v37
	v_rcp_f32_e32 v2, v2
	s_nop 0
	v_mul_f32_e32 v2, 0x5f7ffffc, v2
	v_mul_f32_e32 v8, 0x2f800000, v2
	v_trunc_f32_e32 v8, v8
	v_fmac_f32_e32 v2, 0xcf800000, v8
	v_cvt_u32_f32_e32 v8, v8
	v_cvt_u32_f32_e32 v2, v2
	v_readfirstlane_b32 s29, v8
	v_readfirstlane_b32 s26, v2
	s_mul_i32 s27, s20, s29
	s_mul_hi_u32 s36, s20, s26
	s_mul_i32 s35, s28, s26
	s_add_i32 s27, s36, s27
	s_mul_i32 s37, s20, s26
	s_add_i32 s27, s27, s35
	s_mul_hi_u32 s36, s26, s37
	s_mul_i32 s38, s26, s27
	s_mul_hi_u32 s35, s26, s27
	s_add_u32 s36, s36, s38
	s_addc_u32 s35, 0, s35
	s_mul_hi_u32 s39, s29, s37
	s_mul_i32 s37, s29, s37
	s_add_u32 s36, s36, s37
	s_mul_hi_u32 s38, s29, s27
	s_addc_u32 s35, s35, s39
	s_addc_u32 s36, s38, 0
	s_mul_i32 s27, s29, s27
	s_add_u32 s27, s35, s27
	s_addc_u32 s35, 0, s36
	s_add_u32 s36, s26, s27
	s_cselect_b64 s[26:27], -1, 0
	s_cmp_lg_u64 s[26:27], 0
	s_addc_u32 s29, s29, s35
	s_mul_i32 s26, s20, s29
	s_mul_hi_u32 s27, s20, s36
	s_add_i32 s26, s27, s26
	s_mul_i32 s28, s28, s36
	s_add_i32 s26, s26, s28
	s_mul_i32 s20, s20, s36
	s_mul_hi_u32 s28, s29, s20
	s_mul_i32 s35, s29, s20
	s_mul_i32 s38, s36, s26
	s_mul_hi_u32 s20, s36, s20
	s_mul_hi_u32 s37, s36, s26
	s_add_u32 s20, s20, s38
	s_addc_u32 s37, 0, s37
	s_add_u32 s20, s20, s35
	s_mul_hi_u32 s27, s29, s26
	s_addc_u32 s20, s37, s28
	s_addc_u32 s27, s27, 0
	s_mul_i32 s26, s29, s26
	s_add_u32 s20, s20, s26
	s_addc_u32 s28, 0, s27
	s_add_u32 s20, s36, s20
	s_cselect_b64 s[26:27], -1, 0
	s_cmp_lg_u64 s[26:27], 0
	s_addc_u32 s26, s29, s28
	s_mul_i32 s28, s34, s26
	s_mul_hi_u32 s29, s34, s20
	s_mul_hi_u32 s27, s34, s26
	s_add_u32 s28, s29, s28
	s_addc_u32 s27, 0, s27
	s_mul_hi_u32 s35, s21, s20
	s_mul_i32 s20, s21, s20
	s_add_u32 s20, s28, s20
	s_mul_hi_u32 s29, s21, s26
	s_addc_u32 s20, s27, s35
	s_addc_u32 s27, s29, 0
	s_mul_i32 s26, s21, s26
	s_add_u32 s20, s20, s26
	s_addc_u32 s26, 0, s27
	s_mul_i32 s26, s96, s26
	s_mul_hi_u32 s27, s96, s20
	s_add_i32 s28, s27, s26
	s_mul_i32 s20, s96, s20
	s_sub_u32 s20, s34, s20
	s_cselect_b64 s[26:27], -1, 0
	s_cmp_lg_u64 s[26:27], 0
	s_subb_u32 s28, s21, s28
	s_sub_u32 s29, s20, s96
	s_cselect_b64 s[26:27], -1, 0
	s_cmp_lg_u64 s[26:27], 0
	s_subb_u32 s35, s28, 0
	;; [unrolled: 4-line block ×3, first 2 shown]
	s_cmp_ge_u32 s29, s96
	s_cselect_b32 s27, -1, 0
	s_cmp_eq_u32 s35, 0
	s_cselect_b32 s27, s27, -1
	s_cmp_lg_u32 s27, 0
	s_cselect_b32 s26, s26, s35
	s_cselect_b32 s29, s36, s29
	s_cmp_ge_u32 s20, s96
	s_cselect_b32 s27, -1, 0
	s_cmp_eq_u32 s28, 0
	s_cselect_b32 s27, s27, -1
	s_cmp_lg_u32 s27, 0
	s_cselect_b32 s27, s26, s28
	s_cselect_b32 s26, s29, s20
	s_cbranch_execnz .LBB142_108
.LBB142_107:                            ;   in Loop: Header=BB142_30 Depth=1
	v_cvt_f32_u32_e32 v2, s96
	s_sub_i32 s20, 0, s96
	v_rcp_iflag_f32_e32 v2, v2
	s_nop 0
	v_mul_f32_e32 v2, 0x4f7ffffe, v2
	v_cvt_u32_f32_e32 v2, v2
	s_nop 0
	v_readfirstlane_b32 s26, v2
	s_mul_i32 s20, s20, s26
	s_mul_hi_u32 s20, s26, s20
	s_add_i32 s26, s26, s20
	s_mul_hi_u32 s20, s34, s26
	s_mul_i32 s20, s20, s96
	s_sub_i32 s20, s34, s20
	s_sub_i32 s26, s20, s96
	s_cmp_ge_u32 s20, s96
	s_cselect_b32 s20, s26, s20
	s_sub_i32 s26, s20, s96
	s_cmp_ge_u32 s20, s96
	s_cselect_b32 s98, s26, s20
	s_mov_b64 s[26:27], s[98:99]
.LBB142_108:                            ;   in Loop: Header=BB142_30 Depth=1
	s_sub_u32 s34, s34, s26
	s_subb_u32 s35, s21, s27
	v_cmp_gt_u64_e32 vcc, s[34:35], v[0:1]
	s_mov_b64 s[26:27], 0
	s_mov_b64 s[20:21], 0
                                        ; implicit-def: $vgpr40
	s_and_saveexec_b64 s[28:29], vcc
	s_cbranch_execz .LBB142_117
; %bb.109:                              ;   in Loop: Header=BB142_30 Depth=1
	v_mov_b32_e32 v2, v29
	v_mov_b64_e32 v[8:9], v[0:1]
                                        ; implicit-def: $sgpr36_sgpr37
	s_branch .LBB142_112
.LBB142_110:                            ;   in Loop: Header=BB142_112 Depth=2
	s_or_b64 exec, exec, s[38:39]
	s_waitcnt lgkmcnt(0)
	s_barrier
	ds_read_b32 v10, v3 offset:3072
	s_mov_b64 s[38:39], -1
	s_mov_b64 s[40:41], -1
	s_waitcnt lgkmcnt(0)
	s_barrier
	v_and_b32_e32 v11, 0x7fff, v10
	v_cmp_ne_u32_e32 vcc, 0, v11
	s_cbranch_vccz .LBB142_115
.LBB142_111:                            ;   in Loop: Header=BB142_112 Depth=2
	s_and_b64 s[38:39], exec, s[38:39]
	s_or_b64 s[20:21], s[38:39], s[20:21]
	s_andn2_b64 s[36:37], s[36:37], exec
	s_and_b64 s[38:39], s[40:41], exec
	s_or_b64 s[36:37], s[36:37], s[38:39]
	s_andn2_b64 exec, exec, s[20:21]
	s_cbranch_execz .LBB142_116
.LBB142_112:                            ;   Parent Loop BB142_30 Depth=1
                                        ; =>  This Inner Loop Header: Depth=2
	v_cmp_gt_u64_e32 vcc, s[24:25], v[8:9]
	s_and_saveexec_b64 s[38:39], vcc
	s_cbranch_execz .LBB142_110
; %bb.113:                              ;   in Loop: Header=BB142_112 Depth=2
	ds_read_u16 v10, v2
	s_waitcnt lgkmcnt(0)
	v_cmp_lt_i16_e32 vcc, -1, v10
	v_lshlrev_b32_e32 v11, 16, v10
	s_nop 0
	v_cndmask_b32_e32 v26, v35, v36, vcc
	v_xor_b32_sdwa v26, v26, v10 dst_sel:DWORD dst_unused:UNUSED_PAD src0_sel:DWORD src1_sel:WORD_0
	v_cmp_o_f32_e32 vcc, v11, v11
	s_nop 1
	v_cndmask_b32_e32 v11, v35, v26, vcc
	v_and_b32_e32 v11, v11, v39
	v_cmp_eq_u32_e32 vcc, v11, v18
	s_and_b64 exec, exec, vcc
	s_cbranch_execz .LBB142_110
; %bb.114:                              ;   in Loop: Header=BB142_112 Depth=2
	v_perm_b32 v10, v10, s6, v38
	ds_write_b32 v3, v10 offset:3072
	s_branch .LBB142_110
.LBB142_115:                            ;   in Loop: Header=BB142_112 Depth=2
	v_lshl_add_u64 v[8:9], v[8:9], 0, s[96:97]
	v_cmp_le_u64_e32 vcc, s[34:35], v[8:9]
	v_add_u32_e32 v2, s77, v2
	s_mov_b64 s[40:41], 0
	s_orn2_b64 s[38:39], vcc, exec
	s_branch .LBB142_111
.LBB142_116:                            ;   in Loop: Header=BB142_30 Depth=1
	s_or_b64 exec, exec, s[20:21]
	v_lshrrev_b32_e32 v40, 16, v10
	s_and_b64 s[20:21], s[36:37], exec
.LBB142_117:                            ;   in Loop: Header=BB142_30 Depth=1
	s_or_b64 exec, exec, s[28:29]
.LBB142_118:                            ;   in Loop: Header=BB142_30 Depth=1
	s_and_b64 vcc, exec, s[26:27]
	s_cbranch_vccz .LBB142_132
; %bb.119:                              ;   in Loop: Header=BB142_30 Depth=1
	s_mov_b32 s68, s99
	s_cmp_lg_u64 s[68:69], 0
	s_cbranch_scc0 .LBB142_163
; %bb.120:                              ;   in Loop: Header=BB142_30 Depth=1
	v_cvt_f32_u32_e32 v2, s96
	s_sub_u32 s14, 0, s96
	s_subb_u32 s15, 0, 0
	v_fmac_f32_e32 v2, 0, v37
	v_rcp_f32_e32 v2, v2
	s_nop 0
	v_mul_f32_e32 v2, 0x5f7ffffc, v2
	v_mul_f32_e32 v8, 0x2f800000, v2
	v_trunc_f32_e32 v8, v8
	v_fmac_f32_e32 v2, 0xcf800000, v8
	v_cvt_u32_f32_e32 v8, v8
	v_cvt_u32_f32_e32 v2, v2
	v_readfirstlane_b32 s24, v8
	v_readfirstlane_b32 s8, v2
	s_mul_i32 s9, s14, s24
	s_mul_hi_u32 s26, s14, s8
	s_mul_i32 s25, s15, s8
	s_add_i32 s9, s26, s9
	s_mul_i32 s27, s14, s8
	s_add_i32 s9, s9, s25
	s_mul_hi_u32 s26, s8, s27
	s_mul_i32 s28, s8, s9
	s_mul_hi_u32 s25, s8, s9
	s_add_u32 s26, s26, s28
	s_addc_u32 s25, 0, s25
	s_mul_hi_u32 s29, s24, s27
	s_mul_i32 s27, s24, s27
	s_add_u32 s26, s26, s27
	s_mul_hi_u32 s28, s24, s9
	s_addc_u32 s25, s25, s29
	s_addc_u32 s26, s28, 0
	s_mul_i32 s9, s24, s9
	s_add_u32 s9, s25, s9
	s_addc_u32 s25, 0, s26
	s_add_u32 s26, s8, s9
	s_cselect_b64 s[8:9], -1, 0
	s_cmp_lg_u64 s[8:9], 0
	s_addc_u32 s24, s24, s25
	s_mul_i32 s8, s14, s24
	s_mul_hi_u32 s9, s14, s26
	s_add_i32 s8, s9, s8
	s_mul_i32 s15, s15, s26
	s_add_i32 s8, s8, s15
	s_mul_i32 s14, s14, s26
	s_mul_hi_u32 s15, s24, s14
	s_mul_i32 s25, s24, s14
	s_mul_i32 s28, s26, s8
	s_mul_hi_u32 s14, s26, s14
	s_mul_hi_u32 s27, s26, s8
	s_add_u32 s14, s14, s28
	s_addc_u32 s27, 0, s27
	s_add_u32 s14, s14, s25
	s_mul_hi_u32 s9, s24, s8
	s_addc_u32 s14, s27, s15
	s_addc_u32 s9, s9, 0
	s_mul_i32 s8, s24, s8
	s_add_u32 s8, s14, s8
	s_addc_u32 s14, 0, s9
	s_add_u32 s15, s26, s8
	s_cselect_b64 s[8:9], -1, 0
	s_cmp_lg_u64 s[8:9], 0
	s_addc_u32 s8, s24, s14
	s_mul_i32 s14, s31, s8
	s_mul_hi_u32 s24, s31, s15
	s_mul_hi_u32 s9, s31, s8
	s_add_u32 s14, s24, s14
	s_addc_u32 s9, 0, s9
	s_mul_hi_u32 s25, s69, s15
	s_mul_i32 s15, s69, s15
	s_add_u32 s14, s14, s15
	s_mul_hi_u32 s24, s69, s8
	s_addc_u32 s9, s9, s25
	s_addc_u32 s14, s24, 0
	s_mul_i32 s8, s69, s8
	s_add_u32 s8, s9, s8
	s_addc_u32 s9, 0, s14
	s_mul_i32 s9, s96, s9
	s_mul_hi_u32 s14, s96, s8
	s_add_i32 s14, s14, s9
	s_mul_i32 s8, s96, s8
	s_sub_u32 s15, s31, s8
	s_cselect_b64 s[8:9], -1, 0
	s_cmp_lg_u64 s[8:9], 0
	s_subb_u32 s14, s69, s14
	s_sub_u32 s24, s15, s96
	s_cselect_b64 s[8:9], -1, 0
	s_cmp_lg_u64 s[8:9], 0
	s_subb_u32 s25, s14, 0
	;; [unrolled: 4-line block ×3, first 2 shown]
	s_cmp_ge_u32 s24, s96
	s_cselect_b32 s9, -1, 0
	s_cmp_eq_u32 s25, 0
	s_cselect_b32 s9, s9, -1
	s_cmp_lg_u32 s9, 0
	s_cselect_b32 s8, s8, s25
	s_cselect_b32 s24, s26, s24
	s_cmp_ge_u32 s15, s96
	s_cselect_b32 s9, -1, 0
	s_cmp_eq_u32 s14, 0
	s_cselect_b32 s9, s9, -1
	s_cmp_lg_u32 s9, 0
	s_cselect_b32 s9, s8, s14
	s_cselect_b32 s8, s24, s15
	s_cbranch_execnz .LBB142_122
.LBB142_121:                            ;   in Loop: Header=BB142_30 Depth=1
	v_cvt_f32_u32_e32 v2, s96
	s_sub_i32 s8, 0, s96
	v_rcp_iflag_f32_e32 v2, v2
	s_nop 0
	v_mul_f32_e32 v2, 0x4f7ffffe, v2
	v_cvt_u32_f32_e32 v2, v2
	s_nop 0
	v_readfirstlane_b32 s9, v2
	s_mul_i32 s8, s8, s9
	s_mul_hi_u32 s8, s9, s8
	s_add_i32 s9, s9, s8
	s_mul_hi_u32 s8, s31, s9
	s_mul_i32 s8, s8, s96
	s_sub_i32 s8, s31, s8
	s_sub_i32 s9, s8, s96
	s_cmp_ge_u32 s8, s96
	s_cselect_b32 s8, s9, s8
	s_sub_i32 s9, s8, s96
	s_cmp_ge_u32 s8, s96
	s_cselect_b32 s98, s9, s8
	s_mov_b64 s[8:9], s[98:99]
.LBB142_122:                            ;   in Loop: Header=BB142_30 Depth=1
	s_sub_u32 s14, s31, s8
	s_subb_u32 s15, s69, s9
	v_cmp_gt_u64_e32 vcc, s[14:15], v[0:1]
                                        ; implicit-def: $vgpr40
	s_and_saveexec_b64 s[8:9], vcc
	s_cbranch_execz .LBB142_131
; %bb.123:                              ;   in Loop: Header=BB142_30 Depth=1
	s_mov_b64 s[24:25], 0
	v_mov_b64_e32 v[8:9], v[0:1]
                                        ; implicit-def: $sgpr26_sgpr27
	s_branch .LBB142_126
.LBB142_124:                            ;   in Loop: Header=BB142_126 Depth=2
	s_or_b64 exec, exec, s[28:29]
	s_waitcnt lgkmcnt(0)
	s_barrier
	ds_read_b32 v2, v3 offset:3072
	s_mov_b64 s[28:29], -1
	s_mov_b64 s[34:35], -1
	s_waitcnt lgkmcnt(0)
	s_barrier
	v_and_b32_e32 v10, 0x7fff, v2
	v_cmp_ne_u32_e32 vcc, 0, v10
	s_cbranch_vccz .LBB142_129
.LBB142_125:                            ;   in Loop: Header=BB142_126 Depth=2
	s_and_b64 s[28:29], exec, s[28:29]
	s_or_b64 s[24:25], s[28:29], s[24:25]
	s_andn2_b64 s[26:27], s[26:27], exec
	s_and_b64 s[28:29], s[34:35], exec
	s_or_b64 s[26:27], s[26:27], s[28:29]
	s_andn2_b64 exec, exec, s[24:25]
	s_cbranch_execz .LBB142_130
.LBB142_126:                            ;   Parent Loop BB142_30 Depth=1
                                        ; =>  This Inner Loop Header: Depth=2
	v_cmp_gt_u64_e32 vcc, s[56:57], v[8:9]
	s_and_saveexec_b64 s[28:29], vcc
	s_cbranch_execz .LBB142_124
; %bb.127:                              ;   in Loop: Header=BB142_126 Depth=2
	v_mul_lo_u32 v2, v9, s82
	v_mul_lo_u32 v26, v8, s83
	v_mad_u64_u32 v[10:11], s[34:35], v8, s82, 0
	v_add3_u32 v11, v11, v26, v2
	v_lshl_add_u64 v[10:11], v[10:11], 1, s[90:91]
	global_load_ushort v2, v[10:11], off
	s_waitcnt vmcnt(0)
	v_cmp_lt_i16_e32 vcc, -1, v2
	v_lshlrev_b32_e32 v10, 16, v2
	s_nop 0
	v_cndmask_b32_e32 v11, v35, v36, vcc
	v_xor_b32_sdwa v11, v11, v2 dst_sel:DWORD dst_unused:UNUSED_PAD src0_sel:DWORD src1_sel:WORD_0
	v_cmp_o_f32_e32 vcc, v10, v10
	s_nop 1
	v_cndmask_b32_e32 v10, v35, v11, vcc
	v_and_b32_e32 v10, v10, v39
	v_cmp_eq_u32_e32 vcc, v10, v18
	s_and_b64 exec, exec, vcc
	s_cbranch_execz .LBB142_124
; %bb.128:                              ;   in Loop: Header=BB142_126 Depth=2
	v_perm_b32 v2, v2, s6, v38
	ds_write_b32 v3, v2 offset:3072
	s_branch .LBB142_124
.LBB142_129:                            ;   in Loop: Header=BB142_126 Depth=2
	v_lshl_add_u64 v[8:9], v[8:9], 0, s[96:97]
	v_cmp_le_u64_e32 vcc, s[14:15], v[8:9]
	s_mov_b64 s[34:35], 0
	s_orn2_b64 s[28:29], vcc, exec
	s_branch .LBB142_125
.LBB142_130:                            ;   in Loop: Header=BB142_30 Depth=1
	s_or_b64 exec, exec, s[24:25]
	s_andn2_b64 s[14:15], s[20:21], exec
	s_and_b64 s[20:21], s[26:27], exec
	v_lshrrev_b32_e32 v40, 16, v2
	s_or_b64 s[20:21], s[14:15], s[20:21]
.LBB142_131:                            ;   in Loop: Header=BB142_30 Depth=1
	s_or_b64 exec, exec, s[8:9]
	s_mov_b64 s[8:9], 0
	s_mov_b64 s[14:15], -1
.LBB142_132:                            ;   in Loop: Header=BB142_30 Depth=1
	s_orn2_b64 s[20:21], s[20:21], exec
.LBB142_133:                            ;   in Loop: Header=BB142_30 Depth=1
	s_or_b64 exec, exec, s[16:17]
	s_andn2_b64 s[16:17], s[58:59], exec
	s_and_b64 s[14:15], s[14:15], exec
	s_or_b64 s[58:59], s[16:17], s[14:15]
	s_andn2_b64 s[14:15], s[84:85], exec
	s_and_b64 s[8:9], s[8:9], exec
	s_andn2_b64 s[74:75], s[74:75], exec
	s_or_b64 s[84:85], s[14:15], s[8:9]
                                        ; implicit-def: $vgpr8_vgpr9
	s_and_saveexec_b64 s[16:17], s[20:21]
	s_cbranch_execz .LBB142_29
; %bb.134:                              ;   in Loop: Header=BB142_30 Depth=1
	s_xor_b64 s[8:9], s[18:19], -1
	v_mov_b32_e32 v2, 1
	s_mov_b64 s[14:15], 0
	v_mov_b64_e32 v[8:9], 1
	s_and_saveexec_b64 s[0:1], s[8:9]
	s_cbranch_execz .LBB142_143
; %bb.135:                              ;   in Loop: Header=BB142_30 Depth=1
	v_cmp_le_u64_e32 vcc, v[24:25], v[4:5]
	s_and_saveexec_b64 s[8:9], vcc
	s_xor_b64 s[8:9], exec, s[8:9]
	s_cbranch_execz .LBB142_140
; %bb.136:                              ;   in Loop: Header=BB142_30 Depth=1
	ds_read_b64 v[8:9], v3 offset:5120
	v_and_b32_e32 v18, s54, v18
	v_or_b32_e32 v39, s64, v39
	s_waitcnt lgkmcnt(0)
	v_cmp_ne_u64_e32 vcc, 0, v[8:9]
	s_cbranch_vccnz .LBB142_140
; %bb.137:                              ;   in Loop: Header=BB142_30 Depth=1
	s_mov_b64 s[14:15], exec
	v_readlane_b32 s18, v61, 36
	v_readlane_b32 s19, v61, 37
	s_and_b64 s[18:19], s[14:15], s[18:19]
	s_mov_b64 exec, s[18:19]
; %bb.138:                              ;   in Loop: Header=BB142_30 Depth=1
	ds_write_b64 v3, v[4:5] offset:5128
; %bb.139:                              ;   in Loop: Header=BB142_30 Depth=1
	s_or_b64 exec, exec, s[14:15]
	s_waitcnt lgkmcnt(0)
	s_barrier
.LBB142_140:                            ;   in Loop: Header=BB142_30 Depth=1
	s_or_saveexec_b64 s[8:9], s[8:9]
	s_mov_b64 s[14:15], 0
	v_mov_b32_e32 v2, 8
	s_xor_b64 exec, exec, s[8:9]
; %bb.141:                              ;   in Loop: Header=BB142_30 Depth=1
	v_sub_co_u32_e32 v24, vcc, v24, v4
	s_mov_b64 s[14:15], exec
	s_nop 0
	v_subb_co_u32_e32 v25, vcc, v25, v5, vcc
	v_mov_b32_e32 v2, 0
; %bb.142:                              ;   in Loop: Header=BB142_30 Depth=1
	s_or_b64 exec, exec, s[8:9]
	s_and_b64 s[14:15], s[14:15], exec
	v_mov_b64_e32 v[8:9], v[24:25]
.LBB142_143:                            ;   in Loop: Header=BB142_30 Depth=1
	s_or_b64 exec, exec, s[0:1]
	s_mov_b64 s[18:19], -1
	s_mov_b64 s[8:9], -1
                                        ; implicit-def: $sgpr0_sgpr1
                                        ; implicit-def: $sgpr24_sgpr25
	s_and_saveexec_b64 s[20:21], s[14:15]
	s_xor_b64 s[20:21], exec, s[20:21]
	s_cbranch_execz .LBB142_288
; %bb.144:                              ;   in Loop: Header=BB142_30 Depth=1
	v_cmp_eq_u64_e32 vcc, 1, v[6:7]
	v_cmp_eq_u64_e64 s[0:1], 1, v[8:9]
	s_and_b64 s[28:29], vcc, s[0:1]
                                        ; implicit-def: $sgpr24_sgpr25
                                        ; implicit-def: $sgpr0_sgpr1
	s_and_saveexec_b64 s[26:27], s[28:29]
	s_cbranch_execz .LBB142_181
; %bb.145:                              ;   in Loop: Header=BB142_30 Depth=1
	ds_read_b64 v[4:5], v3 offset:5120
	s_waitcnt lgkmcnt(0)
	s_barrier
	v_readfirstlane_b32 s14, v4
	v_readfirstlane_b32 s15, v5
	s_mov_b64 s[0:1], exec
	v_readlane_b32 s8, v61, 38
	v_readlane_b32 s9, v61, 39
	s_and_b64 s[8:9], s[0:1], s[8:9]
	s_mov_b64 exec, s[8:9]
; %bb.146:                              ;   in Loop: Header=BB142_30 Depth=1
	ds_write_b16 v30, v3
; %bb.147:                              ;   in Loop: Header=BB142_30 Depth=1
	s_or_b64 exec, exec, s[0:1]
	v_and_b32_e32 v4, s54, v18
	v_lshl_or_b32 v18, 1, s86, v4
	v_or_b32_e32 v39, s64, v39
	s_mov_b64 s[0:1], -1
	s_mov_b64 s[24:25], 0
	s_cmp_eq_u64 s[14:15], 0
	s_mov_b64 s[8:9], 0
	s_mov_b64 s[34:35], -1
	s_waitcnt lgkmcnt(0)
	s_barrier
                                        ; implicit-def: $vgpr40
	s_cbranch_scc1 .LBB142_166
; %bb.148:                              ;   in Loop: Header=BB142_30 Depth=1
	v_readlane_b32 s8, v61, 44
	s_add_u32 s38, s14, s8
	v_readlane_b32 s8, v61, 45
	s_addc_u32 s9, s15, s8
	s_mov_b32 s8, s99
	s_cmp_lg_u64 s[8:9], 0
	s_cbranch_scc0 .LBB142_208
; %bb.149:                              ;   in Loop: Header=BB142_30 Depth=1
	v_cvt_f32_u32_e32 v4, s96
	s_sub_u32 s8, 0, s96
	s_subb_u32 s36, 0, 0
	v_fmac_f32_e32 v4, 0, v37
	v_rcp_f32_e32 v4, v4
	s_nop 0
	v_mul_f32_e32 v4, 0x5f7ffffc, v4
	v_mul_f32_e32 v5, 0x2f800000, v4
	v_trunc_f32_e32 v5, v5
	v_fmac_f32_e32 v4, 0xcf800000, v5
	v_cvt_u32_f32_e32 v5, v5
	v_cvt_u32_f32_e32 v4, v4
	v_readfirstlane_b32 s37, v5
	v_readfirstlane_b32 s34, v4
	s_mul_i32 s35, s8, s37
	s_mul_hi_u32 s40, s8, s34
	s_mul_i32 s39, s36, s34
	s_add_i32 s35, s40, s35
	s_mul_i32 s41, s8, s34
	s_add_i32 s35, s35, s39
	s_mul_hi_u32 s40, s34, s41
	s_mul_i32 s42, s34, s35
	s_mul_hi_u32 s39, s34, s35
	s_add_u32 s40, s40, s42
	s_addc_u32 s39, 0, s39
	s_mul_hi_u32 s43, s37, s41
	s_mul_i32 s41, s37, s41
	s_add_u32 s40, s40, s41
	s_mul_hi_u32 s42, s37, s35
	s_addc_u32 s39, s39, s43
	s_addc_u32 s40, s42, 0
	s_mul_i32 s35, s37, s35
	s_add_u32 s35, s39, s35
	s_addc_u32 s39, 0, s40
	s_add_u32 s40, s34, s35
	s_cselect_b64 s[34:35], -1, 0
	s_cmp_lg_u64 s[34:35], 0
	s_addc_u32 s37, s37, s39
	s_mul_i32 s34, s8, s37
	s_mul_hi_u32 s35, s8, s40
	s_add_i32 s34, s35, s34
	s_mul_i32 s36, s36, s40
	s_add_i32 s34, s34, s36
	s_mul_i32 s8, s8, s40
	s_mul_hi_u32 s36, s37, s8
	s_mul_i32 s39, s37, s8
	s_mul_i32 s42, s40, s34
	s_mul_hi_u32 s8, s40, s8
	s_mul_hi_u32 s41, s40, s34
	s_add_u32 s8, s8, s42
	s_addc_u32 s41, 0, s41
	s_add_u32 s8, s8, s39
	s_mul_hi_u32 s35, s37, s34
	s_addc_u32 s8, s41, s36
	s_addc_u32 s35, s35, 0
	s_mul_i32 s34, s37, s34
	s_add_u32 s8, s8, s34
	s_addc_u32 s36, 0, s35
	s_add_u32 s8, s40, s8
	s_cselect_b64 s[34:35], -1, 0
	s_cmp_lg_u64 s[34:35], 0
	s_addc_u32 s34, s37, s36
	s_mul_i32 s36, s38, s34
	s_mul_hi_u32 s37, s38, s8
	s_mul_hi_u32 s35, s38, s34
	s_add_u32 s36, s37, s36
	s_addc_u32 s35, 0, s35
	s_mul_hi_u32 s39, s9, s8
	s_mul_i32 s8, s9, s8
	s_add_u32 s8, s36, s8
	s_mul_hi_u32 s37, s9, s34
	s_addc_u32 s8, s35, s39
	s_addc_u32 s35, s37, 0
	s_mul_i32 s34, s9, s34
	s_add_u32 s8, s8, s34
	s_addc_u32 s34, 0, s35
	s_mul_i32 s34, s96, s34
	s_mul_hi_u32 s35, s96, s8
	s_add_i32 s36, s35, s34
	s_mul_i32 s8, s96, s8
	s_sub_u32 s8, s38, s8
	s_cselect_b64 s[34:35], -1, 0
	s_cmp_lg_u64 s[34:35], 0
	s_subb_u32 s36, s9, s36
	s_sub_u32 s37, s8, s96
	s_cselect_b64 s[34:35], -1, 0
	s_cmp_lg_u64 s[34:35], 0
	s_subb_u32 s39, s36, 0
	;; [unrolled: 4-line block ×3, first 2 shown]
	s_cmp_ge_u32 s37, s96
	s_cselect_b32 s35, -1, 0
	s_cmp_eq_u32 s39, 0
	s_cselect_b32 s35, s35, -1
	s_cmp_lg_u32 s35, 0
	s_cselect_b32 s34, s34, s39
	s_cselect_b32 s37, s40, s37
	s_cmp_ge_u32 s8, s96
	s_cselect_b32 s35, -1, 0
	s_cmp_eq_u32 s36, 0
	s_cselect_b32 s35, s35, -1
	s_cmp_lg_u32 s35, 0
	s_cselect_b32 s35, s34, s36
	s_cselect_b32 s34, s37, s8
	s_cbranch_execnz .LBB142_151
.LBB142_150:                            ;   in Loop: Header=BB142_30 Depth=1
	v_cvt_f32_u32_e32 v4, s96
	s_sub_i32 s8, 0, s96
	v_rcp_iflag_f32_e32 v4, v4
	s_nop 0
	v_mul_f32_e32 v4, 0x4f7ffffe, v4
	v_cvt_u32_f32_e32 v4, v4
	s_nop 0
	v_readfirstlane_b32 s34, v4
	s_mul_i32 s8, s8, s34
	s_mul_hi_u32 s8, s34, s8
	s_add_i32 s34, s34, s8
	s_mul_hi_u32 s8, s38, s34
	s_mul_i32 s8, s8, s96
	s_sub_i32 s8, s38, s8
	s_sub_i32 s34, s8, s96
	s_cmp_ge_u32 s8, s96
	s_cselect_b32 s8, s34, s8
	s_sub_i32 s34, s8, s96
	s_cmp_ge_u32 s8, s96
	s_cselect_b32 s98, s34, s8
	s_mov_b64 s[34:35], s[98:99]
.LBB142_151:                            ;   in Loop: Header=BB142_30 Depth=1
	s_sub_u32 s38, s38, s34
	s_subb_u32 s39, s9, s35
	v_cmp_gt_u64_e32 vcc, s[38:39], v[0:1]
	s_mov_b64 s[34:35], 0
	s_mov_b64 s[8:9], 0
                                        ; implicit-def: $vgpr40
	s_and_saveexec_b64 s[36:37], vcc
	s_cbranch_execz .LBB142_165
; %bb.152:                              ;   in Loop: Header=BB142_30 Depth=1
	v_mov_b32_e32 v10, v29
	v_mov_b64_e32 v[4:5], v[0:1]
                                        ; implicit-def: $sgpr40_sgpr41
	s_branch .LBB142_155
.LBB142_153:                            ;   in Loop: Header=BB142_155 Depth=2
	s_or_b64 exec, exec, s[42:43]
	s_waitcnt lgkmcnt(0)
	s_barrier
	ds_read_b32 v11, v3 offset:3072
	s_mov_b64 s[42:43], -1
	s_mov_b64 s[44:45], -1
	s_waitcnt lgkmcnt(0)
	s_barrier
	v_and_b32_e32 v24, 0x7fff, v11
	v_cmp_ne_u32_e32 vcc, 0, v24
	s_cbranch_vccz .LBB142_158
.LBB142_154:                            ;   in Loop: Header=BB142_155 Depth=2
	s_and_b64 s[42:43], exec, s[42:43]
	s_or_b64 s[8:9], s[42:43], s[8:9]
	s_andn2_b64 s[40:41], s[40:41], exec
	s_and_b64 s[42:43], s[44:45], exec
	s_or_b64 s[40:41], s[40:41], s[42:43]
	s_andn2_b64 exec, exec, s[8:9]
	s_cbranch_execz .LBB142_164
.LBB142_155:                            ;   Parent Loop BB142_30 Depth=1
                                        ; =>  This Inner Loop Header: Depth=2
	v_cmp_gt_u64_e32 vcc, s[14:15], v[4:5]
	s_and_saveexec_b64 s[42:43], vcc
	s_cbranch_execz .LBB142_153
; %bb.156:                              ;   in Loop: Header=BB142_155 Depth=2
	ds_read_u16 v11, v10
	s_waitcnt lgkmcnt(0)
	v_cmp_lt_i16_e32 vcc, -1, v11
	v_lshlrev_b32_e32 v24, 16, v11
	s_nop 0
	v_cndmask_b32_e32 v25, v35, v36, vcc
	v_xor_b32_sdwa v25, v25, v11 dst_sel:DWORD dst_unused:UNUSED_PAD src0_sel:DWORD src1_sel:WORD_0
	v_cmp_o_f32_e32 vcc, v24, v24
	s_nop 1
	v_cndmask_b32_e32 v24, v35, v25, vcc
	v_and_b32_e32 v24, v24, v39
	v_cmp_eq_u32_e32 vcc, v24, v18
	s_and_b64 exec, exec, vcc
	s_cbranch_execz .LBB142_153
; %bb.157:                              ;   in Loop: Header=BB142_155 Depth=2
	v_perm_b32 v11, v11, s6, v38
	ds_write_b32 v3, v11 offset:3072
	s_branch .LBB142_153
.LBB142_158:                            ;   in Loop: Header=BB142_155 Depth=2
	v_lshl_add_u64 v[4:5], v[4:5], 0, s[96:97]
	v_cmp_le_u64_e32 vcc, s[38:39], v[4:5]
	v_add_u32_e32 v10, s77, v10
	s_mov_b64 s[44:45], 0
	s_orn2_b64 s[42:43], vcc, exec
	s_branch .LBB142_154
.LBB142_159:                            ;   in Loop: Header=BB142_30 Depth=1
                                        ; implicit-def: $sgpr26_sgpr27
	s_branch .LBB142_107
.LBB142_160:                            ;   in Loop: Header=BB142_30 Depth=1
	s_or_b64 exec, exec, s[14:15]
	s_waitcnt lgkmcnt(0)
	s_barrier
	s_mov_b64 s[0:1], exec
	v_readlane_b32 s2, v61, 36
	v_readlane_b32 s3, v61, 37
	s_and_b64 s[2:3], s[0:1], s[2:3]
	s_mov_b64 exec, s[2:3]
	s_cbranch_execz .LBB142_162
; %bb.161:                              ;   in Loop: Header=BB142_30 Depth=1
	ds_read_b32 v4, v3 offset:5144
	s_waitcnt lgkmcnt(0)
	v_ashrrev_i32_e32 v5, 31, v4
	ds_write_b64 v3, v[4:5] offset:5120
.LBB142_162:                            ;   in Loop: Header=BB142_30 Depth=1
	s_or_b64 exec, exec, s[0:1]
	s_waitcnt lgkmcnt(0)
	s_barrier
	s_mov_b64 s[0:1], -1
	s_and_b64 vcc, exec, s[8:9]
	s_cbranch_vccnz .LBB142_45
	s_branch .LBB142_60
.LBB142_163:                            ;   in Loop: Header=BB142_30 Depth=1
                                        ; implicit-def: $sgpr8_sgpr9
	s_branch .LBB142_121
.LBB142_164:                            ;   in Loop: Header=BB142_30 Depth=1
	s_or_b64 exec, exec, s[8:9]
	v_lshrrev_b32_e32 v40, 16, v11
	s_and_b64 s[8:9], s[40:41], exec
.LBB142_165:                            ;   in Loop: Header=BB142_30 Depth=1
	s_or_b64 exec, exec, s[36:37]
.LBB142_166:                            ;   in Loop: Header=BB142_30 Depth=1
	s_and_b64 vcc, exec, s[34:35]
	s_cbranch_vccz .LBB142_180
; %bb.167:                              ;   in Loop: Header=BB142_30 Depth=1
	s_mov_b32 s68, s99
	s_cmp_lg_u64 s[68:69], 0
	s_cbranch_scc0 .LBB142_209
; %bb.168:                              ;   in Loop: Header=BB142_30 Depth=1
	v_cvt_f32_u32_e32 v4, s96
	s_sub_u32 s14, 0, s96
	s_subb_u32 s15, 0, 0
	v_fmac_f32_e32 v4, 0, v37
	v_rcp_f32_e32 v4, v4
	s_nop 0
	v_mul_f32_e32 v4, 0x5f7ffffc, v4
	v_mul_f32_e32 v5, 0x2f800000, v4
	v_trunc_f32_e32 v5, v5
	v_fmac_f32_e32 v4, 0xcf800000, v5
	v_cvt_u32_f32_e32 v5, v5
	v_cvt_u32_f32_e32 v4, v4
	v_readfirstlane_b32 s24, v5
	v_readfirstlane_b32 s0, v4
	s_mul_i32 s1, s14, s24
	s_mul_hi_u32 s34, s14, s0
	s_mul_i32 s25, s15, s0
	s_add_i32 s1, s34, s1
	s_mul_i32 s35, s14, s0
	s_add_i32 s1, s1, s25
	s_mul_hi_u32 s34, s0, s35
	s_mul_i32 s36, s0, s1
	s_mul_hi_u32 s25, s0, s1
	s_add_u32 s34, s34, s36
	s_addc_u32 s25, 0, s25
	s_mul_hi_u32 s37, s24, s35
	s_mul_i32 s35, s24, s35
	s_add_u32 s34, s34, s35
	s_mul_hi_u32 s36, s24, s1
	s_addc_u32 s25, s25, s37
	s_addc_u32 s34, s36, 0
	s_mul_i32 s1, s24, s1
	s_add_u32 s1, s25, s1
	s_addc_u32 s25, 0, s34
	s_add_u32 s34, s0, s1
	s_cselect_b64 s[0:1], -1, 0
	s_cmp_lg_u64 s[0:1], 0
	s_addc_u32 s24, s24, s25
	s_mul_i32 s0, s14, s24
	s_mul_hi_u32 s1, s14, s34
	s_add_i32 s0, s1, s0
	s_mul_i32 s15, s15, s34
	s_add_i32 s0, s0, s15
	s_mul_i32 s14, s14, s34
	s_mul_hi_u32 s15, s24, s14
	s_mul_i32 s25, s24, s14
	s_mul_i32 s36, s34, s0
	s_mul_hi_u32 s14, s34, s14
	s_mul_hi_u32 s35, s34, s0
	s_add_u32 s14, s14, s36
	s_addc_u32 s35, 0, s35
	s_add_u32 s14, s14, s25
	s_mul_hi_u32 s1, s24, s0
	s_addc_u32 s14, s35, s15
	s_addc_u32 s1, s1, 0
	s_mul_i32 s0, s24, s0
	s_add_u32 s0, s14, s0
	s_addc_u32 s14, 0, s1
	s_add_u32 s15, s34, s0
	s_cselect_b64 s[0:1], -1, 0
	s_cmp_lg_u64 s[0:1], 0
	s_addc_u32 s0, s24, s14
	s_mul_i32 s14, s31, s0
	s_mul_hi_u32 s24, s31, s15
	s_mul_hi_u32 s1, s31, s0
	s_add_u32 s14, s24, s14
	s_addc_u32 s1, 0, s1
	s_mul_hi_u32 s25, s69, s15
	s_mul_i32 s15, s69, s15
	s_add_u32 s14, s14, s15
	s_mul_hi_u32 s24, s69, s0
	s_addc_u32 s1, s1, s25
	s_addc_u32 s14, s24, 0
	s_mul_i32 s0, s69, s0
	s_add_u32 s0, s1, s0
	s_addc_u32 s1, 0, s14
	s_mul_i32 s1, s96, s1
	s_mul_hi_u32 s14, s96, s0
	s_add_i32 s14, s14, s1
	s_mul_i32 s0, s96, s0
	s_sub_u32 s15, s31, s0
	s_cselect_b64 s[0:1], -1, 0
	s_cmp_lg_u64 s[0:1], 0
	s_subb_u32 s14, s69, s14
	s_sub_u32 s24, s15, s96
	s_cselect_b64 s[0:1], -1, 0
	s_cmp_lg_u64 s[0:1], 0
	s_subb_u32 s25, s14, 0
	;; [unrolled: 4-line block ×3, first 2 shown]
	s_cmp_ge_u32 s24, s96
	s_cselect_b32 s1, -1, 0
	s_cmp_eq_u32 s25, 0
	s_cselect_b32 s1, s1, -1
	s_cmp_lg_u32 s1, 0
	s_cselect_b32 s0, s0, s25
	s_cselect_b32 s24, s34, s24
	s_cmp_ge_u32 s15, s96
	s_cselect_b32 s1, -1, 0
	s_cmp_eq_u32 s14, 0
	s_cselect_b32 s1, s1, -1
	s_cmp_lg_u32 s1, 0
	s_cselect_b32 s1, s0, s14
	s_cselect_b32 s0, s24, s15
	s_cbranch_execnz .LBB142_170
.LBB142_169:                            ;   in Loop: Header=BB142_30 Depth=1
	v_cvt_f32_u32_e32 v4, s96
	s_sub_i32 s0, 0, s96
	v_rcp_iflag_f32_e32 v4, v4
	s_nop 0
	v_mul_f32_e32 v4, 0x4f7ffffe, v4
	v_cvt_u32_f32_e32 v4, v4
	s_nop 0
	v_readfirstlane_b32 s1, v4
	s_mul_i32 s0, s0, s1
	s_mul_hi_u32 s0, s1, s0
	s_add_i32 s1, s1, s0
	s_mul_hi_u32 s0, s31, s1
	s_mul_i32 s0, s0, s96
	s_sub_i32 s0, s31, s0
	s_sub_i32 s1, s0, s96
	s_cmp_ge_u32 s0, s96
	s_cselect_b32 s0, s1, s0
	s_sub_i32 s1, s0, s96
	s_cmp_ge_u32 s0, s96
	s_cselect_b32 s98, s1, s0
	s_mov_b64 s[0:1], s[98:99]
.LBB142_170:                            ;   in Loop: Header=BB142_30 Depth=1
	s_sub_u32 s14, s31, s0
	s_subb_u32 s15, s69, s1
	v_cmp_gt_u64_e32 vcc, s[14:15], v[0:1]
                                        ; implicit-def: $vgpr40
	s_and_saveexec_b64 s[0:1], vcc
	s_cbranch_execz .LBB142_179
; %bb.171:                              ;   in Loop: Header=BB142_30 Depth=1
	s_mov_b64 s[24:25], 0
	v_mov_b64_e32 v[4:5], v[0:1]
                                        ; implicit-def: $sgpr34_sgpr35
	s_branch .LBB142_174
.LBB142_172:                            ;   in Loop: Header=BB142_174 Depth=2
	s_or_b64 exec, exec, s[36:37]
	s_waitcnt lgkmcnt(0)
	s_barrier
	ds_read_b32 v10, v3 offset:3072
	s_mov_b64 s[36:37], -1
	s_mov_b64 s[38:39], -1
	s_waitcnt lgkmcnt(0)
	s_barrier
	v_and_b32_e32 v11, 0x7fff, v10
	v_cmp_eq_u32_e32 vcc, 0, v11
	s_cbranch_vccnz .LBB142_177
.LBB142_173:                            ;   in Loop: Header=BB142_174 Depth=2
	s_and_b64 s[36:37], exec, s[36:37]
	s_or_b64 s[24:25], s[36:37], s[24:25]
	s_andn2_b64 s[34:35], s[34:35], exec
	s_and_b64 s[36:37], s[38:39], exec
	s_or_b64 s[34:35], s[34:35], s[36:37]
	s_andn2_b64 exec, exec, s[24:25]
	s_cbranch_execz .LBB142_178
.LBB142_174:                            ;   Parent Loop BB142_30 Depth=1
                                        ; =>  This Inner Loop Header: Depth=2
	v_cmp_gt_u64_e32 vcc, s[56:57], v[4:5]
	s_and_saveexec_b64 s[36:37], vcc
	s_cbranch_execz .LBB142_172
; %bb.175:                              ;   in Loop: Header=BB142_174 Depth=2
	v_mul_lo_u32 v24, v5, s82
	v_mul_lo_u32 v25, v4, s83
	v_mad_u64_u32 v[10:11], s[38:39], v4, s82, 0
	v_add3_u32 v11, v11, v25, v24
	v_lshl_add_u64 v[10:11], v[10:11], 1, s[90:91]
	global_load_ushort v10, v[10:11], off
	s_waitcnt vmcnt(0)
	v_cmp_lt_i16_e32 vcc, -1, v10
	v_lshlrev_b32_e32 v11, 16, v10
	s_nop 0
	v_cndmask_b32_e32 v24, v35, v36, vcc
	v_xor_b32_sdwa v24, v24, v10 dst_sel:DWORD dst_unused:UNUSED_PAD src0_sel:DWORD src1_sel:WORD_0
	v_cmp_o_f32_e32 vcc, v11, v11
	s_nop 1
	v_cndmask_b32_e32 v11, v35, v24, vcc
	v_and_b32_e32 v11, v11, v39
	v_cmp_eq_u32_e32 vcc, v11, v18
	s_and_b64 exec, exec, vcc
	s_cbranch_execz .LBB142_172
; %bb.176:                              ;   in Loop: Header=BB142_174 Depth=2
	v_perm_b32 v10, v10, s6, v38
	ds_write_b32 v3, v10 offset:3072
	s_branch .LBB142_172
.LBB142_177:                            ;   in Loop: Header=BB142_174 Depth=2
	v_lshl_add_u64 v[4:5], v[4:5], 0, s[96:97]
	v_cmp_le_u64_e32 vcc, s[14:15], v[4:5]
	s_mov_b64 s[38:39], 0
	s_orn2_b64 s[36:37], vcc, exec
	s_branch .LBB142_173
.LBB142_178:                            ;   in Loop: Header=BB142_30 Depth=1
	s_or_b64 exec, exec, s[24:25]
	s_andn2_b64 s[8:9], s[8:9], exec
	s_and_b64 s[14:15], s[34:35], exec
	v_lshrrev_b32_e32 v40, 16, v10
	s_or_b64 s[8:9], s[8:9], s[14:15]
.LBB142_179:                            ;   in Loop: Header=BB142_30 Depth=1
	s_or_b64 exec, exec, s[0:1]
	s_mov_b64 s[0:1], 0
	s_mov_b64 s[24:25], -1
.LBB142_180:                            ;   in Loop: Header=BB142_30 Depth=1
	s_orn2_b64 s[8:9], s[8:9], exec
.LBB142_181:                            ;   in Loop: Header=BB142_30 Depth=1
	s_or_b64 exec, exec, s[26:27]
	s_mov_b64 s[14:15], 0
	s_and_saveexec_b64 s[26:27], s[8:9]
	s_cbranch_execz .LBB142_287
; %bb.182:                              ;   in Loop: Header=BB142_30 Depth=1
	s_xor_b64 s[28:29], s[28:29], -1
	v_mov_b32_e32 v2, 1
	v_mov_b64_e32 v[4:5], 1
	s_and_saveexec_b64 s[8:9], s[28:29]
	s_cbranch_execz .LBB142_192
; %bb.183:                              ;   in Loop: Header=BB142_30 Depth=1
	v_cmp_le_u64_e32 vcc, v[8:9], v[6:7]
	s_and_saveexec_b64 s[14:15], vcc
	s_xor_b64 s[14:15], exec, s[14:15]
	s_cbranch_execz .LBB142_189
; %bb.184:                              ;   in Loop: Header=BB142_30 Depth=1
	ds_read_b64 v[4:5], v3 offset:5120
	v_and_b32_e32 v2, s54, v18
	v_lshl_or_b32 v18, 1, s86, v2
	v_or_b32_e32 v39, s64, v39
	s_waitcnt lgkmcnt(0)
	v_cmp_ne_u64_e32 vcc, 0, v[4:5]
	s_cbranch_vccnz .LBB142_188
; %bb.185:                              ;   in Loop: Header=BB142_30 Depth=1
	s_mov_b64 s[28:29], exec
	v_readlane_b32 s34, v61, 36
	v_readlane_b32 s35, v61, 37
	s_and_b64 s[34:35], s[28:29], s[34:35]
	s_mov_b64 exec, s[34:35]
; %bb.186:                              ;   in Loop: Header=BB142_30 Depth=1
	ds_write_b64 v3, v[6:7] offset:5128
; %bb.187:                              ;   in Loop: Header=BB142_30 Depth=1
	s_or_b64 exec, exec, s[28:29]
	s_waitcnt lgkmcnt(0)
	s_barrier
.LBB142_188:                            ;   in Loop: Header=BB142_30 Depth=1
                                        ; implicit-def: $vgpr4_vgpr5_vgpr6_vgpr7
.LBB142_189:                            ;   in Loop: Header=BB142_30 Depth=1
	s_or_saveexec_b64 s[14:15], s[14:15]
	s_mov_b64 s[28:29], 0
	v_mov_b32_e32 v2, 8
	s_xor_b64 exec, exec, s[14:15]
; %bb.190:                              ;   in Loop: Header=BB142_30 Depth=1
	v_sub_co_u32_e32 v8, vcc, v8, v6
	s_mov_b64 s[28:29], exec
	s_nop 0
	v_subb_co_u32_e32 v9, vcc, v9, v7, vcc
	v_mov_b32_e32 v2, 0
; %bb.191:                              ;   in Loop: Header=BB142_30 Depth=1
	s_or_b64 exec, exec, s[14:15]
	s_and_b64 s[14:15], s[28:29], exec
	v_mov_b64_e32 v[4:5], v[8:9]
.LBB142_192:                            ;   in Loop: Header=BB142_30 Depth=1
	s_or_b64 exec, exec, s[8:9]
	s_mov_b64 s[8:9], -1
                                        ; implicit-def: $sgpr34_sgpr35
                                        ; implicit-def: $sgpr36_sgpr37
	s_and_saveexec_b64 s[28:29], s[14:15]
	s_cbranch_execz .LBB142_286
; %bb.193:                              ;   in Loop: Header=BB142_30 Depth=1
	s_cmp_eq_u64 s[22:23], 1
	s_cselect_b64 s[8:9], -1, 0
	v_cmp_eq_u64_e32 vcc, 1, v[4:5]
	s_and_b64 s[40:41], s[8:9], vcc
	s_mov_b64 s[8:9], -1
                                        ; implicit-def: $sgpr36_sgpr37
                                        ; implicit-def: $sgpr34_sgpr35
	s_and_saveexec_b64 s[38:39], s[40:41]
	s_cbranch_execz .LBB142_227
; %bb.194:                              ;   in Loop: Header=BB142_30 Depth=1
	ds_read_b64 v[6:7], v3 offset:5120
	s_waitcnt lgkmcnt(0)
	s_barrier
	v_readfirstlane_b32 s14, v6
	v_readfirstlane_b32 s15, v7
	s_mov_b64 s[8:9], exec
	v_readlane_b32 s34, v61, 38
	v_readlane_b32 s35, v61, 39
	s_and_b64 s[34:35], s[8:9], s[34:35]
	s_mov_b64 exec, s[34:35]
; %bb.195:                              ;   in Loop: Header=BB142_30 Depth=1
	ds_write_b16 v30, v3
; %bb.196:                              ;   in Loop: Header=BB142_30 Depth=1
	s_or_b64 exec, exec, s[8:9]
	v_and_b32_e32 v6, s54, v18
	v_lshl_or_b32 v18, 2, s86, v6
	v_or_b32_e32 v39, s64, v39
	s_mov_b64 s[34:35], -1
	s_mov_b64 s[36:37], 0
	s_cmp_eq_u64 s[14:15], 0
	s_mov_b64 s[8:9], 0
	s_mov_b64 s[42:43], -1
	s_waitcnt lgkmcnt(0)
	s_barrier
                                        ; implicit-def: $vgpr40
	s_cbranch_scc1 .LBB142_212
; %bb.197:                              ;   in Loop: Header=BB142_30 Depth=1
	v_readlane_b32 s8, v61, 44
	s_add_u32 s46, s14, s8
	v_readlane_b32 s8, v61, 45
	s_addc_u32 s9, s15, s8
	s_mov_b32 s8, s99
	s_cmp_lg_u64 s[8:9], 0
	s_cbranch_scc0 .LBB142_253
; %bb.198:                              ;   in Loop: Header=BB142_30 Depth=1
	v_cvt_f32_u32_e32 v6, s96
	s_sub_u32 s8, 0, s96
	s_subb_u32 s44, 0, 0
	v_fmac_f32_e32 v6, 0, v37
	v_rcp_f32_e32 v6, v6
	s_nop 0
	v_mul_f32_e32 v6, 0x5f7ffffc, v6
	v_mul_f32_e32 v7, 0x2f800000, v6
	v_trunc_f32_e32 v7, v7
	v_fmac_f32_e32 v6, 0xcf800000, v7
	v_cvt_u32_f32_e32 v7, v7
	v_cvt_u32_f32_e32 v6, v6
	v_readfirstlane_b32 s45, v7
	v_readfirstlane_b32 s42, v6
	s_mul_i32 s43, s8, s45
	s_mul_hi_u32 s48, s8, s42
	s_mul_i32 s47, s44, s42
	s_add_i32 s43, s48, s43
	s_mul_i32 s49, s8, s42
	s_add_i32 s43, s43, s47
	s_mul_hi_u32 s48, s42, s49
	s_mul_i32 s50, s42, s43
	s_mul_hi_u32 s47, s42, s43
	s_add_u32 s48, s48, s50
	s_addc_u32 s47, 0, s47
	s_mul_hi_u32 s51, s45, s49
	s_mul_i32 s49, s45, s49
	s_add_u32 s48, s48, s49
	s_mul_hi_u32 s50, s45, s43
	s_addc_u32 s47, s47, s51
	s_addc_u32 s48, s50, 0
	s_mul_i32 s43, s45, s43
	s_add_u32 s43, s47, s43
	s_addc_u32 s47, 0, s48
	s_add_u32 s48, s42, s43
	s_cselect_b64 s[42:43], -1, 0
	s_cmp_lg_u64 s[42:43], 0
	s_addc_u32 s45, s45, s47
	s_mul_i32 s42, s8, s45
	s_mul_hi_u32 s43, s8, s48
	s_add_i32 s42, s43, s42
	s_mul_i32 s44, s44, s48
	s_add_i32 s42, s42, s44
	s_mul_i32 s8, s8, s48
	s_mul_hi_u32 s44, s45, s8
	s_mul_i32 s47, s45, s8
	s_mul_i32 s50, s48, s42
	s_mul_hi_u32 s8, s48, s8
	s_mul_hi_u32 s49, s48, s42
	s_add_u32 s8, s8, s50
	s_addc_u32 s49, 0, s49
	s_add_u32 s8, s8, s47
	s_mul_hi_u32 s43, s45, s42
	s_addc_u32 s8, s49, s44
	s_addc_u32 s43, s43, 0
	s_mul_i32 s42, s45, s42
	s_add_u32 s8, s8, s42
	s_addc_u32 s44, 0, s43
	s_add_u32 s8, s48, s8
	s_cselect_b64 s[42:43], -1, 0
	s_cmp_lg_u64 s[42:43], 0
	s_addc_u32 s42, s45, s44
	s_mul_i32 s44, s46, s42
	s_mul_hi_u32 s45, s46, s8
	s_mul_hi_u32 s43, s46, s42
	s_add_u32 s44, s45, s44
	s_addc_u32 s43, 0, s43
	s_mul_hi_u32 s47, s9, s8
	s_mul_i32 s8, s9, s8
	s_add_u32 s8, s44, s8
	s_mul_hi_u32 s45, s9, s42
	s_addc_u32 s8, s43, s47
	s_addc_u32 s43, s45, 0
	s_mul_i32 s42, s9, s42
	s_add_u32 s8, s8, s42
	s_addc_u32 s42, 0, s43
	s_mul_i32 s42, s96, s42
	s_mul_hi_u32 s43, s96, s8
	s_add_i32 s44, s43, s42
	s_mul_i32 s8, s96, s8
	s_sub_u32 s8, s46, s8
	s_cselect_b64 s[42:43], -1, 0
	s_cmp_lg_u64 s[42:43], 0
	s_subb_u32 s44, s9, s44
	s_sub_u32 s45, s8, s96
	s_cselect_b64 s[42:43], -1, 0
	s_cmp_lg_u64 s[42:43], 0
	s_subb_u32 s47, s44, 0
	;; [unrolled: 4-line block ×3, first 2 shown]
	s_cmp_ge_u32 s45, s96
	s_cselect_b32 s43, -1, 0
	s_cmp_eq_u32 s47, 0
	s_cselect_b32 s43, s43, -1
	s_cmp_lg_u32 s43, 0
	s_cselect_b32 s42, s42, s47
	s_cselect_b32 s45, s48, s45
	s_cmp_ge_u32 s8, s96
	s_cselect_b32 s43, -1, 0
	s_cmp_eq_u32 s44, 0
	s_cselect_b32 s43, s43, -1
	s_cmp_lg_u32 s43, 0
	s_cselect_b32 s43, s42, s44
	s_cselect_b32 s42, s45, s8
	s_cbranch_execnz .LBB142_200
.LBB142_199:                            ;   in Loop: Header=BB142_30 Depth=1
	v_cvt_f32_u32_e32 v6, s96
	s_sub_i32 s8, 0, s96
	v_rcp_iflag_f32_e32 v6, v6
	s_nop 0
	v_mul_f32_e32 v6, 0x4f7ffffe, v6
	v_cvt_u32_f32_e32 v6, v6
	s_nop 0
	v_readfirstlane_b32 s42, v6
	s_mul_i32 s8, s8, s42
	s_mul_hi_u32 s8, s42, s8
	s_add_i32 s42, s42, s8
	s_mul_hi_u32 s8, s46, s42
	s_mul_i32 s8, s8, s96
	s_sub_i32 s8, s46, s8
	s_sub_i32 s42, s8, s96
	s_cmp_ge_u32 s8, s96
	s_cselect_b32 s8, s42, s8
	s_sub_i32 s42, s8, s96
	s_cmp_ge_u32 s8, s96
	s_cselect_b32 s98, s42, s8
	s_mov_b64 s[42:43], s[98:99]
.LBB142_200:                            ;   in Loop: Header=BB142_30 Depth=1
	s_sub_u32 s46, s46, s42
	s_subb_u32 s47, s9, s43
	v_cmp_gt_u64_e32 vcc, s[46:47], v[0:1]
	s_mov_b64 s[42:43], 0
	s_mov_b64 s[8:9], 0
                                        ; implicit-def: $vgpr40
	s_and_saveexec_b64 s[44:45], vcc
	s_cbranch_execz .LBB142_211
; %bb.201:                              ;   in Loop: Header=BB142_30 Depth=1
	v_mov_b32_e32 v8, v29
	v_mov_b64_e32 v[6:7], v[0:1]
                                        ; implicit-def: $sgpr48_sgpr49
	s_branch .LBB142_204
.LBB142_202:                            ;   in Loop: Header=BB142_204 Depth=2
	s_or_b64 exec, exec, s[50:51]
	s_waitcnt lgkmcnt(0)
	s_barrier
	ds_read_b32 v9, v3 offset:3072
	s_mov_b64 s[50:51], -1
	s_mov_b64 s[52:53], -1
	s_waitcnt lgkmcnt(0)
	s_barrier
	v_and_b32_e32 v10, 0x7fff, v9
	v_cmp_ne_u32_e32 vcc, 0, v10
	s_cbranch_vccz .LBB142_207
.LBB142_203:                            ;   in Loop: Header=BB142_204 Depth=2
	s_and_b64 s[50:51], exec, s[50:51]
	s_or_b64 s[8:9], s[50:51], s[8:9]
	s_andn2_b64 s[48:49], s[48:49], exec
	s_and_b64 s[50:51], s[52:53], exec
	s_or_b64 s[48:49], s[48:49], s[50:51]
	s_andn2_b64 exec, exec, s[8:9]
	s_cbranch_execz .LBB142_210
.LBB142_204:                            ;   Parent Loop BB142_30 Depth=1
                                        ; =>  This Inner Loop Header: Depth=2
	v_cmp_gt_u64_e32 vcc, s[14:15], v[6:7]
	s_and_saveexec_b64 s[50:51], vcc
	s_cbranch_execz .LBB142_202
; %bb.205:                              ;   in Loop: Header=BB142_204 Depth=2
	ds_read_u16 v9, v8
	s_waitcnt lgkmcnt(0)
	v_cmp_lt_i16_e32 vcc, -1, v9
	v_lshlrev_b32_e32 v10, 16, v9
	s_nop 0
	v_cndmask_b32_e32 v11, v35, v36, vcc
	v_xor_b32_sdwa v11, v11, v9 dst_sel:DWORD dst_unused:UNUSED_PAD src0_sel:DWORD src1_sel:WORD_0
	v_cmp_o_f32_e32 vcc, v10, v10
	s_nop 1
	v_cndmask_b32_e32 v10, v35, v11, vcc
	v_and_b32_e32 v10, v10, v39
	v_cmp_eq_u32_e32 vcc, v10, v18
	s_and_b64 exec, exec, vcc
	s_cbranch_execz .LBB142_202
; %bb.206:                              ;   in Loop: Header=BB142_204 Depth=2
	v_perm_b32 v9, v9, s6, v38
	ds_write_b32 v3, v9 offset:3072
	s_branch .LBB142_202
.LBB142_207:                            ;   in Loop: Header=BB142_204 Depth=2
	v_lshl_add_u64 v[6:7], v[6:7], 0, s[96:97]
	v_cmp_le_u64_e32 vcc, s[46:47], v[6:7]
	v_add_u32_e32 v8, s77, v8
	s_mov_b64 s[52:53], 0
	s_orn2_b64 s[50:51], vcc, exec
	s_branch .LBB142_203
.LBB142_208:                            ;   in Loop: Header=BB142_30 Depth=1
                                        ; implicit-def: $sgpr34_sgpr35
	s_branch .LBB142_150
.LBB142_209:                            ;   in Loop: Header=BB142_30 Depth=1
                                        ; implicit-def: $sgpr0_sgpr1
	s_branch .LBB142_169
.LBB142_210:                            ;   in Loop: Header=BB142_30 Depth=1
	s_or_b64 exec, exec, s[8:9]
	v_lshrrev_b32_e32 v40, 16, v9
	s_and_b64 s[8:9], s[48:49], exec
.LBB142_211:                            ;   in Loop: Header=BB142_30 Depth=1
	s_or_b64 exec, exec, s[44:45]
.LBB142_212:                            ;   in Loop: Header=BB142_30 Depth=1
	s_and_b64 vcc, exec, s[42:43]
	s_cbranch_vccz .LBB142_226
; %bb.213:                              ;   in Loop: Header=BB142_30 Depth=1
	s_mov_b32 s68, s99
	s_cmp_lg_u64 s[68:69], 0
	s_cbranch_scc0 .LBB142_254
; %bb.214:                              ;   in Loop: Header=BB142_30 Depth=1
	v_cvt_f32_u32_e32 v6, s96
	s_sub_u32 s34, 0, s96
	s_subb_u32 s35, 0, 0
	v_fmac_f32_e32 v6, 0, v37
	v_rcp_f32_e32 v6, v6
	s_nop 0
	v_mul_f32_e32 v6, 0x5f7ffffc, v6
	v_mul_f32_e32 v7, 0x2f800000, v6
	v_trunc_f32_e32 v7, v7
	v_fmac_f32_e32 v6, 0xcf800000, v7
	v_cvt_u32_f32_e32 v7, v7
	v_cvt_u32_f32_e32 v6, v6
	v_readfirstlane_b32 s36, v7
	v_readfirstlane_b32 s14, v6
	s_mul_i32 s15, s34, s36
	s_mul_hi_u32 s42, s34, s14
	s_mul_i32 s37, s35, s14
	s_add_i32 s15, s42, s15
	s_mul_i32 s43, s34, s14
	s_add_i32 s15, s15, s37
	s_mul_hi_u32 s42, s14, s43
	s_mul_i32 s44, s14, s15
	s_mul_hi_u32 s37, s14, s15
	s_add_u32 s42, s42, s44
	s_addc_u32 s37, 0, s37
	s_mul_hi_u32 s45, s36, s43
	s_mul_i32 s43, s36, s43
	s_add_u32 s42, s42, s43
	s_mul_hi_u32 s44, s36, s15
	s_addc_u32 s37, s37, s45
	s_addc_u32 s42, s44, 0
	s_mul_i32 s15, s36, s15
	s_add_u32 s15, s37, s15
	s_addc_u32 s37, 0, s42
	s_add_u32 s42, s14, s15
	s_cselect_b64 s[14:15], -1, 0
	s_cmp_lg_u64 s[14:15], 0
	s_addc_u32 s36, s36, s37
	s_mul_i32 s14, s34, s36
	s_mul_hi_u32 s15, s34, s42
	s_add_i32 s14, s15, s14
	s_mul_i32 s35, s35, s42
	s_add_i32 s14, s14, s35
	s_mul_i32 s34, s34, s42
	s_mul_hi_u32 s35, s36, s34
	s_mul_i32 s37, s36, s34
	s_mul_i32 s44, s42, s14
	s_mul_hi_u32 s34, s42, s34
	s_mul_hi_u32 s43, s42, s14
	s_add_u32 s34, s34, s44
	s_addc_u32 s43, 0, s43
	s_add_u32 s34, s34, s37
	s_mul_hi_u32 s15, s36, s14
	s_addc_u32 s34, s43, s35
	s_addc_u32 s15, s15, 0
	s_mul_i32 s14, s36, s14
	s_add_u32 s14, s34, s14
	s_addc_u32 s34, 0, s15
	s_add_u32 s35, s42, s14
	s_cselect_b64 s[14:15], -1, 0
	s_cmp_lg_u64 s[14:15], 0
	s_addc_u32 s14, s36, s34
	s_mul_i32 s34, s31, s14
	s_mul_hi_u32 s36, s31, s35
	s_mul_hi_u32 s15, s31, s14
	s_add_u32 s34, s36, s34
	s_addc_u32 s15, 0, s15
	s_mul_hi_u32 s37, s69, s35
	s_mul_i32 s35, s69, s35
	s_add_u32 s34, s34, s35
	s_mul_hi_u32 s36, s69, s14
	s_addc_u32 s15, s15, s37
	s_addc_u32 s34, s36, 0
	s_mul_i32 s14, s69, s14
	s_add_u32 s14, s15, s14
	s_addc_u32 s15, 0, s34
	s_mul_i32 s15, s96, s15
	s_mul_hi_u32 s34, s96, s14
	s_add_i32 s34, s34, s15
	s_mul_i32 s14, s96, s14
	s_sub_u32 s35, s31, s14
	s_cselect_b64 s[14:15], -1, 0
	s_cmp_lg_u64 s[14:15], 0
	s_subb_u32 s34, s69, s34
	s_sub_u32 s36, s35, s96
	s_cselect_b64 s[14:15], -1, 0
	s_cmp_lg_u64 s[14:15], 0
	s_subb_u32 s37, s34, 0
	s_sub_u32 s42, s36, s96
	s_cselect_b64 s[14:15], -1, 0
	s_cmp_lg_u64 s[14:15], 0
	s_subb_u32 s14, s37, 0
	s_cmp_ge_u32 s36, s96
	s_cselect_b32 s15, -1, 0
	s_cmp_eq_u32 s37, 0
	s_cselect_b32 s15, s15, -1
	s_cmp_lg_u32 s15, 0
	s_cselect_b32 s14, s14, s37
	s_cselect_b32 s36, s42, s36
	s_cmp_ge_u32 s35, s96
	s_cselect_b32 s15, -1, 0
	s_cmp_eq_u32 s34, 0
	s_cselect_b32 s15, s15, -1
	s_cmp_lg_u32 s15, 0
	s_cselect_b32 s15, s14, s34
	s_cselect_b32 s14, s36, s35
	s_cbranch_execnz .LBB142_216
.LBB142_215:                            ;   in Loop: Header=BB142_30 Depth=1
	v_cvt_f32_u32_e32 v6, s96
	s_sub_i32 s14, 0, s96
	v_rcp_iflag_f32_e32 v6, v6
	s_nop 0
	v_mul_f32_e32 v6, 0x4f7ffffe, v6
	v_cvt_u32_f32_e32 v6, v6
	s_nop 0
	v_readfirstlane_b32 s15, v6
	s_mul_i32 s14, s14, s15
	s_mul_hi_u32 s14, s15, s14
	s_add_i32 s15, s15, s14
	s_mul_hi_u32 s14, s31, s15
	s_mul_i32 s14, s14, s96
	s_sub_i32 s14, s31, s14
	s_sub_i32 s15, s14, s96
	s_cmp_ge_u32 s14, s96
	s_cselect_b32 s14, s15, s14
	s_sub_i32 s15, s14, s96
	s_cmp_ge_u32 s14, s96
	s_cselect_b32 s98, s15, s14
	s_mov_b64 s[14:15], s[98:99]
.LBB142_216:                            ;   in Loop: Header=BB142_30 Depth=1
	s_sub_u32 s34, s31, s14
	s_subb_u32 s35, s69, s15
	v_cmp_gt_u64_e32 vcc, s[34:35], v[0:1]
                                        ; implicit-def: $vgpr40
	s_and_saveexec_b64 s[14:15], vcc
	s_cbranch_execz .LBB142_225
; %bb.217:                              ;   in Loop: Header=BB142_30 Depth=1
	s_mov_b64 s[36:37], 0
	v_mov_b64_e32 v[6:7], v[0:1]
                                        ; implicit-def: $sgpr42_sgpr43
	s_branch .LBB142_220
.LBB142_218:                            ;   in Loop: Header=BB142_220 Depth=2
	s_or_b64 exec, exec, s[44:45]
	s_waitcnt lgkmcnt(0)
	s_barrier
	ds_read_b32 v8, v3 offset:3072
	s_mov_b64 s[44:45], -1
	s_mov_b64 s[46:47], -1
	s_waitcnt lgkmcnt(0)
	s_barrier
	v_and_b32_e32 v9, 0x7fff, v8
	v_cmp_eq_u32_e32 vcc, 0, v9
	s_cbranch_vccnz .LBB142_223
.LBB142_219:                            ;   in Loop: Header=BB142_220 Depth=2
	s_and_b64 s[44:45], exec, s[44:45]
	s_or_b64 s[36:37], s[44:45], s[36:37]
	s_andn2_b64 s[42:43], s[42:43], exec
	s_and_b64 s[44:45], s[46:47], exec
	s_or_b64 s[42:43], s[42:43], s[44:45]
	s_andn2_b64 exec, exec, s[36:37]
	s_cbranch_execz .LBB142_224
.LBB142_220:                            ;   Parent Loop BB142_30 Depth=1
                                        ; =>  This Inner Loop Header: Depth=2
	v_cmp_gt_u64_e32 vcc, s[56:57], v[6:7]
	s_and_saveexec_b64 s[44:45], vcc
	s_cbranch_execz .LBB142_218
; %bb.221:                              ;   in Loop: Header=BB142_220 Depth=2
	v_mul_lo_u32 v10, v7, s82
	v_mul_lo_u32 v11, v6, s83
	v_mad_u64_u32 v[8:9], s[46:47], v6, s82, 0
	v_add3_u32 v9, v9, v11, v10
	v_lshl_add_u64 v[8:9], v[8:9], 1, s[90:91]
	global_load_ushort v8, v[8:9], off
	s_waitcnt vmcnt(0)
	v_cmp_lt_i16_e32 vcc, -1, v8
	v_lshlrev_b32_e32 v9, 16, v8
	s_nop 0
	v_cndmask_b32_e32 v10, v35, v36, vcc
	v_xor_b32_sdwa v10, v10, v8 dst_sel:DWORD dst_unused:UNUSED_PAD src0_sel:DWORD src1_sel:WORD_0
	v_cmp_o_f32_e32 vcc, v9, v9
	s_nop 1
	v_cndmask_b32_e32 v9, v35, v10, vcc
	v_and_b32_e32 v9, v9, v39
	v_cmp_eq_u32_e32 vcc, v9, v18
	s_and_b64 exec, exec, vcc
	s_cbranch_execz .LBB142_218
; %bb.222:                              ;   in Loop: Header=BB142_220 Depth=2
	v_perm_b32 v8, v8, s6, v38
	ds_write_b32 v3, v8 offset:3072
	s_branch .LBB142_218
.LBB142_223:                            ;   in Loop: Header=BB142_220 Depth=2
	v_lshl_add_u64 v[6:7], v[6:7], 0, s[96:97]
	v_cmp_le_u64_e32 vcc, s[34:35], v[6:7]
	s_mov_b64 s[46:47], 0
	s_orn2_b64 s[44:45], vcc, exec
	s_branch .LBB142_219
.LBB142_224:                            ;   in Loop: Header=BB142_30 Depth=1
	s_or_b64 exec, exec, s[36:37]
	s_andn2_b64 s[8:9], s[8:9], exec
	s_and_b64 s[34:35], s[42:43], exec
	v_lshrrev_b32_e32 v40, 16, v8
	s_or_b64 s[8:9], s[8:9], s[34:35]
.LBB142_225:                            ;   in Loop: Header=BB142_30 Depth=1
	s_or_b64 exec, exec, s[14:15]
	s_mov_b64 s[34:35], 0
	s_mov_b64 s[36:37], -1
.LBB142_226:                            ;   in Loop: Header=BB142_30 Depth=1
	s_orn2_b64 s[8:9], s[8:9], exec
.LBB142_227:                            ;   in Loop: Header=BB142_30 Depth=1
	s_or_b64 exec, exec, s[38:39]
	s_mov_b64 s[14:15], 0
	s_and_saveexec_b64 s[38:39], s[8:9]
	s_cbranch_execz .LBB142_285
; %bb.228:                              ;   in Loop: Header=BB142_30 Depth=1
	s_xor_b64 s[40:41], s[40:41], -1
	v_mov_b32_e32 v2, 1
	v_mov_b64_e32 v[6:7], 1
	s_and_saveexec_b64 s[8:9], s[40:41]
	s_cbranch_execz .LBB142_237
; %bb.229:                              ;   in Loop: Header=BB142_30 Depth=1
	v_cmp_ge_u64_e32 vcc, s[22:23], v[4:5]
	s_and_saveexec_b64 s[14:15], vcc
	s_xor_b64 s[14:15], exec, s[14:15]
	s_cbranch_execz .LBB142_234
; %bb.230:                              ;   in Loop: Header=BB142_30 Depth=1
	ds_read_b64 v[6:7], v3 offset:5120
	v_and_b32_e32 v2, s54, v18
	v_lshl_or_b32 v18, 2, s86, v2
	v_or_b32_e32 v39, s64, v39
	s_waitcnt lgkmcnt(0)
	v_cmp_ne_u64_e32 vcc, 0, v[6:7]
	s_cbranch_vccnz .LBB142_234
; %bb.231:                              ;   in Loop: Header=BB142_30 Depth=1
	s_mov_b64 s[40:41], exec
	v_readlane_b32 s42, v61, 36
	v_readlane_b32 s43, v61, 37
	s_and_b64 s[42:43], s[40:41], s[42:43]
	s_mov_b64 exec, s[42:43]
; %bb.232:                              ;   in Loop: Header=BB142_30 Depth=1
	v_mov_b64_e32 v[6:7], s[22:23]
	ds_write_b64 v3, v[6:7] offset:5128
; %bb.233:                              ;   in Loop: Header=BB142_30 Depth=1
	s_or_b64 exec, exec, s[40:41]
	s_waitcnt lgkmcnt(0)
	s_barrier
.LBB142_234:                            ;   in Loop: Header=BB142_30 Depth=1
	s_or_saveexec_b64 s[14:15], s[14:15]
	s_mov_b64 s[40:41], 0
	v_mov_b32_e32 v2, 8
	s_xor_b64 exec, exec, s[14:15]
; %bb.235:                              ;   in Loop: Header=BB142_30 Depth=1
	v_mov_b32_e32 v2, s23
	v_subrev_co_u32_e32 v4, vcc, s22, v4
	s_mov_b64 s[40:41], exec
	s_nop 0
	v_subb_co_u32_e32 v5, vcc, v5, v2, vcc
	v_mov_b32_e32 v2, 0
; %bb.236:                              ;   in Loop: Header=BB142_30 Depth=1
	s_or_b64 exec, exec, s[14:15]
	s_and_b64 s[14:15], s[40:41], exec
	v_mov_b64_e32 v[6:7], v[4:5]
.LBB142_237:                            ;   in Loop: Header=BB142_30 Depth=1
	s_or_b64 exec, exec, s[8:9]
	s_mov_b64 s[8:9], -1
                                        ; implicit-def: $sgpr46_sgpr47
                                        ; implicit-def: $sgpr44_sgpr45
	s_and_saveexec_b64 s[22:23], s[14:15]
	s_cbranch_execz .LBB142_284
; %bb.238:                              ;   in Loop: Header=BB142_30 Depth=1
	s_cmp_eq_u64 s[2:3], 1
	s_cselect_b64 s[8:9], -1, 0
	v_cmp_eq_u64_e32 vcc, 1, v[6:7]
	s_and_b64 s[40:41], s[8:9], vcc
	s_mov_b64 s[14:15], -1
                                        ; implicit-def: $sgpr46_sgpr47
                                        ; implicit-def: $sgpr44_sgpr45
	s_and_saveexec_b64 s[42:43], s[40:41]
	s_cbranch_execz .LBB142_272
; %bb.239:                              ;   in Loop: Header=BB142_30 Depth=1
	ds_read_b64 v[4:5], v3 offset:5120
	s_waitcnt lgkmcnt(0)
	s_barrier
	v_readfirstlane_b32 s14, v4
	v_readfirstlane_b32 s15, v5
	s_mov_b64 s[8:9], exec
	v_readlane_b32 s44, v61, 38
	v_readlane_b32 s45, v61, 39
	s_and_b64 s[44:45], s[8:9], s[44:45]
	s_mov_b64 exec, s[44:45]
; %bb.240:                              ;   in Loop: Header=BB142_30 Depth=1
	ds_write_b16 v30, v3
; %bb.241:                              ;   in Loop: Header=BB142_30 Depth=1
	s_or_b64 exec, exec, s[8:9]
	v_or_b32_e32 v18, s64, v18
	v_or_b32_e32 v39, s64, v39
	s_mov_b64 s[44:45], -1
	s_mov_b64 s[46:47], 0
	s_cmp_eq_u64 s[14:15], 0
	s_mov_b64 s[8:9], 0
	s_mov_b64 s[48:49], -1
	s_waitcnt lgkmcnt(0)
	s_barrier
                                        ; implicit-def: $vgpr40
	s_cbranch_scc1 .LBB142_257
; %bb.242:                              ;   in Loop: Header=BB142_30 Depth=1
	v_readlane_b32 s8, v61, 44
	s_add_u32 s52, s14, s8
	v_readlane_b32 s8, v61, 45
	s_addc_u32 s9, s15, s8
	s_mov_b32 s8, s99
	s_cmp_lg_u64 s[8:9], 0
	s_cbranch_scc0 .LBB142_291
; %bb.243:                              ;   in Loop: Header=BB142_30 Depth=1
	v_cvt_f32_u32_e32 v4, s96
	s_sub_u32 s8, 0, s96
	s_subb_u32 s50, 0, 0
	v_fmac_f32_e32 v4, 0, v37
	v_rcp_f32_e32 v4, v4
	s_nop 0
	v_mul_f32_e32 v4, 0x5f7ffffc, v4
	v_mul_f32_e32 v5, 0x2f800000, v4
	v_trunc_f32_e32 v5, v5
	v_fmac_f32_e32 v4, 0xcf800000, v5
	v_cvt_u32_f32_e32 v5, v5
	v_cvt_u32_f32_e32 v4, v4
	v_readfirstlane_b32 s51, v5
	v_readfirstlane_b32 s48, v4
	s_mul_i32 s49, s8, s51
	s_mul_hi_u32 s54, s8, s48
	s_mul_i32 s53, s50, s48
	s_add_i32 s49, s54, s49
	s_mul_i32 s55, s8, s48
	s_add_i32 s49, s49, s53
	s_mul_hi_u32 s54, s48, s55
	s_mul_i32 s60, s48, s49
	s_mul_hi_u32 s53, s48, s49
	s_add_u32 s54, s54, s60
	s_addc_u32 s53, 0, s53
	s_mul_hi_u32 s61, s51, s55
	s_mul_i32 s55, s51, s55
	s_add_u32 s54, s54, s55
	s_mul_hi_u32 s60, s51, s49
	s_addc_u32 s53, s53, s61
	s_addc_u32 s54, s60, 0
	s_mul_i32 s49, s51, s49
	s_add_u32 s49, s53, s49
	s_addc_u32 s53, 0, s54
	s_add_u32 s54, s48, s49
	s_cselect_b64 s[48:49], -1, 0
	s_cmp_lg_u64 s[48:49], 0
	s_addc_u32 s51, s51, s53
	s_mul_i32 s48, s8, s51
	s_mul_hi_u32 s49, s8, s54
	s_add_i32 s48, s49, s48
	s_mul_i32 s50, s50, s54
	s_add_i32 s48, s48, s50
	s_mul_i32 s8, s8, s54
	s_mul_hi_u32 s50, s51, s8
	s_mul_i32 s53, s51, s8
	s_mul_i32 s60, s54, s48
	s_mul_hi_u32 s8, s54, s8
	s_mul_hi_u32 s55, s54, s48
	s_add_u32 s8, s8, s60
	s_addc_u32 s55, 0, s55
	s_add_u32 s8, s8, s53
	s_mul_hi_u32 s49, s51, s48
	s_addc_u32 s8, s55, s50
	s_addc_u32 s49, s49, 0
	s_mul_i32 s48, s51, s48
	s_add_u32 s8, s8, s48
	s_addc_u32 s50, 0, s49
	s_add_u32 s8, s54, s8
	s_cselect_b64 s[48:49], -1, 0
	s_cmp_lg_u64 s[48:49], 0
	s_addc_u32 s48, s51, s50
	s_mul_i32 s50, s52, s48
	s_mul_hi_u32 s51, s52, s8
	s_mul_hi_u32 s49, s52, s48
	s_add_u32 s50, s51, s50
	s_addc_u32 s49, 0, s49
	s_mul_hi_u32 s53, s9, s8
	s_mul_i32 s8, s9, s8
	s_add_u32 s8, s50, s8
	s_mul_hi_u32 s51, s9, s48
	s_addc_u32 s8, s49, s53
	s_addc_u32 s49, s51, 0
	s_mul_i32 s48, s9, s48
	s_add_u32 s8, s8, s48
	s_addc_u32 s48, 0, s49
	s_mul_i32 s48, s96, s48
	s_mul_hi_u32 s49, s96, s8
	s_add_i32 s50, s49, s48
	s_mul_i32 s8, s96, s8
	s_sub_u32 s8, s52, s8
	s_cselect_b64 s[48:49], -1, 0
	s_cmp_lg_u64 s[48:49], 0
	s_subb_u32 s50, s9, s50
	s_sub_u32 s51, s8, s96
	s_cselect_b64 s[48:49], -1, 0
	s_cmp_lg_u64 s[48:49], 0
	s_subb_u32 s53, s50, 0
	;; [unrolled: 4-line block ×3, first 2 shown]
	s_cmp_ge_u32 s51, s96
	s_cselect_b32 s49, -1, 0
	s_cmp_eq_u32 s53, 0
	s_cselect_b32 s49, s49, -1
	s_cmp_lg_u32 s49, 0
	s_cselect_b32 s48, s48, s53
	s_cselect_b32 s51, s54, s51
	s_cmp_ge_u32 s8, s96
	s_cselect_b32 s49, -1, 0
	s_cmp_eq_u32 s50, 0
	s_cselect_b32 s49, s49, -1
	s_cmp_lg_u32 s49, 0
	s_cselect_b32 s49, s48, s50
	s_cselect_b32 s48, s51, s8
	s_cbranch_execnz .LBB142_245
.LBB142_244:                            ;   in Loop: Header=BB142_30 Depth=1
	v_cvt_f32_u32_e32 v4, s96
	s_sub_i32 s8, 0, s96
	v_rcp_iflag_f32_e32 v4, v4
	s_nop 0
	v_mul_f32_e32 v4, 0x4f7ffffe, v4
	v_cvt_u32_f32_e32 v4, v4
	s_nop 0
	v_readfirstlane_b32 s48, v4
	s_mul_i32 s8, s8, s48
	s_mul_hi_u32 s8, s48, s8
	s_add_i32 s48, s48, s8
	s_mul_hi_u32 s8, s52, s48
	s_mul_i32 s8, s8, s96
	s_sub_i32 s8, s52, s8
	s_sub_i32 s48, s8, s96
	s_cmp_ge_u32 s8, s96
	s_cselect_b32 s8, s48, s8
	s_sub_i32 s48, s8, s96
	s_cmp_ge_u32 s8, s96
	s_cselect_b32 s98, s48, s8
	s_mov_b64 s[48:49], s[98:99]
.LBB142_245:                            ;   in Loop: Header=BB142_30 Depth=1
	s_sub_u32 s52, s52, s48
	s_subb_u32 s53, s9, s49
	v_cmp_gt_u64_e32 vcc, s[52:53], v[0:1]
	s_mov_b64 s[48:49], 0
	s_mov_b64 s[8:9], 0
                                        ; implicit-def: $vgpr40
	s_and_saveexec_b64 s[50:51], vcc
	s_cbranch_execz .LBB142_256
; %bb.246:                              ;   in Loop: Header=BB142_30 Depth=1
	v_mov_b32_e32 v8, v29
	v_mov_b64_e32 v[4:5], v[0:1]
                                        ; implicit-def: $sgpr54_sgpr55
	s_branch .LBB142_249
.LBB142_247:                            ;   in Loop: Header=BB142_249 Depth=2
	s_or_b64 exec, exec, s[60:61]
	s_waitcnt lgkmcnt(0)
	s_barrier
	ds_read_b32 v9, v3 offset:3072
	s_mov_b64 s[60:61], -1
	s_mov_b64 s[62:63], -1
	s_waitcnt lgkmcnt(0)
	s_barrier
	v_and_b32_e32 v10, 0x7fff, v9
	v_cmp_ne_u32_e32 vcc, 0, v10
	s_cbranch_vccz .LBB142_252
.LBB142_248:                            ;   in Loop: Header=BB142_249 Depth=2
	s_and_b64 s[60:61], exec, s[60:61]
	s_or_b64 s[8:9], s[60:61], s[8:9]
	s_andn2_b64 s[54:55], s[54:55], exec
	s_and_b64 s[60:61], s[62:63], exec
	s_or_b64 s[54:55], s[54:55], s[60:61]
	s_andn2_b64 exec, exec, s[8:9]
	s_cbranch_execz .LBB142_255
.LBB142_249:                            ;   Parent Loop BB142_30 Depth=1
                                        ; =>  This Inner Loop Header: Depth=2
	v_cmp_gt_u64_e32 vcc, s[14:15], v[4:5]
	s_and_saveexec_b64 s[60:61], vcc
	s_cbranch_execz .LBB142_247
; %bb.250:                              ;   in Loop: Header=BB142_249 Depth=2
	ds_read_u16 v9, v8
	s_waitcnt lgkmcnt(0)
	v_cmp_lt_i16_e32 vcc, -1, v9
	v_lshlrev_b32_e32 v10, 16, v9
	s_nop 0
	v_cndmask_b32_e32 v11, v35, v36, vcc
	v_xor_b32_sdwa v11, v11, v9 dst_sel:DWORD dst_unused:UNUSED_PAD src0_sel:DWORD src1_sel:WORD_0
	v_cmp_o_f32_e32 vcc, v10, v10
	s_nop 1
	v_cndmask_b32_e32 v10, v35, v11, vcc
	v_and_b32_e32 v10, v10, v39
	v_cmp_eq_u32_e32 vcc, v10, v18
	s_and_b64 exec, exec, vcc
	s_cbranch_execz .LBB142_247
; %bb.251:                              ;   in Loop: Header=BB142_249 Depth=2
	v_perm_b32 v9, v9, s6, v38
	ds_write_b32 v3, v9 offset:3072
	s_branch .LBB142_247
.LBB142_252:                            ;   in Loop: Header=BB142_249 Depth=2
	v_lshl_add_u64 v[4:5], v[4:5], 0, s[96:97]
	v_cmp_le_u64_e32 vcc, s[52:53], v[4:5]
	v_add_u32_e32 v8, s77, v8
	s_mov_b64 s[62:63], 0
	s_orn2_b64 s[60:61], vcc, exec
	s_branch .LBB142_248
.LBB142_253:                            ;   in Loop: Header=BB142_30 Depth=1
                                        ; implicit-def: $sgpr42_sgpr43
	s_branch .LBB142_199
.LBB142_254:                            ;   in Loop: Header=BB142_30 Depth=1
                                        ; implicit-def: $sgpr14_sgpr15
	s_branch .LBB142_215
.LBB142_255:                            ;   in Loop: Header=BB142_30 Depth=1
	s_or_b64 exec, exec, s[8:9]
	v_lshrrev_b32_e32 v40, 16, v9
	s_and_b64 s[8:9], s[54:55], exec
.LBB142_256:                            ;   in Loop: Header=BB142_30 Depth=1
	s_or_b64 exec, exec, s[50:51]
.LBB142_257:                            ;   in Loop: Header=BB142_30 Depth=1
	s_and_b64 vcc, exec, s[48:49]
	s_cbranch_vccz .LBB142_271
; %bb.258:                              ;   in Loop: Header=BB142_30 Depth=1
	s_mov_b32 s68, s99
	s_cmp_lg_u64 s[68:69], 0
	s_cbranch_scc0 .LBB142_292
; %bb.259:                              ;   in Loop: Header=BB142_30 Depth=1
	v_cvt_f32_u32_e32 v4, s96
	s_sub_u32 s44, 0, s96
	s_subb_u32 s45, 0, 0
	v_fmac_f32_e32 v4, 0, v37
	v_rcp_f32_e32 v4, v4
	s_nop 0
	v_mul_f32_e32 v4, 0x5f7ffffc, v4
	v_mul_f32_e32 v5, 0x2f800000, v4
	v_trunc_f32_e32 v5, v5
	v_fmac_f32_e32 v4, 0xcf800000, v5
	v_cvt_u32_f32_e32 v5, v5
	v_cvt_u32_f32_e32 v4, v4
	v_readfirstlane_b32 s46, v5
	v_readfirstlane_b32 s14, v4
	s_mul_i32 s15, s44, s46
	s_mul_hi_u32 s48, s44, s14
	s_mul_i32 s47, s45, s14
	s_add_i32 s15, s48, s15
	s_mul_i32 s49, s44, s14
	s_add_i32 s15, s15, s47
	s_mul_hi_u32 s48, s14, s49
	s_mul_i32 s50, s14, s15
	s_mul_hi_u32 s47, s14, s15
	s_add_u32 s48, s48, s50
	s_addc_u32 s47, 0, s47
	s_mul_hi_u32 s51, s46, s49
	s_mul_i32 s49, s46, s49
	s_add_u32 s48, s48, s49
	s_mul_hi_u32 s50, s46, s15
	s_addc_u32 s47, s47, s51
	s_addc_u32 s48, s50, 0
	s_mul_i32 s15, s46, s15
	s_add_u32 s15, s47, s15
	s_addc_u32 s47, 0, s48
	s_add_u32 s48, s14, s15
	s_cselect_b64 s[14:15], -1, 0
	s_cmp_lg_u64 s[14:15], 0
	s_addc_u32 s46, s46, s47
	s_mul_i32 s14, s44, s46
	s_mul_hi_u32 s15, s44, s48
	s_add_i32 s14, s15, s14
	s_mul_i32 s45, s45, s48
	s_add_i32 s14, s14, s45
	s_mul_i32 s44, s44, s48
	s_mul_hi_u32 s45, s46, s44
	s_mul_i32 s47, s46, s44
	s_mul_i32 s50, s48, s14
	s_mul_hi_u32 s44, s48, s44
	s_mul_hi_u32 s49, s48, s14
	s_add_u32 s44, s44, s50
	s_addc_u32 s49, 0, s49
	s_add_u32 s44, s44, s47
	s_mul_hi_u32 s15, s46, s14
	s_addc_u32 s44, s49, s45
	s_addc_u32 s15, s15, 0
	s_mul_i32 s14, s46, s14
	s_add_u32 s14, s44, s14
	s_addc_u32 s44, 0, s15
	s_add_u32 s45, s48, s14
	s_cselect_b64 s[14:15], -1, 0
	s_cmp_lg_u64 s[14:15], 0
	s_addc_u32 s14, s46, s44
	s_mul_i32 s44, s31, s14
	s_mul_hi_u32 s46, s31, s45
	s_mul_hi_u32 s15, s31, s14
	s_add_u32 s44, s46, s44
	s_addc_u32 s15, 0, s15
	s_mul_hi_u32 s47, s69, s45
	s_mul_i32 s45, s69, s45
	s_add_u32 s44, s44, s45
	s_mul_hi_u32 s46, s69, s14
	s_addc_u32 s15, s15, s47
	s_addc_u32 s44, s46, 0
	s_mul_i32 s14, s69, s14
	s_add_u32 s14, s15, s14
	s_addc_u32 s15, 0, s44
	s_mul_i32 s15, s96, s15
	s_mul_hi_u32 s44, s96, s14
	s_add_i32 s44, s44, s15
	s_mul_i32 s14, s96, s14
	s_sub_u32 s45, s31, s14
	s_cselect_b64 s[14:15], -1, 0
	s_cmp_lg_u64 s[14:15], 0
	s_subb_u32 s44, s69, s44
	s_sub_u32 s46, s45, s96
	s_cselect_b64 s[14:15], -1, 0
	s_cmp_lg_u64 s[14:15], 0
	s_subb_u32 s47, s44, 0
	;; [unrolled: 4-line block ×3, first 2 shown]
	s_cmp_ge_u32 s46, s96
	s_cselect_b32 s15, -1, 0
	s_cmp_eq_u32 s47, 0
	s_cselect_b32 s15, s15, -1
	s_cmp_lg_u32 s15, 0
	s_cselect_b32 s14, s14, s47
	s_cselect_b32 s46, s48, s46
	s_cmp_ge_u32 s45, s96
	s_cselect_b32 s15, -1, 0
	s_cmp_eq_u32 s44, 0
	s_cselect_b32 s15, s15, -1
	s_cmp_lg_u32 s15, 0
	s_cselect_b32 s15, s14, s44
	s_cselect_b32 s14, s46, s45
	s_cbranch_execnz .LBB142_261
.LBB142_260:                            ;   in Loop: Header=BB142_30 Depth=1
	v_cvt_f32_u32_e32 v4, s96
	s_sub_i32 s14, 0, s96
	v_rcp_iflag_f32_e32 v4, v4
	s_nop 0
	v_mul_f32_e32 v4, 0x4f7ffffe, v4
	v_cvt_u32_f32_e32 v4, v4
	s_nop 0
	v_readfirstlane_b32 s15, v4
	s_mul_i32 s14, s14, s15
	s_mul_hi_u32 s14, s15, s14
	s_add_i32 s15, s15, s14
	s_mul_hi_u32 s14, s31, s15
	s_mul_i32 s14, s14, s96
	s_sub_i32 s14, s31, s14
	s_sub_i32 s15, s14, s96
	s_cmp_ge_u32 s14, s96
	s_cselect_b32 s14, s15, s14
	s_sub_i32 s15, s14, s96
	s_cmp_ge_u32 s14, s96
	s_cselect_b32 s98, s15, s14
	s_mov_b64 s[14:15], s[98:99]
.LBB142_261:                            ;   in Loop: Header=BB142_30 Depth=1
	s_sub_u32 s44, s31, s14
	s_subb_u32 s45, s69, s15
	v_cmp_gt_u64_e32 vcc, s[44:45], v[0:1]
                                        ; implicit-def: $vgpr40
	s_and_saveexec_b64 s[14:15], vcc
	s_cbranch_execz .LBB142_270
; %bb.262:                              ;   in Loop: Header=BB142_30 Depth=1
	s_mov_b64 s[46:47], 0
	v_mov_b64_e32 v[4:5], v[0:1]
                                        ; implicit-def: $sgpr48_sgpr49
	s_branch .LBB142_265
.LBB142_263:                            ;   in Loop: Header=BB142_265 Depth=2
	s_or_b64 exec, exec, s[50:51]
	s_waitcnt lgkmcnt(0)
	s_barrier
	ds_read_b32 v8, v3 offset:3072
	s_mov_b64 s[50:51], -1
	s_mov_b64 s[52:53], -1
	s_waitcnt lgkmcnt(0)
	s_barrier
	v_and_b32_e32 v9, 0x7fff, v8
	v_cmp_eq_u32_e32 vcc, 0, v9
	s_cbranch_vccnz .LBB142_268
.LBB142_264:                            ;   in Loop: Header=BB142_265 Depth=2
	s_and_b64 s[50:51], exec, s[50:51]
	s_or_b64 s[46:47], s[50:51], s[46:47]
	s_andn2_b64 s[48:49], s[48:49], exec
	s_and_b64 s[50:51], s[52:53], exec
	s_or_b64 s[48:49], s[48:49], s[50:51]
	s_andn2_b64 exec, exec, s[46:47]
	s_cbranch_execz .LBB142_269
.LBB142_265:                            ;   Parent Loop BB142_30 Depth=1
                                        ; =>  This Inner Loop Header: Depth=2
	v_cmp_gt_u64_e32 vcc, s[56:57], v[4:5]
	s_and_saveexec_b64 s[50:51], vcc
	s_cbranch_execz .LBB142_263
; %bb.266:                              ;   in Loop: Header=BB142_265 Depth=2
	v_mul_lo_u32 v10, v5, s82
	v_mul_lo_u32 v11, v4, s83
	v_mad_u64_u32 v[8:9], s[52:53], v4, s82, 0
	v_add3_u32 v9, v9, v11, v10
	v_lshl_add_u64 v[8:9], v[8:9], 1, s[90:91]
	global_load_ushort v8, v[8:9], off
	s_waitcnt vmcnt(0)
	v_cmp_lt_i16_e32 vcc, -1, v8
	v_lshlrev_b32_e32 v9, 16, v8
	s_nop 0
	v_cndmask_b32_e32 v10, v35, v36, vcc
	v_xor_b32_sdwa v10, v10, v8 dst_sel:DWORD dst_unused:UNUSED_PAD src0_sel:DWORD src1_sel:WORD_0
	v_cmp_o_f32_e32 vcc, v9, v9
	s_nop 1
	v_cndmask_b32_e32 v9, v35, v10, vcc
	v_and_b32_e32 v9, v9, v39
	v_cmp_eq_u32_e32 vcc, v9, v18
	s_and_b64 exec, exec, vcc
	s_cbranch_execz .LBB142_263
; %bb.267:                              ;   in Loop: Header=BB142_265 Depth=2
	v_perm_b32 v8, v8, s6, v38
	ds_write_b32 v3, v8 offset:3072
	s_branch .LBB142_263
.LBB142_268:                            ;   in Loop: Header=BB142_265 Depth=2
	v_lshl_add_u64 v[4:5], v[4:5], 0, s[96:97]
	v_cmp_le_u64_e32 vcc, s[44:45], v[4:5]
	s_mov_b64 s[52:53], 0
	s_orn2_b64 s[50:51], vcc, exec
	s_branch .LBB142_264
.LBB142_269:                            ;   in Loop: Header=BB142_30 Depth=1
	s_or_b64 exec, exec, s[46:47]
	s_andn2_b64 s[8:9], s[8:9], exec
	s_and_b64 s[44:45], s[48:49], exec
	v_lshrrev_b32_e32 v40, 16, v8
	s_or_b64 s[8:9], s[8:9], s[44:45]
.LBB142_270:                            ;   in Loop: Header=BB142_30 Depth=1
	s_or_b64 exec, exec, s[14:15]
	s_mov_b64 s[44:45], 0
	s_mov_b64 s[46:47], -1
.LBB142_271:                            ;   in Loop: Header=BB142_30 Depth=1
	s_orn2_b64 s[14:15], s[8:9], exec
.LBB142_272:                            ;   in Loop: Header=BB142_30 Depth=1
	s_or_b64 exec, exec, s[42:43]
	s_mov_b64 s[42:43], 0
	s_and_saveexec_b64 s[8:9], s[14:15]
	s_cbranch_execz .LBB142_283
; %bb.273:                              ;   in Loop: Header=BB142_30 Depth=1
	s_xor_b64 s[40:41], s[40:41], -1
	v_mov_b64_e32 v[4:5], 1
	v_mov_b32_e32 v2, 1
	s_and_saveexec_b64 s[14:15], s[40:41]
	s_cbranch_execz .LBB142_282
; %bb.274:                              ;   in Loop: Header=BB142_30 Depth=1
	v_cmp_ge_u64_e32 vcc, s[2:3], v[6:7]
	s_and_saveexec_b64 s[40:41], vcc
	s_xor_b64 s[40:41], exec, s[40:41]
	s_cbranch_execz .LBB142_279
; %bb.275:                              ;   in Loop: Header=BB142_30 Depth=1
	ds_read_b64 v[4:5], v3 offset:5120
	v_or_b32_e32 v18, s64, v18
	v_or_b32_e32 v39, s64, v39
	s_waitcnt lgkmcnt(0)
	v_cmp_ne_u64_e32 vcc, 0, v[4:5]
	s_cbranch_vccnz .LBB142_279
; %bb.276:                              ;   in Loop: Header=BB142_30 Depth=1
	s_mov_b64 s[42:43], exec
	v_readlane_b32 s48, v61, 36
	v_readlane_b32 s49, v61, 37
	s_and_b64 s[48:49], s[42:43], s[48:49]
	s_mov_b64 exec, s[48:49]
; %bb.277:                              ;   in Loop: Header=BB142_30 Depth=1
	v_mov_b64_e32 v[4:5], s[2:3]
	ds_write_b64 v3, v[4:5] offset:5128
; %bb.278:                              ;   in Loop: Header=BB142_30 Depth=1
	s_or_b64 exec, exec, s[42:43]
	s_waitcnt lgkmcnt(0)
	s_barrier
.LBB142_279:                            ;   in Loop: Header=BB142_30 Depth=1
	s_andn2_saveexec_b64 s[40:41], s[40:41]
; %bb.280:                              ;   in Loop: Header=BB142_30 Depth=1
	v_mov_b32_e32 v2, s3
	v_subrev_co_u32_e32 v6, vcc, s2, v6
	s_nop 1
	v_subb_co_u32_e32 v7, vcc, v7, v2, vcc
; %bb.281:                              ;   in Loop: Header=BB142_30 Depth=1
	s_or_b64 exec, exec, s[40:41]
	v_mov_b32_e32 v2, 8
	v_mov_b64_e32 v[4:5], v[6:7]
.LBB142_282:                            ;   in Loop: Header=BB142_30 Depth=1
	s_or_b64 exec, exec, s[14:15]
	s_mov_b64 s[42:43], exec
	v_mov_b64_e32 v[6:7], v[4:5]
.LBB142_283:                            ;   in Loop: Header=BB142_30 Depth=1
	s_or_b64 exec, exec, s[8:9]
	s_orn2_b64 s[8:9], s[42:43], exec
.LBB142_284:                            ;   in Loop: Header=BB142_30 Depth=1
	s_or_b64 exec, exec, s[22:23]
	s_andn2_b64 s[2:3], s[36:37], exec
	s_and_b64 s[14:15], s[46:47], exec
	s_or_b64 s[36:37], s[2:3], s[14:15]
	s_andn2_b64 s[2:3], s[34:35], exec
	s_and_b64 s[14:15], s[44:45], exec
	s_or_b64 s[34:35], s[2:3], s[14:15]
	s_and_b64 s[14:15], s[8:9], exec
	v_mov_b64_e32 v[4:5], v[6:7]
.LBB142_285:                            ;   in Loop: Header=BB142_30 Depth=1
	s_or_b64 exec, exec, s[38:39]
	s_orn2_b64 s[8:9], s[14:15], exec
.LBB142_286:                            ;   in Loop: Header=BB142_30 Depth=1
	s_or_b64 exec, exec, s[28:29]
	s_andn2_b64 s[2:3], s[24:25], exec
	s_and_b64 s[14:15], s[36:37], exec
	s_or_b64 s[24:25], s[2:3], s[14:15]
	s_andn2_b64 s[0:1], s[0:1], exec
	s_and_b64 s[2:3], s[34:35], exec
	s_or_b64 s[0:1], s[0:1], s[2:3]
	s_and_b64 s[14:15], s[8:9], exec
	v_mov_b64_e32 v[8:9], v[4:5]
.LBB142_287:                            ;   in Loop: Header=BB142_30 Depth=1
	s_or_b64 exec, exec, s[26:27]
	s_orn2_b64 s[8:9], s[14:15], exec
.LBB142_288:                            ;   in Loop: Header=BB142_30 Depth=1
	s_or_b64 exec, exec, s[20:21]
	s_mov_b64 s[14:15], 0
	s_and_saveexec_b64 s[2:3], s[8:9]
	s_xor_b64 s[2:3], exec, s[2:3]
	s_cbranch_execz .LBB142_28
; %bb.289:                              ;   in Loop: Header=BB142_30 Depth=1
	v_and_b32_e32 v2, 7, v2
	v_cmp_eq_u32_e32 vcc, 0, v2
	s_mov_b64 s[8:9], -1
	s_mov_b64 s[14:15], -1
	s_and_saveexec_b64 s[18:19], vcc
	s_cbranch_execz .LBB142_27
; %bb.290:                              ;   in Loop: Header=BB142_30 Depth=1
	s_xor_b32 s88, s88, 1
	s_add_i32 s20, s86, -2
	s_cmp_eq_u32 s86, 0
	s_cselect_b64 s[8:9], -1, 0
	s_xor_b64 s[14:15], exec, -1
	s_orn2_b64 s[8:9], s[8:9], exec
	s_mov_b32 s86, s20
	s_branch .LBB142_27
.LBB142_291:                            ;   in Loop: Header=BB142_30 Depth=1
                                        ; implicit-def: $sgpr48_sgpr49
	s_branch .LBB142_244
.LBB142_292:                            ;   in Loop: Header=BB142_30 Depth=1
                                        ; implicit-def: $sgpr14_sgpr15
	s_branch .LBB142_260
.LBB142_293:
	s_or_b64 exec, exec, s[12:13]
	s_xor_b64 s[4:5], s[72:73], -1
	s_xor_b64 s[2:3], s[92:93], -1
	;; [unrolled: 1-line block ×3, first 2 shown]
	s_mov_b64 s[0:1], 0
	s_and_saveexec_b64 s[8:9], s[2:3]
	s_xor_b64 s[2:3], exec, s[8:9]
	s_cbranch_execnz .LBB142_298
; %bb.294:
	s_andn2_saveexec_b64 s[2:3], s[2:3]
	s_cbranch_execnz .LBB142_311
.LBB142_295:
	s_or_b64 exec, exec, s[2:3]
	s_and_saveexec_b64 s[2:3], s[0:1]
.LBB142_296:
	; divergent unreachable
.LBB142_297:
	s_endpgm
.LBB142_298:
	s_and_saveexec_b64 s[0:1], s[4:5]
	s_xor_b64 s[4:5], exec, s[0:1]
	s_cbranch_execz .LBB142_309
; %bb.299:
	s_and_saveexec_b64 s[0:1], s[6:7]
	s_xor_b64 s[0:1], exec, s[0:1]
; %bb.300:
	v_and_b32_e32 v2, 0x8000, v18
	v_mov_b32_e32 v3, 0x8000
	v_mov_b32_e32 v4, 0xffff
	v_cmp_eq_u32_e32 vcc, 0, v2
	s_nop 1
	v_cndmask_b32_e32 v2, v3, v4, vcc
	v_xor_b32_e32 v40, v2, v18
; %bb.301:
	s_or_b64 exec, exec, s[0:1]
	v_readlane_b32 s8, v61, 8
	v_readlane_b32 s0, v61, 4
	;; [unrolled: 1-line block ×4, first 2 shown]
	s_mov_b32 s14, s0
	s_mul_i32 s0, s0, s9
	s_mul_hi_u32 s1, s14, s8
	s_add_i32 s1, s1, s0
	s_mul_i32 s0, s14, s8
	v_readlane_b32 s12, v61, 6
	v_readlane_b32 s16, v61, 24
	;; [unrolled: 1-line block ×3, first 2 shown]
	s_sub_u32 s0, s12, s0
	v_readlane_b32 s18, v61, 26
	v_readlane_b32 s19, v61, 27
	s_subb_u32 s1, s13, s1
	s_mul_i32 s6, s0, s19
	s_mul_hi_u32 s7, s0, s18
	v_readlane_b32 s10, v61, 10
	v_readlane_b32 s11, v61, 11
	;; [unrolled: 1-line block ×3, first 2 shown]
	s_add_i32 s6, s7, s6
	s_mul_i32 s1, s1, s18
	s_add_i32 s1, s6, s1
	s_mul_i32 s6, s14, s17
	s_mul_hi_u32 s7, s14, s16
	s_mul_i32 s8, s12, s11
	s_mul_hi_u32 s9, s12, s10
	s_add_i32 s7, s7, s6
	s_add_i32 s9, s9, s8
	s_mul_i32 s8, s12, s10
	v_readlane_b32 s10, v61, 32
	v_readlane_b32 s12, v61, 22
	;; [unrolled: 1-line block ×3, first 2 shown]
	s_sub_u32 s8, s10, s8
	v_readlane_b32 s13, v61, 23
	s_subb_u32 s9, 0, s9
	s_mul_i32 s10, s8, s13
	s_mul_hi_u32 s11, s8, s12
	s_mul_i32 s6, s14, s16
	s_add_i32 s10, s11, s10
	s_mul_i32 s9, s9, s12
	s_add_i32 s9, s10, s9
	s_lshl_b64 s[6:7], s[6:7], 1
	v_readlane_b32 s10, v61, 30
	s_mul_i32 s0, s0, s18
	v_readlane_b32 s11, v61, 31
	s_add_u32 s6, s10, s6
	s_addc_u32 s7, s11, s7
	s_lshl_b64 s[0:1], s[0:1], 1
	s_mul_i32 s8, s8, s12
	s_add_u32 s6, s6, s0
	s_addc_u32 s7, s7, s1
	s_lshl_b64 s[0:1], s[8:9], 1
	s_add_u32 s0, s6, s0
	s_addc_u32 s1, s7, s1
	v_mov_b32_e32 v2, 0
	global_store_short v2, v40, s[0:1]
	s_mov_b64 s[6:7], exec
	v_readlane_b32 s0, v61, 34
	v_readlane_b32 s1, v61, 35
	s_and_b64 s[0:1], s[6:7], s[0:1]
	s_mov_b64 exec, s[0:1]
	s_cbranch_execz .LBB142_308
; %bb.302:
	v_lshlrev_b32_e32 v4, 16, v40
	v_cmp_u_f32_e32 vcc, v4, v4
	s_mov_b64 s[8:9], 0
	s_xor_b64 s[12:13], vcc, -1
                                        ; implicit-def: $sgpr10_sgpr11
                                        ; implicit-def: $sgpr16_sgpr17
                                        ; implicit-def: $sgpr14_sgpr15
	s_branch .LBB142_304
.LBB142_303:                            ;   in Loop: Header=BB142_304 Depth=1
	s_or_b64 exec, exec, s[0:1]
	s_and_b64 s[0:1], exec, s[16:17]
	s_or_b64 s[8:9], s[0:1], s[8:9]
	s_andn2_b64 s[0:1], s[10:11], exec
	s_and_b64 s[10:11], s[14:15], exec
	s_or_b64 s[10:11], s[0:1], s[10:11]
	s_andn2_b64 exec, exec, s[8:9]
	s_cbranch_execz .LBB142_306
.LBB142_304:                            ; =>This Inner Loop Header: Depth=1
	v_mov_b64_e32 v[2:3], v[0:1]
	v_mul_lo_u32 v5, v3, s82
	v_mul_lo_u32 v6, v2, s83
	v_mad_u64_u32 v[0:1], s[0:1], v2, s82, 0
	v_add3_u32 v1, v1, v6, v5
	v_lshl_add_u64 v[0:1], v[0:1], 1, s[90:91]
	global_load_ushort v0, v[0:1], off
	s_or_b64 s[14:15], s[14:15], exec
	s_or_b64 s[16:17], s[16:17], exec
	s_waitcnt vmcnt(0)
	v_lshlrev_b32_e32 v0, 16, v0
	v_cmp_o_f32_e64 s[0:1], v0, v0
	v_cmp_neq_f32_e32 vcc, v0, v4
	s_or_b64 s[0:1], s[12:13], s[0:1]
	s_and_b64 s[18:19], vcc, s[0:1]
                                        ; implicit-def: $vgpr0_vgpr1
	s_and_saveexec_b64 s[0:1], s[18:19]
	s_cbranch_execz .LBB142_303
; %bb.305:                              ;   in Loop: Header=BB142_304 Depth=1
	v_lshl_add_u64 v[0:1], v[2:3], 0, s[96:97]
	v_cmp_le_u64_e32 vcc, s[56:57], v[0:1]
	s_andn2_b64 s[16:17], s[16:17], exec
	s_and_b64 s[18:19], vcc, exec
	s_andn2_b64 s[14:15], s[14:15], exec
	s_or_b64 s[16:17], s[16:17], s[18:19]
	s_branch .LBB142_303
.LBB142_306:
	s_or_b64 exec, exec, s[8:9]
	s_and_saveexec_b64 s[0:1], s[10:11]
	s_xor_b64 s[0:1], exec, s[0:1]
	s_cbranch_execz .LBB142_308
; %bb.307:
	v_readlane_b32 s12, v61, 0
	v_readlane_b32 s0, v61, 12
	;; [unrolled: 1-line block ×4, first 2 shown]
	s_mov_b32 s10, s0
	s_mul_i32 s0, s0, s13
	s_mul_hi_u32 s1, s10, s12
	s_add_i32 s1, s1, s0
	s_mul_i32 s0, s10, s12
	v_readlane_b32 s12, v61, 14
	v_readlane_b32 s16, v61, 18
	;; [unrolled: 1-line block ×3, first 2 shown]
	s_sub_u32 s0, s12, s0
	v_readlane_b32 s18, v61, 20
	v_readlane_b32 s19, v61, 21
	s_subb_u32 s1, s13, s1
	s_mul_i32 s8, s0, s19
	s_mul_hi_u32 s9, s0, s18
	v_readlane_b32 s17, v61, 19
	s_add_i32 s8, s9, s8
	s_mul_i32 s1, s1, s18
	v_readlane_b32 s14, v61, 2
	v_readlane_b32 s15, v61, 3
	s_add_i32 s1, s8, s1
	s_mul_i32 s8, s10, s17
	s_mul_hi_u32 s9, s10, s16
	s_add_i32 s9, s9, s8
	s_mul_i32 s8, s10, s16
	s_mul_i32 s10, s12, s15
	s_mul_hi_u32 s11, s12, s14
	s_add_i32 s11, s11, s10
	s_mul_i32 s10, s12, s14
	v_readlane_b32 s12, v61, 32
	v_readlane_b32 s14, v61, 16
	;; [unrolled: 1-line block ×3, first 2 shown]
	s_sub_u32 s10, s12, s10
	v_readlane_b32 s15, v61, 17
	s_subb_u32 s11, 0, s11
	s_mul_i32 s12, s10, s15
	s_mul_hi_u32 s13, s10, s14
	s_add_i32 s12, s13, s12
	s_mul_i32 s11, s11, s14
	s_add_i32 s11, s12, s11
	s_lshl_b64 s[8:9], s[8:9], 3
	v_readlane_b32 s12, v61, 28
	s_mul_i32 s0, s0, s18
	v_readlane_b32 s13, v61, 29
	s_add_u32 s8, s12, s8
	s_addc_u32 s9, s13, s9
	s_lshl_b64 s[0:1], s[0:1], 3
	s_mul_i32 s10, s10, s14
	s_add_u32 s8, s8, s0
	s_addc_u32 s9, s9, s1
	s_lshl_b64 s[0:1], s[10:11], 3
	s_add_u32 s0, s8, s0
	s_addc_u32 s1, s9, s1
	v_mov_b32_e32 v0, 0
	global_store_dwordx2 v0, v[2:3], s[0:1]
.LBB142_308:
	s_or_b64 exec, exec, s[6:7]
.LBB142_309:
	s_or_saveexec_b64 s[0:1], s[4:5]
	s_mov_b64 s[4:5], 0
	s_xor_b64 exec, exec, s[0:1]
	s_cbranch_execnz .LBB142_312
.LBB142_310:
	s_or_b64 exec, exec, s[0:1]
	s_and_b64 s[0:1], s[4:5], exec
	s_andn2_saveexec_b64 s[2:3], s[2:3]
	s_cbranch_execz .LBB142_295
.LBB142_311:
	s_or_b64 s[0:1], s[0:1], exec
	s_trap 2
	s_or_b64 exec, exec, s[2:3]
	s_and_saveexec_b64 s[2:3], s[0:1]
	s_cbranch_execnz .LBB142_296
	s_branch .LBB142_297
.LBB142_312:
	s_mov_b64 s[4:5], exec
	s_trap 2
	s_branch .LBB142_310
	.section	.rodata,"a",@progbits
	.p2align	6, 0x0
	.amdhsa_kernel _ZN2at6native12_GLOBAL__N_112gatherMedianIN3c108BFloat16EmLi3EEEvNS_4cuda6detail10TensorInfoIT_T0_EENS7_IlS9_EENS7_IKS8_S9_EES9_S9_S9_b
		.amdhsa_group_segment_fixed_size 5152
		.amdhsa_private_segment_fixed_size 0
		.amdhsa_kernarg_size 1536
		.amdhsa_user_sgpr_count 2
		.amdhsa_user_sgpr_dispatch_ptr 0
		.amdhsa_user_sgpr_queue_ptr 0
		.amdhsa_user_sgpr_kernarg_segment_ptr 1
		.amdhsa_user_sgpr_dispatch_id 0
		.amdhsa_user_sgpr_kernarg_preload_length 0
		.amdhsa_user_sgpr_kernarg_preload_offset 0
		.amdhsa_user_sgpr_private_segment_size 0
		.amdhsa_uses_dynamic_stack 0
		.amdhsa_enable_private_segment 0
		.amdhsa_system_sgpr_workgroup_id_x 1
		.amdhsa_system_sgpr_workgroup_id_y 1
		.amdhsa_system_sgpr_workgroup_id_z 1
		.amdhsa_system_sgpr_workgroup_info 0
		.amdhsa_system_vgpr_workitem_id 0
		.amdhsa_next_free_vgpr 62
		.amdhsa_next_free_sgpr 100
		.amdhsa_accum_offset 64
		.amdhsa_reserve_vcc 1
		.amdhsa_float_round_mode_32 0
		.amdhsa_float_round_mode_16_64 0
		.amdhsa_float_denorm_mode_32 3
		.amdhsa_float_denorm_mode_16_64 3
		.amdhsa_dx10_clamp 1
		.amdhsa_ieee_mode 1
		.amdhsa_fp16_overflow 0
		.amdhsa_tg_split 0
		.amdhsa_exception_fp_ieee_invalid_op 0
		.amdhsa_exception_fp_denorm_src 0
		.amdhsa_exception_fp_ieee_div_zero 0
		.amdhsa_exception_fp_ieee_overflow 0
		.amdhsa_exception_fp_ieee_underflow 0
		.amdhsa_exception_fp_ieee_inexact 0
		.amdhsa_exception_int_div_zero 0
	.end_amdhsa_kernel
	.section	.text._ZN2at6native12_GLOBAL__N_112gatherMedianIN3c108BFloat16EmLi3EEEvNS_4cuda6detail10TensorInfoIT_T0_EENS7_IlS9_EENS7_IKS8_S9_EES9_S9_S9_b,"axG",@progbits,_ZN2at6native12_GLOBAL__N_112gatherMedianIN3c108BFloat16EmLi3EEEvNS_4cuda6detail10TensorInfoIT_T0_EENS7_IlS9_EENS7_IKS8_S9_EES9_S9_S9_b,comdat
.Lfunc_end142:
	.size	_ZN2at6native12_GLOBAL__N_112gatherMedianIN3c108BFloat16EmLi3EEEvNS_4cuda6detail10TensorInfoIT_T0_EENS7_IlS9_EENS7_IKS8_S9_EES9_S9_S9_b, .Lfunc_end142-_ZN2at6native12_GLOBAL__N_112gatherMedianIN3c108BFloat16EmLi3EEEvNS_4cuda6detail10TensorInfoIT_T0_EENS7_IlS9_EENS7_IKS8_S9_EES9_S9_S9_b
                                        ; -- End function
	.set _ZN2at6native12_GLOBAL__N_112gatherMedianIN3c108BFloat16EmLi3EEEvNS_4cuda6detail10TensorInfoIT_T0_EENS7_IlS9_EENS7_IKS8_S9_EES9_S9_S9_b.num_vgpr, 62
	.set _ZN2at6native12_GLOBAL__N_112gatherMedianIN3c108BFloat16EmLi3EEEvNS_4cuda6detail10TensorInfoIT_T0_EENS7_IlS9_EENS7_IKS8_S9_EES9_S9_S9_b.num_agpr, 0
	.set _ZN2at6native12_GLOBAL__N_112gatherMedianIN3c108BFloat16EmLi3EEEvNS_4cuda6detail10TensorInfoIT_T0_EENS7_IlS9_EENS7_IKS8_S9_EES9_S9_S9_b.numbered_sgpr, 100
	.set _ZN2at6native12_GLOBAL__N_112gatherMedianIN3c108BFloat16EmLi3EEEvNS_4cuda6detail10TensorInfoIT_T0_EENS7_IlS9_EENS7_IKS8_S9_EES9_S9_S9_b.num_named_barrier, 0
	.set _ZN2at6native12_GLOBAL__N_112gatherMedianIN3c108BFloat16EmLi3EEEvNS_4cuda6detail10TensorInfoIT_T0_EENS7_IlS9_EENS7_IKS8_S9_EES9_S9_S9_b.private_seg_size, 0
	.set _ZN2at6native12_GLOBAL__N_112gatherMedianIN3c108BFloat16EmLi3EEEvNS_4cuda6detail10TensorInfoIT_T0_EENS7_IlS9_EENS7_IKS8_S9_EES9_S9_S9_b.uses_vcc, 1
	.set _ZN2at6native12_GLOBAL__N_112gatherMedianIN3c108BFloat16EmLi3EEEvNS_4cuda6detail10TensorInfoIT_T0_EENS7_IlS9_EENS7_IKS8_S9_EES9_S9_S9_b.uses_flat_scratch, 0
	.set _ZN2at6native12_GLOBAL__N_112gatherMedianIN3c108BFloat16EmLi3EEEvNS_4cuda6detail10TensorInfoIT_T0_EENS7_IlS9_EENS7_IKS8_S9_EES9_S9_S9_b.has_dyn_sized_stack, 0
	.set _ZN2at6native12_GLOBAL__N_112gatherMedianIN3c108BFloat16EmLi3EEEvNS_4cuda6detail10TensorInfoIT_T0_EENS7_IlS9_EENS7_IKS8_S9_EES9_S9_S9_b.has_recursion, 0
	.set _ZN2at6native12_GLOBAL__N_112gatherMedianIN3c108BFloat16EmLi3EEEvNS_4cuda6detail10TensorInfoIT_T0_EENS7_IlS9_EENS7_IKS8_S9_EES9_S9_S9_b.has_indirect_call, 0
	.section	.AMDGPU.csdata,"",@progbits
; Kernel info:
; codeLenInByte = 17628
; TotalNumSgprs: 106
; NumVgprs: 62
; NumAgprs: 0
; TotalNumVgprs: 62
; ScratchSize: 0
; MemoryBound: 0
; FloatMode: 240
; IeeeMode: 1
; LDSByteSize: 5152 bytes/workgroup (compile time only)
; SGPRBlocks: 13
; VGPRBlocks: 7
; NumSGPRsForWavesPerEU: 106
; NumVGPRsForWavesPerEU: 62
; AccumOffset: 64
; Occupancy: 7
; WaveLimiterHint : 1
; COMPUTE_PGM_RSRC2:SCRATCH_EN: 0
; COMPUTE_PGM_RSRC2:USER_SGPR: 2
; COMPUTE_PGM_RSRC2:TRAP_HANDLER: 0
; COMPUTE_PGM_RSRC2:TGID_X_EN: 1
; COMPUTE_PGM_RSRC2:TGID_Y_EN: 1
; COMPUTE_PGM_RSRC2:TGID_Z_EN: 1
; COMPUTE_PGM_RSRC2:TIDIG_COMP_CNT: 0
; COMPUTE_PGM_RSRC3_GFX90A:ACCUM_OFFSET: 15
; COMPUTE_PGM_RSRC3_GFX90A:TG_SPLIT: 0
	.section	.text._ZN2at6native12_GLOBAL__N_112gatherMedianIN3c108BFloat16EmLin1EEEvNS_4cuda6detail10TensorInfoIT_T0_EENS7_IlS9_EENS7_IKS8_S9_EES9_S9_S9_b,"axG",@progbits,_ZN2at6native12_GLOBAL__N_112gatherMedianIN3c108BFloat16EmLin1EEEvNS_4cuda6detail10TensorInfoIT_T0_EENS7_IlS9_EENS7_IKS8_S9_EES9_S9_S9_b,comdat
	.globl	_ZN2at6native12_GLOBAL__N_112gatherMedianIN3c108BFloat16EmLin1EEEvNS_4cuda6detail10TensorInfoIT_T0_EENS7_IlS9_EENS7_IKS8_S9_EES9_S9_S9_b ; -- Begin function _ZN2at6native12_GLOBAL__N_112gatherMedianIN3c108BFloat16EmLin1EEEvNS_4cuda6detail10TensorInfoIT_T0_EENS7_IlS9_EENS7_IKS8_S9_EES9_S9_S9_b
	.p2align	8
	.type	_ZN2at6native12_GLOBAL__N_112gatherMedianIN3c108BFloat16EmLin1EEEvNS_4cuda6detail10TensorInfoIT_T0_EENS7_IlS9_EENS7_IKS8_S9_EES9_S9_S9_b,@function
_ZN2at6native12_GLOBAL__N_112gatherMedianIN3c108BFloat16EmLin1EEEvNS_4cuda6detail10TensorInfoIT_T0_EENS7_IlS9_EENS7_IKS8_S9_EES9_S9_S9_b: ; @_ZN2at6native12_GLOBAL__N_112gatherMedianIN3c108BFloat16EmLin1EEEvNS_4cuda6detail10TensorInfoIT_T0_EENS7_IlS9_EENS7_IKS8_S9_EES9_S9_S9_b
; %bb.0:
	s_load_dwordx2 s[10:11], s[0:1], 0x500
	s_load_dwordx4 s[56:59], s[0:1], 0x4e0
	s_add_u32 s12, s0, 0x500
	s_addc_u32 s13, s1, 0
	s_mov_b32 s5, 0
	s_waitcnt lgkmcnt(0)
	s_mul_i32 s4, s11, s4
	s_add_i32 s3, s4, s3
	s_mul_i32 s3, s3, s10
	s_add_i32 s4, s3, s2
	v_mov_b64_e32 v[2:3], s[4:5]
	v_cmp_le_u64_e32 vcc, s[58:59], v[2:3]
	s_cbranch_vccnz .LBB143_314
; %bb.1:
	s_load_dword s6, s[0:1], 0x198
	s_load_dwordx2 s[60:61], s[0:1], 0x4f0
	s_mov_b64 s[58:59], 0
	s_mov_b64 s[20:21], s[4:5]
	s_waitcnt lgkmcnt(0)
	s_cmp_lt_i32 s6, 2
	s_cbranch_scc1 .LBB143_9
; %bb.2:
	s_add_i32 s3, s6, 1
	s_add_i32 s8, s6, -1
	s_mov_b32 s6, 0
	s_mov_b32 s9, s6
	s_lshl_b64 s[8:9], s[8:9], 3
	s_add_u32 s7, s0, s8
	s_addc_u32 s9, s1, s9
	s_add_u32 s8, s7, 8
	s_addc_u32 s9, s9, 0
	s_mov_b64 s[14:15], s[4:5]
.LBB143_3:                              ; =>This Inner Loop Header: Depth=1
	s_load_dwordx2 s[16:17], s[8:9], 0x0
	s_waitcnt lgkmcnt(0)
	s_or_b64 s[18:19], s[14:15], s[16:17]
	s_mov_b32 s7, s19
	s_cmp_lg_u64 s[6:7], 0
	s_cbranch_scc0 .LBB143_8
; %bb.4:                                ;   in Loop: Header=BB143_3 Depth=1
	v_cvt_f32_u32_e32 v1, s16
	v_cvt_f32_u32_e32 v2, s17
	s_sub_u32 s7, 0, s16
	s_subb_u32 s11, 0, s17
	v_fmac_f32_e32 v1, 0x4f800000, v2
	v_rcp_f32_e32 v1, v1
	s_nop 0
	v_mul_f32_e32 v1, 0x5f7ffffc, v1
	v_mul_f32_e32 v2, 0x2f800000, v1
	v_trunc_f32_e32 v2, v2
	v_fmac_f32_e32 v1, 0xcf800000, v2
	v_cvt_u32_f32_e32 v2, v2
	v_cvt_u32_f32_e32 v1, v1
	v_readfirstlane_b32 s20, v2
	v_readfirstlane_b32 s18, v1
	s_mul_i32 s19, s7, s20
	s_mul_hi_u32 s22, s7, s18
	s_mul_i32 s21, s11, s18
	s_add_i32 s19, s22, s19
	s_mul_i32 s23, s7, s18
	s_add_i32 s19, s19, s21
	s_mul_i32 s22, s18, s19
	s_mul_hi_u32 s24, s18, s23
	s_mul_hi_u32 s21, s18, s19
	s_add_u32 s22, s24, s22
	s_addc_u32 s21, 0, s21
	s_mul_hi_u32 s25, s20, s23
	s_mul_i32 s23, s20, s23
	s_add_u32 s22, s22, s23
	s_mul_hi_u32 s24, s20, s19
	s_addc_u32 s21, s21, s25
	s_addc_u32 s22, s24, 0
	s_mul_i32 s19, s20, s19
	s_add_u32 s19, s21, s19
	s_addc_u32 s21, 0, s22
	s_add_u32 s22, s18, s19
	s_cselect_b64 s[18:19], -1, 0
	s_cmp_lg_u64 s[18:19], 0
	s_addc_u32 s20, s20, s21
	s_mul_i32 s18, s7, s20
	s_mul_hi_u32 s19, s7, s22
	s_add_i32 s18, s19, s18
	s_mul_i32 s11, s11, s22
	s_add_i32 s18, s18, s11
	s_mul_i32 s7, s7, s22
	s_mul_hi_u32 s19, s20, s7
	s_mul_i32 s21, s20, s7
	s_mul_i32 s24, s22, s18
	s_mul_hi_u32 s7, s22, s7
	s_mul_hi_u32 s23, s22, s18
	s_add_u32 s7, s7, s24
	s_addc_u32 s23, 0, s23
	s_add_u32 s7, s7, s21
	s_mul_hi_u32 s11, s20, s18
	s_addc_u32 s7, s23, s19
	s_addc_u32 s11, s11, 0
	s_mul_i32 s18, s20, s18
	s_add_u32 s7, s7, s18
	s_addc_u32 s11, 0, s11
	s_add_u32 s7, s22, s7
	s_cselect_b64 s[18:19], -1, 0
	s_cmp_lg_u64 s[18:19], 0
	s_addc_u32 s11, s20, s11
	s_mul_i32 s19, s14, s11
	s_mul_hi_u32 s20, s14, s7
	s_mul_hi_u32 s18, s14, s11
	s_add_u32 s19, s20, s19
	s_addc_u32 s18, 0, s18
	s_mul_hi_u32 s21, s15, s7
	s_mul_i32 s7, s15, s7
	s_add_u32 s7, s19, s7
	s_mul_hi_u32 s20, s15, s11
	s_addc_u32 s7, s18, s21
	s_addc_u32 s18, s20, 0
	s_mul_i32 s11, s15, s11
	s_add_u32 s7, s7, s11
	s_addc_u32 s11, 0, s18
	s_mul_i32 s18, s16, s11
	s_mul_hi_u32 s19, s16, s7
	s_add_i32 s18, s19, s18
	s_mul_i32 s19, s17, s7
	s_add_i32 s22, s18, s19
	s_sub_i32 s20, s15, s22
	s_mul_i32 s18, s16, s7
	s_sub_u32 s23, s14, s18
	s_cselect_b64 s[18:19], -1, 0
	s_cmp_lg_u64 s[18:19], 0
	s_subb_u32 s24, s20, s17
	s_sub_u32 s25, s23, s16
	s_cselect_b64 s[20:21], -1, 0
	s_cmp_lg_u64 s[20:21], 0
	s_subb_u32 s20, s24, 0
	s_cmp_ge_u32 s20, s17
	s_cselect_b32 s21, -1, 0
	s_cmp_ge_u32 s25, s16
	s_cselect_b32 s24, -1, 0
	s_cmp_eq_u32 s20, s17
	s_cselect_b32 s20, s24, s21
	s_add_u32 s21, s7, 1
	s_addc_u32 s24, s11, 0
	s_add_u32 s25, s7, 2
	s_addc_u32 s26, s11, 0
	s_cmp_lg_u32 s20, 0
	s_cselect_b32 s20, s25, s21
	s_cselect_b32 s21, s26, s24
	s_cmp_lg_u64 s[18:19], 0
	s_subb_u32 s18, s15, s22
	s_cmp_ge_u32 s18, s17
	s_cselect_b32 s19, -1, 0
	s_cmp_ge_u32 s23, s16
	s_cselect_b32 s22, -1, 0
	s_cmp_eq_u32 s18, s17
	s_cselect_b32 s18, s22, s19
	s_cmp_lg_u32 s18, 0
	s_cselect_b32 s21, s21, s11
	s_cselect_b32 s20, s20, s7
	s_cbranch_execnz .LBB143_6
.LBB143_5:                              ;   in Loop: Header=BB143_3 Depth=1
	v_cvt_f32_u32_e32 v1, s16
	s_sub_i32 s7, 0, s16
	s_mov_b32 s21, s6
	v_rcp_iflag_f32_e32 v1, v1
	s_nop 0
	v_mul_f32_e32 v1, 0x4f7ffffe, v1
	v_cvt_u32_f32_e32 v1, v1
	s_nop 0
	v_readfirstlane_b32 s11, v1
	s_mul_i32 s7, s7, s11
	s_mul_hi_u32 s7, s11, s7
	s_add_i32 s11, s11, s7
	s_mul_hi_u32 s7, s14, s11
	s_mul_i32 s18, s7, s16
	s_sub_i32 s18, s14, s18
	s_add_i32 s11, s7, 1
	s_sub_i32 s19, s18, s16
	s_cmp_ge_u32 s18, s16
	s_cselect_b32 s7, s11, s7
	s_cselect_b32 s18, s19, s18
	s_add_i32 s11, s7, 1
	s_cmp_ge_u32 s18, s16
	s_cselect_b32 s20, s11, s7
.LBB143_6:                              ;   in Loop: Header=BB143_3 Depth=1
	s_mul_i32 s7, s20, s17
	s_mul_hi_u32 s11, s20, s16
	s_load_dwordx2 s[18:19], s[8:9], 0xc8
	s_add_i32 s7, s11, s7
	s_mul_i32 s11, s21, s16
	s_add_i32 s7, s7, s11
	s_mul_i32 s11, s20, s16
	s_sub_u32 s11, s14, s11
	s_subb_u32 s7, s15, s7
	s_waitcnt lgkmcnt(0)
	s_mul_i32 s7, s18, s7
	s_mul_hi_u32 s14, s18, s11
	s_add_i32 s7, s14, s7
	s_mul_i32 s14, s19, s11
	s_add_i32 s7, s7, s14
	s_mul_i32 s11, s18, s11
	s_add_u32 s58, s11, s58
	s_addc_u32 s59, s7, s59
	s_add_i32 s3, s3, -1
	s_add_u32 s8, s8, -8
	s_addc_u32 s9, s9, -1
	s_cmp_gt_u32 s3, 2
	s_cbranch_scc0 .LBB143_9
; %bb.7:                                ;   in Loop: Header=BB143_3 Depth=1
	s_mov_b64 s[14:15], s[20:21]
	s_branch .LBB143_3
.LBB143_8:                              ;   in Loop: Header=BB143_3 Depth=1
                                        ; implicit-def: $sgpr20_sgpr21
	s_branch .LBB143_5
.LBB143_9:
	s_load_dword s8, s[0:1], 0x338
	s_load_dwordx2 s[6:7], s[0:1], 0xd0
                                        ; implicit-def: $vgpr71 : SGPR spill to VGPR lane
	s_mov_b64 s[62:63], 0
	v_writelane_b32 v71, s20, 0
	s_mov_b64 s[68:69], s[4:5]
	s_nop 0
	v_writelane_b32 v71, s21, 1
	s_waitcnt lgkmcnt(0)
	v_writelane_b32 v71, s6, 2
	s_nop 1
	v_writelane_b32 v71, s7, 3
	s_add_u32 s6, s0, 0x1a0
	s_addc_u32 s7, s1, 0
	s_cmp_lt_i32 s8, 2
	s_cbranch_scc1 .LBB143_17
; %bb.10:
	s_add_i32 s3, s8, 1
	s_add_i32 s14, s8, -1
	s_mov_b32 s8, 0
	s_mov_b32 s15, s8
	s_lshl_b64 s[14:15], s[14:15], 3
	s_add_u32 s9, s6, s14
	s_addc_u32 s11, s7, s15
	s_add_u32 s14, s9, 8
	s_addc_u32 s15, s11, 0
	s_mov_b64 s[16:17], s[4:5]
.LBB143_11:                             ; =>This Inner Loop Header: Depth=1
	s_load_dwordx2 s[18:19], s[14:15], 0x0
	s_waitcnt lgkmcnt(0)
	s_or_b64 s[20:21], s[16:17], s[18:19]
	s_mov_b32 s9, s21
	s_cmp_lg_u64 s[8:9], 0
	s_cbranch_scc0 .LBB143_16
; %bb.12:                               ;   in Loop: Header=BB143_11 Depth=1
	v_cvt_f32_u32_e32 v1, s18
	v_cvt_f32_u32_e32 v2, s19
	s_sub_u32 s9, 0, s18
	s_subb_u32 s11, 0, s19
	v_fmac_f32_e32 v1, 0x4f800000, v2
	v_rcp_f32_e32 v1, v1
	s_nop 0
	v_mul_f32_e32 v1, 0x5f7ffffc, v1
	v_mul_f32_e32 v2, 0x2f800000, v1
	v_trunc_f32_e32 v2, v2
	v_fmac_f32_e32 v1, 0xcf800000, v2
	v_cvt_u32_f32_e32 v2, v2
	v_cvt_u32_f32_e32 v1, v1
	v_readfirstlane_b32 s22, v2
	v_readfirstlane_b32 s20, v1
	s_mul_i32 s21, s9, s22
	s_mul_hi_u32 s24, s9, s20
	s_mul_i32 s23, s11, s20
	s_add_i32 s21, s24, s21
	s_mul_i32 s25, s9, s20
	s_add_i32 s21, s21, s23
	s_mul_i32 s24, s20, s21
	s_mul_hi_u32 s26, s20, s25
	s_mul_hi_u32 s23, s20, s21
	s_add_u32 s24, s26, s24
	s_addc_u32 s23, 0, s23
	s_mul_hi_u32 s27, s22, s25
	s_mul_i32 s25, s22, s25
	s_add_u32 s24, s24, s25
	s_mul_hi_u32 s26, s22, s21
	s_addc_u32 s23, s23, s27
	s_addc_u32 s24, s26, 0
	s_mul_i32 s21, s22, s21
	s_add_u32 s21, s23, s21
	s_addc_u32 s23, 0, s24
	s_add_u32 s24, s20, s21
	s_cselect_b64 s[20:21], -1, 0
	s_cmp_lg_u64 s[20:21], 0
	s_addc_u32 s22, s22, s23
	s_mul_i32 s20, s9, s22
	s_mul_hi_u32 s21, s9, s24
	s_add_i32 s20, s21, s20
	s_mul_i32 s11, s11, s24
	s_add_i32 s20, s20, s11
	s_mul_i32 s9, s9, s24
	s_mul_hi_u32 s21, s22, s9
	s_mul_i32 s23, s22, s9
	s_mul_i32 s26, s24, s20
	s_mul_hi_u32 s9, s24, s9
	s_mul_hi_u32 s25, s24, s20
	s_add_u32 s9, s9, s26
	s_addc_u32 s25, 0, s25
	s_add_u32 s9, s9, s23
	s_mul_hi_u32 s11, s22, s20
	s_addc_u32 s9, s25, s21
	s_addc_u32 s11, s11, 0
	s_mul_i32 s20, s22, s20
	s_add_u32 s9, s9, s20
	s_addc_u32 s11, 0, s11
	s_add_u32 s9, s24, s9
	s_cselect_b64 s[20:21], -1, 0
	s_cmp_lg_u64 s[20:21], 0
	s_addc_u32 s11, s22, s11
	s_mul_i32 s21, s16, s11
	s_mul_hi_u32 s22, s16, s9
	s_mul_hi_u32 s20, s16, s11
	s_add_u32 s21, s22, s21
	s_addc_u32 s20, 0, s20
	s_mul_hi_u32 s23, s17, s9
	s_mul_i32 s9, s17, s9
	s_add_u32 s9, s21, s9
	s_mul_hi_u32 s22, s17, s11
	s_addc_u32 s9, s20, s23
	s_addc_u32 s20, s22, 0
	s_mul_i32 s11, s17, s11
	s_add_u32 s9, s9, s11
	s_addc_u32 s11, 0, s20
	s_mul_i32 s20, s18, s11
	s_mul_hi_u32 s21, s18, s9
	s_add_i32 s20, s21, s20
	s_mul_i32 s21, s19, s9
	s_add_i32 s24, s20, s21
	s_sub_i32 s22, s17, s24
	s_mul_i32 s20, s18, s9
	s_sub_u32 s25, s16, s20
	s_cselect_b64 s[20:21], -1, 0
	s_cmp_lg_u64 s[20:21], 0
	s_subb_u32 s26, s22, s19
	s_sub_u32 s27, s25, s18
	s_cselect_b64 s[22:23], -1, 0
	s_cmp_lg_u64 s[22:23], 0
	s_subb_u32 s22, s26, 0
	s_cmp_ge_u32 s22, s19
	s_cselect_b32 s23, -1, 0
	s_cmp_ge_u32 s27, s18
	s_cselect_b32 s26, -1, 0
	s_cmp_eq_u32 s22, s19
	s_cselect_b32 s22, s26, s23
	s_add_u32 s23, s9, 1
	s_addc_u32 s26, s11, 0
	s_add_u32 s27, s9, 2
	s_addc_u32 s28, s11, 0
	s_cmp_lg_u32 s22, 0
	s_cselect_b32 s22, s27, s23
	s_cselect_b32 s23, s28, s26
	s_cmp_lg_u64 s[20:21], 0
	s_subb_u32 s20, s17, s24
	s_cmp_ge_u32 s20, s19
	s_cselect_b32 s21, -1, 0
	s_cmp_ge_u32 s25, s18
	s_cselect_b32 s24, -1, 0
	s_cmp_eq_u32 s20, s19
	s_cselect_b32 s20, s24, s21
	s_cmp_lg_u32 s20, 0
	s_cselect_b32 s69, s23, s11
	s_cselect_b32 s68, s22, s9
	s_cbranch_execnz .LBB143_14
.LBB143_13:                             ;   in Loop: Header=BB143_11 Depth=1
	v_cvt_f32_u32_e32 v1, s18
	s_sub_i32 s9, 0, s18
	s_mov_b32 s69, s8
	v_rcp_iflag_f32_e32 v1, v1
	s_nop 0
	v_mul_f32_e32 v1, 0x4f7ffffe, v1
	v_cvt_u32_f32_e32 v1, v1
	s_nop 0
	v_readfirstlane_b32 s11, v1
	s_mul_i32 s9, s9, s11
	s_mul_hi_u32 s9, s11, s9
	s_add_i32 s11, s11, s9
	s_mul_hi_u32 s9, s16, s11
	s_mul_i32 s20, s9, s18
	s_sub_i32 s20, s16, s20
	s_add_i32 s11, s9, 1
	s_sub_i32 s21, s20, s18
	s_cmp_ge_u32 s20, s18
	s_cselect_b32 s9, s11, s9
	s_cselect_b32 s20, s21, s20
	s_add_i32 s11, s9, 1
	s_cmp_ge_u32 s20, s18
	s_cselect_b32 s68, s11, s9
.LBB143_14:                             ;   in Loop: Header=BB143_11 Depth=1
	s_mul_i32 s9, s68, s19
	s_mul_hi_u32 s11, s68, s18
	s_load_dwordx2 s[20:21], s[14:15], 0xc8
	s_add_i32 s9, s11, s9
	s_mul_i32 s11, s69, s18
	s_add_i32 s9, s9, s11
	s_mul_i32 s11, s68, s18
	s_sub_u32 s11, s16, s11
	s_subb_u32 s9, s17, s9
	s_waitcnt lgkmcnt(0)
	s_mul_i32 s9, s20, s9
	s_mul_hi_u32 s16, s20, s11
	s_add_i32 s9, s16, s9
	s_mul_i32 s16, s21, s11
	s_add_i32 s9, s9, s16
	s_mul_i32 s11, s20, s11
	s_add_u32 s62, s11, s62
	s_addc_u32 s63, s9, s63
	s_add_i32 s3, s3, -1
	s_add_u32 s14, s14, -8
	s_addc_u32 s15, s15, -1
	s_cmp_gt_u32 s3, 2
	s_cbranch_scc0 .LBB143_17
; %bb.15:                               ;   in Loop: Header=BB143_11 Depth=1
	s_mov_b64 s[16:17], s[68:69]
	s_branch .LBB143_11
.LBB143_16:                             ;   in Loop: Header=BB143_11 Depth=1
                                        ; implicit-def: $sgpr68_sgpr69
	s_branch .LBB143_13
.LBB143_17:
	s_load_dword s8, s[0:1], 0x4d8
	s_load_dwordx2 s[14:15], s[6:7], 0xd0
	s_add_u32 s9, s0, 0x340
	s_addc_u32 s11, s1, 0
                                        ; kill: killed $sgpr6 killed $sgpr7
	s_mov_b64 s[6:7], 0
	s_waitcnt lgkmcnt(0)
	s_cmp_lt_i32 s8, 2
	v_writelane_b32 v71, s14, 4
	s_nop 1
	v_writelane_b32 v71, s15, 5
	s_cbranch_scc1 .LBB143_25
; %bb.18:
	s_add_i32 s3, s8, 1
	s_add_i32 s6, s8, -1
	s_mov_b32 s8, 0
	s_mov_b32 s7, s8
	s_lshl_b64 s[6:7], s[6:7], 3
	s_add_u32 s6, s9, s6
	s_addc_u32 s7, s11, s7
	s_add_u32 s14, s6, 8
	s_addc_u32 s15, s7, 0
	s_mov_b64 s[6:7], 0
.LBB143_19:                             ; =>This Inner Loop Header: Depth=1
	s_load_dwordx2 s[16:17], s[14:15], 0x0
	s_waitcnt lgkmcnt(0)
	s_or_b64 s[18:19], s[4:5], s[16:17]
	s_mov_b32 s9, s19
	s_cmp_lg_u64 s[8:9], 0
	s_cbranch_scc0 .LBB143_24
; %bb.20:                               ;   in Loop: Header=BB143_19 Depth=1
	v_cvt_f32_u32_e32 v1, s16
	v_cvt_f32_u32_e32 v2, s17
	s_sub_u32 s9, 0, s16
	s_subb_u32 s11, 0, s17
	v_fmac_f32_e32 v1, 0x4f800000, v2
	v_rcp_f32_e32 v1, v1
	s_nop 0
	v_mul_f32_e32 v1, 0x5f7ffffc, v1
	v_mul_f32_e32 v2, 0x2f800000, v1
	v_trunc_f32_e32 v2, v2
	v_fmac_f32_e32 v1, 0xcf800000, v2
	v_cvt_u32_f32_e32 v2, v2
	v_cvt_u32_f32_e32 v1, v1
	v_readfirstlane_b32 s20, v2
	v_readfirstlane_b32 s18, v1
	s_mul_i32 s19, s9, s20
	s_mul_hi_u32 s22, s9, s18
	s_mul_i32 s21, s11, s18
	s_add_i32 s19, s22, s19
	s_mul_i32 s23, s9, s18
	s_add_i32 s19, s19, s21
	s_mul_i32 s22, s18, s19
	s_mul_hi_u32 s24, s18, s23
	s_mul_hi_u32 s21, s18, s19
	s_add_u32 s22, s24, s22
	s_addc_u32 s21, 0, s21
	s_mul_hi_u32 s25, s20, s23
	s_mul_i32 s23, s20, s23
	s_add_u32 s22, s22, s23
	s_mul_hi_u32 s24, s20, s19
	s_addc_u32 s21, s21, s25
	s_addc_u32 s22, s24, 0
	s_mul_i32 s19, s20, s19
	s_add_u32 s19, s21, s19
	s_addc_u32 s21, 0, s22
	s_add_u32 s22, s18, s19
	s_cselect_b64 s[18:19], -1, 0
	s_cmp_lg_u64 s[18:19], 0
	s_addc_u32 s20, s20, s21
	s_mul_i32 s18, s9, s20
	s_mul_hi_u32 s19, s9, s22
	s_add_i32 s18, s19, s18
	s_mul_i32 s11, s11, s22
	s_add_i32 s18, s18, s11
	s_mul_i32 s9, s9, s22
	s_mul_hi_u32 s19, s20, s9
	s_mul_i32 s21, s20, s9
	s_mul_i32 s24, s22, s18
	s_mul_hi_u32 s9, s22, s9
	s_mul_hi_u32 s23, s22, s18
	s_add_u32 s9, s9, s24
	s_addc_u32 s23, 0, s23
	s_add_u32 s9, s9, s21
	s_mul_hi_u32 s11, s20, s18
	s_addc_u32 s9, s23, s19
	s_addc_u32 s11, s11, 0
	s_mul_i32 s18, s20, s18
	s_add_u32 s9, s9, s18
	s_addc_u32 s11, 0, s11
	s_add_u32 s9, s22, s9
	s_cselect_b64 s[18:19], -1, 0
	s_cmp_lg_u64 s[18:19], 0
	s_addc_u32 s11, s20, s11
	s_mul_i32 s19, s4, s11
	s_mul_hi_u32 s20, s4, s9
	s_mul_hi_u32 s18, s4, s11
	s_add_u32 s19, s20, s19
	s_addc_u32 s18, 0, s18
	s_mul_hi_u32 s21, s5, s9
	s_mul_i32 s9, s5, s9
	s_add_u32 s9, s19, s9
	s_mul_hi_u32 s20, s5, s11
	s_addc_u32 s9, s18, s21
	s_addc_u32 s18, s20, 0
	s_mul_i32 s11, s5, s11
	s_add_u32 s9, s9, s11
	s_addc_u32 s11, 0, s18
	s_mul_i32 s18, s16, s11
	s_mul_hi_u32 s19, s16, s9
	s_add_i32 s18, s19, s18
	s_mul_i32 s19, s17, s9
	s_add_i32 s22, s18, s19
	s_sub_i32 s20, s5, s22
	s_mul_i32 s18, s16, s9
	s_sub_u32 s23, s4, s18
	s_cselect_b64 s[18:19], -1, 0
	s_cmp_lg_u64 s[18:19], 0
	s_subb_u32 s24, s20, s17
	s_sub_u32 s25, s23, s16
	s_cselect_b64 s[20:21], -1, 0
	s_cmp_lg_u64 s[20:21], 0
	s_subb_u32 s20, s24, 0
	s_cmp_ge_u32 s20, s17
	s_cselect_b32 s21, -1, 0
	s_cmp_ge_u32 s25, s16
	s_cselect_b32 s24, -1, 0
	s_cmp_eq_u32 s20, s17
	s_cselect_b32 s20, s24, s21
	s_add_u32 s21, s9, 1
	s_addc_u32 s24, s11, 0
	s_add_u32 s25, s9, 2
	s_addc_u32 s26, s11, 0
	s_cmp_lg_u32 s20, 0
	s_cselect_b32 s20, s25, s21
	s_cselect_b32 s21, s26, s24
	s_cmp_lg_u64 s[18:19], 0
	s_subb_u32 s18, s5, s22
	s_cmp_ge_u32 s18, s17
	s_cselect_b32 s19, -1, 0
	s_cmp_ge_u32 s23, s16
	s_cselect_b32 s22, -1, 0
	s_cmp_eq_u32 s18, s17
	s_cselect_b32 s18, s22, s19
	s_cmp_lg_u32 s18, 0
	s_cselect_b32 s19, s21, s11
	s_cselect_b32 s18, s20, s9
	s_cbranch_execnz .LBB143_22
.LBB143_21:                             ;   in Loop: Header=BB143_19 Depth=1
	v_cvt_f32_u32_e32 v1, s16
	s_sub_i32 s9, 0, s16
	v_rcp_iflag_f32_e32 v1, v1
	s_nop 0
	v_mul_f32_e32 v1, 0x4f7ffffe, v1
	v_cvt_u32_f32_e32 v1, v1
	s_nop 0
	v_readfirstlane_b32 s11, v1
	s_mul_i32 s9, s9, s11
	s_mul_hi_u32 s9, s11, s9
	s_add_i32 s11, s11, s9
	s_mul_hi_u32 s9, s4, s11
	s_mul_i32 s18, s9, s16
	s_sub_i32 s18, s4, s18
	s_add_i32 s11, s9, 1
	s_sub_i32 s19, s18, s16
	s_cmp_ge_u32 s18, s16
	s_cselect_b32 s9, s11, s9
	s_cselect_b32 s18, s19, s18
	s_add_i32 s11, s9, 1
	s_cmp_ge_u32 s18, s16
	s_cselect_b32 s18, s11, s9
	s_mov_b32 s19, s8
.LBB143_22:                             ;   in Loop: Header=BB143_19 Depth=1
	s_mul_i32 s9, s18, s17
	s_mul_hi_u32 s11, s18, s16
	s_load_dwordx2 s[20:21], s[14:15], 0xc8
	s_add_i32 s9, s11, s9
	s_mul_i32 s11, s19, s16
	s_add_i32 s9, s9, s11
	s_mul_i32 s11, s18, s16
	s_sub_u32 s4, s4, s11
	s_subb_u32 s5, s5, s9
	s_waitcnt lgkmcnt(0)
	s_mul_i32 s5, s20, s5
	s_mul_hi_u32 s9, s20, s4
	s_add_i32 s5, s9, s5
	s_mul_i32 s9, s21, s4
	s_add_i32 s5, s5, s9
	s_mul_i32 s4, s20, s4
	s_add_u32 s6, s4, s6
	s_addc_u32 s7, s5, s7
	s_add_i32 s3, s3, -1
	s_add_u32 s14, s14, -8
	s_addc_u32 s15, s15, -1
	s_cmp_gt_u32 s3, 2
	s_cbranch_scc0 .LBB143_26
; %bb.23:                               ;   in Loop: Header=BB143_19 Depth=1
	s_mov_b64 s[4:5], s[18:19]
	s_branch .LBB143_19
.LBB143_24:                             ;   in Loop: Header=BB143_19 Depth=1
                                        ; implicit-def: $sgpr18_sgpr19
	s_branch .LBB143_21
.LBB143_25:
	s_mov_b64 s[18:19], s[4:5]
.LBB143_26:
	s_load_dwordx2 s[4:5], s[0:1], 0x410
	s_load_dwordx2 s[8:9], s[0:1], 0x0
	v_mov_b32_e32 v1, 0
	v_mov_b64_e32 v[2:3], 0
	v_cmp_gt_u64_e64 s[16:17], s[56:57], v[0:1]
	s_waitcnt lgkmcnt(0)
	s_mul_i32 s3, s4, s19
	v_writelane_b32 v71, s8, 6
	s_mul_hi_u32 s11, s4, s18
	s_add_i32 s3, s11, s3
	v_writelane_b32 v71, s9, 7
	s_load_dwordx2 s[8:9], s[0:1], 0x1a0
	s_mul_i32 s5, s5, s18
	s_add_i32 s5, s3, s5
	s_mul_i32 s4, s4, s18
	s_waitcnt lgkmcnt(0)
	v_writelane_b32 v71, s8, 8
	s_nop 1
	v_writelane_b32 v71, s9, 9
	s_load_dwordx2 s[8:9], s[0:1], 0x340
	s_mov_b64 s[14:15], exec
	v_writelane_b32 v71, s16, 10
	s_nop 1
	v_writelane_b32 v71, s17, 11
	s_and_b64 s[16:17], s[14:15], s[16:17]
	s_mov_b64 exec, s[16:17]
	s_cbranch_execz .LBB143_30
; %bb.27:
	s_load_dword s3, s[12:13], 0xc
	v_mad_u64_u32 v[2:3], s[20:21], s60, v0, 0
	v_mov_b32_e32 v4, v3
	v_mad_u64_u32 v[4:5], s[20:21], s61, v0, v[4:5]
	s_lshl_b64 s[18:19], s[4:5], 1
	s_waitcnt lgkmcnt(0)
	s_and_b32 s16, s3, 0xffff
	s_lshl_b64 s[20:21], s[6:7], 1
	s_add_u32 s3, s8, s20
	s_addc_u32 s11, s9, s21
	s_add_u32 s18, s3, s18
	v_mov_b32_e32 v3, v4
	s_addc_u32 s19, s11, s19
	s_mul_i32 s3, s61, s16
	s_mul_hi_u32 s11, s60, s16
	v_lshl_add_u64 v[4:5], v[2:3], 1, s[18:19]
	s_add_i32 s19, s11, s3
	s_mul_i32 s18, s60, s16
	s_mov_b32 s17, 0
	s_lshl_b64 s[20:21], s[18:19], 1
	s_mov_b64 s[18:19], 0
	v_mov_b64_e32 v[2:3], 0
	v_mov_b64_e32 v[6:7], v[0:1]
.LBB143_28:                             ; =>This Inner Loop Header: Depth=1
	global_load_ushort v8, v[4:5], off
	v_lshl_add_u64 v[6:7], v[6:7], 0, s[16:17]
	v_cmp_le_u64_e32 vcc, s[56:57], v[6:7]
	s_or_b64 s[18:19], vcc, s[18:19]
	v_mov_b32_e32 v9, s17
	v_lshl_add_u64 v[4:5], v[4:5], 0, s[20:21]
	s_waitcnt vmcnt(0)
	v_lshlrev_b32_e32 v8, 16, v8
	v_cmp_u_f32_e32 vcc, v8, v8
	s_nop 1
	v_cndmask_b32_e64 v8, 0, 1, vcc
	v_lshl_add_u64 v[2:3], v[2:3], 0, v[8:9]
	s_andn2_b64 exec, exec, s[18:19]
	s_cbranch_execnz .LBB143_28
; %bb.29:
	s_or_b64 exec, exec, s[18:19]
.LBB143_30:
	s_or_b64 exec, exec, s[14:15]
	v_cmp_eq_u32_e64 s[16:17], 0, v0
	s_mov_b64 s[14:15], exec
	s_nop 0
	v_writelane_b32 v71, s16, 12
	s_nop 1
	v_writelane_b32 v71, s17, 13
	s_and_b64 s[16:17], s[14:15], s[16:17]
	s_mov_b64 exec, s[16:17]
; %bb.31:
	v_mov_b32_e32 v4, 0
	v_mov_b32_e32 v5, v4
	ds_write_b64 v4, v[4:5] offset:5136
; %bb.32:
	s_or_b64 exec, exec, s[14:15]
	s_mov_b64 s[16:17], 0
	v_cmp_ne_u64_e32 vcc, 0, v[2:3]
	s_waitcnt lgkmcnt(0)
	s_barrier
	s_and_saveexec_b64 s[14:15], vcc
	s_cbranch_execz .LBB143_37
; %bb.33:
	s_mov_b64 s[18:19], exec
.LBB143_34:                             ; =>This Inner Loop Header: Depth=1
	s_ff1_i32_b64 s3, s[18:19]
	v_readlane_b32 s20, v2, s3
	v_readlane_b32 s11, v3, s3
	s_add_u32 s16, s16, s20
	s_addc_u32 s17, s17, s11
	s_lshl_b64 s[20:21], 1, s3
	s_andn2_b64 s[18:19], s[18:19], s[20:21]
	s_cmp_lg_u64 s[18:19], 0
	s_cbranch_scc1 .LBB143_34
; %bb.35:
	v_mbcnt_lo_u32_b32 v2, exec_lo, 0
	v_mbcnt_hi_u32_b32 v2, exec_hi, v2
	v_cmp_eq_u32_e32 vcc, 0, v2
	s_and_saveexec_b64 s[18:19], vcc
	s_xor_b64 s[18:19], exec, s[18:19]
; %bb.36:
	v_mov_b32_e32 v2, 0
	v_mov_b64_e32 v[4:5], s[16:17]
	ds_add_u64 v2, v[4:5] offset:5136
.LBB143_37:
	s_or_b64 exec, exec, s[14:15]
	v_mov_b32_e32 v3, 0
	s_waitcnt lgkmcnt(0)
	s_barrier
	ds_read_b64 v[4:5], v3 offset:5136
	s_waitcnt lgkmcnt(0)
	v_readfirstlane_b32 s14, v4
	v_readfirstlane_b32 s15, v5
	s_mov_b64 s[16:17], exec
	v_readlane_b32 s18, v71, 12
	v_readlane_b32 s19, v71, 13
	s_and_b64 s[18:19], s[16:17], s[18:19]
	s_mov_b64 exec, s[18:19]
	s_cbranch_execz .LBB143_39
; %bb.38:
	v_mov_b32_e32 v4, 0
	v_mov_b32_e32 v6, s56
	;; [unrolled: 1-line block ×4, first 2 shown]
	ds_write_b32 v4, v4 offset:5144
	ds_write_b128 v4, v[4:7] offset:5120
.LBB143_39:
	s_or_b64 exec, exec, s[16:17]
	s_load_dword s3, s[0:1], 0x4f8
	v_cmp_lt_i64_e64 s[0:1], s[14:15], 1
	v_mbcnt_lo_u32_b32 v2, -1, 0
	v_mbcnt_hi_u32_b32 v46, -1, v2
	v_cmp_gt_u32_e32 vcc, 64, v0
	s_waitcnt lgkmcnt(0)
	s_bitcmp1_b32 s3, 0
	s_cselect_b64 s[16:17], -1, 0
	s_not_b64 s[14:15], s[14:15]
	s_or_b64 s[0:1], s[16:17], s[0:1]
	s_add_u32 s14, s56, s14
	s_addc_u32 s15, s57, s15
	s_lshr_b64 s[14:15], s[14:15], 1
	s_add_u32 s3, s14, 1
	s_addc_u32 s11, s15, 0
	s_and_b64 s[0:1], s[0:1], exec
	s_cselect_b32 s15, s11, s57
	s_cselect_b32 s14, s3, s56
	s_lshl_b64 s[16:17], s[4:5], 1
	s_add_u32 s18, s8, s16
	s_addc_u32 s19, s9, s17
	s_lshl_b64 s[78:79], s[6:7], 1
	s_add_u32 s80, s18, s78
	v_cmp_gt_i32_e64 s[0:1], 4, v46
	s_addc_u32 s81, s19, s79
	s_and_b64 s[70:71], vcc, s[0:1]
	v_cmp_gt_u32_e64 s[0:1], 2, v0
	v_mov_b64_e32 v[4:5], 0x600
	s_nop 0
	v_writelane_b32 v71, s0, 14
	s_barrier
	s_nop 0
	v_writelane_b32 v71, s1, 15
	v_cmp_gt_u64_e64 s[0:1], s[56:57], v[4:5]
	v_lshlrev_b64 v[8:9], v46, -1
	v_not_b32_e32 v18, v8
	v_writelane_b32 v71, s0, 16
	v_mov_b32_e32 v8, s57
	v_not_b32_e32 v19, v9
	v_writelane_b32 v71, s1, 17
	v_mad_u64_u32 v[6:7], s[0:1], s60, v0, 0
	v_mov_b32_e32 v2, v7
	v_mad_u64_u32 v[4:5], s[0:1], s61, v0, v[2:3]
	s_load_dword s0, s[12:13], 0xc
	v_lshlrev_b32_e32 v2, 2, v46
	v_and_b32_e32 v49, 0x100, v2
	v_lshrrev_b32_e32 v2, 1, v0
	v_and_b32_e32 v2, 0x1e0, v2
	s_waitcnt lgkmcnt(0)
	s_and_b32 s76, s0, 0xffff
	s_bfe_u32 s0, s0, 0xa0006
	s_cmp_gt_u32 s76, 63
	s_cselect_b64 s[6:7], -1, 0
	v_or_b32_e32 v50, 0xc00, v2
	v_add_u32_e32 v2, 2, v0
	v_writelane_b32 v71, s6, 18
	s_add_u32 s1, s76, -1
	v_cmp_gt_u64_e32 vcc, s[56:57], v[2:3]
	v_writelane_b32 v71, s7, 19
	s_addc_u32 s3, 0, -1
	v_cndmask_b32_e32 v9, 0, v8, vcc
	v_mov_b32_e32 v8, s56
	v_writelane_b32 v71, s1, 20
	s_add_u32 s1, s1, s56
	v_cndmask_b32_e32 v8, v2, v8, vcc
	v_mov_b32_e32 v21, -1
	v_not_b32_e32 v20, v0
	v_writelane_b32 v71, s1, 21
	s_addc_u32 s55, s3, s57
	v_lshl_add_u64 v[8:9], v[8:9], 0, v[20:21]
	v_writelane_b32 v71, s3, 22
	s_cmp_lt_u32 s2, s10
	v_cmp_lt_u64_e64 s[2:3], 3, v[8:9]
	s_cselect_b32 s1, 12, 18
	v_and_b32_e32 v22, -4, v8
	v_writelane_b32 v71, s2, 23
	v_mov_b32_e32 v23, v9
	s_add_u32 s50, s12, s1
	v_writelane_b32 v71, s3, 24
	v_cmp_ne_u64_e64 s[2:3], v[8:9], v[22:23]
	s_addc_u32 s51, s13, 0
	s_add_i32 s1, s0, -1
	v_writelane_b32 v71, s2, 25
	s_and_b32 s1, s1, 0xffff
	v_lshlrev_b32_e32 v12, 3, v0
	v_writelane_b32 v71, s3, 26
	s_bfe_u32 s2, s76, 0x30006
	s_cmp_gt_u32 s1, 6
	s_cselect_b64 s[4:5], -1, 0
	v_writelane_b32 v71, s4, 27
	s_and_b32 s90, s0, 0x3f8
	s_cmp_lg_u32 s2, 0
	v_writelane_b32 v71, s5, 28
	v_writelane_b32 v71, s2, 29
	s_cselect_b64 s[0:1], -1, 0
	v_writelane_b32 v71, s0, 30
	v_or_b32_e32 v10, 6, v12
	v_mov_b64_e32 v[8:9], s[18:19]
	v_writelane_b32 v71, s1, 31
	s_add_u32 s0, s16, s78
	s_addc_u32 s1, s17, s79
	s_add_u32 s0, s8, s0
	s_addc_u32 s1, s9, s1
	v_writelane_b32 v71, s0, 32
	v_mov_b32_e32 v7, v4
	v_lshlrev_b64 v[4:5], 1, v[6:7]
	v_writelane_b32 v71, s1, 33
	s_lshl_b64 s[0:1], s[60:61], 1
	v_writelane_b32 v71, s0, 34
	s_mov_b32 s73, s61
	s_mov_b32 s65, s60
	v_writelane_b32 v71, s1, 35
	v_mad_u64_u32 v[26:27], s[0:1], s60, v10, v[8:9]
	v_mov_b32_e32 v2, v27
	v_mad_u64_u32 v[10:11], s[0:1], s61, v10, v[2:3]
	s_lshl_b64 s[0:1], s[60:61], 3
	v_mov_b32_e32 v27, v10
	v_writelane_b32 v71, s0, 36
	v_or_b32_e32 v10, 4, v12
	s_mov_b32 s83, 0
	v_writelane_b32 v71, s1, 37
	v_mad_u64_u32 v[28:29], s[0:1], s60, v10, v[8:9]
	v_mov_b32_e32 v2, v29
	v_mad_u64_u32 v[10:11], s[0:1], s61, v10, v[2:3]
	v_mov_b32_e32 v29, v10
	v_or_b32_e32 v10, 2, v12
	v_mad_u64_u32 v[30:31], s[0:1], s60, v10, v[8:9]
	v_mov_b32_e32 v2, v31
	v_mad_u64_u32 v[8:9], s[0:1], s61, v10, v[2:3]
	s_lshl_b32 s0, s76, 1
	s_nop 0
	v_writelane_b32 v71, s0, 38
	s_add_u32 s0, s8, s78
	s_addc_u32 s1, s9, s79
	s_add_u32 s0, s0, s16
	s_addc_u32 s1, s1, s17
	v_lshl_add_u64 v[12:13], s[0:1], 0, v[4:5]
	s_mul_i32 s0, s61, s76
	s_mul_hi_u32 s1, s60, s76
	s_add_i32 s1, s1, s0
	s_mul_i32 s0, s60, s76
	s_lshl_b64 s[0:1], s[0:1], 1
	v_writelane_b32 v71, s0, 39
	v_lshlrev_b32_e32 v47, 1, v0
	s_mov_b32 s53, s61
	v_writelane_b32 v71, s1, 40
                                        ; implicit-def: $sgpr0_sgpr1
                                        ; kill: killed $sgpr0_sgpr1
	v_mov_b32_e32 v2, 0xc00
	s_mov_b32 s0, 0
	v_writelane_b32 v71, s0, 41
	v_writelane_b32 v71, s70, 42
	v_cmp_eq_u32_e64 s[96:97], 0, v46
	v_add_u32_e32 v48, 0xc00, v47
	v_writelane_b32 v71, s71, 43
	v_writelane_b32 v71, s50, 44
	v_lshl_add_u64 v[14:15], s[80:81], 0, v[4:5]
	v_lshlrev_b32_e32 v16, 2, v0
	v_writelane_b32 v71, s51, 45
	v_writelane_b32 v71, s73, 46
	;; [unrolled: 1-line block ×3, first 2 shown]
	v_mov_b32_e32 v17, v3
	s_mov_b32 s33, 0xffff
	s_mov_b32 s77, s83
	v_lshl_add_u64 v[24:25], v[22:23], 0, v[0:1]
	s_mov_b32 s64, s60
	s_mov_b32 s54, s60
	;; [unrolled: 1-line block ×3, first 2 shown]
	v_mov_b32_e32 v31, v8
	v_lshl_add_u64 v[32:33], v[6:7], 3, s[18:19]
	v_lshlrev_b32_e32 v20, 3, v0
	v_lshl_or_b32 v51, v46, 3, v2
	s_mov_b32 s91, 14
	s_mov_b64 s[74:75], 0
	v_mov_b64_e32 v[34:35], s[14:15]
	v_mov_b64_e32 v[60:61], s[56:57]
	v_mov_b32_e32 v53, 0xffff
	v_mov_b32_e32 v54, 0x8000
	;; [unrolled: 1-line block ×7, first 2 shown]
	v_writelane_b32 v71, s53, 48
                                        ; implicit-def: $sgpr12_sgpr13
                                        ; implicit-def: $sgpr10_sgpr11
                                        ; implicit-def: $sgpr14_sgpr15
                                        ; implicit-def: $sgpr94_sgpr95
                                        ; implicit-def: $sgpr98_sgpr99
	v_writelane_b32 v71, s54, 49
	s_branch .LBB143_43
.LBB143_40:                             ;   in Loop: Header=BB143_43 Depth=1
	s_or_b64 exec, exec, s[18:19]
	s_and_b64 s[8:9], s[8:9], exec
	s_andn2_b64 s[24:25], s[24:25], exec
	s_andn2_b64 s[0:1], s[0:1], exec
	s_orn2_b64 s[18:19], s[6:7], exec
.LBB143_41:                             ;   in Loop: Header=BB143_43 Depth=1
	s_or_b64 exec, exec, s[2:3]
	s_andn2_b64 s[2:3], s[92:93], exec
	s_and_b64 s[6:7], s[8:9], exec
	s_or_b64 s[92:93], s[2:3], s[6:7]
	s_andn2_b64 s[2:3], s[86:87], exec
	s_and_b64 s[6:7], s[24:25], exec
	s_or_b64 s[86:87], s[2:3], s[6:7]
	;; [unrolled: 3-line block ×3, first 2 shown]
	s_orn2_b64 s[0:1], s[18:19], exec
.LBB143_42:                             ;   in Loop: Header=BB143_43 Depth=1
	s_or_b64 exec, exec, s[16:17]
	s_and_b64 s[0:1], exec, s[0:1]
	s_or_b64 s[74:75], s[0:1], s[74:75]
	v_readlane_b32 s0, v71, 50
	v_readlane_b32 s1, v71, 51
	s_andn2_b64 s[0:1], s[0:1], exec
	s_and_b64 s[2:3], s[92:93], exec
	s_or_b64 s[0:1], s[0:1], s[2:3]
	v_writelane_b32 v71, s0, 50
	s_and_b64 s[2:3], s[86:87], exec
	s_mov_b64 s[98:99], s[92:93]
	v_writelane_b32 v71, s1, 51
	s_andn2_b64 s[0:1], s[10:11], exec
	s_or_b64 s[10:11], s[0:1], s[2:3]
	s_andn2_b64 s[0:1], s[66:67], exec
	s_and_b64 s[2:3], s[84:85], exec
	s_mov_b64 s[94:95], s[86:87]
	s_mov_b64 s[14:15], s[84:85]
	s_or_b64 s[12:13], s[0:1], s[2:3]
	v_mov_b64_e32 v[34:35], v[8:9]
	s_andn2_b64 exec, exec, s[74:75]
	s_cbranch_execz .LBB143_310
.LBB143_43:                             ; =>This Loop Header: Depth=1
                                        ;     Child Loop BB143_48 Depth 2
                                        ;     Child Loop BB143_62 Depth 2
	;; [unrolled: 1-line block ×17, first 2 shown]
	ds_read_b128 v[4:7], v3 offset:5120
	s_mov_b64 s[66:67], s[96:97]
	s_mov_b64 s[4:5], s[68:69]
	s_mov_b32 s68, s64
	s_mov_b32 s64, s88
	s_waitcnt lgkmcnt(0)
	v_readfirstlane_b32 s97, v5
	v_readfirstlane_b32 s96, v4
	s_cmp_lg_u64 s[96:97], 0
	s_cbranch_scc1 .LBB143_75
; %bb.44:                               ;   in Loop: Header=BB143_43 Depth=1
	v_readlane_b32 s0, v71, 16
	v_readlane_b32 s1, v71, 17
	s_and_b64 vcc, exec, s[0:1]
	s_cbranch_vccz .LBB143_56
; %bb.45:                               ;   in Loop: Header=BB143_43 Depth=1
	s_mov_b64 s[0:1], 0x601
	v_cmp_gt_u64_e32 vcc, s[0:1], v[6:7]
	s_mov_b64 s[6:7], 0
	s_and_b64 vcc, exec, vcc
	s_mov_b64 s[0:1], 0
	s_mov_b32 s25, s64
	s_mov_b32 s26, s68
	;; [unrolled: 1-line block ×3, first 2 shown]
	s_cbranch_vccz .LBB143_57
; %bb.46:                               ;   in Loop: Header=BB143_43 Depth=1
	global_load_ushort v6, v3, s[50:51]
	global_load_ushort v8, v[14:15], off
	v_readlane_b32 s0, v71, 32
	v_readlane_b32 s1, v71, 33
	;; [unrolled: 1-line block ×4, first 2 shown]
	v_mov_b64_e32 v[4:5], s[0:1]
	s_mov_b64 s[28:29], s[66:67]
	s_mov_b64 s[8:9], 0
	s_waitcnt vmcnt(1)
	v_readfirstlane_b32 s0, v6
	s_and_b32 s0, 0xffff, s0
	s_nop 0
	v_add_u32_e32 v7, s0, v0
	s_mul_i32 s2, s19, s0
	s_mul_hi_u32 s3, s18, s0
	s_mul_i32 s16, s18, s0
	v_mad_u64_u32 v[4:5], s[0:1], s18, v7, v[4:5]
	v_and_b32_e32 v2, 0xffff, v6
	v_mov_b32_e32 v6, v5
	v_mad_u64_u32 v[6:7], s[0:1], s19, v7, v[6:7]
	s_add_i32 s17, s3, s2
	v_mov_b32_e32 v5, v6
	v_mov_b64_e32 v[6:7], v[0:1]
	s_branch .LBB143_48
.LBB143_47:                             ;   in Loop: Header=BB143_48 Depth=2
	s_or_b64 exec, exec, s[2:3]
	v_lshl_add_u64 v[4:5], v[4:5], 0, s[16:17]
	v_mov_b32_e32 v8, v9
	s_andn2_b64 exec, exec, s[8:9]
	s_cbranch_execz .LBB143_135
.LBB143_48:                             ;   Parent Loop BB143_43 Depth=1
                                        ; =>  This Inner Loop Header: Depth=2
	v_lshl_add_u64 v[6:7], v[6:7], 0, v[2:3]
	v_cmp_gt_u64_e64 s[0:1], s[56:57], v[6:7]
	v_cmp_le_u64_e32 vcc, s[56:57], v[6:7]
	s_waitcnt lgkmcnt(0)
	v_mov_b32_e32 v10, 0
	v_mov_b32_e32 v9, 0
	s_and_saveexec_b64 s[2:3], s[0:1]
	s_cbranch_execz .LBB143_50
; %bb.49:                               ;   in Loop: Header=BB143_48 Depth=2
	global_load_ushort v9, v[4:5], off
.LBB143_50:                             ;   in Loop: Header=BB143_48 Depth=2
	s_or_b64 exec, exec, s[2:3]
	s_waitcnt vmcnt(0)
	v_cmp_lt_i16_e64 s[0:1], -1, v8
	v_lshlrev_b32_e32 v36, 16, v8
	s_nop 0
	v_cndmask_b32_e64 v11, v53, v54, s[0:1]
	v_xor_b32_sdwa v11, v11, v8 dst_sel:DWORD dst_unused:UNUSED_PAD src0_sel:DWORD src1_sel:WORD_0
	v_cmp_o_f32_e64 s[0:1], v36, v36
	s_nop 1
	v_cndmask_b32_e64 v11, v53, v11, s[0:1]
	v_and_b32_e32 v11, v11, v57
	v_cmp_eq_u32_e64 s[0:1], v11, v52
	s_cmp_lg_u64 s[0:1], 0
	s_cselect_b64 s[2:3], -1, 0
	s_and_b64 s[2:3], s[28:29], s[2:3]
	s_and_saveexec_b64 s[18:19], s[2:3]
	s_cbranch_execz .LBB143_54
; %bb.51:                               ;   in Loop: Header=BB143_48 Depth=2
	s_mov_b64 s[22:23], exec
	v_mbcnt_lo_u32_b32 v10, s22, 0
	v_mbcnt_hi_u32_b32 v10, s23, v10
	s_bcnt1_i32_b64 s24, s[0:1]
	v_cmp_eq_u32_e64 s[2:3], 0, v10
                                        ; implicit-def: $vgpr11
	s_and_saveexec_b64 s[20:21], s[2:3]
; %bb.52:                               ;   in Loop: Header=BB143_48 Depth=2
	s_bcnt1_i32_b64 s2, s[22:23]
	s_mul_i32 s2, s24, s2
	v_mov_b32_e32 v11, s2
	ds_add_rtn_u32 v11, v3, v11 offset:5144
; %bb.53:                               ;   in Loop: Header=BB143_48 Depth=2
	s_or_b64 exec, exec, s[20:21]
	s_waitcnt lgkmcnt(0)
	v_readfirstlane_b32 s2, v11
	s_nop 1
	v_mov_b32_e32 v11, s2
	v_mad_u32_u24 v10, s24, v10, v11
.LBB143_54:                             ;   in Loop: Header=BB143_48 Depth=2
	s_or_b64 exec, exec, s[18:19]
	ds_bpermute_b32 v10, v49, v10
	s_and_b64 s[2:3], exec, vcc
	s_or_b64 s[8:9], s[2:3], s[8:9]
	s_and_saveexec_b64 s[2:3], s[0:1]
	s_cbranch_execz .LBB143_47
; %bb.55:                               ;   in Loop: Header=BB143_48 Depth=2
	v_and_b32_e32 v36, s0, v18
	v_and_b32_e32 v11, s1, v19
	v_bcnt_u32_b32 v36, v36, 0
	v_bcnt_u32_b32 v11, v11, v36
	v_lshlrev_b32_e32 v11, 1, v11
	s_waitcnt lgkmcnt(0)
	v_lshl_add_u32 v10, v10, 1, v11
	ds_write_b16 v10, v8
	s_branch .LBB143_47
.LBB143_56:                             ;   in Loop: Header=BB143_43 Depth=1
	s_mov_b64 s[6:7], -1
	s_mov_b64 s[0:1], 0
	s_mov_b32 s25, s64
	s_mov_b32 s26, s68
	;; [unrolled: 1-line block ×3, first 2 shown]
.LBB143_57:                             ;   in Loop: Header=BB143_43 Depth=1
	s_and_b64 vcc, exec, s[6:7]
	s_cbranch_vccz .LBB143_73
.LBB143_58:                             ;   in Loop: Header=BB143_43 Depth=1
	s_mov_b64 s[0:1], exec
	v_readlane_b32 s2, v71, 10
	v_readlane_b32 s3, v71, 11
	s_and_b64 s[2:3], s[0:1], s[2:3]
	s_mov_b64 exec, s[2:3]
	s_cbranch_execz .LBB143_70
; %bb.59:                               ;   in Loop: Header=BB143_43 Depth=1
	global_load_ushort v2, v3, s[50:51]
	global_load_ushort v38, v[14:15], off
	v_mov_b32_e32 v8, v0
	s_waitcnt vmcnt(1)
	v_readfirstlane_b32 s6, v2
	v_add_u32_sdwa v2, v2, v0 dst_sel:DWORD dst_unused:UNUSED_PAD src0_sel:WORD_0 src1_sel:DWORD
	v_cmp_gt_u64_e32 vcc, s[56:57], v[2:3]
	s_and_saveexec_b64 s[2:3], vcc
	s_cbranch_execz .LBB143_69
; %bb.60:                               ;   in Loop: Header=BB143_43 Depth=1
	s_and_b32 s82, s6, 0xffff
	s_cmp_eq_u32 s82, 1
	v_readlane_b32 s8, v71, 23
	s_cselect_b64 s[6:7], -1, 0
	v_readlane_b32 s9, v71, 24
	s_and_b64 s[16:17], s[8:9], s[6:7]
	s_mov_b64 s[8:9], -1
	v_mov_b64_e32 v[6:7], v[0:1]
	v_mov_b64_e32 v[4:5], v[2:3]
                                        ; implicit-def: $vgpr8_vgpr9
	s_and_saveexec_b64 s[6:7], s[16:17]
	s_cbranch_execz .LBB143_64
; %bb.61:                               ;   in Loop: Header=BB143_43 Depth=1
	v_lshl_add_u64 v[8:9], v[2:3], 0, 3
	v_lshl_add_u64 v[6:7], v[2:3], 0, 2
	;; [unrolled: 1-line block ×3, first 2 shown]
	v_mov_b64_e32 v[10:11], v[8:9]
	s_waitcnt vmcnt(0)
	v_lshlrev_b32_e32 v40, 16, v38
	s_mov_b64 s[8:9], 0
	v_mov_b64_e32 v[36:37], v[22:23]
	v_mov_b32_e32 v39, v47
	v_mov_b64_e32 v[8:9], v[6:7]
	v_mov_b64_e32 v[6:7], v[4:5]
	;; [unrolled: 1-line block ×3, first 2 shown]
.LBB143_62:                             ;   Parent Loop BB143_43 Depth=1
                                        ; =>  This Inner Loop Header: Depth=2
	v_mul_lo_u32 v38, v11, s54
	v_mul_lo_u32 v41, v10, s25
	v_mad_u64_u32 v[42:43], s[16:17], v10, s54, 0
	v_mul_lo_u32 v59, v9, s65
	v_mul_lo_u32 v66, v8, s53
	v_mad_u64_u32 v[44:45], s[16:17], v8, s65, 0
	;; [unrolled: 3-line block ×4, first 2 shown]
	v_add3_u32 v43, v43, v41, v38
	v_add3_u32 v45, v45, v66, v59
	;; [unrolled: 1-line block ×4, first 2 shown]
	v_lshl_add_u64 v[44:45], v[44:45], 1, s[80:81]
	v_lshl_add_u64 v[42:43], v[42:43], 1, s[80:81]
	;; [unrolled: 1-line block ×4, first 2 shown]
	global_load_ushort v41, v[44:45], off
	global_load_ushort v38, v[42:43], off
	s_nop 0
	global_load_ushort v42, v[62:63], off
	global_load_ushort v43, v[64:65], off
	v_lshl_add_u64 v[36:37], v[36:37], 0, -4
	v_cmp_eq_u64_e32 vcc, 0, v[36:37]
	v_lshl_add_u64 v[10:11], v[10:11], 0, 4
	v_lshl_add_u64 v[8:9], v[8:9], 0, 4
	;; [unrolled: 1-line block ×4, first 2 shown]
	s_or_b64 s[8:9], vcc, s[8:9]
	s_waitcnt vmcnt(2)
	v_perm_b32 v44, v38, v41, s27
	s_waitcnt vmcnt(1)
	v_perm_b32 v41, v41, v42, s27
	s_waitcnt vmcnt(0)
	v_alignbit_b32 v40, v43, v40, 16
	ds_write_b64 v39, v[40:41]
	v_add_u32_e32 v39, 8, v39
	v_mov_b32_e32 v40, v44
	s_andn2_b64 exec, exec, s[8:9]
	s_cbranch_execnz .LBB143_62
; %bb.63:                               ;   in Loop: Header=BB143_43 Depth=1
	s_or_b64 exec, exec, s[8:9]
	v_readlane_b32 s8, v71, 25
	v_lshl_add_u64 v[4:5], v[2:3], 0, v[22:23]
	v_readlane_b32 s9, v71, 26
	v_lshl_add_u64 v[8:9], v[4:5], 0, -1
	s_orn2_b64 s[8:9], s[8:9], exec
	v_mov_b64_e32 v[6:7], v[24:25]
.LBB143_64:                             ;   in Loop: Header=BB143_43 Depth=1
	s_or_b64 exec, exec, s[6:7]
	s_and_saveexec_b64 s[6:7], s[8:9]
	s_cbranch_execz .LBB143_68
; %bb.65:                               ;   in Loop: Header=BB143_43 Depth=1
	v_readlane_b32 s18, v71, 32
	v_readlane_b32 s19, v71, 33
	;; [unrolled: 1-line block ×4, first 2 shown]
	v_mov_b64_e32 v[8:9], s[18:19]
	v_mad_u64_u32 v[8:9], s[18:19], s20, v4, v[8:9]
	s_sub_u32 s8, 0, s82
	v_mul_lo_u32 v2, s20, v5
	v_mul_lo_u32 v7, s21, v4
	s_mul_i32 s18, s21, s82
	s_mul_hi_u32 s19, s20, s82
	s_mov_b64 s[16:17], 0
	s_subb_u32 s9, 0, 0
	v_add3_u32 v9, v7, v9, v2
	s_add_i32 s19, s19, s18
	s_mul_i32 s18, s20, s82
.LBB143_66:                             ;   Parent Loop BB143_43 Depth=1
                                        ; =>  This Inner Loop Header: Depth=2
	s_waitcnt vmcnt(0)
	v_mov_b32_e32 v2, v38
	global_load_ushort v38, v[8:9], off
	v_mov_b64_e32 v[10:11], v[4:5]
	v_lshlrev_b32_e32 v4, 1, v6
	ds_write_b16 v4, v2
	v_lshl_add_u64 v[4:5], v[10:11], 0, s[82:83]
	v_cmp_le_u64_e32 vcc, s[56:57], v[4:5]
	v_lshl_add_u64 v[8:9], v[8:9], 0, s[18:19]
	s_or_b64 s[16:17], vcc, s[16:17]
	v_mov_b64_e32 v[6:7], v[10:11]
	s_andn2_b64 exec, exec, s[16:17]
	s_cbranch_execnz .LBB143_66
; %bb.67:                               ;   in Loop: Header=BB143_43 Depth=1
	s_or_b64 exec, exec, s[16:17]
	v_lshl_add_u64 v[8:9], s[8:9], 0, v[4:5]
.LBB143_68:                             ;   in Loop: Header=BB143_43 Depth=1
	s_or_b64 exec, exec, s[6:7]
.LBB143_69:                             ;   in Loop: Header=BB143_43 Depth=1
	s_or_b64 exec, exec, s[2:3]
	v_lshlrev_b32_e32 v2, 1, v8
	s_waitcnt vmcnt(0)
	ds_write_b16 v2, v38
.LBB143_70:                             ;   in Loop: Header=BB143_43 Depth=1
	s_or_b64 exec, exec, s[0:1]
	s_waitcnt lgkmcnt(0)
	s_barrier
	s_mov_b64 s[0:1], exec
	v_readlane_b32 s2, v71, 12
	v_readlane_b32 s3, v71, 13
	s_and_b64 s[2:3], s[0:1], s[2:3]
	s_mov_b64 exec, s[2:3]
; %bb.71:                               ;   in Loop: Header=BB143_43 Depth=1
	ds_write_b64 v3, v[60:61] offset:5120
; %bb.72:                               ;   in Loop: Header=BB143_43 Depth=1
	s_or_b64 exec, exec, s[0:1]
	s_mov_b64 s[0:1], -1
	s_waitcnt lgkmcnt(0)
	s_barrier
.LBB143_73:                             ;   in Loop: Header=BB143_43 Depth=1
	s_mov_b64 s[96:97], 0
	s_and_b64 vcc, exec, s[0:1]
	s_cbranch_vccz .LBB143_75
; %bb.74:                               ;   in Loop: Header=BB143_43 Depth=1
	ds_read_b64 v[4:5], v3 offset:5120
	s_waitcnt lgkmcnt(0)
	v_readfirstlane_b32 s96, v4
.LBB143_75:                             ;   in Loop: Header=BB143_43 Depth=1
	s_cmp_lt_i32 s96, 1
	s_mov_b64 s[0:1], -1
                                        ; implicit-def: $vgpr4_vgpr5
                                        ; implicit-def: $vgpr8_vgpr9
	s_cbranch_scc0 .LBB143_90
; %bb.76:                               ;   in Loop: Header=BB143_43 Depth=1
	global_load_ushort v2, v3, s[50:51]
	s_mov_b32 s0, s83
	s_waitcnt vmcnt(0)
	v_readfirstlane_b32 s1, v2
	s_and_b32 s8, s1, 0xffff
	s_lshl_b32 s82, s8, 2
	s_mov_b32 s1, s57
	s_cmp_lg_u64 s[0:1], 0
	s_cbranch_scc0 .LBB143_108
; %bb.77:                               ;   in Loop: Header=BB143_43 Depth=1
	v_cvt_f32_u32_e32 v2, s82
	s_sub_u32 s2, 0, s82
	s_subb_u32 s3, 0, 0
	v_fmac_f32_e32 v2, 0, v55
	v_rcp_f32_e32 v2, v2
	s_nop 0
	v_mul_f32_e32 v2, 0x5f7ffffc, v2
	v_mul_f32_e32 v4, 0x2f800000, v2
	v_trunc_f32_e32 v4, v4
	v_fmac_f32_e32 v2, 0xcf800000, v4
	v_cvt_u32_f32_e32 v4, v4
	v_cvt_u32_f32_e32 v2, v2
	v_readfirstlane_b32 s6, v4
	v_readfirstlane_b32 s0, v2
	s_mul_i32 s1, s2, s6
	s_mul_hi_u32 s9, s2, s0
	s_mul_i32 s7, s3, s0
	s_add_i32 s1, s9, s1
	s_mul_i32 s16, s2, s0
	s_add_i32 s1, s1, s7
	s_mul_hi_u32 s9, s0, s16
	s_mul_i32 s17, s0, s1
	s_mul_hi_u32 s7, s0, s1
	s_add_u32 s9, s9, s17
	s_addc_u32 s7, 0, s7
	s_mul_hi_u32 s18, s6, s16
	s_mul_i32 s16, s6, s16
	s_add_u32 s9, s9, s16
	s_mul_hi_u32 s17, s6, s1
	s_addc_u32 s7, s7, s18
	s_addc_u32 s9, s17, 0
	s_mul_i32 s1, s6, s1
	s_add_u32 s1, s7, s1
	s_addc_u32 s7, 0, s9
	s_add_u32 s9, s0, s1
	s_cselect_b64 s[0:1], -1, 0
	s_cmp_lg_u64 s[0:1], 0
	s_addc_u32 s6, s6, s7
	s_mul_i32 s0, s2, s6
	s_mul_hi_u32 s1, s2, s9
	s_add_i32 s0, s1, s0
	s_mul_i32 s3, s3, s9
	s_add_i32 s0, s0, s3
	s_mul_i32 s2, s2, s9
	s_mul_hi_u32 s3, s6, s2
	s_mul_i32 s7, s6, s2
	s_mul_i32 s17, s9, s0
	s_mul_hi_u32 s2, s9, s2
	s_mul_hi_u32 s16, s9, s0
	s_add_u32 s2, s2, s17
	s_addc_u32 s16, 0, s16
	s_add_u32 s2, s2, s7
	s_mul_hi_u32 s1, s6, s0
	s_addc_u32 s2, s16, s3
	s_addc_u32 s1, s1, 0
	s_mul_i32 s0, s6, s0
	s_add_u32 s0, s2, s0
	s_addc_u32 s2, 0, s1
	s_add_u32 s3, s9, s0
	s_cselect_b64 s[0:1], -1, 0
	s_cmp_lg_u64 s[0:1], 0
	s_addc_u32 s0, s6, s2
	s_mul_i32 s2, s56, s0
	s_mul_hi_u32 s6, s56, s3
	s_mul_hi_u32 s1, s56, s0
	s_add_u32 s2, s6, s2
	s_addc_u32 s1, 0, s1
	s_mul_hi_u32 s7, s57, s3
	s_mul_i32 s3, s57, s3
	s_add_u32 s2, s2, s3
	s_mul_hi_u32 s6, s57, s0
	s_addc_u32 s1, s1, s7
	s_addc_u32 s2, s6, 0
	s_mul_i32 s0, s57, s0
	s_add_u32 s0, s1, s0
	s_addc_u32 s1, 0, s2
	s_mul_i32 s1, s82, s1
	s_mul_hi_u32 s2, s82, s0
	s_add_i32 s2, s2, s1
	s_mul_i32 s0, s82, s0
	s_sub_u32 s3, s56, s0
	s_cselect_b64 s[0:1], -1, 0
	s_cmp_lg_u64 s[0:1], 0
	s_subb_u32 s2, s57, s2
	s_sub_u32 s6, s3, s82
	s_cselect_b64 s[0:1], -1, 0
	s_cmp_lg_u64 s[0:1], 0
	s_subb_u32 s7, s2, 0
	;; [unrolled: 4-line block ×3, first 2 shown]
	s_cmp_ge_u32 s6, s82
	s_cselect_b32 s1, -1, 0
	s_cmp_eq_u32 s7, 0
	s_cselect_b32 s1, s1, -1
	s_cmp_lg_u32 s1, 0
	s_cselect_b32 s0, s0, s7
	s_cselect_b32 s6, s9, s6
	s_cmp_ge_u32 s3, s82
	s_cselect_b32 s1, -1, 0
	s_cmp_eq_u32 s2, 0
	s_cselect_b32 s1, s1, -1
	s_cmp_lg_u32 s1, 0
	s_cselect_b32 s1, s0, s2
	s_cselect_b32 s0, s6, s3
	s_cbranch_execnz .LBB143_79
.LBB143_78:                             ;   in Loop: Header=BB143_43 Depth=1
	v_cvt_f32_u32_e32 v2, s82
	s_sub_i32 s0, 0, s82
	v_rcp_iflag_f32_e32 v2, v2
	s_nop 0
	v_mul_f32_e32 v2, 0x4f7ffffe, v2
	v_cvt_u32_f32_e32 v2, v2
	s_nop 0
	v_readfirstlane_b32 s1, v2
	s_mul_i32 s0, s0, s1
	s_mul_hi_u32 s0, s1, s0
	s_add_i32 s1, s1, s0
	s_mul_hi_u32 s0, s56, s1
	s_mul_i32 s0, s0, s82
	s_sub_i32 s0, s56, s0
	s_sub_i32 s1, s0, s82
	s_cmp_ge_u32 s0, s82
	s_cselect_b32 s0, s1, s0
	s_sub_i32 s1, s0, s82
	s_cmp_ge_u32 s0, s82
	s_cselect_b32 s0, s1, s0
	s_mov_b32 s1, s83
.LBB143_79:                             ;   in Loop: Header=BB143_43 Depth=1
	s_sub_u32 s30, s56, s0
	s_subb_u32 s31, s57, s1
	s_mov_b32 s9, s83
	v_cmp_gt_u64_e32 vcc, s[30:31], v[16:17]
	v_mov_b64_e32 v[4:5], 0
	v_mov_b64_e32 v[6:7], 0
	;; [unrolled: 1-line block ×4, first 2 shown]
	s_and_saveexec_b64 s[88:89], vcc
	s_cbranch_execz .LBB143_83
; %bb.80:                               ;   in Loop: Header=BB143_43 Depth=1
	v_readlane_b32 s2, v71, 36
	v_readlane_b32 s0, v71, 21
	;; [unrolled: 1-line block ×3, first 2 shown]
	s_mul_i32 s0, s3, s8
	s_mul_hi_u32 s1, s2, s8
	s_mov_b32 s65, s55
	s_add_i32 s73, s1, s0
	s_mul_i32 s72, s2, s8
	s_mov_b64 s[6:7], 0
	v_mov_b64_e32 v[36:37], v[32:33]
	v_mov_b64_e32 v[38:39], v[30:31]
	;; [unrolled: 1-line block ×4, first 2 shown]
	s_mov_b64 s[70:71], 0
	s_mov_b64 s[84:85], 0
	s_mov_b64 s[92:93], 0
	s_mov_b64 s[86:87], 0
	v_mov_b64_e32 v[44:45], v[16:17]
.LBB143_81:                             ;   Parent Loop BB143_43 Depth=1
                                        ; =>  This Inner Loop Header: Depth=2
	v_lshl_add_u64 v[4:5], v[36:37], 0, s[78:79]
	v_lshl_add_u64 v[6:7], v[38:39], 0, s[78:79]
	;; [unrolled: 1-line block ×4, first 2 shown]
	global_load_ushort v2, v[4:5], off
	s_nop 0
	global_load_ushort v4, v[6:7], off
	global_load_ushort v5, v[8:9], off
	s_nop 0
	global_load_ushort v6, v[10:11], off
	v_lshl_add_u64 v[44:45], v[44:45], 0, s[82:83]
	v_cmp_le_u64_e32 vcc, s[30:31], v[44:45]
	v_lshl_add_u64 v[42:43], v[42:43], 0, s[72:73]
	v_lshl_add_u64 v[40:41], v[40:41], 0, s[72:73]
	;; [unrolled: 1-line block ×4, first 2 shown]
	s_waitcnt vmcnt(3)
	v_cmp_lt_i16_e64 s[0:1], -1, v2
	s_nop 1
	v_cndmask_b32_e64 v11, v53, v54, s[0:1]
	s_waitcnt vmcnt(2)
	v_cmp_lt_i16_e64 s[0:1], -1, v4
	v_lshlrev_b32_e32 v7, 16, v2
	v_lshlrev_b32_e32 v8, 16, v4
	v_cndmask_b32_e64 v59, v53, v54, s[0:1]
	s_waitcnt vmcnt(1)
	v_cmp_lt_i16_e64 s[0:1], -1, v5
	v_xor_b32_sdwa v2, v11, v2 dst_sel:DWORD dst_unused:UNUSED_PAD src0_sel:DWORD src1_sel:WORD_0
	v_cmp_o_f32_e64 s[18:19], v7, v7
	v_cndmask_b32_e64 v62, v53, v54, s[0:1]
	s_waitcnt vmcnt(0)
	v_cmp_lt_i16_e64 s[0:1], -1, v6
	v_lshlrev_b32_e32 v9, 16, v5
	v_xor_b32_sdwa v4, v59, v4 dst_sel:DWORD dst_unused:UNUSED_PAD src0_sel:DWORD src1_sel:WORD_0
	v_cndmask_b32_e64 v63, v53, v54, s[0:1]
	v_cmp_o_f32_e64 s[0:1], v8, v8
	v_cndmask_b32_e64 v2, v53, v2, s[18:19]
	v_lshlrev_b32_e32 v10, 16, v6
	v_xor_b32_sdwa v5, v62, v5 dst_sel:DWORD dst_unused:UNUSED_PAD src0_sel:DWORD src1_sel:WORD_0
	v_cmp_o_f32_e64 s[2:3], v9, v9
	v_cndmask_b32_e64 v4, v53, v4, s[0:1]
	v_and_b32_e32 v7, v2, v57
	v_bfe_u32 v2, v2, s91, 2
	v_xor_b32_sdwa v6, v63, v6 dst_sel:DWORD dst_unused:UNUSED_PAD src0_sel:DWORD src1_sel:WORD_0
	v_cmp_o_f32_e64 s[16:17], v10, v10
	v_cndmask_b32_e64 v5, v53, v5, s[2:3]
	v_and_b32_e32 v8, v4, v57
	v_bfe_u32 v4, v4, s91, 2
	v_cmp_eq_u32_e64 s[20:21], v7, v52
	v_cmp_eq_u32_e64 s[2:3], 0, v2
	v_cndmask_b32_e64 v6, v53, v6, s[16:17]
	v_and_b32_e32 v9, v5, v57
	v_bfe_u32 v5, v5, s91, 2
	v_cmp_eq_u32_e64 s[18:19], v8, v52
	v_cmp_eq_u32_e64 s[34:35], 0, v4
	s_and_b64 s[2:3], s[20:21], s[2:3]
	v_and_b32_e32 v10, v6, v57
	v_bfe_u32 v6, v6, s91, 2
	v_cmp_eq_u32_e64 s[16:17], v9, v52
	v_cmp_eq_u32_e64 s[36:37], 0, v5
	;; [unrolled: 1-line block ×5, first 2 shown]
	v_cndmask_b32_e64 v2, 0, 1, s[2:3]
	s_and_b64 s[2:3], s[18:19], s[34:35]
	v_cmp_eq_u32_e64 s[0:1], v10, v52
	v_cmp_eq_u32_e64 s[38:39], 0, v6
	;; [unrolled: 1-line block ×5, first 2 shown]
	v_cndmask_b32_e64 v4, 0, 1, s[2:3]
	s_and_b64 s[2:3], s[16:17], s[36:37]
	v_cmp_eq_u32_e64 s[44:45], 1, v5
	v_cmp_eq_u32_e64 s[52:53], 2, v5
	;; [unrolled: 1-line block ×3, first 2 shown]
	v_cndmask_b32_e64 v5, 0, 1, s[2:3]
	s_and_b64 s[2:3], s[0:1], s[38:39]
	v_cmp_eq_u32_e64 s[46:47], 1, v6
	v_cmp_eq_u32_e64 s[54:55], 2, v6
	;; [unrolled: 1-line block ×3, first 2 shown]
	v_cndmask_b32_e64 v6, 0, 1, s[2:3]
	v_cmp_ne_u32_e64 s[2:3], 0, v2
	v_cmp_ne_u32_e64 s[34:35], 0, v4
	;; [unrolled: 1-line block ×4, first 2 shown]
	s_bcnt1_i32_b64 s2, s[2:3]
	s_bcnt1_i32_b64 s3, s[34:35]
	;; [unrolled: 1-line block ×4, first 2 shown]
	s_add_u32 s2, s2, s86
	s_addc_u32 s36, 0, s87
	s_add_u32 s2, s2, s3
	s_addc_u32 s3, s36, 0
	;; [unrolled: 2-line block ×4, first 2 shown]
	s_and_b64 s[2:3], s[20:21], s[40:41]
	v_cndmask_b32_e64 v2, 0, 1, s[2:3]
	s_and_b64 s[2:3], s[18:19], s[42:43]
	v_cndmask_b32_e64 v6, 0, 1, s[2:3]
	;; [unrolled: 2-line block ×4, first 2 shown]
	v_cmp_ne_u32_e64 s[2:3], 0, v2
	v_cmp_ne_u32_e64 s[34:35], 0, v6
	;; [unrolled: 1-line block ×4, first 2 shown]
	s_bcnt1_i32_b64 s2, s[2:3]
	s_bcnt1_i32_b64 s3, s[34:35]
	;; [unrolled: 1-line block ×4, first 2 shown]
	s_add_u32 s2, s2, s92
	s_addc_u32 s36, 0, s93
	s_add_u32 s2, s2, s3
	s_addc_u32 s3, s36, 0
	;; [unrolled: 2-line block ×4, first 2 shown]
	s_and_b64 s[2:3], s[20:21], s[48:49]
	v_cndmask_b32_e64 v2, 0, 1, s[2:3]
	s_and_b64 s[2:3], s[18:19], s[50:51]
	v_cndmask_b32_e64 v8, 0, 1, s[2:3]
	s_and_b64 s[2:3], s[16:17], s[52:53]
	v_cndmask_b32_e64 v9, 0, 1, s[2:3]
	s_and_b64 s[2:3], s[0:1], s[54:55]
	v_cndmask_b32_e64 v10, 0, 1, s[2:3]
	v_cmp_ne_u32_e64 s[2:3], 0, v2
	v_cmp_ne_u32_e64 s[34:35], 0, v8
	;; [unrolled: 1-line block ×4, first 2 shown]
	s_bcnt1_i32_b64 s2, s[2:3]
	s_bcnt1_i32_b64 s3, s[34:35]
	;; [unrolled: 1-line block ×4, first 2 shown]
	s_add_u32 s2, s2, s84
	s_addc_u32 s36, 0, s85
	s_add_u32 s2, s2, s3
	s_addc_u32 s3, s36, 0
	;; [unrolled: 2-line block ×4, first 2 shown]
	s_and_b64 s[2:3], s[20:21], s[28:29]
	v_cndmask_b32_e64 v2, 0, 1, s[2:3]
	s_and_b64 s[2:3], s[18:19], s[26:27]
	v_cndmask_b32_e64 v10, 0, 1, s[2:3]
	s_and_b64 s[2:3], s[16:17], s[24:25]
	s_and_b64 s[0:1], s[0:1], s[22:23]
	v_cndmask_b32_e64 v11, 0, 1, s[2:3]
	v_cndmask_b32_e64 v59, 0, 1, s[0:1]
	v_cmp_ne_u32_e64 s[0:1], 0, v2
	v_cmp_ne_u32_e64 s[2:3], 0, v10
	;; [unrolled: 1-line block ×4, first 2 shown]
	s_bcnt1_i32_b64 s0, s[0:1]
	s_bcnt1_i32_b64 s1, s[2:3]
	;; [unrolled: 1-line block ×4, first 2 shown]
	s_add_u32 s0, s0, s70
	s_addc_u32 s16, 0, s71
	s_add_u32 s0, s0, s1
	s_addc_u32 s1, s16, 0
	;; [unrolled: 2-line block ×4, first 2 shown]
	v_mov_b64_e32 v[4:5], s[86:87]
	v_mov_b64_e32 v[6:7], s[92:93]
	v_mov_b64_e32 v[8:9], s[84:85]
	s_or_b64 s[6:7], vcc, s[6:7]
	v_mov_b64_e32 v[10:11], s[70:71]
	s_andn2_b64 exec, exec, s[6:7]
	s_cbranch_execnz .LBB143_81
; %bb.82:                               ;   in Loop: Header=BB143_43 Depth=1
	s_or_b64 exec, exec, s[6:7]
	v_readlane_b32 s70, v71, 42
	v_readlane_b32 s50, v71, 44
	v_readlane_b32 s71, v71, 43
	s_mov_b32 s55, s65
	v_readlane_b32 s51, v71, 45
	v_readlane_b32 s73, v71, 46
	;; [unrolled: 1-line block ×5, first 2 shown]
.LBB143_83:                             ;   in Loop: Header=BB143_43 Depth=1
	s_or_b64 exec, exec, s[88:89]
	v_lshl_add_u64 v[36:37], s[30:31], 0, v[0:1]
	v_cmp_gt_u64_e32 vcc, s[56:57], v[36:37]
	s_and_saveexec_b64 s[2:3], vcc
	s_cbranch_execz .LBB143_89
; %bb.84:                               ;   in Loop: Header=BB143_43 Depth=1
	v_mul_lo_u32 v2, v37, s60
	v_mul_lo_u32 v40, v36, s61
	v_mad_u64_u32 v[38:39], s[0:1], v36, s60, 0
	v_add3_u32 v39, v39, v40, v2
	v_lshl_add_u64 v[38:39], v[38:39], 1, s[80:81]
	global_load_ushort v38, v[38:39], off
	s_mov_b64 s[6:7], 0
	s_branch .LBB143_86
.LBB143_85:                             ;   in Loop: Header=BB143_86 Depth=2
	s_or_b64 exec, exec, s[16:17]
	s_and_b64 s[0:1], exec, vcc
	s_waitcnt vmcnt(0)
	v_cmp_lt_i16_e32 vcc, -1, v38
	v_lshlrev_b32_e32 v40, 16, v38
	s_or_b64 s[6:7], s[0:1], s[6:7]
	v_cndmask_b32_e32 v39, v53, v54, vcc
	v_xor_b32_sdwa v38, v39, v38 dst_sel:DWORD dst_unused:UNUSED_PAD src0_sel:DWORD src1_sel:WORD_0
	v_cmp_o_f32_e32 vcc, v40, v40
	s_nop 1
	v_cndmask_b32_e32 v38, v53, v38, vcc
	v_and_b32_e32 v39, v38, v57
	v_bfe_u32 v38, v38, s91, 2
	v_cmp_eq_u32_e32 vcc, v39, v52
	v_cmp_eq_u32_e64 s[0:1], 0, v38
	s_and_b64 s[0:1], vcc, s[0:1]
	s_nop 0
	v_cndmask_b32_e64 v39, 0, 1, s[0:1]
	v_cmp_ne_u32_e64 s[0:1], 0, v39
	s_bcnt1_i32_b64 s82, s[0:1]
	v_cmp_eq_u32_e64 s[0:1], 1, v38
	s_and_b64 s[0:1], vcc, s[0:1]
	v_lshl_add_u64 v[4:5], s[82:83], 0, v[4:5]
	v_cndmask_b32_e64 v39, 0, 1, s[0:1]
	v_cmp_ne_u32_e64 s[0:1], 0, v39
	s_bcnt1_i32_b64 s82, s[0:1]
	v_cmp_eq_u32_e64 s[0:1], 2, v38
	s_and_b64 s[0:1], vcc, s[0:1]
	v_lshl_add_u64 v[6:7], s[82:83], 0, v[6:7]
	;; [unrolled: 6-line block ×3, first 2 shown]
	v_cndmask_b32_e64 v38, 0, 1, s[0:1]
	v_cmp_ne_u32_e32 vcc, 0, v38
	s_bcnt1_i32_b64 s82, vcc
	v_lshl_add_u64 v[10:11], s[82:83], 0, v[10:11]
	v_mov_b32_e32 v38, v2
	s_andn2_b64 exec, exec, s[6:7]
	s_cbranch_execz .LBB143_88
.LBB143_86:                             ;   Parent Loop BB143_43 Depth=1
                                        ; =>  This Inner Loop Header: Depth=2
	v_lshl_add_u64 v[36:37], v[36:37], 0, s[8:9]
	v_cmp_gt_u64_e64 s[0:1], s[56:57], v[36:37]
	v_cmp_le_u64_e32 vcc, s[56:57], v[36:37]
	v_mov_b32_e32 v2, 0
	s_and_saveexec_b64 s[16:17], s[0:1]
	s_cbranch_execz .LBB143_85
; %bb.87:                               ;   in Loop: Header=BB143_86 Depth=2
	v_mul_lo_u32 v2, v37, s60
	v_mul_lo_u32 v39, v36, s61
	v_mad_u64_u32 v[40:41], s[0:1], v36, s60, 0
	v_add3_u32 v41, v41, v39, v2
	v_lshl_add_u64 v[40:41], v[40:41], 1, s[80:81]
	global_load_ushort v2, v[40:41], off
	s_branch .LBB143_85
.LBB143_88:                             ;   in Loop: Header=BB143_43 Depth=1
	s_or_b64 exec, exec, s[6:7]
.LBB143_89:                             ;   in Loop: Header=BB143_43 Depth=1
	s_or_b64 exec, exec, s[2:3]
	s_mov_b64 s[0:1], 0
.LBB143_90:                             ;   in Loop: Header=BB143_43 Depth=1
	s_and_b64 vcc, exec, s[0:1]
	s_cbranch_vccz .LBB143_100
; %bb.91:                               ;   in Loop: Header=BB143_43 Depth=1
	global_load_ushort v2, v3, s[50:51]
	v_mov_b64_e32 v[8:9], 0
	s_waitcnt vmcnt(0)
	v_readfirstlane_b32 s0, v2
	s_and_b32 s92, 0xffff, s0
	s_lshl_b32 s82, s92, 2
	v_cvt_f32_u32_e32 v4, s82
	s_sub_i32 s0, 0, s82
	v_rcp_iflag_f32_e32 v6, v4
	v_mov_b64_e32 v[4:5], 0
	v_mul_f32_e32 v6, 0x4f7ffffe, v6
	v_cvt_u32_f32_e32 v10, v6
	v_mov_b64_e32 v[6:7], 0
	v_readfirstlane_b32 s1, v10
	s_mul_i32 s0, s0, s1
	s_mul_hi_u32 s0, s1, s0
	s_add_i32 s1, s1, s0
	s_mul_hi_u32 s0, s96, s1
	s_mul_i32 s1, s0, s82
	s_sub_i32 s1, s96, s1
	s_add_i32 s2, s0, 1
	s_sub_i32 s3, s1, s82
	s_cmp_ge_u32 s1, s82
	s_cselect_b32 s0, s2, s0
	s_cselect_b32 s1, s3, s1
	s_add_i32 s2, s0, 1
	s_cmp_ge_u32 s1, s82
	s_cselect_b32 s0, s2, s0
	s_mul_hi_u32 s9, s92, s0
	s_mul_i32 s8, s92, s0
	s_lshl_b64 s[30:31], s[8:9], 2
	v_cmp_gt_u64_e32 vcc, s[30:31], v[16:17]
	v_mov_b64_e32 v[10:11], 0
	s_and_saveexec_b64 s[6:7], vcc
	s_cbranch_execz .LBB143_95
; %bb.92:                               ;   in Loop: Header=BB143_43 Depth=1
	s_mov_b32 s65, s55
	s_lshl_b32 s9, s92, 3
	s_mov_b64 s[70:71], 0
	v_mov_b32_e32 v38, v20
	s_mov_b64 s[72:73], 0
	s_mov_b64 s[84:85], 0
	;; [unrolled: 1-line block ×4, first 2 shown]
	v_mov_b64_e32 v[36:37], v[16:17]
.LBB143_93:                             ;   Parent Loop BB143_43 Depth=1
                                        ; =>  This Inner Loop Header: Depth=2
	ds_read_b64 v[4:5], v38
	v_lshl_add_u64 v[36:37], v[36:37], 0, s[82:83]
	v_cmp_le_u64_e32 vcc, s[30:31], v[36:37]
	v_add_u32_e32 v38, s9, v38
	s_waitcnt lgkmcnt(0)
	v_cmp_lt_i16_e64 s[0:1], -1, v4
	v_lshlrev_b32_e32 v6, 16, v4
	s_nop 0
	v_cndmask_b32_e64 v10, v53, v54, s[0:1]
	v_cmp_gt_i16_sdwa s[0:1], v4, v21 src0_sel:WORD_1 src1_sel:DWORD
	v_and_b32_e32 v7, 0xffff0000, v4
	v_cmp_o_f32_e64 s[18:19], v6, v6
	v_cndmask_b32_e64 v11, v53, v54, s[0:1]
	v_cmp_lt_i16_e64 s[0:1], -1, v5
	v_xor_b32_sdwa v11, v11, v4 dst_sel:DWORD dst_unused:UNUSED_PAD src0_sel:DWORD src1_sel:WORD_1
	v_bitop3_b32 v4, v10, v4, s33 bitop3:0x78
	v_cndmask_b32_e64 v39, v53, v54, s[0:1]
	v_cmp_gt_i16_sdwa s[0:1], v5, v21 src0_sel:WORD_1 src1_sel:DWORD
	v_lshlrev_b32_e32 v8, 16, v5
	v_cndmask_b32_e64 v4, v53, v4, s[18:19]
	v_cndmask_b32_e64 v40, v53, v54, s[0:1]
	v_cmp_o_f32_e64 s[0:1], v7, v7
	v_and_b32_e32 v9, 0xffff0000, v5
	v_bitop3_b32 v7, v39, v5, s33 bitop3:0x78
	v_cmp_o_f32_e64 s[2:3], v8, v8
	v_cndmask_b32_e64 v6, v53, v11, s[0:1]
	v_and_b32_e32 v8, v4, v57
	v_bfe_u32 v4, v4, s91, 2
	v_xor_b32_sdwa v5, v40, v5 dst_sel:DWORD dst_unused:UNUSED_PAD src0_sel:DWORD src1_sel:WORD_1
	v_cmp_o_f32_e64 s[16:17], v9, v9
	v_cndmask_b32_e64 v7, v53, v7, s[2:3]
	v_and_b32_e32 v9, v6, v57
	v_bfe_u32 v6, v6, s91, 2
	v_cmp_eq_u32_e64 s[20:21], v8, v52
	v_cmp_eq_u32_e64 s[2:3], 0, v4
	v_cndmask_b32_e64 v5, v53, v5, s[16:17]
	v_and_b32_e32 v10, v7, v57
	v_bfe_u32 v7, v7, s91, 2
	v_cmp_eq_u32_e64 s[18:19], v9, v52
	v_cmp_eq_u32_e64 s[34:35], 0, v6
	s_and_b64 s[2:3], s[20:21], s[2:3]
	v_and_b32_e32 v11, v5, v57
	v_bfe_u32 v5, v5, s91, 2
	v_cmp_eq_u32_e64 s[16:17], v10, v52
	v_cmp_eq_u32_e64 s[36:37], 0, v7
	;; [unrolled: 1-line block ×5, first 2 shown]
	v_cndmask_b32_e64 v4, 0, 1, s[2:3]
	s_and_b64 s[2:3], s[18:19], s[34:35]
	v_cmp_eq_u32_e64 s[0:1], v11, v52
	v_cmp_eq_u32_e64 s[38:39], 0, v5
	;; [unrolled: 1-line block ×5, first 2 shown]
	v_cndmask_b32_e64 v5, 0, 1, s[2:3]
	s_and_b64 s[2:3], s[16:17], s[36:37]
	v_cmp_eq_u32_e64 s[42:43], 1, v6
	v_cmp_eq_u32_e64 s[50:51], 2, v6
	;; [unrolled: 1-line block ×3, first 2 shown]
	v_cndmask_b32_e64 v6, 0, 1, s[2:3]
	s_and_b64 s[2:3], s[0:1], s[38:39]
	v_cmp_eq_u32_e64 s[44:45], 1, v7
	v_cmp_eq_u32_e64 s[52:53], 2, v7
	;; [unrolled: 1-line block ×3, first 2 shown]
	v_cndmask_b32_e64 v7, 0, 1, s[2:3]
	v_cmp_ne_u32_e64 s[2:3], 0, v4
	v_cmp_ne_u32_e64 s[34:35], 0, v5
	;; [unrolled: 1-line block ×4, first 2 shown]
	s_bcnt1_i32_b64 s2, s[2:3]
	s_bcnt1_i32_b64 s3, s[34:35]
	s_bcnt1_i32_b64 s34, s[36:37]
	s_bcnt1_i32_b64 s35, s[38:39]
	s_add_u32 s2, s2, s88
	s_addc_u32 s36, 0, s89
	s_add_u32 s2, s2, s3
	s_addc_u32 s3, s36, 0
	;; [unrolled: 2-line block ×4, first 2 shown]
	s_and_b64 s[2:3], s[20:21], s[40:41]
	v_cndmask_b32_e64 v6, 0, 1, s[2:3]
	s_and_b64 s[2:3], s[18:19], s[42:43]
	v_cndmask_b32_e64 v7, 0, 1, s[2:3]
	;; [unrolled: 2-line block ×4, first 2 shown]
	v_cmp_ne_u32_e64 s[2:3], 0, v6
	v_cmp_ne_u32_e64 s[34:35], 0, v7
	;; [unrolled: 1-line block ×4, first 2 shown]
	s_bcnt1_i32_b64 s2, s[2:3]
	s_bcnt1_i32_b64 s3, s[34:35]
	;; [unrolled: 1-line block ×4, first 2 shown]
	s_add_u32 s2, s2, s86
	s_addc_u32 s36, 0, s87
	s_add_u32 s2, s2, s3
	s_addc_u32 s3, s36, 0
	;; [unrolled: 2-line block ×4, first 2 shown]
	s_and_b64 s[2:3], s[20:21], s[48:49]
	v_cndmask_b32_e64 v8, 0, 1, s[2:3]
	s_and_b64 s[2:3], s[18:19], s[50:51]
	v_cndmask_b32_e64 v9, 0, 1, s[2:3]
	s_and_b64 s[2:3], s[16:17], s[52:53]
	v_cndmask_b32_e64 v10, 0, 1, s[2:3]
	s_and_b64 s[2:3], s[0:1], s[54:55]
	v_cndmask_b32_e64 v11, 0, 1, s[2:3]
	v_cmp_ne_u32_e64 s[2:3], 0, v8
	v_cmp_ne_u32_e64 s[34:35], 0, v9
	;; [unrolled: 1-line block ×4, first 2 shown]
	s_bcnt1_i32_b64 s2, s[2:3]
	s_bcnt1_i32_b64 s3, s[34:35]
	;; [unrolled: 1-line block ×4, first 2 shown]
	s_add_u32 s2, s2, s84
	s_addc_u32 s36, 0, s85
	s_add_u32 s2, s2, s3
	s_addc_u32 s3, s36, 0
	;; [unrolled: 2-line block ×4, first 2 shown]
	s_and_b64 s[2:3], s[20:21], s[28:29]
	v_cndmask_b32_e64 v10, 0, 1, s[2:3]
	s_and_b64 s[2:3], s[18:19], s[26:27]
	v_cndmask_b32_e64 v11, 0, 1, s[2:3]
	s_and_b64 s[2:3], s[16:17], s[24:25]
	s_and_b64 s[0:1], s[0:1], s[22:23]
	v_cndmask_b32_e64 v39, 0, 1, s[2:3]
	v_cndmask_b32_e64 v40, 0, 1, s[0:1]
	v_cmp_ne_u32_e64 s[0:1], 0, v10
	v_cmp_ne_u32_e64 s[2:3], 0, v11
	;; [unrolled: 1-line block ×4, first 2 shown]
	s_bcnt1_i32_b64 s0, s[0:1]
	s_bcnt1_i32_b64 s1, s[2:3]
	;; [unrolled: 1-line block ×4, first 2 shown]
	s_add_u32 s0, s0, s72
	s_addc_u32 s16, 0, s73
	s_add_u32 s0, s0, s1
	s_addc_u32 s1, s16, 0
	;; [unrolled: 2-line block ×4, first 2 shown]
	v_mov_b64_e32 v[4:5], s[88:89]
	v_mov_b64_e32 v[6:7], s[86:87]
	;; [unrolled: 1-line block ×3, first 2 shown]
	s_or_b64 s[70:71], vcc, s[70:71]
	v_mov_b64_e32 v[10:11], s[72:73]
	s_andn2_b64 exec, exec, s[70:71]
	s_cbranch_execnz .LBB143_93
; %bb.94:                               ;   in Loop: Header=BB143_43 Depth=1
	s_or_b64 exec, exec, s[70:71]
	v_readlane_b32 s70, v71, 42
	v_readlane_b32 s50, v71, 44
	;; [unrolled: 1-line block ×3, first 2 shown]
	s_mov_b32 s55, s65
	v_readlane_b32 s51, v71, 45
	v_readlane_b32 s73, v71, 46
	;; [unrolled: 1-line block ×4, first 2 shown]
.LBB143_95:                             ;   in Loop: Header=BB143_43 Depth=1
	s_or_b64 exec, exec, s[6:7]
	s_and_b32 s6, s96, 0x7fffffff
	s_mov_b32 s7, s83
	v_lshl_add_u64 v[36:37], s[30:31], 0, v[0:1]
	v_and_b32_e32 v2, 0xffff, v2
	v_cmp_gt_u64_e32 vcc, s[6:7], v[36:37]
	s_and_saveexec_b64 s[22:23], vcc
	s_cbranch_execz .LBB143_99
; %bb.96:                               ;   in Loop: Header=BB143_43 Depth=1
	v_lshl_add_u32 v38, s8, 3, v47
	s_lshl_b32 s24, s92, 1
	s_mov_b64 s[8:9], 0
.LBB143_97:                             ;   Parent Loop BB143_43 Depth=1
                                        ; =>  This Inner Loop Header: Depth=2
	ds_read_u16 v39, v38
	v_lshl_add_u64 v[36:37], v[36:37], 0, v[2:3]
	v_cmp_le_u64_e32 vcc, s[6:7], v[36:37]
	v_add_u32_e32 v38, s24, v38
	s_waitcnt lgkmcnt(0)
	v_cmp_lt_i16_e64 s[0:1], -1, v39
	v_lshlrev_b32_e32 v40, 16, v39
	s_nop 0
	v_cndmask_b32_e64 v41, v53, v54, s[0:1]
	v_xor_b32_sdwa v39, v41, v39 dst_sel:DWORD dst_unused:UNUSED_PAD src0_sel:DWORD src1_sel:WORD_0
	v_cmp_o_f32_e64 s[0:1], v40, v40
	s_nop 1
	v_cndmask_b32_e64 v39, v53, v39, s[0:1]
	v_and_b32_e32 v40, v39, v57
	v_bfe_u32 v39, v39, s91, 2
	v_cmp_eq_u32_e64 s[0:1], v40, v52
	v_cmp_eq_u32_e64 s[2:3], 0, v39
	;; [unrolled: 1-line block ×3, first 2 shown]
	s_and_b64 s[2:3], s[0:1], s[2:3]
	v_cmp_eq_u32_e64 s[18:19], 2, v39
	v_cmp_eq_u32_e64 s[20:21], 3, v39
	v_cndmask_b32_e64 v39, 0, 1, s[2:3]
	s_and_b64 s[2:3], s[0:1], s[16:17]
	v_cndmask_b32_e64 v40, 0, 1, s[2:3]
	s_and_b64 s[2:3], s[0:1], s[18:19]
	s_and_b64 s[0:1], s[0:1], s[20:21]
	v_cndmask_b32_e64 v42, 0, 1, s[0:1]
	v_cmp_ne_u32_e64 s[0:1], 0, v39
	v_cndmask_b32_e64 v41, 0, 1, s[2:3]
	v_cmp_ne_u32_e64 s[2:3], 0, v40
	s_bcnt1_i32_b64 s82, s[0:1]
	v_cmp_ne_u32_e64 s[16:17], 0, v41
	v_lshl_add_u64 v[4:5], s[82:83], 0, v[4:5]
	s_bcnt1_i32_b64 s82, s[2:3]
	v_cmp_ne_u32_e64 s[18:19], 0, v42
	v_lshl_add_u64 v[6:7], s[82:83], 0, v[6:7]
	s_bcnt1_i32_b64 s82, s[16:17]
	v_lshl_add_u64 v[8:9], s[82:83], 0, v[8:9]
	s_bcnt1_i32_b64 s82, s[18:19]
	s_or_b64 s[8:9], vcc, s[8:9]
	v_lshl_add_u64 v[10:11], s[82:83], 0, v[10:11]
	s_andn2_b64 exec, exec, s[8:9]
	s_cbranch_execnz .LBB143_97
; %bb.98:                               ;   in Loop: Header=BB143_43 Depth=1
	s_or_b64 exec, exec, s[8:9]
.LBB143_99:                             ;   in Loop: Header=BB143_43 Depth=1
	s_or_b64 exec, exec, s[22:23]
	v_readlane_b32 s65, v71, 47
.LBB143_100:                            ;   in Loop: Header=BB143_43 Depth=1
	v_readlane_b32 s0, v71, 41
	s_lshl_b32 s2, s0, 6
	s_mov_b64 s[96:97], s[66:67]
	s_and_saveexec_b64 s[0:1], s[66:67]
	s_mov_b32 s88, s64
	s_mov_b32 s64, s68
	s_cbranch_execz .LBB143_102
; %bb.101:                              ;   in Loop: Header=BB143_43 Depth=1
	v_lshl_add_u32 v2, s2, 3, v50
	ds_write_b128 v2, v[4:7]
	ds_write_b128 v2, v[8:11] offset:16
.LBB143_102:                            ;   in Loop: Header=BB143_43 Depth=1
	s_or_b64 exec, exec, s[0:1]
	s_waitcnt lgkmcnt(0)
	s_barrier
	s_and_saveexec_b64 s[0:1], s[70:71]
	s_mov_b64 s[68:69], s[4:5]
	s_mov_b64 s[92:93], s[98:99]
	;; [unrolled: 1-line block ×3, first 2 shown]
	s_cbranch_execz .LBB143_114
; %bb.103:                              ;   in Loop: Header=BB143_43 Depth=1
	v_readlane_b32 s6, v71, 18
	v_readlane_b32 s7, v71, 19
	s_andn2_b64 vcc, exec, s[6:7]
	v_mov_b64_e32 v[4:5], 0
	s_cbranch_vccnz .LBB143_113
; %bb.104:                              ;   in Loop: Header=BB143_43 Depth=1
	v_readlane_b32 s4, v71, 27
	v_readlane_b32 s5, v71, 28
	s_andn2_b64 vcc, exec, s[4:5]
	s_cbranch_vccnz .LBB143_109
; %bb.105:                              ;   in Loop: Header=BB143_43 Depth=1
	v_readlane_b32 s3, v71, 41
	v_mov_b64_e32 v[4:5], 0
	s_nop 0
	v_lshl_add_u32 v2, s3, 9, v51
	s_mov_b32 s3, 0
.LBB143_106:                            ;   Parent Loop BB143_43 Depth=1
                                        ; =>  This Inner Loop Header: Depth=2
	ds_read2_b64 v[6:9], v2 offset1:4
	ds_read2_b64 v[36:39], v2 offset0:8 offset1:12
	ds_read2_b64 v[40:43], v2 offset0:16 offset1:20
	;; [unrolled: 1-line block ×3, first 2 shown]
	s_add_i32 s3, s3, 8
	s_waitcnt lgkmcnt(3)
	v_lshl_add_u64 v[4:5], v[6:7], 0, v[4:5]
	v_lshl_add_u64 v[4:5], v[8:9], 0, v[4:5]
	s_waitcnt lgkmcnt(2)
	v_lshl_add_u64 v[4:5], v[36:37], 0, v[4:5]
	v_lshl_add_u64 v[4:5], v[38:39], 0, v[4:5]
	;; [unrolled: 3-line block ×3, first 2 shown]
	s_waitcnt lgkmcnt(0)
	v_lshl_add_u64 v[4:5], v[62:63], 0, v[4:5]
	v_add_u32_e32 v2, 0x100, v2
	s_cmp_eq_u32 s90, s3
	v_lshl_add_u64 v[4:5], v[64:65], 0, v[4:5]
	s_cbranch_scc0 .LBB143_106
; %bb.107:                              ;   in Loop: Header=BB143_43 Depth=1
	s_mov_b32 s3, s90
	s_branch .LBB143_110
.LBB143_108:                            ;   in Loop: Header=BB143_43 Depth=1
                                        ; implicit-def: $sgpr0_sgpr1
	s_branch .LBB143_78
.LBB143_109:                            ;   in Loop: Header=BB143_43 Depth=1
	s_mov_b32 s3, 0
	v_mov_b64_e32 v[4:5], 0
.LBB143_110:                            ;   in Loop: Header=BB143_43 Depth=1
	v_readlane_b32 s4, v71, 30
	v_readlane_b32 s5, v71, 31
	s_andn2_b64 vcc, exec, s[4:5]
	s_cbranch_vccnz .LBB143_113
; %bb.111:                              ;   in Loop: Header=BB143_43 Depth=1
	v_readlane_b32 s4, v71, 41
	s_lshl_b32 s6, s4, 9
	s_lshl_b32 s3, s3, 5
	s_add_i32 s6, s6, s3
	v_add_u32_e32 v2, s6, v51
	v_readlane_b32 s3, v71, 29
.LBB143_112:                            ;   Parent Loop BB143_43 Depth=1
                                        ; =>  This Inner Loop Header: Depth=2
	ds_read_b64 v[6:7], v2
	s_add_i32 s3, s3, -1
	v_add_u32_e32 v2, 32, v2
	s_cmp_lg_u32 s3, 0
	s_waitcnt lgkmcnt(0)
	v_lshl_add_u64 v[4:5], v[6:7], 0, v[4:5]
	s_cbranch_scc1 .LBB143_112
.LBB143_113:                            ;   in Loop: Header=BB143_43 Depth=1
	v_add_lshl_u32 v2, s2, v46, 3
	ds_write_b64 v2, v[4:5] offset:3072
.LBB143_114:                            ;   in Loop: Header=BB143_43 Depth=1
	s_or_b64 exec, exec, s[0:1]
	s_lshl_b32 s0, s2, 3
	v_mov_b32_e32 v2, s0
	s_waitcnt lgkmcnt(0)
	s_barrier
	ds_read_b128 v[8:11], v2 offset:3088
	ds_read_b128 v[4:7], v2 offset:3072
	s_lshl_b32 s72, 3, s91
	v_cmp_eq_u64_e64 s[0:1], 1, v[34:35]
	s_not_b32 s52, s72
	s_waitcnt lgkmcnt(1)
	v_readfirstlane_b32 s22, v8
	s_waitcnt lgkmcnt(0)
	v_cmp_eq_u64_e32 vcc, 1, v[4:5]
	v_readfirstlane_b32 s23, v9
	v_readfirstlane_b32 s2, v10
	;; [unrolled: 1-line block ×3, first 2 shown]
	s_and_b64 s[8:9], vcc, s[0:1]
	s_mov_b64 s[0:1], -1
	s_mov_b64 s[20:21], -1
                                        ; implicit-def: $sgpr18_sgpr19
                                        ; implicit-def: $sgpr6_sgpr7
	s_and_saveexec_b64 s[16:17], s[8:9]
	s_cbranch_execz .LBB143_152
; %bb.115:                              ;   in Loop: Header=BB143_43 Depth=1
	ds_read_b64 v[8:9], v3 offset:5120
	s_waitcnt lgkmcnt(0)
	s_barrier
	v_readfirstlane_b32 s24, v8
	v_readfirstlane_b32 s25, v9
	s_mov_b64 s[6:7], exec
	v_readlane_b32 s18, v71, 14
	v_readlane_b32 s19, v71, 15
	s_and_b64 s[18:19], s[6:7], s[18:19]
	s_mov_b64 exec, s[18:19]
; %bb.116:                              ;   in Loop: Header=BB143_43 Depth=1
	ds_write_b16 v48, v3
; %bb.117:                              ;   in Loop: Header=BB143_43 Depth=1
	s_or_b64 exec, exec, s[6:7]
	v_and_b32_e32 v52, s52, v52
	v_or_b32_e32 v57, s72, v57
	s_mov_b64 s[6:7], -1
	s_mov_b64 s[18:19], 0
	s_cmp_eq_u64 s[24:25], 0
	s_mov_b64 s[20:21], 0
	s_mov_b64 s[26:27], -1
	s_waitcnt lgkmcnt(0)
	s_barrier
                                        ; implicit-def: $vgpr58
	s_cbranch_scc1 .LBB143_131
; %bb.118:                              ;   in Loop: Header=BB143_43 Depth=1
	v_readlane_b32 s20, v71, 20
	s_add_u32 s30, s24, s20
	v_readlane_b32 s20, v71, 22
	s_addc_u32 s21, s25, s20
	s_mov_b32 s20, s83
	s_cmp_lg_u64 s[20:21], 0
	s_cbranch_scc0 .LBB143_134
; %bb.119:                              ;   in Loop: Header=BB143_43 Depth=1
	v_cvt_f32_u32_e32 v2, s76
	s_sub_u32 s20, 0, s76
	s_subb_u32 s28, 0, 0
	v_fmac_f32_e32 v2, 0, v55
	v_rcp_f32_e32 v2, v2
	s_nop 0
	v_mul_f32_e32 v2, 0x5f7ffffc, v2
	v_mul_f32_e32 v8, 0x2f800000, v2
	v_trunc_f32_e32 v8, v8
	v_fmac_f32_e32 v2, 0xcf800000, v8
	v_cvt_u32_f32_e32 v8, v8
	v_cvt_u32_f32_e32 v2, v2
	v_readfirstlane_b32 s29, v8
	v_readfirstlane_b32 s26, v2
	s_mul_i32 s27, s20, s29
	s_mul_hi_u32 s34, s20, s26
	s_mul_i32 s31, s28, s26
	s_add_i32 s27, s34, s27
	s_mul_i32 s35, s20, s26
	s_add_i32 s27, s27, s31
	s_mul_hi_u32 s34, s26, s35
	s_mul_i32 s36, s26, s27
	s_mul_hi_u32 s31, s26, s27
	s_add_u32 s34, s34, s36
	s_addc_u32 s31, 0, s31
	s_mul_hi_u32 s37, s29, s35
	s_mul_i32 s35, s29, s35
	s_add_u32 s34, s34, s35
	s_mul_hi_u32 s36, s29, s27
	s_addc_u32 s31, s31, s37
	s_addc_u32 s34, s36, 0
	s_mul_i32 s27, s29, s27
	s_add_u32 s27, s31, s27
	s_addc_u32 s31, 0, s34
	s_add_u32 s34, s26, s27
	s_cselect_b64 s[26:27], -1, 0
	s_cmp_lg_u64 s[26:27], 0
	s_addc_u32 s29, s29, s31
	s_mul_i32 s26, s20, s29
	s_mul_hi_u32 s27, s20, s34
	s_add_i32 s26, s27, s26
	s_mul_i32 s28, s28, s34
	s_add_i32 s26, s26, s28
	s_mul_i32 s20, s20, s34
	s_mul_hi_u32 s28, s29, s20
	s_mul_i32 s31, s29, s20
	s_mul_i32 s36, s34, s26
	s_mul_hi_u32 s20, s34, s20
	s_mul_hi_u32 s35, s34, s26
	s_add_u32 s20, s20, s36
	s_addc_u32 s35, 0, s35
	s_add_u32 s20, s20, s31
	s_mul_hi_u32 s27, s29, s26
	s_addc_u32 s20, s35, s28
	s_addc_u32 s27, s27, 0
	s_mul_i32 s26, s29, s26
	s_add_u32 s20, s20, s26
	s_addc_u32 s28, 0, s27
	s_add_u32 s20, s34, s20
	s_cselect_b64 s[26:27], -1, 0
	s_cmp_lg_u64 s[26:27], 0
	s_addc_u32 s26, s29, s28
	s_mul_i32 s28, s30, s26
	s_mul_hi_u32 s29, s30, s20
	s_mul_hi_u32 s27, s30, s26
	s_add_u32 s28, s29, s28
	s_addc_u32 s27, 0, s27
	s_mul_hi_u32 s31, s21, s20
	s_mul_i32 s20, s21, s20
	s_add_u32 s20, s28, s20
	s_mul_hi_u32 s29, s21, s26
	s_addc_u32 s20, s27, s31
	s_addc_u32 s27, s29, 0
	s_mul_i32 s26, s21, s26
	s_add_u32 s20, s20, s26
	s_addc_u32 s26, 0, s27
	s_mul_i32 s26, s76, s26
	s_mul_hi_u32 s27, s76, s20
	s_add_i32 s28, s27, s26
	s_mul_i32 s20, s76, s20
	s_sub_u32 s20, s30, s20
	s_cselect_b64 s[26:27], -1, 0
	s_cmp_lg_u64 s[26:27], 0
	s_subb_u32 s28, s21, s28
	s_sub_u32 s29, s20, s76
	s_cselect_b64 s[26:27], -1, 0
	s_cmp_lg_u64 s[26:27], 0
	s_subb_u32 s31, s28, 0
	;; [unrolled: 4-line block ×3, first 2 shown]
	s_cmp_ge_u32 s29, s76
	s_cselect_b32 s27, -1, 0
	s_cmp_eq_u32 s31, 0
	s_cselect_b32 s27, s27, -1
	s_cmp_lg_u32 s27, 0
	s_cselect_b32 s26, s26, s31
	s_cselect_b32 s29, s34, s29
	s_cmp_ge_u32 s20, s76
	s_cselect_b32 s27, -1, 0
	s_cmp_eq_u32 s28, 0
	s_cselect_b32 s27, s27, -1
	s_cmp_lg_u32 s27, 0
	s_cselect_b32 s27, s26, s28
	s_cselect_b32 s26, s29, s20
	s_cbranch_execnz .LBB143_121
.LBB143_120:                            ;   in Loop: Header=BB143_43 Depth=1
	v_cvt_f32_u32_e32 v2, s76
	s_sub_i32 s20, 0, s76
	v_rcp_iflag_f32_e32 v2, v2
	s_nop 0
	v_mul_f32_e32 v2, 0x4f7ffffe, v2
	v_cvt_u32_f32_e32 v2, v2
	s_nop 0
	v_readfirstlane_b32 s26, v2
	s_mul_i32 s20, s20, s26
	s_mul_hi_u32 s20, s26, s20
	s_add_i32 s26, s26, s20
	s_mul_hi_u32 s20, s30, s26
	s_mul_i32 s20, s20, s76
	s_sub_i32 s20, s30, s20
	s_sub_i32 s26, s20, s76
	s_cmp_ge_u32 s20, s76
	s_cselect_b32 s20, s26, s20
	s_sub_i32 s26, s20, s76
	s_cmp_ge_u32 s20, s76
	s_cselect_b32 s82, s26, s20
	s_mov_b64 s[26:27], s[82:83]
.LBB143_121:                            ;   in Loop: Header=BB143_43 Depth=1
	s_sub_u32 s30, s30, s26
	s_subb_u32 s31, s21, s27
	v_cmp_gt_u64_e32 vcc, s[30:31], v[0:1]
	s_mov_b64 s[26:27], 0
	s_mov_b64 s[20:21], 0
                                        ; implicit-def: $vgpr58
	s_and_saveexec_b64 s[28:29], vcc
	s_cbranch_execz .LBB143_130
; %bb.122:                              ;   in Loop: Header=BB143_43 Depth=1
	v_mov_b32_e32 v2, v47
	v_mov_b64_e32 v[8:9], v[0:1]
                                        ; implicit-def: $sgpr34_sgpr35
	s_branch .LBB143_125
.LBB143_123:                            ;   in Loop: Header=BB143_125 Depth=2
	s_or_b64 exec, exec, s[36:37]
	s_waitcnt lgkmcnt(0)
	s_barrier
	ds_read_b32 v10, v3 offset:3072
	s_mov_b64 s[36:37], -1
	s_mov_b64 s[38:39], -1
	s_waitcnt lgkmcnt(0)
	s_barrier
	v_and_b32_e32 v11, 0x7fff, v10
	v_cmp_ne_u32_e32 vcc, 0, v11
	s_cbranch_vccz .LBB143_128
.LBB143_124:                            ;   in Loop: Header=BB143_125 Depth=2
	s_and_b64 s[36:37], exec, s[36:37]
	s_or_b64 s[20:21], s[36:37], s[20:21]
	s_andn2_b64 s[34:35], s[34:35], exec
	s_and_b64 s[36:37], s[38:39], exec
	s_or_b64 s[34:35], s[34:35], s[36:37]
	s_andn2_b64 exec, exec, s[20:21]
	s_cbranch_execz .LBB143_129
.LBB143_125:                            ;   Parent Loop BB143_43 Depth=1
                                        ; =>  This Inner Loop Header: Depth=2
	v_cmp_gt_u64_e32 vcc, s[24:25], v[8:9]
	s_and_saveexec_b64 s[36:37], vcc
	s_cbranch_execz .LBB143_123
; %bb.126:                              ;   in Loop: Header=BB143_125 Depth=2
	ds_read_u16 v10, v2
	s_waitcnt lgkmcnt(0)
	v_cmp_lt_i16_e32 vcc, -1, v10
	v_lshlrev_b32_e32 v11, 16, v10
	s_nop 0
	v_cndmask_b32_e32 v36, v53, v54, vcc
	v_xor_b32_sdwa v36, v36, v10 dst_sel:DWORD dst_unused:UNUSED_PAD src0_sel:DWORD src1_sel:WORD_0
	v_cmp_o_f32_e32 vcc, v11, v11
	s_nop 1
	v_cndmask_b32_e32 v11, v53, v36, vcc
	v_and_b32_e32 v11, v11, v57
	v_cmp_eq_u32_e32 vcc, v11, v52
	s_and_b64 exec, exec, vcc
	s_cbranch_execz .LBB143_123
; %bb.127:                              ;   in Loop: Header=BB143_125 Depth=2
	s_movk_i32 s4, 0x3f80
	v_perm_b32 v10, v10, s4, v56
	ds_write_b32 v3, v10 offset:3072
	s_branch .LBB143_123
.LBB143_128:                            ;   in Loop: Header=BB143_125 Depth=2
	v_lshl_add_u64 v[8:9], v[8:9], 0, s[76:77]
	v_readlane_b32 s4, v71, 38
	v_cmp_le_u64_e32 vcc, s[30:31], v[8:9]
	s_mov_b64 s[38:39], 0
	v_add_u32_e32 v2, s4, v2
	s_orn2_b64 s[36:37], vcc, exec
	s_branch .LBB143_124
.LBB143_129:                            ;   in Loop: Header=BB143_43 Depth=1
	s_or_b64 exec, exec, s[20:21]
	v_lshrrev_b32_e32 v58, 16, v10
	s_and_b64 s[20:21], s[34:35], exec
.LBB143_130:                            ;   in Loop: Header=BB143_43 Depth=1
	s_or_b64 exec, exec, s[28:29]
.LBB143_131:                            ;   in Loop: Header=BB143_43 Depth=1
	s_and_b64 vcc, exec, s[26:27]
	s_cbranch_vccz .LBB143_151
; %bb.132:                              ;   in Loop: Header=BB143_43 Depth=1
	s_mov_b32 s54, s83
	s_cmp_lg_u64 s[54:55], 0
	s_cbranch_scc0 .LBB143_138
; %bb.133:                              ;   in Loop: Header=BB143_43 Depth=1
	v_cvt_f32_u32_e32 v2, s76
	s_sub_u32 s18, 0, s76
	s_subb_u32 s19, 0, 0
	v_readlane_b32 s4, v71, 21
	v_fmac_f32_e32 v2, 0, v55
	v_rcp_f32_e32 v2, v2
	s_nop 0
	v_mul_f32_e32 v2, 0x5f7ffffc, v2
	v_mul_f32_e32 v8, 0x2f800000, v2
	v_trunc_f32_e32 v8, v8
	v_fmac_f32_e32 v2, 0xcf800000, v8
	v_cvt_u32_f32_e32 v8, v8
	v_cvt_u32_f32_e32 v2, v2
	v_readfirstlane_b32 s24, v8
	v_readfirstlane_b32 s6, v2
	s_mul_i32 s7, s18, s24
	s_mul_hi_u32 s26, s18, s6
	s_mul_i32 s25, s19, s6
	s_add_i32 s7, s26, s7
	s_mul_i32 s27, s18, s6
	s_add_i32 s7, s7, s25
	s_mul_hi_u32 s26, s6, s27
	s_mul_i32 s28, s6, s7
	s_mul_hi_u32 s25, s6, s7
	s_add_u32 s26, s26, s28
	s_addc_u32 s25, 0, s25
	s_mul_hi_u32 s29, s24, s27
	s_mul_i32 s27, s24, s27
	s_add_u32 s26, s26, s27
	s_mul_hi_u32 s28, s24, s7
	s_addc_u32 s25, s25, s29
	s_addc_u32 s26, s28, 0
	s_mul_i32 s7, s24, s7
	s_add_u32 s7, s25, s7
	s_addc_u32 s25, 0, s26
	s_add_u32 s26, s6, s7
	s_cselect_b64 s[6:7], -1, 0
	s_cmp_lg_u64 s[6:7], 0
	s_addc_u32 s24, s24, s25
	s_mul_i32 s6, s18, s24
	s_mul_hi_u32 s7, s18, s26
	s_add_i32 s6, s7, s6
	s_mul_i32 s19, s19, s26
	s_add_i32 s6, s6, s19
	s_mul_i32 s18, s18, s26
	s_mul_hi_u32 s19, s24, s18
	s_mul_i32 s25, s24, s18
	s_mul_i32 s28, s26, s6
	s_mul_hi_u32 s18, s26, s18
	s_mul_hi_u32 s27, s26, s6
	s_add_u32 s18, s18, s28
	s_addc_u32 s27, 0, s27
	s_add_u32 s18, s18, s25
	s_mul_hi_u32 s7, s24, s6
	s_addc_u32 s18, s27, s19
	s_addc_u32 s7, s7, 0
	s_mul_i32 s6, s24, s6
	s_add_u32 s6, s18, s6
	s_addc_u32 s18, 0, s7
	s_add_u32 s19, s26, s6
	s_cselect_b64 s[6:7], -1, 0
	s_cmp_lg_u64 s[6:7], 0
	s_addc_u32 s6, s24, s18
	s_mul_i32 s18, s4, s6
	s_mul_hi_u32 s24, s4, s19
	s_mul_hi_u32 s7, s4, s6
	s_add_u32 s18, s24, s18
	s_addc_u32 s7, 0, s7
	s_mul_hi_u32 s25, s55, s19
	s_mul_i32 s19, s55, s19
	s_add_u32 s18, s18, s19
	s_mul_hi_u32 s24, s55, s6
	s_addc_u32 s7, s7, s25
	s_addc_u32 s18, s24, 0
	s_mul_i32 s6, s55, s6
	s_add_u32 s6, s7, s6
	s_addc_u32 s7, 0, s18
	s_mul_i32 s7, s76, s7
	s_mul_hi_u32 s18, s76, s6
	s_add_i32 s18, s18, s7
	s_mul_i32 s6, s76, s6
	s_sub_u32 s19, s4, s6
	s_cselect_b64 s[6:7], -1, 0
	s_cmp_lg_u64 s[6:7], 0
	s_subb_u32 s18, s55, s18
	s_sub_u32 s24, s19, s76
	s_cselect_b64 s[6:7], -1, 0
	s_cmp_lg_u64 s[6:7], 0
	s_subb_u32 s25, s18, 0
	;; [unrolled: 4-line block ×3, first 2 shown]
	s_cmp_ge_u32 s24, s76
	s_cselect_b32 s7, -1, 0
	s_cmp_eq_u32 s25, 0
	s_cselect_b32 s7, s7, -1
	s_cmp_lg_u32 s7, 0
	s_cselect_b32 s6, s6, s25
	s_cselect_b32 s24, s26, s24
	s_cmp_ge_u32 s19, s76
	s_cselect_b32 s7, -1, 0
	s_cmp_eq_u32 s18, 0
	s_cselect_b32 s7, s7, -1
	s_cmp_lg_u32 s7, 0
	s_cselect_b32 s7, s6, s18
	s_cselect_b32 s6, s24, s19
	s_mov_b64 s[18:19], 0
	s_branch .LBB143_139
.LBB143_134:                            ;   in Loop: Header=BB143_43 Depth=1
                                        ; implicit-def: $sgpr26_sgpr27
	s_branch .LBB143_120
.LBB143_135:                            ;   in Loop: Header=BB143_43 Depth=1
	s_or_b64 exec, exec, s[8:9]
	s_waitcnt lgkmcnt(0)
	s_barrier
	s_mov_b64 s[0:1], exec
	v_readlane_b32 s2, v71, 12
	v_readlane_b32 s3, v71, 13
	s_and_b64 s[2:3], s[0:1], s[2:3]
	s_mov_b64 exec, s[2:3]
	s_cbranch_execz .LBB143_137
; %bb.136:                              ;   in Loop: Header=BB143_43 Depth=1
	ds_read_b32 v4, v3 offset:5144
	s_waitcnt lgkmcnt(0)
	v_ashrrev_i32_e32 v5, 31, v4
	ds_write_b64 v3, v[4:5] offset:5120
.LBB143_137:                            ;   in Loop: Header=BB143_43 Depth=1
	s_or_b64 exec, exec, s[0:1]
	s_waitcnt lgkmcnt(0)
	s_barrier
	s_mov_b64 s[0:1], -1
	s_and_b64 vcc, exec, s[6:7]
	s_cbranch_vccnz .LBB143_58
	s_branch .LBB143_73
.LBB143_138:                            ;   in Loop: Header=BB143_43 Depth=1
	s_mov_b64 s[18:19], -1
                                        ; implicit-def: $sgpr6_sgpr7
.LBB143_139:                            ;   in Loop: Header=BB143_43 Depth=1
	s_andn2_b64 vcc, exec, s[18:19]
	v_readlane_b32 s53, v71, 48
	v_readlane_b32 s54, v71, 49
	s_cbranch_vccnz .LBB143_141
; %bb.140:                              ;   in Loop: Header=BB143_43 Depth=1
	v_cvt_f32_u32_e32 v2, s76
	s_sub_i32 s6, 0, s76
	v_readlane_b32 s4, v71, 21
	v_rcp_iflag_f32_e32 v2, v2
	s_nop 0
	v_mul_f32_e32 v2, 0x4f7ffffe, v2
	v_cvt_u32_f32_e32 v2, v2
	s_nop 0
	v_readfirstlane_b32 s7, v2
	s_mul_i32 s6, s6, s7
	s_mul_hi_u32 s6, s7, s6
	s_add_i32 s7, s7, s6
	s_mul_hi_u32 s6, s4, s7
	s_mul_i32 s6, s6, s76
	s_sub_i32 s6, s4, s6
	s_sub_i32 s7, s6, s76
	s_cmp_ge_u32 s6, s76
	s_cselect_b32 s6, s7, s6
	s_sub_i32 s7, s6, s76
	s_cmp_ge_u32 s6, s76
	s_cselect_b32 s82, s7, s6
	s_mov_b64 s[6:7], s[82:83]
.LBB143_141:                            ;   in Loop: Header=BB143_43 Depth=1
	v_readlane_b32 s4, v71, 21
	s_sub_u32 s18, s4, s6
	s_subb_u32 s19, s55, s7
	v_cmp_gt_u64_e32 vcc, s[18:19], v[0:1]
                                        ; implicit-def: $vgpr58
	s_and_saveexec_b64 s[6:7], vcc
	s_cbranch_execz .LBB143_150
; %bb.142:                              ;   in Loop: Header=BB143_43 Depth=1
	s_mov_b64 s[24:25], 0
	v_mov_b64_e32 v[8:9], v[12:13]
	v_mov_b64_e32 v[10:11], v[0:1]
                                        ; implicit-def: $sgpr26_sgpr27
	s_branch .LBB143_145
.LBB143_143:                            ;   in Loop: Header=BB143_145 Depth=2
	s_or_b64 exec, exec, s[28:29]
	s_waitcnt lgkmcnt(0)
	s_barrier
	ds_read_b32 v2, v3 offset:3072
	s_mov_b64 s[28:29], -1
	s_mov_b64 s[30:31], -1
	s_waitcnt lgkmcnt(0)
	s_barrier
	v_and_b32_e32 v36, 0x7fff, v2
	v_cmp_ne_u32_e32 vcc, 0, v36
	s_cbranch_vccz .LBB143_148
.LBB143_144:                            ;   in Loop: Header=BB143_145 Depth=2
	s_and_b64 s[28:29], exec, s[28:29]
	s_or_b64 s[24:25], s[28:29], s[24:25]
	s_andn2_b64 s[26:27], s[26:27], exec
	s_and_b64 s[28:29], s[30:31], exec
	s_or_b64 s[26:27], s[26:27], s[28:29]
	s_andn2_b64 exec, exec, s[24:25]
	s_cbranch_execz .LBB143_149
.LBB143_145:                            ;   Parent Loop BB143_43 Depth=1
                                        ; =>  This Inner Loop Header: Depth=2
	v_cmp_gt_u64_e32 vcc, s[56:57], v[10:11]
	s_and_saveexec_b64 s[28:29], vcc
	s_cbranch_execz .LBB143_143
; %bb.146:                              ;   in Loop: Header=BB143_145 Depth=2
	global_load_ushort v2, v[8:9], off
	s_waitcnt vmcnt(0)
	v_cmp_lt_i16_e32 vcc, -1, v2
	v_lshlrev_b32_e32 v36, 16, v2
	s_nop 0
	v_cndmask_b32_e32 v37, v53, v54, vcc
	v_xor_b32_sdwa v37, v37, v2 dst_sel:DWORD dst_unused:UNUSED_PAD src0_sel:DWORD src1_sel:WORD_0
	v_cmp_o_f32_e32 vcc, v36, v36
	s_nop 1
	v_cndmask_b32_e32 v36, v53, v37, vcc
	v_and_b32_e32 v36, v36, v57
	v_cmp_eq_u32_e32 vcc, v36, v52
	s_and_b64 exec, exec, vcc
	s_cbranch_execz .LBB143_143
; %bb.147:                              ;   in Loop: Header=BB143_145 Depth=2
	s_movk_i32 s4, 0x3f80
	v_perm_b32 v2, v2, s4, v56
	ds_write_b32 v3, v2 offset:3072
	s_branch .LBB143_143
.LBB143_148:                            ;   in Loop: Header=BB143_145 Depth=2
	v_lshl_add_u64 v[10:11], v[10:11], 0, s[76:77]
	v_readlane_b32 s4, v71, 39
	v_readlane_b32 s5, v71, 40
	v_cmp_le_u64_e32 vcc, s[18:19], v[10:11]
	s_mov_b64 s[30:31], 0
	v_lshl_add_u64 v[8:9], v[8:9], 0, s[4:5]
	s_orn2_b64 s[28:29], vcc, exec
	s_branch .LBB143_144
.LBB143_149:                            ;   in Loop: Header=BB143_43 Depth=1
	s_or_b64 exec, exec, s[24:25]
	s_andn2_b64 s[18:19], s[20:21], exec
	s_and_b64 s[20:21], s[26:27], exec
	v_lshrrev_b32_e32 v58, 16, v2
	s_or_b64 s[20:21], s[18:19], s[20:21]
.LBB143_150:                            ;   in Loop: Header=BB143_43 Depth=1
	s_or_b64 exec, exec, s[6:7]
	s_mov_b64 s[6:7], 0
	s_mov_b64 s[18:19], -1
.LBB143_151:                            ;   in Loop: Header=BB143_43 Depth=1
	s_orn2_b64 s[20:21], s[20:21], exec
.LBB143_152:                            ;   in Loop: Header=BB143_43 Depth=1
	s_or_b64 exec, exec, s[16:17]
	s_andn2_b64 s[16:17], s[94:95], exec
	s_and_b64 s[18:19], s[18:19], exec
	s_andn2_b64 s[14:15], s[14:15], exec
	s_and_b64 s[6:7], s[6:7], exec
	s_andn2_b64 s[92:93], s[92:93], exec
	s_or_b64 s[86:87], s[16:17], s[18:19]
	s_or_b64 s[84:85], s[14:15], s[6:7]
                                        ; implicit-def: $vgpr8_vgpr9
	s_and_saveexec_b64 s[16:17], s[20:21]
	s_cbranch_execz .LBB143_42
; %bb.153:                              ;   in Loop: Header=BB143_43 Depth=1
	s_xor_b64 s[6:7], s[8:9], -1
	v_mov_b32_e32 v2, 1
	s_mov_b64 s[8:9], 0
	v_mov_b64_e32 v[8:9], 1
	s_and_saveexec_b64 s[0:1], s[6:7]
	s_cbranch_execz .LBB143_162
; %bb.154:                              ;   in Loop: Header=BB143_43 Depth=1
	v_cmp_le_u64_e32 vcc, v[34:35], v[4:5]
	s_and_saveexec_b64 s[6:7], vcc
	s_xor_b64 s[6:7], exec, s[6:7]
	s_cbranch_execz .LBB143_159
; %bb.155:                              ;   in Loop: Header=BB143_43 Depth=1
	ds_read_b64 v[8:9], v3 offset:5120
	v_and_b32_e32 v52, s52, v52
	v_or_b32_e32 v57, s72, v57
	s_waitcnt lgkmcnt(0)
	v_cmp_ne_u64_e32 vcc, 0, v[8:9]
	s_cbranch_vccnz .LBB143_159
; %bb.156:                              ;   in Loop: Header=BB143_43 Depth=1
	s_mov_b64 s[8:9], exec
	v_readlane_b32 s18, v71, 12
	v_readlane_b32 s19, v71, 13
	s_and_b64 s[18:19], s[8:9], s[18:19]
	s_mov_b64 exec, s[18:19]
; %bb.157:                              ;   in Loop: Header=BB143_43 Depth=1
	ds_write_b64 v3, v[4:5] offset:5128
; %bb.158:                              ;   in Loop: Header=BB143_43 Depth=1
	s_or_b64 exec, exec, s[8:9]
	s_waitcnt lgkmcnt(0)
	s_barrier
.LBB143_159:                            ;   in Loop: Header=BB143_43 Depth=1
	s_or_saveexec_b64 s[6:7], s[6:7]
	s_mov_b64 s[8:9], 0
	v_mov_b32_e32 v2, 8
	s_xor_b64 exec, exec, s[6:7]
; %bb.160:                              ;   in Loop: Header=BB143_43 Depth=1
	v_sub_co_u32_e32 v34, vcc, v34, v4
	s_mov_b64 s[8:9], exec
	s_nop 0
	v_subb_co_u32_e32 v35, vcc, v35, v5, vcc
	v_mov_b32_e32 v2, 0
; %bb.161:                              ;   in Loop: Header=BB143_43 Depth=1
	s_or_b64 exec, exec, s[6:7]
	s_and_b64 s[8:9], s[8:9], exec
	v_mov_b64_e32 v[8:9], v[34:35]
.LBB143_162:                            ;   in Loop: Header=BB143_43 Depth=1
	s_or_b64 exec, exec, s[0:1]
	s_mov_b64 s[18:19], -1
	s_mov_b64 s[6:7], -1
                                        ; implicit-def: $sgpr0_sgpr1
                                        ; implicit-def: $sgpr24_sgpr25
	s_and_saveexec_b64 s[20:21], s[8:9]
	s_xor_b64 s[20:21], exec, s[20:21]
	s_cbranch_execz .LBB143_307
; %bb.163:                              ;   in Loop: Header=BB143_43 Depth=1
	v_cmp_eq_u64_e32 vcc, 1, v[6:7]
	v_cmp_eq_u64_e64 s[0:1], 1, v[8:9]
	s_and_b64 s[8:9], vcc, s[0:1]
                                        ; implicit-def: $sgpr24_sgpr25
                                        ; implicit-def: $sgpr0_sgpr1
	s_and_saveexec_b64 s[26:27], s[8:9]
	s_cbranch_execz .LBB143_198
; %bb.164:                              ;   in Loop: Header=BB143_43 Depth=1
	ds_read_b64 v[4:5], v3 offset:5120
	s_waitcnt lgkmcnt(0)
	s_barrier
	v_readfirstlane_b32 s28, v4
	v_readfirstlane_b32 s29, v5
	s_mov_b64 s[0:1], exec
	v_readlane_b32 s6, v71, 14
	v_readlane_b32 s7, v71, 15
	s_and_b64 s[6:7], s[0:1], s[6:7]
	s_mov_b64 exec, s[6:7]
; %bb.165:                              ;   in Loop: Header=BB143_43 Depth=1
	ds_write_b16 v48, v3
; %bb.166:                              ;   in Loop: Header=BB143_43 Depth=1
	s_or_b64 exec, exec, s[0:1]
	v_and_b32_e32 v4, s52, v52
	v_lshl_or_b32 v52, 1, s91, v4
	v_or_b32_e32 v57, s72, v57
	s_mov_b64 s[0:1], -1
	s_mov_b64 s[24:25], 0
	s_cmp_eq_u64 s[28:29], 0
	s_mov_b64 s[6:7], 0
	s_mov_b64 s[30:31], -1
	s_waitcnt lgkmcnt(0)
	s_barrier
                                        ; implicit-def: $vgpr58
	s_cbranch_scc1 .LBB143_180
; %bb.167:                              ;   in Loop: Header=BB143_43 Depth=1
	v_readlane_b32 s6, v71, 20
	s_add_u32 s36, s28, s6
	v_readlane_b32 s6, v71, 22
	s_addc_u32 s7, s29, s6
	s_mov_b32 s6, s83
	s_cmp_lg_u64 s[6:7], 0
	s_cbranch_scc0 .LBB143_183
; %bb.168:                              ;   in Loop: Header=BB143_43 Depth=1
	v_cvt_f32_u32_e32 v4, s76
	s_sub_u32 s6, 0, s76
	s_subb_u32 s34, 0, 0
	v_fmac_f32_e32 v4, 0, v55
	v_rcp_f32_e32 v4, v4
	s_nop 0
	v_mul_f32_e32 v4, 0x5f7ffffc, v4
	v_mul_f32_e32 v5, 0x2f800000, v4
	v_trunc_f32_e32 v5, v5
	v_fmac_f32_e32 v4, 0xcf800000, v5
	v_cvt_u32_f32_e32 v5, v5
	v_cvt_u32_f32_e32 v4, v4
	v_readfirstlane_b32 s35, v5
	v_readfirstlane_b32 s30, v4
	s_mul_i32 s31, s6, s35
	s_mul_hi_u32 s38, s6, s30
	s_mul_i32 s37, s34, s30
	s_add_i32 s31, s38, s31
	s_mul_i32 s39, s6, s30
	s_add_i32 s31, s31, s37
	s_mul_hi_u32 s38, s30, s39
	s_mul_i32 s40, s30, s31
	s_mul_hi_u32 s37, s30, s31
	s_add_u32 s38, s38, s40
	s_addc_u32 s37, 0, s37
	s_mul_hi_u32 s41, s35, s39
	s_mul_i32 s39, s35, s39
	s_add_u32 s38, s38, s39
	s_mul_hi_u32 s40, s35, s31
	s_addc_u32 s37, s37, s41
	s_addc_u32 s38, s40, 0
	s_mul_i32 s31, s35, s31
	s_add_u32 s31, s37, s31
	s_addc_u32 s37, 0, s38
	s_add_u32 s38, s30, s31
	s_cselect_b64 s[30:31], -1, 0
	s_cmp_lg_u64 s[30:31], 0
	s_addc_u32 s35, s35, s37
	s_mul_i32 s30, s6, s35
	s_mul_hi_u32 s31, s6, s38
	s_add_i32 s30, s31, s30
	s_mul_i32 s34, s34, s38
	s_add_i32 s30, s30, s34
	s_mul_i32 s6, s6, s38
	s_mul_hi_u32 s34, s35, s6
	s_mul_i32 s37, s35, s6
	s_mul_i32 s40, s38, s30
	s_mul_hi_u32 s6, s38, s6
	s_mul_hi_u32 s39, s38, s30
	s_add_u32 s6, s6, s40
	s_addc_u32 s39, 0, s39
	s_add_u32 s6, s6, s37
	s_mul_hi_u32 s31, s35, s30
	s_addc_u32 s6, s39, s34
	s_addc_u32 s31, s31, 0
	s_mul_i32 s30, s35, s30
	s_add_u32 s6, s6, s30
	s_addc_u32 s34, 0, s31
	s_add_u32 s6, s38, s6
	s_cselect_b64 s[30:31], -1, 0
	s_cmp_lg_u64 s[30:31], 0
	s_addc_u32 s30, s35, s34
	s_mul_i32 s34, s36, s30
	s_mul_hi_u32 s35, s36, s6
	s_mul_hi_u32 s31, s36, s30
	s_add_u32 s34, s35, s34
	s_addc_u32 s31, 0, s31
	s_mul_hi_u32 s37, s7, s6
	s_mul_i32 s6, s7, s6
	s_add_u32 s6, s34, s6
	s_mul_hi_u32 s35, s7, s30
	s_addc_u32 s6, s31, s37
	s_addc_u32 s31, s35, 0
	s_mul_i32 s30, s7, s30
	s_add_u32 s6, s6, s30
	s_addc_u32 s30, 0, s31
	s_mul_i32 s30, s76, s30
	s_mul_hi_u32 s31, s76, s6
	s_add_i32 s34, s31, s30
	s_mul_i32 s6, s76, s6
	s_sub_u32 s6, s36, s6
	s_cselect_b64 s[30:31], -1, 0
	s_cmp_lg_u64 s[30:31], 0
	s_subb_u32 s34, s7, s34
	s_sub_u32 s35, s6, s76
	s_cselect_b64 s[30:31], -1, 0
	s_cmp_lg_u64 s[30:31], 0
	s_subb_u32 s37, s34, 0
	;; [unrolled: 4-line block ×3, first 2 shown]
	s_cmp_ge_u32 s35, s76
	s_cselect_b32 s31, -1, 0
	s_cmp_eq_u32 s37, 0
	s_cselect_b32 s31, s31, -1
	s_cmp_lg_u32 s31, 0
	s_cselect_b32 s30, s30, s37
	s_cselect_b32 s35, s38, s35
	s_cmp_ge_u32 s6, s76
	s_cselect_b32 s31, -1, 0
	s_cmp_eq_u32 s34, 0
	s_cselect_b32 s31, s31, -1
	s_cmp_lg_u32 s31, 0
	s_cselect_b32 s31, s30, s34
	s_cselect_b32 s30, s35, s6
	s_cbranch_execnz .LBB143_170
.LBB143_169:                            ;   in Loop: Header=BB143_43 Depth=1
	v_cvt_f32_u32_e32 v4, s76
	s_sub_i32 s6, 0, s76
	v_rcp_iflag_f32_e32 v4, v4
	s_nop 0
	v_mul_f32_e32 v4, 0x4f7ffffe, v4
	v_cvt_u32_f32_e32 v4, v4
	s_nop 0
	v_readfirstlane_b32 s30, v4
	s_mul_i32 s6, s6, s30
	s_mul_hi_u32 s6, s30, s6
	s_add_i32 s30, s30, s6
	s_mul_hi_u32 s6, s36, s30
	s_mul_i32 s6, s6, s76
	s_sub_i32 s6, s36, s6
	s_sub_i32 s30, s6, s76
	s_cmp_ge_u32 s6, s76
	s_cselect_b32 s6, s30, s6
	s_sub_i32 s30, s6, s76
	s_cmp_ge_u32 s6, s76
	s_cselect_b32 s82, s30, s6
	s_mov_b64 s[30:31], s[82:83]
.LBB143_170:                            ;   in Loop: Header=BB143_43 Depth=1
	s_sub_u32 s36, s36, s30
	s_subb_u32 s37, s7, s31
	v_cmp_gt_u64_e32 vcc, s[36:37], v[0:1]
	s_mov_b64 s[30:31], 0
	s_mov_b64 s[6:7], 0
                                        ; implicit-def: $vgpr58
	s_and_saveexec_b64 s[34:35], vcc
	s_cbranch_execz .LBB143_179
; %bb.171:                              ;   in Loop: Header=BB143_43 Depth=1
	v_mov_b32_e32 v10, v47
	v_mov_b64_e32 v[4:5], v[0:1]
                                        ; implicit-def: $sgpr38_sgpr39
	s_branch .LBB143_174
.LBB143_172:                            ;   in Loop: Header=BB143_174 Depth=2
	s_or_b64 exec, exec, s[40:41]
	s_waitcnt lgkmcnt(0)
	s_barrier
	ds_read_b32 v11, v3 offset:3072
	s_mov_b64 s[40:41], -1
	s_mov_b64 s[42:43], -1
	s_waitcnt lgkmcnt(0)
	s_barrier
	v_and_b32_e32 v34, 0x7fff, v11
	v_cmp_ne_u32_e32 vcc, 0, v34
	s_cbranch_vccz .LBB143_177
.LBB143_173:                            ;   in Loop: Header=BB143_174 Depth=2
	s_and_b64 s[40:41], exec, s[40:41]
	s_or_b64 s[6:7], s[40:41], s[6:7]
	s_andn2_b64 s[38:39], s[38:39], exec
	s_and_b64 s[40:41], s[42:43], exec
	s_or_b64 s[38:39], s[38:39], s[40:41]
	s_andn2_b64 exec, exec, s[6:7]
	s_cbranch_execz .LBB143_178
.LBB143_174:                            ;   Parent Loop BB143_43 Depth=1
                                        ; =>  This Inner Loop Header: Depth=2
	v_cmp_gt_u64_e32 vcc, s[28:29], v[4:5]
	s_and_saveexec_b64 s[40:41], vcc
	s_cbranch_execz .LBB143_172
; %bb.175:                              ;   in Loop: Header=BB143_174 Depth=2
	ds_read_u16 v11, v10
	s_waitcnt lgkmcnt(0)
	v_cmp_lt_i16_e32 vcc, -1, v11
	v_lshlrev_b32_e32 v34, 16, v11
	s_nop 0
	v_cndmask_b32_e32 v35, v53, v54, vcc
	v_xor_b32_sdwa v35, v35, v11 dst_sel:DWORD dst_unused:UNUSED_PAD src0_sel:DWORD src1_sel:WORD_0
	v_cmp_o_f32_e32 vcc, v34, v34
	s_nop 1
	v_cndmask_b32_e32 v34, v53, v35, vcc
	v_and_b32_e32 v34, v34, v57
	v_cmp_eq_u32_e32 vcc, v34, v52
	s_and_b64 exec, exec, vcc
	s_cbranch_execz .LBB143_172
; %bb.176:                              ;   in Loop: Header=BB143_174 Depth=2
	s_movk_i32 s4, 0x3f80
	v_perm_b32 v11, v11, s4, v56
	ds_write_b32 v3, v11 offset:3072
	s_branch .LBB143_172
.LBB143_177:                            ;   in Loop: Header=BB143_174 Depth=2
	v_lshl_add_u64 v[4:5], v[4:5], 0, s[76:77]
	v_readlane_b32 s4, v71, 38
	v_cmp_le_u64_e32 vcc, s[36:37], v[4:5]
	s_mov_b64 s[42:43], 0
	v_add_u32_e32 v10, s4, v10
	s_orn2_b64 s[40:41], vcc, exec
	s_branch .LBB143_173
.LBB143_178:                            ;   in Loop: Header=BB143_43 Depth=1
	s_or_b64 exec, exec, s[6:7]
	v_lshrrev_b32_e32 v58, 16, v11
	s_and_b64 s[6:7], s[38:39], exec
.LBB143_179:                            ;   in Loop: Header=BB143_43 Depth=1
	s_or_b64 exec, exec, s[34:35]
.LBB143_180:                            ;   in Loop: Header=BB143_43 Depth=1
	s_and_b64 vcc, exec, s[30:31]
	s_cbranch_vccz .LBB143_197
; %bb.181:                              ;   in Loop: Header=BB143_43 Depth=1
	s_mov_b32 s54, s83
	s_cmp_lg_u64 s[54:55], 0
	s_cbranch_scc0 .LBB143_184
; %bb.182:                              ;   in Loop: Header=BB143_43 Depth=1
	v_cvt_f32_u32_e32 v4, s76
	s_sub_u32 s24, 0, s76
	s_subb_u32 s25, 0, 0
	v_readlane_b32 s4, v71, 21
	v_fmac_f32_e32 v4, 0, v55
	v_rcp_f32_e32 v4, v4
	s_nop 0
	v_mul_f32_e32 v4, 0x5f7ffffc, v4
	v_mul_f32_e32 v5, 0x2f800000, v4
	v_trunc_f32_e32 v5, v5
	v_fmac_f32_e32 v4, 0xcf800000, v5
	v_cvt_u32_f32_e32 v5, v5
	v_cvt_u32_f32_e32 v4, v4
	v_readfirstlane_b32 s28, v5
	v_readfirstlane_b32 s0, v4
	s_mul_i32 s1, s24, s28
	s_mul_hi_u32 s30, s24, s0
	s_mul_i32 s29, s25, s0
	s_add_i32 s1, s30, s1
	s_mul_i32 s31, s24, s0
	s_add_i32 s1, s1, s29
	s_mul_hi_u32 s30, s0, s31
	s_mul_i32 s34, s0, s1
	s_mul_hi_u32 s29, s0, s1
	s_add_u32 s30, s30, s34
	s_addc_u32 s29, 0, s29
	s_mul_hi_u32 s35, s28, s31
	s_mul_i32 s31, s28, s31
	s_add_u32 s30, s30, s31
	s_mul_hi_u32 s34, s28, s1
	s_addc_u32 s29, s29, s35
	s_addc_u32 s30, s34, 0
	s_mul_i32 s1, s28, s1
	s_add_u32 s1, s29, s1
	s_addc_u32 s29, 0, s30
	s_add_u32 s30, s0, s1
	s_cselect_b64 s[0:1], -1, 0
	s_cmp_lg_u64 s[0:1], 0
	s_addc_u32 s28, s28, s29
	s_mul_i32 s0, s24, s28
	s_mul_hi_u32 s1, s24, s30
	s_add_i32 s0, s1, s0
	s_mul_i32 s25, s25, s30
	s_add_i32 s0, s0, s25
	s_mul_i32 s24, s24, s30
	s_mul_hi_u32 s25, s28, s24
	s_mul_i32 s29, s28, s24
	s_mul_i32 s34, s30, s0
	s_mul_hi_u32 s24, s30, s24
	s_mul_hi_u32 s31, s30, s0
	s_add_u32 s24, s24, s34
	s_addc_u32 s31, 0, s31
	s_add_u32 s24, s24, s29
	s_mul_hi_u32 s1, s28, s0
	s_addc_u32 s24, s31, s25
	s_addc_u32 s1, s1, 0
	s_mul_i32 s0, s28, s0
	s_add_u32 s0, s24, s0
	s_addc_u32 s24, 0, s1
	s_add_u32 s25, s30, s0
	s_cselect_b64 s[0:1], -1, 0
	s_cmp_lg_u64 s[0:1], 0
	s_addc_u32 s0, s28, s24
	s_mul_i32 s24, s4, s0
	s_mul_hi_u32 s28, s4, s25
	s_mul_hi_u32 s1, s4, s0
	s_add_u32 s24, s28, s24
	s_addc_u32 s1, 0, s1
	s_mul_hi_u32 s29, s55, s25
	s_mul_i32 s25, s55, s25
	s_add_u32 s24, s24, s25
	s_mul_hi_u32 s28, s55, s0
	s_addc_u32 s1, s1, s29
	s_addc_u32 s24, s28, 0
	s_mul_i32 s0, s55, s0
	s_add_u32 s0, s1, s0
	s_addc_u32 s1, 0, s24
	s_mul_i32 s1, s76, s1
	s_mul_hi_u32 s24, s76, s0
	s_add_i32 s24, s24, s1
	s_mul_i32 s0, s76, s0
	s_sub_u32 s25, s4, s0
	s_cselect_b64 s[0:1], -1, 0
	s_cmp_lg_u64 s[0:1], 0
	s_subb_u32 s24, s55, s24
	s_sub_u32 s28, s25, s76
	s_cselect_b64 s[0:1], -1, 0
	s_cmp_lg_u64 s[0:1], 0
	s_subb_u32 s29, s24, 0
	;; [unrolled: 4-line block ×3, first 2 shown]
	s_cmp_ge_u32 s28, s76
	s_cselect_b32 s1, -1, 0
	s_cmp_eq_u32 s29, 0
	s_cselect_b32 s1, s1, -1
	s_cmp_lg_u32 s1, 0
	s_cselect_b32 s0, s0, s29
	s_cselect_b32 s28, s30, s28
	s_cmp_ge_u32 s25, s76
	s_cselect_b32 s1, -1, 0
	s_cmp_eq_u32 s24, 0
	s_cselect_b32 s1, s1, -1
	s_cmp_lg_u32 s1, 0
	s_cselect_b32 s1, s0, s24
	s_cselect_b32 s0, s28, s25
	s_mov_b64 s[24:25], 0
	s_branch .LBB143_185
.LBB143_183:                            ;   in Loop: Header=BB143_43 Depth=1
                                        ; implicit-def: $sgpr30_sgpr31
	s_branch .LBB143_169
.LBB143_184:                            ;   in Loop: Header=BB143_43 Depth=1
	s_mov_b64 s[24:25], -1
                                        ; implicit-def: $sgpr0_sgpr1
.LBB143_185:                            ;   in Loop: Header=BB143_43 Depth=1
	s_andn2_b64 vcc, exec, s[24:25]
	v_readlane_b32 s53, v71, 48
	v_readlane_b32 s54, v71, 49
	s_cbranch_vccnz .LBB143_187
; %bb.186:                              ;   in Loop: Header=BB143_43 Depth=1
	v_cvt_f32_u32_e32 v4, s76
	s_sub_i32 s0, 0, s76
	v_readlane_b32 s4, v71, 21
	v_rcp_iflag_f32_e32 v4, v4
	s_nop 0
	v_mul_f32_e32 v4, 0x4f7ffffe, v4
	v_cvt_u32_f32_e32 v4, v4
	s_nop 0
	v_readfirstlane_b32 s1, v4
	s_mul_i32 s0, s0, s1
	s_mul_hi_u32 s0, s1, s0
	s_add_i32 s1, s1, s0
	s_mul_hi_u32 s0, s4, s1
	s_mul_i32 s0, s0, s76
	s_sub_i32 s0, s4, s0
	s_sub_i32 s1, s0, s76
	s_cmp_ge_u32 s0, s76
	s_cselect_b32 s0, s1, s0
	s_sub_i32 s1, s0, s76
	s_cmp_ge_u32 s0, s76
	s_cselect_b32 s82, s1, s0
	s_mov_b64 s[0:1], s[82:83]
.LBB143_187:                            ;   in Loop: Header=BB143_43 Depth=1
	v_readlane_b32 s4, v71, 21
	s_sub_u32 s24, s4, s0
	s_subb_u32 s25, s55, s1
	v_cmp_gt_u64_e32 vcc, s[24:25], v[0:1]
                                        ; implicit-def: $vgpr58
	s_and_saveexec_b64 s[0:1], vcc
	s_cbranch_execz .LBB143_196
; %bb.188:                              ;   in Loop: Header=BB143_43 Depth=1
	s_mov_b64 s[28:29], 0
	v_mov_b64_e32 v[4:5], v[12:13]
	v_mov_b64_e32 v[10:11], v[0:1]
                                        ; implicit-def: $sgpr30_sgpr31
	s_branch .LBB143_191
.LBB143_189:                            ;   in Loop: Header=BB143_191 Depth=2
	s_or_b64 exec, exec, s[34:35]
	s_waitcnt lgkmcnt(0)
	s_barrier
	ds_read_b32 v34, v3 offset:3072
	s_mov_b64 s[34:35], -1
	s_mov_b64 s[36:37], -1
	s_waitcnt lgkmcnt(0)
	s_barrier
	v_and_b32_e32 v35, 0x7fff, v34
	v_cmp_eq_u32_e32 vcc, 0, v35
	s_cbranch_vccnz .LBB143_194
.LBB143_190:                            ;   in Loop: Header=BB143_191 Depth=2
	s_and_b64 s[34:35], exec, s[34:35]
	s_or_b64 s[28:29], s[34:35], s[28:29]
	s_andn2_b64 s[30:31], s[30:31], exec
	s_and_b64 s[34:35], s[36:37], exec
	s_or_b64 s[30:31], s[30:31], s[34:35]
	s_andn2_b64 exec, exec, s[28:29]
	s_cbranch_execz .LBB143_195
.LBB143_191:                            ;   Parent Loop BB143_43 Depth=1
                                        ; =>  This Inner Loop Header: Depth=2
	v_cmp_gt_u64_e32 vcc, s[56:57], v[10:11]
	s_and_saveexec_b64 s[34:35], vcc
	s_cbranch_execz .LBB143_189
; %bb.192:                              ;   in Loop: Header=BB143_191 Depth=2
	global_load_ushort v34, v[4:5], off
	s_waitcnt vmcnt(0)
	v_cmp_lt_i16_e32 vcc, -1, v34
	v_lshlrev_b32_e32 v35, 16, v34
	s_nop 0
	v_cndmask_b32_e32 v36, v53, v54, vcc
	v_xor_b32_sdwa v36, v36, v34 dst_sel:DWORD dst_unused:UNUSED_PAD src0_sel:DWORD src1_sel:WORD_0
	v_cmp_o_f32_e32 vcc, v35, v35
	s_nop 1
	v_cndmask_b32_e32 v35, v53, v36, vcc
	v_and_b32_e32 v35, v35, v57
	v_cmp_eq_u32_e32 vcc, v35, v52
	s_and_b64 exec, exec, vcc
	s_cbranch_execz .LBB143_189
; %bb.193:                              ;   in Loop: Header=BB143_191 Depth=2
	s_movk_i32 s4, 0x3f80
	v_perm_b32 v34, v34, s4, v56
	ds_write_b32 v3, v34 offset:3072
	s_branch .LBB143_189
.LBB143_194:                            ;   in Loop: Header=BB143_191 Depth=2
	v_lshl_add_u64 v[10:11], v[10:11], 0, s[76:77]
	v_readlane_b32 s4, v71, 39
	v_readlane_b32 s5, v71, 40
	v_cmp_le_u64_e32 vcc, s[24:25], v[10:11]
	s_mov_b64 s[36:37], 0
	v_lshl_add_u64 v[4:5], v[4:5], 0, s[4:5]
	s_orn2_b64 s[34:35], vcc, exec
	s_branch .LBB143_190
.LBB143_195:                            ;   in Loop: Header=BB143_43 Depth=1
	s_or_b64 exec, exec, s[28:29]
	s_andn2_b64 s[6:7], s[6:7], exec
	s_and_b64 s[24:25], s[30:31], exec
	v_lshrrev_b32_e32 v58, 16, v34
	s_or_b64 s[6:7], s[6:7], s[24:25]
.LBB143_196:                            ;   in Loop: Header=BB143_43 Depth=1
	s_or_b64 exec, exec, s[0:1]
	s_mov_b64 s[0:1], 0
	s_mov_b64 s[24:25], -1
.LBB143_197:                            ;   in Loop: Header=BB143_43 Depth=1
	s_orn2_b64 s[6:7], s[6:7], exec
.LBB143_198:                            ;   in Loop: Header=BB143_43 Depth=1
	s_or_b64 exec, exec, s[26:27]
	s_mov_b64 s[28:29], 0
	s_and_saveexec_b64 s[26:27], s[6:7]
	s_cbranch_execz .LBB143_306
; %bb.199:                              ;   in Loop: Header=BB143_43 Depth=1
	s_xor_b64 s[28:29], s[8:9], -1
	v_mov_b32_e32 v2, 1
	s_mov_b64 s[8:9], 0
	v_mov_b64_e32 v[4:5], 1
	s_and_saveexec_b64 s[6:7], s[28:29]
	s_cbranch_execz .LBB143_209
; %bb.200:                              ;   in Loop: Header=BB143_43 Depth=1
	v_cmp_le_u64_e32 vcc, v[8:9], v[6:7]
	s_and_saveexec_b64 s[8:9], vcc
	s_xor_b64 s[8:9], exec, s[8:9]
	s_cbranch_execz .LBB143_206
; %bb.201:                              ;   in Loop: Header=BB143_43 Depth=1
	ds_read_b64 v[4:5], v3 offset:5120
	v_and_b32_e32 v2, s52, v52
	v_lshl_or_b32 v52, 1, s91, v2
	v_or_b32_e32 v57, s72, v57
	s_waitcnt lgkmcnt(0)
	v_cmp_ne_u64_e32 vcc, 0, v[4:5]
	s_cbranch_vccnz .LBB143_205
; %bb.202:                              ;   in Loop: Header=BB143_43 Depth=1
	s_mov_b64 s[28:29], exec
	v_readlane_b32 s30, v71, 12
	v_readlane_b32 s31, v71, 13
	s_and_b64 s[30:31], s[28:29], s[30:31]
	s_mov_b64 exec, s[30:31]
; %bb.203:                              ;   in Loop: Header=BB143_43 Depth=1
	ds_write_b64 v3, v[6:7] offset:5128
; %bb.204:                              ;   in Loop: Header=BB143_43 Depth=1
	s_or_b64 exec, exec, s[28:29]
	s_waitcnt lgkmcnt(0)
	s_barrier
.LBB143_205:                            ;   in Loop: Header=BB143_43 Depth=1
                                        ; implicit-def: $vgpr4_vgpr5_vgpr6_vgpr7
.LBB143_206:                            ;   in Loop: Header=BB143_43 Depth=1
	s_or_saveexec_b64 s[8:9], s[8:9]
	s_mov_b64 s[28:29], 0
	v_mov_b32_e32 v2, 8
	s_xor_b64 exec, exec, s[8:9]
; %bb.207:                              ;   in Loop: Header=BB143_43 Depth=1
	v_sub_co_u32_e32 v8, vcc, v8, v6
	s_mov_b64 s[28:29], exec
	s_nop 0
	v_subb_co_u32_e32 v9, vcc, v9, v7, vcc
	v_mov_b32_e32 v2, 0
; %bb.208:                              ;   in Loop: Header=BB143_43 Depth=1
	s_or_b64 exec, exec, s[8:9]
	s_and_b64 s[8:9], s[28:29], exec
	v_mov_b64_e32 v[4:5], v[8:9]
.LBB143_209:                            ;   in Loop: Header=BB143_43 Depth=1
	s_or_b64 exec, exec, s[6:7]
	s_mov_b64 s[6:7], -1
                                        ; implicit-def: $sgpr34_sgpr35
                                        ; implicit-def: $sgpr36_sgpr37
	s_and_saveexec_b64 s[28:29], s[8:9]
	s_cbranch_execz .LBB143_305
; %bb.210:                              ;   in Loop: Header=BB143_43 Depth=1
	s_cmp_eq_u64 s[22:23], 1
	s_cselect_b64 s[6:7], -1, 0
	v_cmp_eq_u64_e32 vcc, 1, v[4:5]
	s_and_b64 s[8:9], s[6:7], vcc
	s_mov_b64 s[6:7], -1
                                        ; implicit-def: $sgpr36_sgpr37
                                        ; implicit-def: $sgpr34_sgpr35
	s_and_saveexec_b64 s[38:39], s[8:9]
	s_cbranch_execz .LBB143_245
; %bb.211:                              ;   in Loop: Header=BB143_43 Depth=1
	ds_read_b64 v[6:7], v3 offset:5120
	s_waitcnt lgkmcnt(0)
	s_barrier
	v_readfirstlane_b32 s30, v6
	v_readfirstlane_b32 s31, v7
	s_mov_b64 s[6:7], exec
	v_readlane_b32 s34, v71, 14
	v_readlane_b32 s35, v71, 15
	s_and_b64 s[34:35], s[6:7], s[34:35]
	s_mov_b64 exec, s[34:35]
; %bb.212:                              ;   in Loop: Header=BB143_43 Depth=1
	ds_write_b16 v48, v3
; %bb.213:                              ;   in Loop: Header=BB143_43 Depth=1
	s_or_b64 exec, exec, s[6:7]
	v_and_b32_e32 v6, s52, v52
	v_lshl_or_b32 v52, 2, s91, v6
	v_or_b32_e32 v57, s72, v57
	s_mov_b64 s[34:35], -1
	s_mov_b64 s[36:37], 0
	s_cmp_eq_u64 s[30:31], 0
	s_mov_b64 s[6:7], 0
	s_mov_b64 s[40:41], -1
	s_waitcnt lgkmcnt(0)
	s_barrier
                                        ; implicit-def: $vgpr58
	s_cbranch_scc1 .LBB143_227
; %bb.214:                              ;   in Loop: Header=BB143_43 Depth=1
	v_readlane_b32 s6, v71, 20
	s_add_u32 s44, s30, s6
	v_readlane_b32 s6, v71, 22
	s_addc_u32 s7, s31, s6
	s_mov_b32 s6, s83
	s_cmp_lg_u64 s[6:7], 0
	s_cbranch_scc0 .LBB143_230
; %bb.215:                              ;   in Loop: Header=BB143_43 Depth=1
	v_cvt_f32_u32_e32 v6, s76
	s_sub_u32 s6, 0, s76
	s_subb_u32 s42, 0, 0
	v_fmac_f32_e32 v6, 0, v55
	v_rcp_f32_e32 v6, v6
	s_nop 0
	v_mul_f32_e32 v6, 0x5f7ffffc, v6
	v_mul_f32_e32 v7, 0x2f800000, v6
	v_trunc_f32_e32 v7, v7
	v_fmac_f32_e32 v6, 0xcf800000, v7
	v_cvt_u32_f32_e32 v7, v7
	v_cvt_u32_f32_e32 v6, v6
	v_readfirstlane_b32 s43, v7
	v_readfirstlane_b32 s40, v6
	s_mul_i32 s41, s6, s43
	s_mul_hi_u32 s46, s6, s40
	s_mul_i32 s45, s42, s40
	s_add_i32 s41, s46, s41
	s_mul_i32 s47, s6, s40
	s_add_i32 s41, s41, s45
	s_mul_hi_u32 s46, s40, s47
	s_mul_i32 s48, s40, s41
	s_mul_hi_u32 s45, s40, s41
	s_add_u32 s46, s46, s48
	s_addc_u32 s45, 0, s45
	s_mul_hi_u32 s49, s43, s47
	s_mul_i32 s47, s43, s47
	s_add_u32 s46, s46, s47
	s_mul_hi_u32 s48, s43, s41
	s_addc_u32 s45, s45, s49
	s_addc_u32 s46, s48, 0
	s_mul_i32 s41, s43, s41
	s_add_u32 s41, s45, s41
	s_addc_u32 s45, 0, s46
	s_add_u32 s46, s40, s41
	s_cselect_b64 s[40:41], -1, 0
	s_cmp_lg_u64 s[40:41], 0
	s_addc_u32 s43, s43, s45
	s_mul_i32 s40, s6, s43
	s_mul_hi_u32 s41, s6, s46
	s_add_i32 s40, s41, s40
	s_mul_i32 s42, s42, s46
	s_add_i32 s40, s40, s42
	s_mul_i32 s6, s6, s46
	s_mul_hi_u32 s42, s43, s6
	s_mul_i32 s45, s43, s6
	s_mul_i32 s48, s46, s40
	s_mul_hi_u32 s6, s46, s6
	s_mul_hi_u32 s47, s46, s40
	s_add_u32 s6, s6, s48
	s_addc_u32 s47, 0, s47
	s_add_u32 s6, s6, s45
	s_mul_hi_u32 s41, s43, s40
	s_addc_u32 s6, s47, s42
	s_addc_u32 s41, s41, 0
	s_mul_i32 s40, s43, s40
	s_add_u32 s6, s6, s40
	s_addc_u32 s42, 0, s41
	s_add_u32 s6, s46, s6
	s_cselect_b64 s[40:41], -1, 0
	s_cmp_lg_u64 s[40:41], 0
	s_addc_u32 s40, s43, s42
	s_mul_i32 s42, s44, s40
	s_mul_hi_u32 s43, s44, s6
	s_mul_hi_u32 s41, s44, s40
	s_add_u32 s42, s43, s42
	s_addc_u32 s41, 0, s41
	s_mul_hi_u32 s45, s7, s6
	s_mul_i32 s6, s7, s6
	s_add_u32 s6, s42, s6
	s_mul_hi_u32 s43, s7, s40
	s_addc_u32 s6, s41, s45
	s_addc_u32 s41, s43, 0
	s_mul_i32 s40, s7, s40
	s_add_u32 s6, s6, s40
	s_addc_u32 s40, 0, s41
	s_mul_i32 s40, s76, s40
	s_mul_hi_u32 s41, s76, s6
	s_add_i32 s42, s41, s40
	s_mul_i32 s6, s76, s6
	s_sub_u32 s6, s44, s6
	s_cselect_b64 s[40:41], -1, 0
	s_cmp_lg_u64 s[40:41], 0
	s_subb_u32 s42, s7, s42
	s_sub_u32 s43, s6, s76
	s_cselect_b64 s[40:41], -1, 0
	s_cmp_lg_u64 s[40:41], 0
	s_subb_u32 s45, s42, 0
	;; [unrolled: 4-line block ×3, first 2 shown]
	s_cmp_ge_u32 s43, s76
	s_cselect_b32 s41, -1, 0
	s_cmp_eq_u32 s45, 0
	s_cselect_b32 s41, s41, -1
	s_cmp_lg_u32 s41, 0
	s_cselect_b32 s40, s40, s45
	s_cselect_b32 s43, s46, s43
	s_cmp_ge_u32 s6, s76
	s_cselect_b32 s41, -1, 0
	s_cmp_eq_u32 s42, 0
	s_cselect_b32 s41, s41, -1
	s_cmp_lg_u32 s41, 0
	s_cselect_b32 s41, s40, s42
	s_cselect_b32 s40, s43, s6
	s_cbranch_execnz .LBB143_217
.LBB143_216:                            ;   in Loop: Header=BB143_43 Depth=1
	v_cvt_f32_u32_e32 v6, s76
	s_sub_i32 s6, 0, s76
	v_rcp_iflag_f32_e32 v6, v6
	s_nop 0
	v_mul_f32_e32 v6, 0x4f7ffffe, v6
	v_cvt_u32_f32_e32 v6, v6
	s_nop 0
	v_readfirstlane_b32 s40, v6
	s_mul_i32 s6, s6, s40
	s_mul_hi_u32 s6, s40, s6
	s_add_i32 s40, s40, s6
	s_mul_hi_u32 s6, s44, s40
	s_mul_i32 s6, s6, s76
	s_sub_i32 s6, s44, s6
	s_sub_i32 s40, s6, s76
	s_cmp_ge_u32 s6, s76
	s_cselect_b32 s6, s40, s6
	s_sub_i32 s40, s6, s76
	s_cmp_ge_u32 s6, s76
	s_cselect_b32 s82, s40, s6
	s_mov_b64 s[40:41], s[82:83]
.LBB143_217:                            ;   in Loop: Header=BB143_43 Depth=1
	s_sub_u32 s44, s44, s40
	s_subb_u32 s45, s7, s41
	v_cmp_gt_u64_e32 vcc, s[44:45], v[0:1]
	s_mov_b64 s[40:41], 0
	s_mov_b64 s[6:7], 0
                                        ; implicit-def: $vgpr58
	s_and_saveexec_b64 s[42:43], vcc
	s_cbranch_execz .LBB143_226
; %bb.218:                              ;   in Loop: Header=BB143_43 Depth=1
	v_mov_b32_e32 v8, v47
	v_mov_b64_e32 v[6:7], v[0:1]
                                        ; implicit-def: $sgpr46_sgpr47
	s_branch .LBB143_221
.LBB143_219:                            ;   in Loop: Header=BB143_221 Depth=2
	s_or_b64 exec, exec, s[48:49]
	s_waitcnt lgkmcnt(0)
	s_barrier
	ds_read_b32 v9, v3 offset:3072
	s_mov_b64 s[48:49], -1
	s_mov_b64 s[50:51], -1
	s_waitcnt lgkmcnt(0)
	s_barrier
	v_and_b32_e32 v10, 0x7fff, v9
	v_cmp_ne_u32_e32 vcc, 0, v10
	s_cbranch_vccz .LBB143_224
.LBB143_220:                            ;   in Loop: Header=BB143_221 Depth=2
	s_and_b64 s[48:49], exec, s[48:49]
	s_or_b64 s[6:7], s[48:49], s[6:7]
	s_andn2_b64 s[46:47], s[46:47], exec
	s_and_b64 s[48:49], s[50:51], exec
	s_or_b64 s[46:47], s[46:47], s[48:49]
	s_andn2_b64 exec, exec, s[6:7]
	s_cbranch_execz .LBB143_225
.LBB143_221:                            ;   Parent Loop BB143_43 Depth=1
                                        ; =>  This Inner Loop Header: Depth=2
	v_cmp_gt_u64_e32 vcc, s[30:31], v[6:7]
	s_and_saveexec_b64 s[48:49], vcc
	s_cbranch_execz .LBB143_219
; %bb.222:                              ;   in Loop: Header=BB143_221 Depth=2
	ds_read_u16 v9, v8
	s_waitcnt lgkmcnt(0)
	v_cmp_lt_i16_e32 vcc, -1, v9
	v_lshlrev_b32_e32 v10, 16, v9
	s_nop 0
	v_cndmask_b32_e32 v11, v53, v54, vcc
	v_xor_b32_sdwa v11, v11, v9 dst_sel:DWORD dst_unused:UNUSED_PAD src0_sel:DWORD src1_sel:WORD_0
	v_cmp_o_f32_e32 vcc, v10, v10
	s_nop 1
	v_cndmask_b32_e32 v10, v53, v11, vcc
	v_and_b32_e32 v10, v10, v57
	v_cmp_eq_u32_e32 vcc, v10, v52
	s_and_b64 exec, exec, vcc
	s_cbranch_execz .LBB143_219
; %bb.223:                              ;   in Loop: Header=BB143_221 Depth=2
	s_movk_i32 s4, 0x3f80
	v_perm_b32 v9, v9, s4, v56
	ds_write_b32 v3, v9 offset:3072
	s_branch .LBB143_219
.LBB143_224:                            ;   in Loop: Header=BB143_221 Depth=2
	v_lshl_add_u64 v[6:7], v[6:7], 0, s[76:77]
	v_readlane_b32 s4, v71, 38
	v_cmp_le_u64_e32 vcc, s[44:45], v[6:7]
	s_mov_b64 s[50:51], 0
	v_add_u32_e32 v8, s4, v8
	s_orn2_b64 s[48:49], vcc, exec
	s_branch .LBB143_220
.LBB143_225:                            ;   in Loop: Header=BB143_43 Depth=1
	s_or_b64 exec, exec, s[6:7]
	v_readlane_b32 s50, v71, 44
	v_lshrrev_b32_e32 v58, 16, v9
	s_and_b64 s[6:7], s[46:47], exec
	v_readlane_b32 s51, v71, 45
.LBB143_226:                            ;   in Loop: Header=BB143_43 Depth=1
	s_or_b64 exec, exec, s[42:43]
.LBB143_227:                            ;   in Loop: Header=BB143_43 Depth=1
	s_and_b64 vcc, exec, s[40:41]
	s_cbranch_vccz .LBB143_244
; %bb.228:                              ;   in Loop: Header=BB143_43 Depth=1
	s_mov_b32 s54, s83
	s_cmp_lg_u64 s[54:55], 0
	s_cbranch_scc0 .LBB143_231
; %bb.229:                              ;   in Loop: Header=BB143_43 Depth=1
	v_cvt_f32_u32_e32 v6, s76
	s_sub_u32 s34, 0, s76
	s_subb_u32 s35, 0, 0
	v_readlane_b32 s4, v71, 21
	v_fmac_f32_e32 v6, 0, v55
	v_rcp_f32_e32 v6, v6
	s_nop 0
	v_mul_f32_e32 v6, 0x5f7ffffc, v6
	v_mul_f32_e32 v7, 0x2f800000, v6
	v_trunc_f32_e32 v7, v7
	v_fmac_f32_e32 v6, 0xcf800000, v7
	v_cvt_u32_f32_e32 v7, v7
	v_cvt_u32_f32_e32 v6, v6
	v_readfirstlane_b32 s36, v7
	v_readfirstlane_b32 s30, v6
	s_mul_i32 s31, s34, s36
	s_mul_hi_u32 s40, s34, s30
	s_mul_i32 s37, s35, s30
	s_add_i32 s31, s40, s31
	s_mul_i32 s41, s34, s30
	s_add_i32 s31, s31, s37
	s_mul_hi_u32 s40, s30, s41
	s_mul_i32 s42, s30, s31
	s_mul_hi_u32 s37, s30, s31
	s_add_u32 s40, s40, s42
	s_addc_u32 s37, 0, s37
	s_mul_hi_u32 s43, s36, s41
	s_mul_i32 s41, s36, s41
	s_add_u32 s40, s40, s41
	s_mul_hi_u32 s42, s36, s31
	s_addc_u32 s37, s37, s43
	s_addc_u32 s40, s42, 0
	s_mul_i32 s31, s36, s31
	s_add_u32 s31, s37, s31
	s_addc_u32 s37, 0, s40
	s_add_u32 s40, s30, s31
	s_cselect_b64 s[30:31], -1, 0
	s_cmp_lg_u64 s[30:31], 0
	s_addc_u32 s36, s36, s37
	s_mul_i32 s30, s34, s36
	s_mul_hi_u32 s31, s34, s40
	s_add_i32 s30, s31, s30
	s_mul_i32 s35, s35, s40
	s_add_i32 s30, s30, s35
	s_mul_i32 s34, s34, s40
	s_mul_hi_u32 s35, s36, s34
	s_mul_i32 s37, s36, s34
	s_mul_i32 s42, s40, s30
	s_mul_hi_u32 s34, s40, s34
	s_mul_hi_u32 s41, s40, s30
	s_add_u32 s34, s34, s42
	s_addc_u32 s41, 0, s41
	s_add_u32 s34, s34, s37
	s_mul_hi_u32 s31, s36, s30
	s_addc_u32 s34, s41, s35
	s_addc_u32 s31, s31, 0
	s_mul_i32 s30, s36, s30
	s_add_u32 s30, s34, s30
	s_addc_u32 s34, 0, s31
	s_add_u32 s35, s40, s30
	s_cselect_b64 s[30:31], -1, 0
	s_cmp_lg_u64 s[30:31], 0
	s_addc_u32 s30, s36, s34
	s_mul_i32 s34, s4, s30
	s_mul_hi_u32 s36, s4, s35
	s_mul_hi_u32 s31, s4, s30
	s_add_u32 s34, s36, s34
	s_addc_u32 s31, 0, s31
	s_mul_hi_u32 s37, s55, s35
	s_mul_i32 s35, s55, s35
	s_add_u32 s34, s34, s35
	s_mul_hi_u32 s36, s55, s30
	s_addc_u32 s31, s31, s37
	s_addc_u32 s34, s36, 0
	s_mul_i32 s30, s55, s30
	s_add_u32 s30, s31, s30
	s_addc_u32 s31, 0, s34
	s_mul_i32 s31, s76, s31
	s_mul_hi_u32 s34, s76, s30
	s_add_i32 s34, s34, s31
	s_mul_i32 s30, s76, s30
	s_sub_u32 s35, s4, s30
	s_cselect_b64 s[30:31], -1, 0
	s_cmp_lg_u64 s[30:31], 0
	s_subb_u32 s34, s55, s34
	s_sub_u32 s36, s35, s76
	s_cselect_b64 s[30:31], -1, 0
	s_cmp_lg_u64 s[30:31], 0
	s_subb_u32 s37, s34, 0
	s_sub_u32 s40, s36, s76
	s_cselect_b64 s[30:31], -1, 0
	s_cmp_lg_u64 s[30:31], 0
	s_subb_u32 s30, s37, 0
	s_cmp_ge_u32 s36, s76
	s_cselect_b32 s31, -1, 0
	s_cmp_eq_u32 s37, 0
	s_cselect_b32 s31, s31, -1
	s_cmp_lg_u32 s31, 0
	s_cselect_b32 s30, s30, s37
	s_cselect_b32 s36, s40, s36
	s_cmp_ge_u32 s35, s76
	s_cselect_b32 s31, -1, 0
	s_cmp_eq_u32 s34, 0
	s_cselect_b32 s31, s31, -1
	s_cmp_lg_u32 s31, 0
	s_cselect_b32 s31, s30, s34
	s_cselect_b32 s30, s36, s35
	s_mov_b64 s[34:35], 0
	s_branch .LBB143_232
.LBB143_230:                            ;   in Loop: Header=BB143_43 Depth=1
                                        ; implicit-def: $sgpr40_sgpr41
	s_branch .LBB143_216
.LBB143_231:                            ;   in Loop: Header=BB143_43 Depth=1
	s_mov_b64 s[34:35], -1
                                        ; implicit-def: $sgpr30_sgpr31
.LBB143_232:                            ;   in Loop: Header=BB143_43 Depth=1
	s_andn2_b64 vcc, exec, s[34:35]
	v_readlane_b32 s53, v71, 48
	v_readlane_b32 s54, v71, 49
	s_cbranch_vccnz .LBB143_234
; %bb.233:                              ;   in Loop: Header=BB143_43 Depth=1
	v_cvt_f32_u32_e32 v6, s76
	s_sub_i32 s30, 0, s76
	v_readlane_b32 s4, v71, 21
	v_rcp_iflag_f32_e32 v6, v6
	s_nop 0
	v_mul_f32_e32 v6, 0x4f7ffffe, v6
	v_cvt_u32_f32_e32 v6, v6
	s_nop 0
	v_readfirstlane_b32 s31, v6
	s_mul_i32 s30, s30, s31
	s_mul_hi_u32 s30, s31, s30
	s_add_i32 s31, s31, s30
	s_mul_hi_u32 s30, s4, s31
	s_mul_i32 s30, s30, s76
	s_sub_i32 s30, s4, s30
	s_sub_i32 s31, s30, s76
	s_cmp_ge_u32 s30, s76
	s_cselect_b32 s30, s31, s30
	s_sub_i32 s31, s30, s76
	s_cmp_ge_u32 s30, s76
	s_cselect_b32 s82, s31, s30
	s_mov_b64 s[30:31], s[82:83]
.LBB143_234:                            ;   in Loop: Header=BB143_43 Depth=1
	v_readlane_b32 s4, v71, 21
	s_sub_u32 s34, s4, s30
	s_subb_u32 s35, s55, s31
	v_cmp_gt_u64_e32 vcc, s[34:35], v[0:1]
                                        ; implicit-def: $vgpr58
	s_and_saveexec_b64 s[30:31], vcc
	s_cbranch_execz .LBB143_243
; %bb.235:                              ;   in Loop: Header=BB143_43 Depth=1
	s_mov_b64 s[36:37], 0
	v_mov_b64_e32 v[6:7], v[12:13]
	v_mov_b64_e32 v[8:9], v[0:1]
                                        ; implicit-def: $sgpr40_sgpr41
	s_branch .LBB143_238
.LBB143_236:                            ;   in Loop: Header=BB143_238 Depth=2
	s_or_b64 exec, exec, s[42:43]
	s_waitcnt lgkmcnt(0)
	s_barrier
	ds_read_b32 v10, v3 offset:3072
	s_mov_b64 s[42:43], -1
	s_mov_b64 s[44:45], -1
	s_waitcnt lgkmcnt(0)
	s_barrier
	v_and_b32_e32 v11, 0x7fff, v10
	v_cmp_eq_u32_e32 vcc, 0, v11
	s_cbranch_vccnz .LBB143_241
.LBB143_237:                            ;   in Loop: Header=BB143_238 Depth=2
	s_and_b64 s[42:43], exec, s[42:43]
	s_or_b64 s[36:37], s[42:43], s[36:37]
	s_andn2_b64 s[40:41], s[40:41], exec
	s_and_b64 s[42:43], s[44:45], exec
	s_or_b64 s[40:41], s[40:41], s[42:43]
	s_andn2_b64 exec, exec, s[36:37]
	s_cbranch_execz .LBB143_242
.LBB143_238:                            ;   Parent Loop BB143_43 Depth=1
                                        ; =>  This Inner Loop Header: Depth=2
	v_cmp_gt_u64_e32 vcc, s[56:57], v[8:9]
	s_and_saveexec_b64 s[42:43], vcc
	s_cbranch_execz .LBB143_236
; %bb.239:                              ;   in Loop: Header=BB143_238 Depth=2
	global_load_ushort v10, v[6:7], off
	s_waitcnt vmcnt(0)
	v_cmp_lt_i16_e32 vcc, -1, v10
	v_lshlrev_b32_e32 v11, 16, v10
	s_nop 0
	v_cndmask_b32_e32 v34, v53, v54, vcc
	v_xor_b32_sdwa v34, v34, v10 dst_sel:DWORD dst_unused:UNUSED_PAD src0_sel:DWORD src1_sel:WORD_0
	v_cmp_o_f32_e32 vcc, v11, v11
	s_nop 1
	v_cndmask_b32_e32 v11, v53, v34, vcc
	v_and_b32_e32 v11, v11, v57
	v_cmp_eq_u32_e32 vcc, v11, v52
	s_and_b64 exec, exec, vcc
	s_cbranch_execz .LBB143_236
; %bb.240:                              ;   in Loop: Header=BB143_238 Depth=2
	s_movk_i32 s4, 0x3f80
	v_perm_b32 v10, v10, s4, v56
	ds_write_b32 v3, v10 offset:3072
	s_branch .LBB143_236
.LBB143_241:                            ;   in Loop: Header=BB143_238 Depth=2
	v_lshl_add_u64 v[8:9], v[8:9], 0, s[76:77]
	v_readlane_b32 s4, v71, 39
	v_readlane_b32 s5, v71, 40
	v_cmp_le_u64_e32 vcc, s[34:35], v[8:9]
	s_mov_b64 s[44:45], 0
	v_lshl_add_u64 v[6:7], v[6:7], 0, s[4:5]
	s_orn2_b64 s[42:43], vcc, exec
	s_branch .LBB143_237
.LBB143_242:                            ;   in Loop: Header=BB143_43 Depth=1
	s_or_b64 exec, exec, s[36:37]
	s_andn2_b64 s[6:7], s[6:7], exec
	s_and_b64 s[34:35], s[40:41], exec
	v_lshrrev_b32_e32 v58, 16, v10
	s_or_b64 s[6:7], s[6:7], s[34:35]
.LBB143_243:                            ;   in Loop: Header=BB143_43 Depth=1
	s_or_b64 exec, exec, s[30:31]
	s_mov_b64 s[34:35], 0
	s_mov_b64 s[36:37], -1
.LBB143_244:                            ;   in Loop: Header=BB143_43 Depth=1
	s_orn2_b64 s[6:7], s[6:7], exec
.LBB143_245:                            ;   in Loop: Header=BB143_43 Depth=1
	s_or_b64 exec, exec, s[38:39]
	s_mov_b64 s[30:31], 0
	s_and_saveexec_b64 s[38:39], s[6:7]
	s_cbranch_execz .LBB143_304
; %bb.246:                              ;   in Loop: Header=BB143_43 Depth=1
	s_xor_b64 s[30:31], s[8:9], -1
	v_mov_b32_e32 v2, 1
	s_mov_b64 s[8:9], 0
	v_mov_b64_e32 v[6:7], 1
	s_and_saveexec_b64 s[6:7], s[30:31]
	s_cbranch_execz .LBB143_255
; %bb.247:                              ;   in Loop: Header=BB143_43 Depth=1
	v_cmp_ge_u64_e32 vcc, s[22:23], v[4:5]
	s_and_saveexec_b64 s[8:9], vcc
	s_xor_b64 s[8:9], exec, s[8:9]
	s_cbranch_execz .LBB143_252
; %bb.248:                              ;   in Loop: Header=BB143_43 Depth=1
	ds_read_b64 v[6:7], v3 offset:5120
	v_and_b32_e32 v2, s52, v52
	v_lshl_or_b32 v52, 2, s91, v2
	v_or_b32_e32 v57, s72, v57
	s_waitcnt lgkmcnt(0)
	v_cmp_ne_u64_e32 vcc, 0, v[6:7]
	s_cbranch_vccnz .LBB143_252
; %bb.249:                              ;   in Loop: Header=BB143_43 Depth=1
	s_mov_b64 s[30:31], exec
	v_readlane_b32 s40, v71, 12
	v_readlane_b32 s41, v71, 13
	s_and_b64 s[40:41], s[30:31], s[40:41]
	s_mov_b64 exec, s[40:41]
; %bb.250:                              ;   in Loop: Header=BB143_43 Depth=1
	v_mov_b64_e32 v[6:7], s[22:23]
	ds_write_b64 v3, v[6:7] offset:5128
; %bb.251:                              ;   in Loop: Header=BB143_43 Depth=1
	s_or_b64 exec, exec, s[30:31]
	s_waitcnt lgkmcnt(0)
	s_barrier
.LBB143_252:                            ;   in Loop: Header=BB143_43 Depth=1
	s_or_saveexec_b64 s[8:9], s[8:9]
	s_mov_b64 s[30:31], 0
	v_mov_b32_e32 v2, 8
	s_xor_b64 exec, exec, s[8:9]
; %bb.253:                              ;   in Loop: Header=BB143_43 Depth=1
	v_mov_b32_e32 v2, s23
	v_subrev_co_u32_e32 v4, vcc, s22, v4
	s_mov_b64 s[30:31], exec
	s_nop 0
	v_subb_co_u32_e32 v5, vcc, v5, v2, vcc
	v_mov_b32_e32 v2, 0
; %bb.254:                              ;   in Loop: Header=BB143_43 Depth=1
	s_or_b64 exec, exec, s[8:9]
	s_and_b64 s[8:9], s[30:31], exec
	v_mov_b64_e32 v[6:7], v[4:5]
.LBB143_255:                            ;   in Loop: Header=BB143_43 Depth=1
	s_or_b64 exec, exec, s[6:7]
	s_mov_b64 s[6:7], -1
                                        ; implicit-def: $sgpr44_sgpr45
                                        ; implicit-def: $sgpr42_sgpr43
	s_and_saveexec_b64 s[22:23], s[8:9]
	s_cbranch_execz .LBB143_303
; %bb.256:                              ;   in Loop: Header=BB143_43 Depth=1
	s_cmp_eq_u64 s[2:3], 1
	s_cselect_b64 s[6:7], -1, 0
	v_cmp_eq_u64_e32 vcc, 1, v[6:7]
	s_and_b64 s[8:9], s[6:7], vcc
	s_mov_b64 s[30:31], -1
                                        ; implicit-def: $sgpr44_sgpr45
                                        ; implicit-def: $sgpr42_sgpr43
	s_and_saveexec_b64 s[40:41], s[8:9]
	s_cbranch_execz .LBB143_291
; %bb.257:                              ;   in Loop: Header=BB143_43 Depth=1
	ds_read_b64 v[4:5], v3 offset:5120
	s_waitcnt lgkmcnt(0)
	s_barrier
	v_readfirstlane_b32 s30, v4
	v_readfirstlane_b32 s31, v5
	s_mov_b64 s[6:7], exec
	v_readlane_b32 s42, v71, 14
	v_readlane_b32 s43, v71, 15
	s_and_b64 s[42:43], s[6:7], s[42:43]
	s_mov_b64 exec, s[42:43]
; %bb.258:                              ;   in Loop: Header=BB143_43 Depth=1
	ds_write_b16 v48, v3
; %bb.259:                              ;   in Loop: Header=BB143_43 Depth=1
	s_or_b64 exec, exec, s[6:7]
	v_or_b32_e32 v52, s72, v52
	v_or_b32_e32 v57, s72, v57
	s_mov_b64 s[42:43], -1
	s_mov_b64 s[44:45], 0
	s_cmp_eq_u64 s[30:31], 0
	s_mov_b64 s[6:7], 0
	s_mov_b64 s[46:47], -1
	s_waitcnt lgkmcnt(0)
	s_barrier
                                        ; implicit-def: $vgpr58
	s_cbranch_scc1 .LBB143_273
; %bb.260:                              ;   in Loop: Header=BB143_43 Depth=1
	v_readlane_b32 s6, v71, 20
	s_add_u32 s50, s30, s6
	v_readlane_b32 s6, v71, 22
	s_addc_u32 s7, s31, s6
	s_mov_b32 s6, s83
	s_mov_b32 s5, s55
	s_cmp_lg_u64 s[6:7], 0
	s_cbranch_scc0 .LBB143_276
; %bb.261:                              ;   in Loop: Header=BB143_43 Depth=1
	v_cvt_f32_u32_e32 v4, s76
	s_sub_u32 s6, 0, s76
	s_subb_u32 s48, 0, 0
	v_fmac_f32_e32 v4, 0, v55
	v_rcp_f32_e32 v4, v4
	s_nop 0
	v_mul_f32_e32 v4, 0x5f7ffffc, v4
	v_mul_f32_e32 v5, 0x2f800000, v4
	v_trunc_f32_e32 v5, v5
	v_fmac_f32_e32 v4, 0xcf800000, v5
	v_cvt_u32_f32_e32 v5, v5
	v_cvt_u32_f32_e32 v4, v4
	v_readfirstlane_b32 s49, v5
	v_readfirstlane_b32 s46, v4
	s_mul_i32 s47, s6, s49
	s_mul_hi_u32 s52, s6, s46
	s_mul_i32 s51, s48, s46
	s_add_i32 s47, s52, s47
	s_mul_i32 s53, s6, s46
	s_add_i32 s47, s47, s51
	s_mul_hi_u32 s52, s46, s53
	s_mul_i32 s54, s46, s47
	s_mul_hi_u32 s51, s46, s47
	s_add_u32 s52, s52, s54
	s_addc_u32 s51, 0, s51
	s_mul_hi_u32 s55, s49, s53
	s_mul_i32 s53, s49, s53
	s_add_u32 s52, s52, s53
	s_mul_hi_u32 s54, s49, s47
	s_addc_u32 s51, s51, s55
	s_addc_u32 s52, s54, 0
	s_mul_i32 s47, s49, s47
	s_add_u32 s47, s51, s47
	s_addc_u32 s51, 0, s52
	s_add_u32 s52, s46, s47
	s_cselect_b64 s[46:47], -1, 0
	s_cmp_lg_u64 s[46:47], 0
	s_addc_u32 s49, s49, s51
	s_mul_i32 s46, s6, s49
	s_mul_hi_u32 s47, s6, s52
	s_add_i32 s46, s47, s46
	s_mul_i32 s48, s48, s52
	s_add_i32 s46, s46, s48
	s_mul_i32 s6, s6, s52
	s_mul_hi_u32 s48, s49, s6
	s_mul_i32 s51, s49, s6
	s_mul_i32 s54, s52, s46
	s_mul_hi_u32 s6, s52, s6
	s_mul_hi_u32 s53, s52, s46
	s_add_u32 s6, s6, s54
	s_addc_u32 s53, 0, s53
	s_add_u32 s6, s6, s51
	s_mul_hi_u32 s47, s49, s46
	s_addc_u32 s6, s53, s48
	s_addc_u32 s47, s47, 0
	s_mul_i32 s46, s49, s46
	s_add_u32 s6, s6, s46
	s_addc_u32 s48, 0, s47
	s_add_u32 s6, s52, s6
	s_cselect_b64 s[46:47], -1, 0
	s_cmp_lg_u64 s[46:47], 0
	s_addc_u32 s46, s49, s48
	s_mul_i32 s48, s50, s46
	s_mul_hi_u32 s49, s50, s6
	s_mul_hi_u32 s47, s50, s46
	s_add_u32 s48, s49, s48
	s_addc_u32 s47, 0, s47
	s_mul_hi_u32 s51, s7, s6
	s_mul_i32 s6, s7, s6
	s_add_u32 s6, s48, s6
	s_mul_hi_u32 s49, s7, s46
	s_addc_u32 s6, s47, s51
	s_addc_u32 s47, s49, 0
	s_mul_i32 s46, s7, s46
	s_add_u32 s6, s6, s46
	s_addc_u32 s46, 0, s47
	s_mul_i32 s46, s76, s46
	s_mul_hi_u32 s47, s76, s6
	s_add_i32 s48, s47, s46
	s_mul_i32 s6, s76, s6
	s_sub_u32 s6, s50, s6
	s_cselect_b64 s[46:47], -1, 0
	s_cmp_lg_u64 s[46:47], 0
	s_subb_u32 s48, s7, s48
	s_sub_u32 s49, s6, s76
	s_cselect_b64 s[46:47], -1, 0
	s_cmp_lg_u64 s[46:47], 0
	s_subb_u32 s51, s48, 0
	;; [unrolled: 4-line block ×3, first 2 shown]
	s_cmp_ge_u32 s49, s76
	s_cselect_b32 s47, -1, 0
	s_cmp_eq_u32 s51, 0
	s_cselect_b32 s47, s47, -1
	s_cmp_lg_u32 s47, 0
	s_cselect_b32 s46, s46, s51
	s_cselect_b32 s49, s52, s49
	s_cmp_ge_u32 s6, s76
	s_cselect_b32 s47, -1, 0
	s_cmp_eq_u32 s48, 0
	s_cselect_b32 s47, s47, -1
	s_cmp_lg_u32 s47, 0
	s_cselect_b32 s47, s46, s48
	s_cselect_b32 s46, s49, s6
	s_cbranch_execnz .LBB143_263
.LBB143_262:                            ;   in Loop: Header=BB143_43 Depth=1
	v_cvt_f32_u32_e32 v4, s76
	s_sub_i32 s6, 0, s76
	v_rcp_iflag_f32_e32 v4, v4
	s_nop 0
	v_mul_f32_e32 v4, 0x4f7ffffe, v4
	v_cvt_u32_f32_e32 v4, v4
	s_nop 0
	v_readfirstlane_b32 s46, v4
	s_mul_i32 s6, s6, s46
	s_mul_hi_u32 s6, s46, s6
	s_add_i32 s46, s46, s6
	s_mul_hi_u32 s6, s50, s46
	s_mul_i32 s6, s6, s76
	s_sub_i32 s6, s50, s6
	s_sub_i32 s46, s6, s76
	s_cmp_ge_u32 s6, s76
	s_cselect_b32 s6, s46, s6
	s_sub_i32 s46, s6, s76
	s_cmp_ge_u32 s6, s76
	s_cselect_b32 s82, s46, s6
	s_mov_b64 s[46:47], s[82:83]
.LBB143_263:                            ;   in Loop: Header=BB143_43 Depth=1
	s_sub_u32 s50, s50, s46
	s_subb_u32 s51, s7, s47
	v_cmp_gt_u64_e32 vcc, s[50:51], v[0:1]
	s_mov_b64 s[46:47], 0
	s_mov_b64 s[6:7], 0
                                        ; implicit-def: $vgpr58
	s_and_saveexec_b64 s[48:49], vcc
	s_cbranch_execz .LBB143_272
; %bb.264:                              ;   in Loop: Header=BB143_43 Depth=1
	s_mov_b64 s[12:13], s[70:71]
	v_mov_b32_e32 v8, v47
	v_mov_b64_e32 v[4:5], v[0:1]
                                        ; implicit-def: $sgpr52_sgpr53
	s_branch .LBB143_267
.LBB143_265:                            ;   in Loop: Header=BB143_267 Depth=2
	s_or_b64 exec, exec, s[54:55]
	s_waitcnt lgkmcnt(0)
	s_barrier
	ds_read_b32 v9, v3 offset:3072
	s_mov_b64 s[54:55], -1
	s_mov_b64 s[70:71], -1
	s_waitcnt lgkmcnt(0)
	s_barrier
	v_and_b32_e32 v10, 0x7fff, v9
	v_cmp_ne_u32_e32 vcc, 0, v10
	s_cbranch_vccz .LBB143_270
.LBB143_266:                            ;   in Loop: Header=BB143_267 Depth=2
	s_and_b64 s[54:55], exec, s[54:55]
	s_or_b64 s[6:7], s[54:55], s[6:7]
	s_andn2_b64 s[52:53], s[52:53], exec
	s_and_b64 s[54:55], s[70:71], exec
	s_or_b64 s[52:53], s[52:53], s[54:55]
	s_andn2_b64 exec, exec, s[6:7]
	s_cbranch_execz .LBB143_271
.LBB143_267:                            ;   Parent Loop BB143_43 Depth=1
                                        ; =>  This Inner Loop Header: Depth=2
	v_cmp_gt_u64_e32 vcc, s[30:31], v[4:5]
	s_and_saveexec_b64 s[54:55], vcc
	s_cbranch_execz .LBB143_265
; %bb.268:                              ;   in Loop: Header=BB143_267 Depth=2
	ds_read_u16 v9, v8
	s_waitcnt lgkmcnt(0)
	v_cmp_lt_i16_e32 vcc, -1, v9
	v_lshlrev_b32_e32 v10, 16, v9
	s_nop 0
	v_cndmask_b32_e32 v11, v53, v54, vcc
	v_xor_b32_sdwa v11, v11, v9 dst_sel:DWORD dst_unused:UNUSED_PAD src0_sel:DWORD src1_sel:WORD_0
	v_cmp_o_f32_e32 vcc, v10, v10
	s_nop 1
	v_cndmask_b32_e32 v10, v53, v11, vcc
	v_and_b32_e32 v10, v10, v57
	v_cmp_eq_u32_e32 vcc, v10, v52
	s_and_b64 exec, exec, vcc
	s_cbranch_execz .LBB143_265
; %bb.269:                              ;   in Loop: Header=BB143_267 Depth=2
	s_movk_i32 s4, 0x3f80
	v_perm_b32 v9, v9, s4, v56
	ds_write_b32 v3, v9 offset:3072
	s_branch .LBB143_265
.LBB143_270:                            ;   in Loop: Header=BB143_267 Depth=2
	v_lshl_add_u64 v[4:5], v[4:5], 0, s[76:77]
	v_readlane_b32 s4, v71, 38
	v_cmp_le_u64_e32 vcc, s[50:51], v[4:5]
	s_mov_b64 s[70:71], 0
	v_add_u32_e32 v8, s4, v8
	s_orn2_b64 s[54:55], vcc, exec
	s_branch .LBB143_266
.LBB143_271:                            ;   in Loop: Header=BB143_43 Depth=1
	s_or_b64 exec, exec, s[6:7]
	v_lshrrev_b32_e32 v58, 16, v9
	s_and_b64 s[6:7], s[52:53], exec
	s_mov_b64 s[70:71], s[12:13]
.LBB143_272:                            ;   in Loop: Header=BB143_43 Depth=1
	s_or_b64 exec, exec, s[48:49]
	v_readlane_b32 s50, v71, 44
	s_mov_b32 s55, s5
	v_readlane_b32 s51, v71, 45
	v_readlane_b32 s53, v71, 48
	;; [unrolled: 1-line block ×3, first 2 shown]
.LBB143_273:                            ;   in Loop: Header=BB143_43 Depth=1
	s_and_b64 vcc, exec, s[46:47]
	s_cbranch_vccz .LBB143_290
; %bb.274:                              ;   in Loop: Header=BB143_43 Depth=1
	s_mov_b32 s54, s83
	s_cmp_lg_u64 s[54:55], 0
	s_cbranch_scc0 .LBB143_277
; %bb.275:                              ;   in Loop: Header=BB143_43 Depth=1
	v_cvt_f32_u32_e32 v4, s76
	s_sub_u32 s42, 0, s76
	s_subb_u32 s43, 0, 0
	v_readlane_b32 s4, v71, 21
	v_fmac_f32_e32 v4, 0, v55
	v_rcp_f32_e32 v4, v4
	s_nop 0
	v_mul_f32_e32 v4, 0x5f7ffffc, v4
	v_mul_f32_e32 v5, 0x2f800000, v4
	v_trunc_f32_e32 v5, v5
	v_fmac_f32_e32 v4, 0xcf800000, v5
	v_cvt_u32_f32_e32 v5, v5
	v_cvt_u32_f32_e32 v4, v4
	v_readfirstlane_b32 s44, v5
	v_readfirstlane_b32 s30, v4
	s_mul_i32 s31, s42, s44
	s_mul_hi_u32 s46, s42, s30
	s_mul_i32 s45, s43, s30
	s_add_i32 s31, s46, s31
	s_mul_i32 s47, s42, s30
	s_add_i32 s31, s31, s45
	s_mul_hi_u32 s46, s30, s47
	s_mul_i32 s48, s30, s31
	s_mul_hi_u32 s45, s30, s31
	s_add_u32 s46, s46, s48
	s_addc_u32 s45, 0, s45
	s_mul_hi_u32 s49, s44, s47
	s_mul_i32 s47, s44, s47
	s_add_u32 s46, s46, s47
	s_mul_hi_u32 s48, s44, s31
	s_addc_u32 s45, s45, s49
	s_addc_u32 s46, s48, 0
	s_mul_i32 s31, s44, s31
	s_add_u32 s31, s45, s31
	s_addc_u32 s45, 0, s46
	s_add_u32 s46, s30, s31
	s_cselect_b64 s[30:31], -1, 0
	s_cmp_lg_u64 s[30:31], 0
	s_addc_u32 s44, s44, s45
	s_mul_i32 s30, s42, s44
	s_mul_hi_u32 s31, s42, s46
	s_add_i32 s30, s31, s30
	s_mul_i32 s43, s43, s46
	s_add_i32 s30, s30, s43
	s_mul_i32 s42, s42, s46
	s_mul_hi_u32 s43, s44, s42
	s_mul_i32 s45, s44, s42
	s_mul_i32 s48, s46, s30
	s_mul_hi_u32 s42, s46, s42
	s_mul_hi_u32 s47, s46, s30
	s_add_u32 s42, s42, s48
	s_addc_u32 s47, 0, s47
	s_add_u32 s42, s42, s45
	s_mul_hi_u32 s31, s44, s30
	s_addc_u32 s42, s47, s43
	s_addc_u32 s31, s31, 0
	s_mul_i32 s30, s44, s30
	s_add_u32 s30, s42, s30
	s_addc_u32 s42, 0, s31
	s_add_u32 s43, s46, s30
	s_cselect_b64 s[30:31], -1, 0
	s_cmp_lg_u64 s[30:31], 0
	s_addc_u32 s30, s44, s42
	s_mul_i32 s42, s4, s30
	s_mul_hi_u32 s44, s4, s43
	s_mul_hi_u32 s31, s4, s30
	s_add_u32 s42, s44, s42
	s_addc_u32 s31, 0, s31
	s_mul_hi_u32 s45, s55, s43
	s_mul_i32 s43, s55, s43
	s_add_u32 s42, s42, s43
	s_mul_hi_u32 s44, s55, s30
	s_addc_u32 s31, s31, s45
	s_addc_u32 s42, s44, 0
	s_mul_i32 s30, s55, s30
	s_add_u32 s30, s31, s30
	s_addc_u32 s31, 0, s42
	s_mul_i32 s31, s76, s31
	s_mul_hi_u32 s42, s76, s30
	s_add_i32 s42, s42, s31
	s_mul_i32 s30, s76, s30
	s_sub_u32 s43, s4, s30
	s_cselect_b64 s[30:31], -1, 0
	s_cmp_lg_u64 s[30:31], 0
	s_subb_u32 s42, s55, s42
	s_sub_u32 s44, s43, s76
	s_cselect_b64 s[30:31], -1, 0
	s_cmp_lg_u64 s[30:31], 0
	s_subb_u32 s45, s42, 0
	s_sub_u32 s46, s44, s76
	s_cselect_b64 s[30:31], -1, 0
	s_cmp_lg_u64 s[30:31], 0
	s_subb_u32 s30, s45, 0
	s_cmp_ge_u32 s44, s76
	s_cselect_b32 s31, -1, 0
	s_cmp_eq_u32 s45, 0
	s_cselect_b32 s31, s31, -1
	s_cmp_lg_u32 s31, 0
	s_cselect_b32 s30, s30, s45
	s_cselect_b32 s44, s46, s44
	s_cmp_ge_u32 s43, s76
	s_cselect_b32 s31, -1, 0
	s_cmp_eq_u32 s42, 0
	s_cselect_b32 s31, s31, -1
	s_cmp_lg_u32 s31, 0
	s_cselect_b32 s31, s30, s42
	s_cselect_b32 s30, s44, s43
	s_mov_b64 s[42:43], 0
	s_branch .LBB143_278
.LBB143_276:                            ;   in Loop: Header=BB143_43 Depth=1
                                        ; implicit-def: $sgpr46_sgpr47
	s_branch .LBB143_262
.LBB143_277:                            ;   in Loop: Header=BB143_43 Depth=1
	s_mov_b64 s[42:43], -1
                                        ; implicit-def: $sgpr30_sgpr31
.LBB143_278:                            ;   in Loop: Header=BB143_43 Depth=1
	s_andn2_b64 vcc, exec, s[42:43]
	v_readlane_b32 s53, v71, 48
	v_readlane_b32 s54, v71, 49
	s_cbranch_vccnz .LBB143_280
; %bb.279:                              ;   in Loop: Header=BB143_43 Depth=1
	v_cvt_f32_u32_e32 v4, s76
	s_sub_i32 s30, 0, s76
	v_readlane_b32 s4, v71, 21
	v_rcp_iflag_f32_e32 v4, v4
	s_nop 0
	v_mul_f32_e32 v4, 0x4f7ffffe, v4
	v_cvt_u32_f32_e32 v4, v4
	s_nop 0
	v_readfirstlane_b32 s31, v4
	s_mul_i32 s30, s30, s31
	s_mul_hi_u32 s30, s31, s30
	s_add_i32 s31, s31, s30
	s_mul_hi_u32 s30, s4, s31
	s_mul_i32 s30, s30, s76
	s_sub_i32 s30, s4, s30
	s_sub_i32 s31, s30, s76
	s_cmp_ge_u32 s30, s76
	s_cselect_b32 s30, s31, s30
	s_sub_i32 s31, s30, s76
	s_cmp_ge_u32 s30, s76
	s_cselect_b32 s82, s31, s30
	s_mov_b64 s[30:31], s[82:83]
.LBB143_280:                            ;   in Loop: Header=BB143_43 Depth=1
	v_readlane_b32 s4, v71, 21
	s_sub_u32 s42, s4, s30
	s_subb_u32 s43, s55, s31
	v_cmp_gt_u64_e32 vcc, s[42:43], v[0:1]
                                        ; implicit-def: $vgpr58
	s_and_saveexec_b64 s[30:31], vcc
	s_cbranch_execz .LBB143_289
; %bb.281:                              ;   in Loop: Header=BB143_43 Depth=1
	s_mov_b64 s[44:45], 0
	v_mov_b64_e32 v[4:5], v[12:13]
	v_mov_b64_e32 v[8:9], v[0:1]
                                        ; implicit-def: $sgpr46_sgpr47
	s_branch .LBB143_284
.LBB143_282:                            ;   in Loop: Header=BB143_284 Depth=2
	s_or_b64 exec, exec, s[48:49]
	s_waitcnt lgkmcnt(0)
	s_barrier
	ds_read_b32 v10, v3 offset:3072
	s_mov_b64 s[48:49], -1
	s_mov_b64 s[50:51], -1
	s_waitcnt lgkmcnt(0)
	s_barrier
	v_and_b32_e32 v11, 0x7fff, v10
	v_cmp_eq_u32_e32 vcc, 0, v11
	s_cbranch_vccnz .LBB143_287
.LBB143_283:                            ;   in Loop: Header=BB143_284 Depth=2
	s_and_b64 s[48:49], exec, s[48:49]
	s_or_b64 s[44:45], s[48:49], s[44:45]
	s_andn2_b64 s[46:47], s[46:47], exec
	s_and_b64 s[48:49], s[50:51], exec
	s_or_b64 s[46:47], s[46:47], s[48:49]
	s_andn2_b64 exec, exec, s[44:45]
	s_cbranch_execz .LBB143_288
.LBB143_284:                            ;   Parent Loop BB143_43 Depth=1
                                        ; =>  This Inner Loop Header: Depth=2
	v_cmp_gt_u64_e32 vcc, s[56:57], v[8:9]
	s_and_saveexec_b64 s[48:49], vcc
	s_cbranch_execz .LBB143_282
; %bb.285:                              ;   in Loop: Header=BB143_284 Depth=2
	global_load_ushort v10, v[4:5], off
	s_waitcnt vmcnt(0)
	v_cmp_lt_i16_e32 vcc, -1, v10
	v_lshlrev_b32_e32 v11, 16, v10
	s_nop 0
	v_cndmask_b32_e32 v34, v53, v54, vcc
	v_xor_b32_sdwa v34, v34, v10 dst_sel:DWORD dst_unused:UNUSED_PAD src0_sel:DWORD src1_sel:WORD_0
	v_cmp_o_f32_e32 vcc, v11, v11
	s_nop 1
	v_cndmask_b32_e32 v11, v53, v34, vcc
	v_and_b32_e32 v11, v11, v57
	v_cmp_eq_u32_e32 vcc, v11, v52
	s_and_b64 exec, exec, vcc
	s_cbranch_execz .LBB143_282
; %bb.286:                              ;   in Loop: Header=BB143_284 Depth=2
	s_movk_i32 s4, 0x3f80
	v_perm_b32 v10, v10, s4, v56
	ds_write_b32 v3, v10 offset:3072
	s_branch .LBB143_282
.LBB143_287:                            ;   in Loop: Header=BB143_284 Depth=2
	v_lshl_add_u64 v[8:9], v[8:9], 0, s[76:77]
	v_readlane_b32 s4, v71, 39
	v_readlane_b32 s5, v71, 40
	v_cmp_le_u64_e32 vcc, s[42:43], v[8:9]
	s_mov_b64 s[50:51], 0
	v_lshl_add_u64 v[4:5], v[4:5], 0, s[4:5]
	s_orn2_b64 s[48:49], vcc, exec
	s_branch .LBB143_283
.LBB143_288:                            ;   in Loop: Header=BB143_43 Depth=1
	s_or_b64 exec, exec, s[44:45]
	s_andn2_b64 s[6:7], s[6:7], exec
	s_and_b64 s[42:43], s[46:47], exec
	v_readlane_b32 s50, v71, 44
	v_lshrrev_b32_e32 v58, 16, v10
	s_or_b64 s[6:7], s[6:7], s[42:43]
	v_readlane_b32 s51, v71, 45
.LBB143_289:                            ;   in Loop: Header=BB143_43 Depth=1
	s_or_b64 exec, exec, s[30:31]
	s_mov_b64 s[42:43], 0
	s_mov_b64 s[44:45], -1
.LBB143_290:                            ;   in Loop: Header=BB143_43 Depth=1
	s_orn2_b64 s[30:31], s[6:7], exec
.LBB143_291:                            ;   in Loop: Header=BB143_43 Depth=1
	s_or_b64 exec, exec, s[40:41]
	s_mov_b64 s[40:41], 0
	s_and_saveexec_b64 s[6:7], s[30:31]
	s_cbranch_execz .LBB143_302
; %bb.292:                              ;   in Loop: Header=BB143_43 Depth=1
	s_xor_b64 s[30:31], s[8:9], -1
	v_mov_b64_e32 v[4:5], 1
	v_mov_b32_e32 v2, 1
	s_and_saveexec_b64 s[8:9], s[30:31]
	s_cbranch_execz .LBB143_301
; %bb.293:                              ;   in Loop: Header=BB143_43 Depth=1
	v_cmp_ge_u64_e32 vcc, s[2:3], v[6:7]
	s_and_saveexec_b64 s[30:31], vcc
	s_xor_b64 s[30:31], exec, s[30:31]
	s_cbranch_execz .LBB143_298
; %bb.294:                              ;   in Loop: Header=BB143_43 Depth=1
	ds_read_b64 v[4:5], v3 offset:5120
	v_or_b32_e32 v52, s72, v52
	v_or_b32_e32 v57, s72, v57
	s_waitcnt lgkmcnt(0)
	v_cmp_ne_u64_e32 vcc, 0, v[4:5]
	s_cbranch_vccnz .LBB143_298
; %bb.295:                              ;   in Loop: Header=BB143_43 Depth=1
	s_mov_b64 s[40:41], exec
	v_readlane_b32 s46, v71, 12
	v_readlane_b32 s47, v71, 13
	s_and_b64 s[46:47], s[40:41], s[46:47]
	s_mov_b64 exec, s[46:47]
; %bb.296:                              ;   in Loop: Header=BB143_43 Depth=1
	v_mov_b64_e32 v[4:5], s[2:3]
	ds_write_b64 v3, v[4:5] offset:5128
; %bb.297:                              ;   in Loop: Header=BB143_43 Depth=1
	s_or_b64 exec, exec, s[40:41]
	s_waitcnt lgkmcnt(0)
	s_barrier
.LBB143_298:                            ;   in Loop: Header=BB143_43 Depth=1
	s_andn2_saveexec_b64 s[30:31], s[30:31]
; %bb.299:                              ;   in Loop: Header=BB143_43 Depth=1
	v_mov_b32_e32 v2, s3
	v_subrev_co_u32_e32 v6, vcc, s2, v6
	s_nop 1
	v_subb_co_u32_e32 v7, vcc, v7, v2, vcc
; %bb.300:                              ;   in Loop: Header=BB143_43 Depth=1
	s_or_b64 exec, exec, s[30:31]
	v_mov_b32_e32 v2, 8
	v_mov_b64_e32 v[4:5], v[6:7]
.LBB143_301:                            ;   in Loop: Header=BB143_43 Depth=1
	s_or_b64 exec, exec, s[8:9]
	s_mov_b64 s[40:41], exec
	v_mov_b64_e32 v[6:7], v[4:5]
.LBB143_302:                            ;   in Loop: Header=BB143_43 Depth=1
	s_or_b64 exec, exec, s[6:7]
	s_orn2_b64 s[6:7], s[40:41], exec
.LBB143_303:                            ;   in Loop: Header=BB143_43 Depth=1
	s_or_b64 exec, exec, s[22:23]
	s_andn2_b64 s[2:3], s[36:37], exec
	s_and_b64 s[8:9], s[44:45], exec
	s_or_b64 s[36:37], s[2:3], s[8:9]
	s_andn2_b64 s[2:3], s[34:35], exec
	s_and_b64 s[8:9], s[42:43], exec
	s_or_b64 s[34:35], s[2:3], s[8:9]
	s_and_b64 s[30:31], s[6:7], exec
	v_mov_b64_e32 v[4:5], v[6:7]
.LBB143_304:                            ;   in Loop: Header=BB143_43 Depth=1
	s_or_b64 exec, exec, s[38:39]
	s_orn2_b64 s[6:7], s[30:31], exec
.LBB143_305:                            ;   in Loop: Header=BB143_43 Depth=1
	s_or_b64 exec, exec, s[28:29]
	s_andn2_b64 s[2:3], s[24:25], exec
	s_and_b64 s[8:9], s[36:37], exec
	s_or_b64 s[24:25], s[2:3], s[8:9]
	s_andn2_b64 s[0:1], s[0:1], exec
	s_and_b64 s[2:3], s[34:35], exec
	s_or_b64 s[0:1], s[0:1], s[2:3]
	s_and_b64 s[28:29], s[6:7], exec
	v_mov_b64_e32 v[8:9], v[4:5]
.LBB143_306:                            ;   in Loop: Header=BB143_43 Depth=1
	s_or_b64 exec, exec, s[26:27]
	s_orn2_b64 s[6:7], s[28:29], exec
.LBB143_307:                            ;   in Loop: Header=BB143_43 Depth=1
	s_or_b64 exec, exec, s[20:21]
	s_mov_b64 s[8:9], 0
	s_and_saveexec_b64 s[2:3], s[6:7]
	s_xor_b64 s[2:3], exec, s[2:3]
	s_cbranch_execz .LBB143_41
; %bb.308:                              ;   in Loop: Header=BB143_43 Depth=1
	v_and_b32_e32 v2, 7, v2
	v_cmp_eq_u32_e32 vcc, 0, v2
	s_mov_b64 s[6:7], -1
	s_mov_b64 s[8:9], -1
	s_and_saveexec_b64 s[18:19], vcc
	s_cbranch_execz .LBB143_40
; %bb.309:                              ;   in Loop: Header=BB143_43 Depth=1
	v_readlane_b32 s4, v71, 41
	s_xor_b32 s4, s4, 1
	s_add_i32 s20, s91, -2
	s_cmp_eq_u32 s91, 0
	s_cselect_b64 s[6:7], -1, 0
	s_xor_b64 s[8:9], exec, -1
	s_orn2_b64 s[6:7], s[6:7], exec
	s_mov_b32 s91, s20
	v_writelane_b32 v71, s4, 41
	s_branch .LBB143_40
.LBB143_310:
	s_or_b64 exec, exec, s[74:75]
	v_readlane_b32 s0, v71, 50
	v_readlane_b32 s1, v71, 51
	s_xor_b64 s[4:5], s[10:11], -1
	s_xor_b64 s[2:3], s[12:13], -1
	s_xor_b64 s[6:7], s[0:1], -1
	s_mov_b64 s[0:1], 0
	s_and_saveexec_b64 s[8:9], s[2:3]
	s_xor_b64 s[2:3], exec, s[8:9]
	s_cbranch_execnz .LBB143_315
; %bb.311:
	s_andn2_saveexec_b64 s[2:3], s[2:3]
	s_cbranch_execnz .LBB143_328
.LBB143_312:
	s_or_b64 exec, exec, s[2:3]
	s_and_saveexec_b64 s[2:3], s[0:1]
.LBB143_313:
	; divergent unreachable
.LBB143_314:
	s_endpgm
.LBB143_315:
	s_and_saveexec_b64 s[0:1], s[4:5]
	s_xor_b64 s[4:5], exec, s[0:1]
	s_cbranch_execz .LBB143_326
; %bb.316:
	s_and_saveexec_b64 s[0:1], s[6:7]
	s_xor_b64 s[0:1], exec, s[0:1]
; %bb.317:
	v_and_b32_e32 v2, 0x8000, v52
	v_mov_b32_e32 v3, 0x8000
	v_mov_b32_e32 v4, 0xffff
	v_cmp_eq_u32_e32 vcc, 0, v2
	s_nop 1
	v_cndmask_b32_e32 v2, v3, v4, vcc
	v_xor_b32_e32 v58, v2, v52
; %bb.318:
	s_or_b64 exec, exec, s[0:1]
	v_readlane_b32 s8, v71, 0
	v_readlane_b32 s6, v71, 2
	;; [unrolled: 1-line block ×4, first 2 shown]
	s_mul_i32 s0, s6, s9
	s_mul_hi_u32 s1, s6, s8
	s_add_i32 s0, s1, s0
	s_mul_i32 s1, s7, s8
	s_add_i32 s1, s0, s1
	s_mul_i32 s0, s6, s8
	s_lshl_b64 s[0:1], s[0:1], 1
	v_readlane_b32 s6, v71, 6
	v_readlane_b32 s7, v71, 7
	s_add_u32 s6, s6, s0
	s_addc_u32 s7, s7, s1
	s_lshl_b64 s[0:1], s[58:59], 1
	s_add_u32 s0, s6, s0
	s_addc_u32 s1, s7, s1
	v_mov_b32_e32 v2, 0
	global_store_short v2, v58, s[0:1]
	s_mov_b64 s[6:7], exec
	v_readlane_b32 s0, v71, 10
	v_readlane_b32 s1, v71, 11
	s_and_b64 s[0:1], s[6:7], s[0:1]
	s_mov_b64 exec, s[0:1]
	s_cbranch_execz .LBB143_325
; %bb.319:
	v_lshlrev_b32_e32 v4, 16, v58
	v_cmp_u_f32_e32 vcc, v4, v4
	s_mov_b64 s[8:9], 0
	s_xor_b64 s[12:13], vcc, -1
                                        ; implicit-def: $sgpr10_sgpr11
                                        ; implicit-def: $sgpr16_sgpr17
                                        ; implicit-def: $sgpr14_sgpr15
	s_branch .LBB143_321
.LBB143_320:                            ;   in Loop: Header=BB143_321 Depth=1
	s_or_b64 exec, exec, s[0:1]
	s_and_b64 s[0:1], exec, s[16:17]
	s_or_b64 s[8:9], s[0:1], s[8:9]
	s_andn2_b64 s[0:1], s[10:11], exec
	s_and_b64 s[10:11], s[14:15], exec
	s_or_b64 s[10:11], s[0:1], s[10:11]
	s_andn2_b64 exec, exec, s[8:9]
	s_cbranch_execz .LBB143_323
.LBB143_321:                            ; =>This Inner Loop Header: Depth=1
	global_load_ushort v5, v[12:13], off
	v_mov_b64_e32 v[2:3], v[0:1]
	s_or_b64 s[14:15], s[14:15], exec
	s_or_b64 s[16:17], s[16:17], exec
	s_waitcnt vmcnt(0)
	v_lshlrev_b32_e32 v0, 16, v5
	v_cmp_o_f32_e64 s[0:1], v0, v0
	v_cmp_neq_f32_e32 vcc, v0, v4
	s_or_b64 s[0:1], s[12:13], s[0:1]
	s_and_b64 s[18:19], vcc, s[0:1]
                                        ; implicit-def: $vgpr0_vgpr1
	s_and_saveexec_b64 s[0:1], s[18:19]
	s_cbranch_execz .LBB143_320
; %bb.322:                              ;   in Loop: Header=BB143_321 Depth=1
	v_lshl_add_u64 v[0:1], v[2:3], 0, s[76:77]
	v_readlane_b32 s18, v71, 39
	v_readlane_b32 s19, v71, 40
	v_cmp_le_u64_e32 vcc, s[56:57], v[0:1]
	s_andn2_b64 s[16:17], s[16:17], exec
	v_lshl_add_u64 v[12:13], v[12:13], 0, s[18:19]
	s_and_b64 s[18:19], vcc, exec
	s_andn2_b64 s[14:15], s[14:15], exec
	s_or_b64 s[16:17], s[16:17], s[18:19]
	s_branch .LBB143_320
.LBB143_323:
	s_or_b64 exec, exec, s[8:9]
	s_and_saveexec_b64 s[0:1], s[10:11]
	s_xor_b64 s[0:1], exec, s[0:1]
	s_cbranch_execz .LBB143_325
; %bb.324:
	v_readlane_b32 s8, v71, 4
	v_readlane_b32 s9, v71, 5
	s_mul_i32 s0, s8, s69
	s_mul_hi_u32 s1, s8, s68
	s_add_i32 s0, s1, s0
	s_mul_i32 s1, s9, s68
	s_add_i32 s1, s0, s1
	s_mul_i32 s0, s8, s68
	s_lshl_b64 s[0:1], s[0:1], 3
	v_readlane_b32 s8, v71, 8
	v_readlane_b32 s9, v71, 9
	s_add_u32 s8, s8, s0
	s_addc_u32 s9, s9, s1
	s_lshl_b64 s[0:1], s[62:63], 3
	s_add_u32 s0, s8, s0
	s_addc_u32 s1, s9, s1
	v_mov_b32_e32 v0, 0
	global_store_dwordx2 v0, v[2:3], s[0:1]
.LBB143_325:
	s_or_b64 exec, exec, s[6:7]
.LBB143_326:
	s_or_saveexec_b64 s[0:1], s[4:5]
	s_mov_b64 s[4:5], 0
	s_xor_b64 exec, exec, s[0:1]
	s_cbranch_execnz .LBB143_329
.LBB143_327:
	s_or_b64 exec, exec, s[0:1]
	s_and_b64 s[0:1], s[4:5], exec
	s_andn2_saveexec_b64 s[2:3], s[2:3]
	s_cbranch_execz .LBB143_312
.LBB143_328:
	s_or_b64 s[0:1], s[0:1], exec
	s_trap 2
	s_or_b64 exec, exec, s[2:3]
	s_and_saveexec_b64 s[2:3], s[0:1]
	s_cbranch_execnz .LBB143_313
	s_branch .LBB143_314
.LBB143_329:
	s_mov_b64 s[4:5], exec
	s_trap 2
	s_branch .LBB143_327
	.section	.rodata,"a",@progbits
	.p2align	6, 0x0
	.amdhsa_kernel _ZN2at6native12_GLOBAL__N_112gatherMedianIN3c108BFloat16EmLin1EEEvNS_4cuda6detail10TensorInfoIT_T0_EENS7_IlS9_EENS7_IKS8_S9_EES9_S9_S9_b
		.amdhsa_group_segment_fixed_size 5152
		.amdhsa_private_segment_fixed_size 0
		.amdhsa_kernarg_size 1536
		.amdhsa_user_sgpr_count 2
		.amdhsa_user_sgpr_dispatch_ptr 0
		.amdhsa_user_sgpr_queue_ptr 0
		.amdhsa_user_sgpr_kernarg_segment_ptr 1
		.amdhsa_user_sgpr_dispatch_id 0
		.amdhsa_user_sgpr_kernarg_preload_length 0
		.amdhsa_user_sgpr_kernarg_preload_offset 0
		.amdhsa_user_sgpr_private_segment_size 0
		.amdhsa_uses_dynamic_stack 0
		.amdhsa_enable_private_segment 0
		.amdhsa_system_sgpr_workgroup_id_x 1
		.amdhsa_system_sgpr_workgroup_id_y 1
		.amdhsa_system_sgpr_workgroup_id_z 1
		.amdhsa_system_sgpr_workgroup_info 0
		.amdhsa_system_vgpr_workitem_id 0
		.amdhsa_next_free_vgpr 72
		.amdhsa_next_free_sgpr 100
		.amdhsa_accum_offset 72
		.amdhsa_reserve_vcc 1
		.amdhsa_float_round_mode_32 0
		.amdhsa_float_round_mode_16_64 0
		.amdhsa_float_denorm_mode_32 3
		.amdhsa_float_denorm_mode_16_64 3
		.amdhsa_dx10_clamp 1
		.amdhsa_ieee_mode 1
		.amdhsa_fp16_overflow 0
		.amdhsa_tg_split 0
		.amdhsa_exception_fp_ieee_invalid_op 0
		.amdhsa_exception_fp_denorm_src 0
		.amdhsa_exception_fp_ieee_div_zero 0
		.amdhsa_exception_fp_ieee_overflow 0
		.amdhsa_exception_fp_ieee_underflow 0
		.amdhsa_exception_fp_ieee_inexact 0
		.amdhsa_exception_int_div_zero 0
	.end_amdhsa_kernel
	.section	.text._ZN2at6native12_GLOBAL__N_112gatherMedianIN3c108BFloat16EmLin1EEEvNS_4cuda6detail10TensorInfoIT_T0_EENS7_IlS9_EENS7_IKS8_S9_EES9_S9_S9_b,"axG",@progbits,_ZN2at6native12_GLOBAL__N_112gatherMedianIN3c108BFloat16EmLin1EEEvNS_4cuda6detail10TensorInfoIT_T0_EENS7_IlS9_EENS7_IKS8_S9_EES9_S9_S9_b,comdat
.Lfunc_end143:
	.size	_ZN2at6native12_GLOBAL__N_112gatherMedianIN3c108BFloat16EmLin1EEEvNS_4cuda6detail10TensorInfoIT_T0_EENS7_IlS9_EENS7_IKS8_S9_EES9_S9_S9_b, .Lfunc_end143-_ZN2at6native12_GLOBAL__N_112gatherMedianIN3c108BFloat16EmLin1EEEvNS_4cuda6detail10TensorInfoIT_T0_EENS7_IlS9_EENS7_IKS8_S9_EES9_S9_S9_b
                                        ; -- End function
	.set _ZN2at6native12_GLOBAL__N_112gatherMedianIN3c108BFloat16EmLin1EEEvNS_4cuda6detail10TensorInfoIT_T0_EENS7_IlS9_EENS7_IKS8_S9_EES9_S9_S9_b.num_vgpr, 72
	.set _ZN2at6native12_GLOBAL__N_112gatherMedianIN3c108BFloat16EmLin1EEEvNS_4cuda6detail10TensorInfoIT_T0_EENS7_IlS9_EENS7_IKS8_S9_EES9_S9_S9_b.num_agpr, 0
	.set _ZN2at6native12_GLOBAL__N_112gatherMedianIN3c108BFloat16EmLin1EEEvNS_4cuda6detail10TensorInfoIT_T0_EENS7_IlS9_EENS7_IKS8_S9_EES9_S9_S9_b.numbered_sgpr, 100
	.set _ZN2at6native12_GLOBAL__N_112gatherMedianIN3c108BFloat16EmLin1EEEvNS_4cuda6detail10TensorInfoIT_T0_EENS7_IlS9_EENS7_IKS8_S9_EES9_S9_S9_b.num_named_barrier, 0
	.set _ZN2at6native12_GLOBAL__N_112gatherMedianIN3c108BFloat16EmLin1EEEvNS_4cuda6detail10TensorInfoIT_T0_EENS7_IlS9_EENS7_IKS8_S9_EES9_S9_S9_b.private_seg_size, 0
	.set _ZN2at6native12_GLOBAL__N_112gatherMedianIN3c108BFloat16EmLin1EEEvNS_4cuda6detail10TensorInfoIT_T0_EENS7_IlS9_EENS7_IKS8_S9_EES9_S9_S9_b.uses_vcc, 1
	.set _ZN2at6native12_GLOBAL__N_112gatherMedianIN3c108BFloat16EmLin1EEEvNS_4cuda6detail10TensorInfoIT_T0_EENS7_IlS9_EENS7_IKS8_S9_EES9_S9_S9_b.uses_flat_scratch, 0
	.set _ZN2at6native12_GLOBAL__N_112gatherMedianIN3c108BFloat16EmLin1EEEvNS_4cuda6detail10TensorInfoIT_T0_EENS7_IlS9_EENS7_IKS8_S9_EES9_S9_S9_b.has_dyn_sized_stack, 0
	.set _ZN2at6native12_GLOBAL__N_112gatherMedianIN3c108BFloat16EmLin1EEEvNS_4cuda6detail10TensorInfoIT_T0_EENS7_IlS9_EENS7_IKS8_S9_EES9_S9_S9_b.has_recursion, 0
	.set _ZN2at6native12_GLOBAL__N_112gatherMedianIN3c108BFloat16EmLin1EEEvNS_4cuda6detail10TensorInfoIT_T0_EENS7_IlS9_EENS7_IKS8_S9_EES9_S9_S9_b.has_indirect_call, 0
	.section	.AMDGPU.csdata,"",@progbits
; Kernel info:
; codeLenInByte = 19476
; TotalNumSgprs: 106
; NumVgprs: 72
; NumAgprs: 0
; TotalNumVgprs: 72
; ScratchSize: 0
; MemoryBound: 0
; FloatMode: 240
; IeeeMode: 1
; LDSByteSize: 5152 bytes/workgroup (compile time only)
; SGPRBlocks: 13
; VGPRBlocks: 8
; NumSGPRsForWavesPerEU: 106
; NumVGPRsForWavesPerEU: 72
; AccumOffset: 72
; Occupancy: 7
; WaveLimiterHint : 1
; COMPUTE_PGM_RSRC2:SCRATCH_EN: 0
; COMPUTE_PGM_RSRC2:USER_SGPR: 2
; COMPUTE_PGM_RSRC2:TRAP_HANDLER: 0
; COMPUTE_PGM_RSRC2:TGID_X_EN: 1
; COMPUTE_PGM_RSRC2:TGID_Y_EN: 1
; COMPUTE_PGM_RSRC2:TGID_Z_EN: 1
; COMPUTE_PGM_RSRC2:TIDIG_COMP_CNT: 0
; COMPUTE_PGM_RSRC3_GFX90A:ACCUM_OFFSET: 17
; COMPUTE_PGM_RSRC3_GFX90A:TG_SPLIT: 0
	.section	.AMDGPU.gpr_maximums,"",@progbits
	.set amdgpu.max_num_vgpr, 0
	.set amdgpu.max_num_agpr, 0
	.set amdgpu.max_num_sgpr, 0
	.section	.AMDGPU.csdata,"",@progbits
	.type	__hip_cuid_9aae9d7ead6cd413,@object ; @__hip_cuid_9aae9d7ead6cd413
	.section	.bss,"aw",@nobits
	.globl	__hip_cuid_9aae9d7ead6cd413
__hip_cuid_9aae9d7ead6cd413:
	.byte	0                               ; 0x0
	.size	__hip_cuid_9aae9d7ead6cd413, 1

	.ident	"AMD clang version 22.0.0git (https://github.com/RadeonOpenCompute/llvm-project roc-7.2.4 26084 f58b06dce1f9c15707c5f808fd002e18c2accf7e)"
	.section	".note.GNU-stack","",@progbits
	.addrsig
	.addrsig_sym __hip_cuid_9aae9d7ead6cd413
	.amdgpu_metadata
---
amdhsa.kernels:
  - .agpr_count:     0
    .args:
      - .offset:         0
        .size:           216
        .value_kind:     by_value
      - .offset:         216
        .size:           4
        .value_kind:     by_value
      - .offset:         220
        .size:           4
        .value_kind:     by_value
      - .offset:         224
        .size:           4
        .value_kind:     by_value
      - .offset:         228
        .size:           4
        .value_kind:     by_value
      - .offset:         232
        .size:           216
        .value_kind:     by_value
      - .offset:         448
        .size:           216
        .value_kind:     by_value
      - .offset:         664
        .size:           4
        .value_kind:     hidden_block_count_x
      - .offset:         668
        .size:           4
        .value_kind:     hidden_block_count_y
      - .offset:         672
        .size:           4
        .value_kind:     hidden_block_count_z
      - .offset:         676
        .size:           2
        .value_kind:     hidden_group_size_x
      - .offset:         678
        .size:           2
        .value_kind:     hidden_group_size_y
      - .offset:         680
        .size:           2
        .value_kind:     hidden_group_size_z
      - .offset:         682
        .size:           2
        .value_kind:     hidden_remainder_x
      - .offset:         684
        .size:           2
        .value_kind:     hidden_remainder_y
      - .offset:         686
        .size:           2
        .value_kind:     hidden_remainder_z
      - .offset:         704
        .size:           8
        .value_kind:     hidden_global_offset_x
      - .offset:         712
        .size:           8
        .value_kind:     hidden_global_offset_y
      - .offset:         720
        .size:           8
        .value_kind:     hidden_global_offset_z
      - .offset:         728
        .size:           2
        .value_kind:     hidden_grid_dims
    .group_segment_fixed_size: 4112
    .kernarg_segment_align: 8
    .kernarg_segment_size: 920
    .language:       OpenCL C
    .language_version:
      - 2
      - 0
    .max_flat_workgroup_size: 1024
    .name:           _ZN2at6native12_GLOBAL__N_114gatherKthValueIhiLi1EEEvNS_4cuda6detail10TensorInfoIKT_T0_EES8_S8_S8_S8_NS5_IS6_S8_EENS5_IlS8_EE
    .private_segment_fixed_size: 0
    .sgpr_count:     106
    .sgpr_spill_count: 27
    .symbol:         _ZN2at6native12_GLOBAL__N_114gatherKthValueIhiLi1EEEvNS_4cuda6detail10TensorInfoIKT_T0_EES8_S8_S8_S8_NS5_IS6_S8_EENS5_IlS8_EE.kd
    .uniform_work_group_size: 1
    .uses_dynamic_stack: false
    .vgpr_count:     51
    .vgpr_spill_count: 0
    .wavefront_size: 64
  - .agpr_count:     0
    .args:
      - .offset:         0
        .size:           216
        .value_kind:     by_value
      - .offset:         216
        .size:           4
        .value_kind:     by_value
      - .offset:         220
        .size:           4
        .value_kind:     by_value
      - .offset:         224
        .size:           4
        .value_kind:     by_value
      - .offset:         228
        .size:           4
        .value_kind:     by_value
      - .offset:         232
        .size:           216
        .value_kind:     by_value
      - .offset:         448
        .size:           216
        .value_kind:     by_value
      - .offset:         664
        .size:           4
        .value_kind:     hidden_block_count_x
      - .offset:         668
        .size:           4
        .value_kind:     hidden_block_count_y
      - .offset:         672
        .size:           4
        .value_kind:     hidden_block_count_z
      - .offset:         676
        .size:           2
        .value_kind:     hidden_group_size_x
      - .offset:         678
        .size:           2
        .value_kind:     hidden_group_size_y
      - .offset:         680
        .size:           2
        .value_kind:     hidden_group_size_z
      - .offset:         682
        .size:           2
        .value_kind:     hidden_remainder_x
      - .offset:         684
        .size:           2
        .value_kind:     hidden_remainder_y
      - .offset:         686
        .size:           2
        .value_kind:     hidden_remainder_z
      - .offset:         704
        .size:           8
        .value_kind:     hidden_global_offset_x
      - .offset:         712
        .size:           8
        .value_kind:     hidden_global_offset_y
      - .offset:         720
        .size:           8
        .value_kind:     hidden_global_offset_z
      - .offset:         728
        .size:           2
        .value_kind:     hidden_grid_dims
    .group_segment_fixed_size: 4112
    .kernarg_segment_align: 8
    .kernarg_segment_size: 920
    .language:       OpenCL C
    .language_version:
      - 2
      - 0
    .max_flat_workgroup_size: 1024
    .name:           _ZN2at6native12_GLOBAL__N_114gatherKthValueIhiLi2EEEvNS_4cuda6detail10TensorInfoIKT_T0_EES8_S8_S8_S8_NS5_IS6_S8_EENS5_IlS8_EE
    .private_segment_fixed_size: 0
    .sgpr_count:     106
    .sgpr_spill_count: 39
    .symbol:         _ZN2at6native12_GLOBAL__N_114gatherKthValueIhiLi2EEEvNS_4cuda6detail10TensorInfoIKT_T0_EES8_S8_S8_S8_NS5_IS6_S8_EENS5_IlS8_EE.kd
    .uniform_work_group_size: 1
    .uses_dynamic_stack: false
    .vgpr_count:     51
    .vgpr_spill_count: 0
    .wavefront_size: 64
  - .agpr_count:     0
    .args:
      - .offset:         0
        .size:           216
        .value_kind:     by_value
      - .offset:         216
        .size:           4
        .value_kind:     by_value
      - .offset:         220
        .size:           4
        .value_kind:     by_value
      - .offset:         224
        .size:           4
        .value_kind:     by_value
      - .offset:         228
        .size:           4
        .value_kind:     by_value
      - .offset:         232
        .size:           216
        .value_kind:     by_value
      - .offset:         448
        .size:           216
        .value_kind:     by_value
      - .offset:         664
        .size:           4
        .value_kind:     hidden_block_count_x
      - .offset:         668
        .size:           4
        .value_kind:     hidden_block_count_y
      - .offset:         672
        .size:           4
        .value_kind:     hidden_block_count_z
      - .offset:         676
        .size:           2
        .value_kind:     hidden_group_size_x
      - .offset:         678
        .size:           2
        .value_kind:     hidden_group_size_y
      - .offset:         680
        .size:           2
        .value_kind:     hidden_group_size_z
      - .offset:         682
        .size:           2
        .value_kind:     hidden_remainder_x
      - .offset:         684
        .size:           2
        .value_kind:     hidden_remainder_y
      - .offset:         686
        .size:           2
        .value_kind:     hidden_remainder_z
      - .offset:         704
        .size:           8
        .value_kind:     hidden_global_offset_x
      - .offset:         712
        .size:           8
        .value_kind:     hidden_global_offset_y
      - .offset:         720
        .size:           8
        .value_kind:     hidden_global_offset_z
      - .offset:         728
        .size:           2
        .value_kind:     hidden_grid_dims
    .group_segment_fixed_size: 4112
    .kernarg_segment_align: 8
    .kernarg_segment_size: 920
    .language:       OpenCL C
    .language_version:
      - 2
      - 0
    .max_flat_workgroup_size: 1024
    .name:           _ZN2at6native12_GLOBAL__N_114gatherKthValueIhiLi3EEEvNS_4cuda6detail10TensorInfoIKT_T0_EES8_S8_S8_S8_NS5_IS6_S8_EENS5_IlS8_EE
    .private_segment_fixed_size: 0
    .sgpr_count:     106
    .sgpr_spill_count: 47
    .symbol:         _ZN2at6native12_GLOBAL__N_114gatherKthValueIhiLi3EEEvNS_4cuda6detail10TensorInfoIKT_T0_EES8_S8_S8_S8_NS5_IS6_S8_EENS5_IlS8_EE.kd
    .uniform_work_group_size: 1
    .uses_dynamic_stack: false
    .vgpr_count:     51
    .vgpr_spill_count: 0
    .wavefront_size: 64
  - .agpr_count:     0
    .args:
      - .offset:         0
        .size:           216
        .value_kind:     by_value
      - .offset:         216
        .size:           4
        .value_kind:     by_value
      - .offset:         220
        .size:           4
        .value_kind:     by_value
      - .offset:         224
        .size:           4
        .value_kind:     by_value
      - .offset:         228
        .size:           4
        .value_kind:     by_value
      - .offset:         232
        .size:           216
        .value_kind:     by_value
      - .offset:         448
        .size:           216
        .value_kind:     by_value
      - .offset:         664
        .size:           4
        .value_kind:     hidden_block_count_x
      - .offset:         668
        .size:           4
        .value_kind:     hidden_block_count_y
      - .offset:         672
        .size:           4
        .value_kind:     hidden_block_count_z
      - .offset:         676
        .size:           2
        .value_kind:     hidden_group_size_x
      - .offset:         678
        .size:           2
        .value_kind:     hidden_group_size_y
      - .offset:         680
        .size:           2
        .value_kind:     hidden_group_size_z
      - .offset:         682
        .size:           2
        .value_kind:     hidden_remainder_x
      - .offset:         684
        .size:           2
        .value_kind:     hidden_remainder_y
      - .offset:         686
        .size:           2
        .value_kind:     hidden_remainder_z
      - .offset:         704
        .size:           8
        .value_kind:     hidden_global_offset_x
      - .offset:         712
        .size:           8
        .value_kind:     hidden_global_offset_y
      - .offset:         720
        .size:           8
        .value_kind:     hidden_global_offset_z
      - .offset:         728
        .size:           2
        .value_kind:     hidden_grid_dims
    .group_segment_fixed_size: 4112
    .kernarg_segment_align: 8
    .kernarg_segment_size: 920
    .language:       OpenCL C
    .language_version:
      - 2
      - 0
    .max_flat_workgroup_size: 1024
    .name:           _ZN2at6native12_GLOBAL__N_114gatherKthValueIhiLin1EEEvNS_4cuda6detail10TensorInfoIKT_T0_EES8_S8_S8_S8_NS5_IS6_S8_EENS5_IlS8_EE
    .private_segment_fixed_size: 0
    .sgpr_count:     106
    .sgpr_spill_count: 30
    .symbol:         _ZN2at6native12_GLOBAL__N_114gatherKthValueIhiLin1EEEvNS_4cuda6detail10TensorInfoIKT_T0_EES8_S8_S8_S8_NS5_IS6_S8_EENS5_IlS8_EE.kd
    .uniform_work_group_size: 1
    .uses_dynamic_stack: false
    .vgpr_count:     51
    .vgpr_spill_count: 0
    .wavefront_size: 64
  - .agpr_count:     0
    .args:
      - .offset:         0
        .size:           416
        .value_kind:     by_value
      - .offset:         416
        .size:           8
        .value_kind:     by_value
      - .offset:         424
        .size:           8
        .value_kind:     by_value
      - .offset:         432
        .size:           8
        .value_kind:     by_value
      - .offset:         440
        .size:           8
        .value_kind:     by_value
      - .offset:         448
        .size:           416
        .value_kind:     by_value
      - .offset:         864
        .size:           416
        .value_kind:     by_value
      - .offset:         1280
        .size:           4
        .value_kind:     hidden_block_count_x
      - .offset:         1284
        .size:           4
        .value_kind:     hidden_block_count_y
      - .offset:         1288
        .size:           4
        .value_kind:     hidden_block_count_z
      - .offset:         1292
        .size:           2
        .value_kind:     hidden_group_size_x
      - .offset:         1294
        .size:           2
        .value_kind:     hidden_group_size_y
      - .offset:         1296
        .size:           2
        .value_kind:     hidden_group_size_z
      - .offset:         1298
        .size:           2
        .value_kind:     hidden_remainder_x
      - .offset:         1300
        .size:           2
        .value_kind:     hidden_remainder_y
      - .offset:         1302
        .size:           2
        .value_kind:     hidden_remainder_z
      - .offset:         1320
        .size:           8
        .value_kind:     hidden_global_offset_x
      - .offset:         1328
        .size:           8
        .value_kind:     hidden_global_offset_y
      - .offset:         1336
        .size:           8
        .value_kind:     hidden_global_offset_z
      - .offset:         1344
        .size:           2
        .value_kind:     hidden_grid_dims
    .group_segment_fixed_size: 5144
    .kernarg_segment_align: 8
    .kernarg_segment_size: 1536
    .language:       OpenCL C
    .language_version:
      - 2
      - 0
    .max_flat_workgroup_size: 1024
    .name:           _ZN2at6native12_GLOBAL__N_114gatherKthValueIhlLi1EEEvNS_4cuda6detail10TensorInfoIKT_T0_EES8_S8_S8_S8_NS5_IS6_S8_EENS5_IlS8_EE
    .private_segment_fixed_size: 0
    .sgpr_count:     106
    .sgpr_spill_count: 44
    .symbol:         _ZN2at6native12_GLOBAL__N_114gatherKthValueIhlLi1EEEvNS_4cuda6detail10TensorInfoIKT_T0_EES8_S8_S8_S8_NS5_IS6_S8_EENS5_IlS8_EE.kd
    .uniform_work_group_size: 1
    .uses_dynamic_stack: false
    .vgpr_count:     65
    .vgpr_spill_count: 0
    .wavefront_size: 64
  - .agpr_count:     0
    .args:
      - .offset:         0
        .size:           416
        .value_kind:     by_value
      - .offset:         416
        .size:           8
        .value_kind:     by_value
      - .offset:         424
        .size:           8
        .value_kind:     by_value
      - .offset:         432
        .size:           8
        .value_kind:     by_value
      - .offset:         440
        .size:           8
        .value_kind:     by_value
      - .offset:         448
        .size:           416
        .value_kind:     by_value
      - .offset:         864
        .size:           416
        .value_kind:     by_value
      - .offset:         1280
        .size:           4
        .value_kind:     hidden_block_count_x
      - .offset:         1284
        .size:           4
        .value_kind:     hidden_block_count_y
      - .offset:         1288
        .size:           4
        .value_kind:     hidden_block_count_z
      - .offset:         1292
        .size:           2
        .value_kind:     hidden_group_size_x
      - .offset:         1294
        .size:           2
        .value_kind:     hidden_group_size_y
      - .offset:         1296
        .size:           2
        .value_kind:     hidden_group_size_z
      - .offset:         1298
        .size:           2
        .value_kind:     hidden_remainder_x
      - .offset:         1300
        .size:           2
        .value_kind:     hidden_remainder_y
      - .offset:         1302
        .size:           2
        .value_kind:     hidden_remainder_z
      - .offset:         1320
        .size:           8
        .value_kind:     hidden_global_offset_x
      - .offset:         1328
        .size:           8
        .value_kind:     hidden_global_offset_y
      - .offset:         1336
        .size:           8
        .value_kind:     hidden_global_offset_z
      - .offset:         1344
        .size:           2
        .value_kind:     hidden_grid_dims
    .group_segment_fixed_size: 5144
    .kernarg_segment_align: 8
    .kernarg_segment_size: 1536
    .language:       OpenCL C
    .language_version:
      - 2
      - 0
    .max_flat_workgroup_size: 1024
    .name:           _ZN2at6native12_GLOBAL__N_114gatherKthValueIhlLi2EEEvNS_4cuda6detail10TensorInfoIKT_T0_EES8_S8_S8_S8_NS5_IS6_S8_EENS5_IlS8_EE
    .private_segment_fixed_size: 0
    .sgpr_count:     106
    .sgpr_spill_count: 64
    .symbol:         _ZN2at6native12_GLOBAL__N_114gatherKthValueIhlLi2EEEvNS_4cuda6detail10TensorInfoIKT_T0_EES8_S8_S8_S8_NS5_IS6_S8_EENS5_IlS8_EE.kd
    .uniform_work_group_size: 1
    .uses_dynamic_stack: false
    .vgpr_count:     67
    .vgpr_spill_count: 0
    .wavefront_size: 64
  - .agpr_count:     0
    .args:
      - .offset:         0
        .size:           416
        .value_kind:     by_value
      - .offset:         416
        .size:           8
        .value_kind:     by_value
      - .offset:         424
        .size:           8
        .value_kind:     by_value
      - .offset:         432
        .size:           8
        .value_kind:     by_value
      - .offset:         440
        .size:           8
        .value_kind:     by_value
      - .offset:         448
        .size:           416
        .value_kind:     by_value
      - .offset:         864
        .size:           416
        .value_kind:     by_value
      - .offset:         1280
        .size:           4
        .value_kind:     hidden_block_count_x
      - .offset:         1284
        .size:           4
        .value_kind:     hidden_block_count_y
      - .offset:         1288
        .size:           4
        .value_kind:     hidden_block_count_z
      - .offset:         1292
        .size:           2
        .value_kind:     hidden_group_size_x
      - .offset:         1294
        .size:           2
        .value_kind:     hidden_group_size_y
      - .offset:         1296
        .size:           2
        .value_kind:     hidden_group_size_z
      - .offset:         1298
        .size:           2
        .value_kind:     hidden_remainder_x
      - .offset:         1300
        .size:           2
        .value_kind:     hidden_remainder_y
      - .offset:         1302
        .size:           2
        .value_kind:     hidden_remainder_z
      - .offset:         1320
        .size:           8
        .value_kind:     hidden_global_offset_x
      - .offset:         1328
        .size:           8
        .value_kind:     hidden_global_offset_y
      - .offset:         1336
        .size:           8
        .value_kind:     hidden_global_offset_z
      - .offset:         1344
        .size:           2
        .value_kind:     hidden_grid_dims
    .group_segment_fixed_size: 5144
    .kernarg_segment_align: 8
    .kernarg_segment_size: 1536
    .language:       OpenCL C
    .language_version:
      - 2
      - 0
    .max_flat_workgroup_size: 1024
    .name:           _ZN2at6native12_GLOBAL__N_114gatherKthValueIhlLi3EEEvNS_4cuda6detail10TensorInfoIKT_T0_EES8_S8_S8_S8_NS5_IS6_S8_EENS5_IlS8_EE
    .private_segment_fixed_size: 0
    .sgpr_count:     106
    .sgpr_spill_count: 77
    .symbol:         _ZN2at6native12_GLOBAL__N_114gatherKthValueIhlLi3EEEvNS_4cuda6detail10TensorInfoIKT_T0_EES8_S8_S8_S8_NS5_IS6_S8_EENS5_IlS8_EE.kd
    .uniform_work_group_size: 1
    .uses_dynamic_stack: false
    .vgpr_count:     68
    .vgpr_spill_count: 0
    .wavefront_size: 64
  - .agpr_count:     0
    .args:
      - .offset:         0
        .size:           416
        .value_kind:     by_value
      - .offset:         416
        .size:           8
        .value_kind:     by_value
      - .offset:         424
        .size:           8
        .value_kind:     by_value
      - .offset:         432
        .size:           8
        .value_kind:     by_value
      - .offset:         440
        .size:           8
        .value_kind:     by_value
      - .offset:         448
        .size:           416
        .value_kind:     by_value
      - .offset:         864
        .size:           416
        .value_kind:     by_value
      - .offset:         1280
        .size:           4
        .value_kind:     hidden_block_count_x
      - .offset:         1284
        .size:           4
        .value_kind:     hidden_block_count_y
      - .offset:         1288
        .size:           4
        .value_kind:     hidden_block_count_z
      - .offset:         1292
        .size:           2
        .value_kind:     hidden_group_size_x
      - .offset:         1294
        .size:           2
        .value_kind:     hidden_group_size_y
      - .offset:         1296
        .size:           2
        .value_kind:     hidden_group_size_z
      - .offset:         1298
        .size:           2
        .value_kind:     hidden_remainder_x
      - .offset:         1300
        .size:           2
        .value_kind:     hidden_remainder_y
      - .offset:         1302
        .size:           2
        .value_kind:     hidden_remainder_z
      - .offset:         1320
        .size:           8
        .value_kind:     hidden_global_offset_x
      - .offset:         1328
        .size:           8
        .value_kind:     hidden_global_offset_y
      - .offset:         1336
        .size:           8
        .value_kind:     hidden_global_offset_z
      - .offset:         1344
        .size:           2
        .value_kind:     hidden_grid_dims
    .group_segment_fixed_size: 5144
    .kernarg_segment_align: 8
    .kernarg_segment_size: 1536
    .language:       OpenCL C
    .language_version:
      - 2
      - 0
    .max_flat_workgroup_size: 1024
    .name:           _ZN2at6native12_GLOBAL__N_114gatherKthValueIhlLin1EEEvNS_4cuda6detail10TensorInfoIKT_T0_EES8_S8_S8_S8_NS5_IS6_S8_EENS5_IlS8_EE
    .private_segment_fixed_size: 0
    .sgpr_count:     106
    .sgpr_spill_count: 52
    .symbol:         _ZN2at6native12_GLOBAL__N_114gatherKthValueIhlLin1EEEvNS_4cuda6detail10TensorInfoIKT_T0_EES8_S8_S8_S8_NS5_IS6_S8_EENS5_IlS8_EE.kd
    .uniform_work_group_size: 1
    .uses_dynamic_stack: false
    .vgpr_count:     67
    .vgpr_spill_count: 0
    .wavefront_size: 64
  - .agpr_count:     0
    .args:
      - .offset:         0
        .size:           216
        .value_kind:     by_value
      - .offset:         216
        .size:           4
        .value_kind:     by_value
      - .offset:         220
        .size:           4
        .value_kind:     by_value
      - .offset:         224
        .size:           4
        .value_kind:     by_value
      - .offset:         228
        .size:           4
        .value_kind:     by_value
      - .offset:         232
        .size:           216
        .value_kind:     by_value
      - .offset:         448
        .size:           216
        .value_kind:     by_value
      - .offset:         664
        .size:           4
        .value_kind:     hidden_block_count_x
      - .offset:         668
        .size:           4
        .value_kind:     hidden_block_count_y
      - .offset:         672
        .size:           4
        .value_kind:     hidden_block_count_z
      - .offset:         676
        .size:           2
        .value_kind:     hidden_group_size_x
      - .offset:         678
        .size:           2
        .value_kind:     hidden_group_size_y
      - .offset:         680
        .size:           2
        .value_kind:     hidden_group_size_z
      - .offset:         682
        .size:           2
        .value_kind:     hidden_remainder_x
      - .offset:         684
        .size:           2
        .value_kind:     hidden_remainder_y
      - .offset:         686
        .size:           2
        .value_kind:     hidden_remainder_z
      - .offset:         704
        .size:           8
        .value_kind:     hidden_global_offset_x
      - .offset:         712
        .size:           8
        .value_kind:     hidden_global_offset_y
      - .offset:         720
        .size:           8
        .value_kind:     hidden_global_offset_z
      - .offset:         728
        .size:           2
        .value_kind:     hidden_grid_dims
    .group_segment_fixed_size: 4112
    .kernarg_segment_align: 8
    .kernarg_segment_size: 920
    .language:       OpenCL C
    .language_version:
      - 2
      - 0
    .max_flat_workgroup_size: 1024
    .name:           _ZN2at6native12_GLOBAL__N_114gatherKthValueIaiLi1EEEvNS_4cuda6detail10TensorInfoIKT_T0_EES8_S8_S8_S8_NS5_IS6_S8_EENS5_IlS8_EE
    .private_segment_fixed_size: 0
    .sgpr_count:     106
    .sgpr_spill_count: 27
    .symbol:         _ZN2at6native12_GLOBAL__N_114gatherKthValueIaiLi1EEEvNS_4cuda6detail10TensorInfoIKT_T0_EES8_S8_S8_S8_NS5_IS6_S8_EENS5_IlS8_EE.kd
    .uniform_work_group_size: 1
    .uses_dynamic_stack: false
    .vgpr_count:     51
    .vgpr_spill_count: 0
    .wavefront_size: 64
  - .agpr_count:     0
    .args:
      - .offset:         0
        .size:           216
        .value_kind:     by_value
      - .offset:         216
        .size:           4
        .value_kind:     by_value
      - .offset:         220
        .size:           4
        .value_kind:     by_value
      - .offset:         224
        .size:           4
        .value_kind:     by_value
      - .offset:         228
        .size:           4
        .value_kind:     by_value
      - .offset:         232
        .size:           216
        .value_kind:     by_value
      - .offset:         448
        .size:           216
        .value_kind:     by_value
      - .offset:         664
        .size:           4
        .value_kind:     hidden_block_count_x
      - .offset:         668
        .size:           4
        .value_kind:     hidden_block_count_y
      - .offset:         672
        .size:           4
        .value_kind:     hidden_block_count_z
      - .offset:         676
        .size:           2
        .value_kind:     hidden_group_size_x
      - .offset:         678
        .size:           2
        .value_kind:     hidden_group_size_y
      - .offset:         680
        .size:           2
        .value_kind:     hidden_group_size_z
      - .offset:         682
        .size:           2
        .value_kind:     hidden_remainder_x
      - .offset:         684
        .size:           2
        .value_kind:     hidden_remainder_y
      - .offset:         686
        .size:           2
        .value_kind:     hidden_remainder_z
      - .offset:         704
        .size:           8
        .value_kind:     hidden_global_offset_x
      - .offset:         712
        .size:           8
        .value_kind:     hidden_global_offset_y
      - .offset:         720
        .size:           8
        .value_kind:     hidden_global_offset_z
      - .offset:         728
        .size:           2
        .value_kind:     hidden_grid_dims
    .group_segment_fixed_size: 4112
    .kernarg_segment_align: 8
    .kernarg_segment_size: 920
    .language:       OpenCL C
    .language_version:
      - 2
      - 0
    .max_flat_workgroup_size: 1024
    .name:           _ZN2at6native12_GLOBAL__N_114gatherKthValueIaiLi2EEEvNS_4cuda6detail10TensorInfoIKT_T0_EES8_S8_S8_S8_NS5_IS6_S8_EENS5_IlS8_EE
    .private_segment_fixed_size: 0
    .sgpr_count:     106
    .sgpr_spill_count: 39
    .symbol:         _ZN2at6native12_GLOBAL__N_114gatherKthValueIaiLi2EEEvNS_4cuda6detail10TensorInfoIKT_T0_EES8_S8_S8_S8_NS5_IS6_S8_EENS5_IlS8_EE.kd
    .uniform_work_group_size: 1
    .uses_dynamic_stack: false
    .vgpr_count:     51
    .vgpr_spill_count: 0
    .wavefront_size: 64
  - .agpr_count:     0
    .args:
      - .offset:         0
        .size:           216
        .value_kind:     by_value
      - .offset:         216
        .size:           4
        .value_kind:     by_value
      - .offset:         220
        .size:           4
        .value_kind:     by_value
      - .offset:         224
        .size:           4
        .value_kind:     by_value
      - .offset:         228
        .size:           4
        .value_kind:     by_value
      - .offset:         232
        .size:           216
        .value_kind:     by_value
      - .offset:         448
        .size:           216
        .value_kind:     by_value
      - .offset:         664
        .size:           4
        .value_kind:     hidden_block_count_x
      - .offset:         668
        .size:           4
        .value_kind:     hidden_block_count_y
      - .offset:         672
        .size:           4
        .value_kind:     hidden_block_count_z
      - .offset:         676
        .size:           2
        .value_kind:     hidden_group_size_x
      - .offset:         678
        .size:           2
        .value_kind:     hidden_group_size_y
      - .offset:         680
        .size:           2
        .value_kind:     hidden_group_size_z
      - .offset:         682
        .size:           2
        .value_kind:     hidden_remainder_x
      - .offset:         684
        .size:           2
        .value_kind:     hidden_remainder_y
      - .offset:         686
        .size:           2
        .value_kind:     hidden_remainder_z
      - .offset:         704
        .size:           8
        .value_kind:     hidden_global_offset_x
      - .offset:         712
        .size:           8
        .value_kind:     hidden_global_offset_y
      - .offset:         720
        .size:           8
        .value_kind:     hidden_global_offset_z
      - .offset:         728
        .size:           2
        .value_kind:     hidden_grid_dims
    .group_segment_fixed_size: 4112
    .kernarg_segment_align: 8
    .kernarg_segment_size: 920
    .language:       OpenCL C
    .language_version:
      - 2
      - 0
    .max_flat_workgroup_size: 1024
    .name:           _ZN2at6native12_GLOBAL__N_114gatherKthValueIaiLi3EEEvNS_4cuda6detail10TensorInfoIKT_T0_EES8_S8_S8_S8_NS5_IS6_S8_EENS5_IlS8_EE
    .private_segment_fixed_size: 0
    .sgpr_count:     106
    .sgpr_spill_count: 47
    .symbol:         _ZN2at6native12_GLOBAL__N_114gatherKthValueIaiLi3EEEvNS_4cuda6detail10TensorInfoIKT_T0_EES8_S8_S8_S8_NS5_IS6_S8_EENS5_IlS8_EE.kd
    .uniform_work_group_size: 1
    .uses_dynamic_stack: false
    .vgpr_count:     51
    .vgpr_spill_count: 0
    .wavefront_size: 64
  - .agpr_count:     0
    .args:
      - .offset:         0
        .size:           216
        .value_kind:     by_value
      - .offset:         216
        .size:           4
        .value_kind:     by_value
      - .offset:         220
        .size:           4
        .value_kind:     by_value
      - .offset:         224
        .size:           4
        .value_kind:     by_value
      - .offset:         228
        .size:           4
        .value_kind:     by_value
      - .offset:         232
        .size:           216
        .value_kind:     by_value
      - .offset:         448
        .size:           216
        .value_kind:     by_value
      - .offset:         664
        .size:           4
        .value_kind:     hidden_block_count_x
      - .offset:         668
        .size:           4
        .value_kind:     hidden_block_count_y
      - .offset:         672
        .size:           4
        .value_kind:     hidden_block_count_z
      - .offset:         676
        .size:           2
        .value_kind:     hidden_group_size_x
      - .offset:         678
        .size:           2
        .value_kind:     hidden_group_size_y
      - .offset:         680
        .size:           2
        .value_kind:     hidden_group_size_z
      - .offset:         682
        .size:           2
        .value_kind:     hidden_remainder_x
      - .offset:         684
        .size:           2
        .value_kind:     hidden_remainder_y
      - .offset:         686
        .size:           2
        .value_kind:     hidden_remainder_z
      - .offset:         704
        .size:           8
        .value_kind:     hidden_global_offset_x
      - .offset:         712
        .size:           8
        .value_kind:     hidden_global_offset_y
      - .offset:         720
        .size:           8
        .value_kind:     hidden_global_offset_z
      - .offset:         728
        .size:           2
        .value_kind:     hidden_grid_dims
    .group_segment_fixed_size: 4112
    .kernarg_segment_align: 8
    .kernarg_segment_size: 920
    .language:       OpenCL C
    .language_version:
      - 2
      - 0
    .max_flat_workgroup_size: 1024
    .name:           _ZN2at6native12_GLOBAL__N_114gatherKthValueIaiLin1EEEvNS_4cuda6detail10TensorInfoIKT_T0_EES8_S8_S8_S8_NS5_IS6_S8_EENS5_IlS8_EE
    .private_segment_fixed_size: 0
    .sgpr_count:     106
    .sgpr_spill_count: 30
    .symbol:         _ZN2at6native12_GLOBAL__N_114gatherKthValueIaiLin1EEEvNS_4cuda6detail10TensorInfoIKT_T0_EES8_S8_S8_S8_NS5_IS6_S8_EENS5_IlS8_EE.kd
    .uniform_work_group_size: 1
    .uses_dynamic_stack: false
    .vgpr_count:     51
    .vgpr_spill_count: 0
    .wavefront_size: 64
  - .agpr_count:     0
    .args:
      - .offset:         0
        .size:           416
        .value_kind:     by_value
      - .offset:         416
        .size:           8
        .value_kind:     by_value
      - .offset:         424
        .size:           8
        .value_kind:     by_value
      - .offset:         432
        .size:           8
        .value_kind:     by_value
      - .offset:         440
        .size:           8
        .value_kind:     by_value
      - .offset:         448
        .size:           416
        .value_kind:     by_value
      - .offset:         864
        .size:           416
        .value_kind:     by_value
      - .offset:         1280
        .size:           4
        .value_kind:     hidden_block_count_x
      - .offset:         1284
        .size:           4
        .value_kind:     hidden_block_count_y
      - .offset:         1288
        .size:           4
        .value_kind:     hidden_block_count_z
      - .offset:         1292
        .size:           2
        .value_kind:     hidden_group_size_x
      - .offset:         1294
        .size:           2
        .value_kind:     hidden_group_size_y
      - .offset:         1296
        .size:           2
        .value_kind:     hidden_group_size_z
      - .offset:         1298
        .size:           2
        .value_kind:     hidden_remainder_x
      - .offset:         1300
        .size:           2
        .value_kind:     hidden_remainder_y
      - .offset:         1302
        .size:           2
        .value_kind:     hidden_remainder_z
      - .offset:         1320
        .size:           8
        .value_kind:     hidden_global_offset_x
      - .offset:         1328
        .size:           8
        .value_kind:     hidden_global_offset_y
      - .offset:         1336
        .size:           8
        .value_kind:     hidden_global_offset_z
      - .offset:         1344
        .size:           2
        .value_kind:     hidden_grid_dims
    .group_segment_fixed_size: 5144
    .kernarg_segment_align: 8
    .kernarg_segment_size: 1536
    .language:       OpenCL C
    .language_version:
      - 2
      - 0
    .max_flat_workgroup_size: 1024
    .name:           _ZN2at6native12_GLOBAL__N_114gatherKthValueIalLi1EEEvNS_4cuda6detail10TensorInfoIKT_T0_EES8_S8_S8_S8_NS5_IS6_S8_EENS5_IlS8_EE
    .private_segment_fixed_size: 0
    .sgpr_count:     106
    .sgpr_spill_count: 44
    .symbol:         _ZN2at6native12_GLOBAL__N_114gatherKthValueIalLi1EEEvNS_4cuda6detail10TensorInfoIKT_T0_EES8_S8_S8_S8_NS5_IS6_S8_EENS5_IlS8_EE.kd
    .uniform_work_group_size: 1
    .uses_dynamic_stack: false
    .vgpr_count:     65
    .vgpr_spill_count: 0
    .wavefront_size: 64
  - .agpr_count:     0
    .args:
      - .offset:         0
        .size:           416
        .value_kind:     by_value
      - .offset:         416
        .size:           8
        .value_kind:     by_value
      - .offset:         424
        .size:           8
        .value_kind:     by_value
      - .offset:         432
        .size:           8
        .value_kind:     by_value
      - .offset:         440
        .size:           8
        .value_kind:     by_value
      - .offset:         448
        .size:           416
        .value_kind:     by_value
      - .offset:         864
        .size:           416
        .value_kind:     by_value
      - .offset:         1280
        .size:           4
        .value_kind:     hidden_block_count_x
      - .offset:         1284
        .size:           4
        .value_kind:     hidden_block_count_y
      - .offset:         1288
        .size:           4
        .value_kind:     hidden_block_count_z
      - .offset:         1292
        .size:           2
        .value_kind:     hidden_group_size_x
      - .offset:         1294
        .size:           2
        .value_kind:     hidden_group_size_y
      - .offset:         1296
        .size:           2
        .value_kind:     hidden_group_size_z
      - .offset:         1298
        .size:           2
        .value_kind:     hidden_remainder_x
      - .offset:         1300
        .size:           2
        .value_kind:     hidden_remainder_y
      - .offset:         1302
        .size:           2
        .value_kind:     hidden_remainder_z
      - .offset:         1320
        .size:           8
        .value_kind:     hidden_global_offset_x
      - .offset:         1328
        .size:           8
        .value_kind:     hidden_global_offset_y
      - .offset:         1336
        .size:           8
        .value_kind:     hidden_global_offset_z
      - .offset:         1344
        .size:           2
        .value_kind:     hidden_grid_dims
    .group_segment_fixed_size: 5144
    .kernarg_segment_align: 8
    .kernarg_segment_size: 1536
    .language:       OpenCL C
    .language_version:
      - 2
      - 0
    .max_flat_workgroup_size: 1024
    .name:           _ZN2at6native12_GLOBAL__N_114gatherKthValueIalLi2EEEvNS_4cuda6detail10TensorInfoIKT_T0_EES8_S8_S8_S8_NS5_IS6_S8_EENS5_IlS8_EE
    .private_segment_fixed_size: 0
    .sgpr_count:     106
    .sgpr_spill_count: 64
    .symbol:         _ZN2at6native12_GLOBAL__N_114gatherKthValueIalLi2EEEvNS_4cuda6detail10TensorInfoIKT_T0_EES8_S8_S8_S8_NS5_IS6_S8_EENS5_IlS8_EE.kd
    .uniform_work_group_size: 1
    .uses_dynamic_stack: false
    .vgpr_count:     67
    .vgpr_spill_count: 0
    .wavefront_size: 64
  - .agpr_count:     0
    .args:
      - .offset:         0
        .size:           416
        .value_kind:     by_value
      - .offset:         416
        .size:           8
        .value_kind:     by_value
      - .offset:         424
        .size:           8
        .value_kind:     by_value
      - .offset:         432
        .size:           8
        .value_kind:     by_value
      - .offset:         440
        .size:           8
        .value_kind:     by_value
      - .offset:         448
        .size:           416
        .value_kind:     by_value
      - .offset:         864
        .size:           416
        .value_kind:     by_value
      - .offset:         1280
        .size:           4
        .value_kind:     hidden_block_count_x
      - .offset:         1284
        .size:           4
        .value_kind:     hidden_block_count_y
      - .offset:         1288
        .size:           4
        .value_kind:     hidden_block_count_z
      - .offset:         1292
        .size:           2
        .value_kind:     hidden_group_size_x
      - .offset:         1294
        .size:           2
        .value_kind:     hidden_group_size_y
      - .offset:         1296
        .size:           2
        .value_kind:     hidden_group_size_z
      - .offset:         1298
        .size:           2
        .value_kind:     hidden_remainder_x
      - .offset:         1300
        .size:           2
        .value_kind:     hidden_remainder_y
      - .offset:         1302
        .size:           2
        .value_kind:     hidden_remainder_z
      - .offset:         1320
        .size:           8
        .value_kind:     hidden_global_offset_x
      - .offset:         1328
        .size:           8
        .value_kind:     hidden_global_offset_y
      - .offset:         1336
        .size:           8
        .value_kind:     hidden_global_offset_z
      - .offset:         1344
        .size:           2
        .value_kind:     hidden_grid_dims
    .group_segment_fixed_size: 5144
    .kernarg_segment_align: 8
    .kernarg_segment_size: 1536
    .language:       OpenCL C
    .language_version:
      - 2
      - 0
    .max_flat_workgroup_size: 1024
    .name:           _ZN2at6native12_GLOBAL__N_114gatherKthValueIalLi3EEEvNS_4cuda6detail10TensorInfoIKT_T0_EES8_S8_S8_S8_NS5_IS6_S8_EENS5_IlS8_EE
    .private_segment_fixed_size: 0
    .sgpr_count:     106
    .sgpr_spill_count: 77
    .symbol:         _ZN2at6native12_GLOBAL__N_114gatherKthValueIalLi3EEEvNS_4cuda6detail10TensorInfoIKT_T0_EES8_S8_S8_S8_NS5_IS6_S8_EENS5_IlS8_EE.kd
    .uniform_work_group_size: 1
    .uses_dynamic_stack: false
    .vgpr_count:     68
    .vgpr_spill_count: 0
    .wavefront_size: 64
  - .agpr_count:     0
    .args:
      - .offset:         0
        .size:           416
        .value_kind:     by_value
      - .offset:         416
        .size:           8
        .value_kind:     by_value
      - .offset:         424
        .size:           8
        .value_kind:     by_value
      - .offset:         432
        .size:           8
        .value_kind:     by_value
      - .offset:         440
        .size:           8
        .value_kind:     by_value
      - .offset:         448
        .size:           416
        .value_kind:     by_value
      - .offset:         864
        .size:           416
        .value_kind:     by_value
      - .offset:         1280
        .size:           4
        .value_kind:     hidden_block_count_x
      - .offset:         1284
        .size:           4
        .value_kind:     hidden_block_count_y
      - .offset:         1288
        .size:           4
        .value_kind:     hidden_block_count_z
      - .offset:         1292
        .size:           2
        .value_kind:     hidden_group_size_x
      - .offset:         1294
        .size:           2
        .value_kind:     hidden_group_size_y
      - .offset:         1296
        .size:           2
        .value_kind:     hidden_group_size_z
      - .offset:         1298
        .size:           2
        .value_kind:     hidden_remainder_x
      - .offset:         1300
        .size:           2
        .value_kind:     hidden_remainder_y
      - .offset:         1302
        .size:           2
        .value_kind:     hidden_remainder_z
      - .offset:         1320
        .size:           8
        .value_kind:     hidden_global_offset_x
      - .offset:         1328
        .size:           8
        .value_kind:     hidden_global_offset_y
      - .offset:         1336
        .size:           8
        .value_kind:     hidden_global_offset_z
      - .offset:         1344
        .size:           2
        .value_kind:     hidden_grid_dims
    .group_segment_fixed_size: 5144
    .kernarg_segment_align: 8
    .kernarg_segment_size: 1536
    .language:       OpenCL C
    .language_version:
      - 2
      - 0
    .max_flat_workgroup_size: 1024
    .name:           _ZN2at6native12_GLOBAL__N_114gatherKthValueIalLin1EEEvNS_4cuda6detail10TensorInfoIKT_T0_EES8_S8_S8_S8_NS5_IS6_S8_EENS5_IlS8_EE
    .private_segment_fixed_size: 0
    .sgpr_count:     106
    .sgpr_spill_count: 54
    .symbol:         _ZN2at6native12_GLOBAL__N_114gatherKthValueIalLin1EEEvNS_4cuda6detail10TensorInfoIKT_T0_EES8_S8_S8_S8_NS5_IS6_S8_EENS5_IlS8_EE.kd
    .uniform_work_group_size: 1
    .uses_dynamic_stack: false
    .vgpr_count:     67
    .vgpr_spill_count: 0
    .wavefront_size: 64
  - .agpr_count:     0
    .args:
      - .offset:         0
        .size:           216
        .value_kind:     by_value
      - .offset:         216
        .size:           4
        .value_kind:     by_value
      - .offset:         220
        .size:           4
        .value_kind:     by_value
      - .offset:         224
        .size:           4
        .value_kind:     by_value
      - .offset:         228
        .size:           4
        .value_kind:     by_value
      - .offset:         232
        .size:           216
        .value_kind:     by_value
      - .offset:         448
        .size:           216
        .value_kind:     by_value
      - .offset:         664
        .size:           4
        .value_kind:     hidden_block_count_x
      - .offset:         668
        .size:           4
        .value_kind:     hidden_block_count_y
      - .offset:         672
        .size:           4
        .value_kind:     hidden_block_count_z
      - .offset:         676
        .size:           2
        .value_kind:     hidden_group_size_x
      - .offset:         678
        .size:           2
        .value_kind:     hidden_group_size_y
      - .offset:         680
        .size:           2
        .value_kind:     hidden_group_size_z
      - .offset:         682
        .size:           2
        .value_kind:     hidden_remainder_x
      - .offset:         684
        .size:           2
        .value_kind:     hidden_remainder_y
      - .offset:         686
        .size:           2
        .value_kind:     hidden_remainder_z
      - .offset:         704
        .size:           8
        .value_kind:     hidden_global_offset_x
      - .offset:         712
        .size:           8
        .value_kind:     hidden_global_offset_y
      - .offset:         720
        .size:           8
        .value_kind:     hidden_global_offset_z
      - .offset:         728
        .size:           2
        .value_kind:     hidden_grid_dims
    .group_segment_fixed_size: 4112
    .kernarg_segment_align: 8
    .kernarg_segment_size: 920
    .language:       OpenCL C
    .language_version:
      - 2
      - 0
    .max_flat_workgroup_size: 1024
    .name:           _ZN2at6native12_GLOBAL__N_114gatherKthValueIiiLi1EEEvNS_4cuda6detail10TensorInfoIKT_T0_EES8_S8_S8_S8_NS5_IS6_S8_EENS5_IlS8_EE
    .private_segment_fixed_size: 0
    .sgpr_count:     106
    .sgpr_spill_count: 29
    .symbol:         _ZN2at6native12_GLOBAL__N_114gatherKthValueIiiLi1EEEvNS_4cuda6detail10TensorInfoIKT_T0_EES8_S8_S8_S8_NS5_IS6_S8_EENS5_IlS8_EE.kd
    .uniform_work_group_size: 1
    .uses_dynamic_stack: false
    .vgpr_count:     57
    .vgpr_spill_count: 0
    .wavefront_size: 64
  - .agpr_count:     0
    .args:
      - .offset:         0
        .size:           216
        .value_kind:     by_value
      - .offset:         216
        .size:           4
        .value_kind:     by_value
      - .offset:         220
        .size:           4
        .value_kind:     by_value
      - .offset:         224
        .size:           4
        .value_kind:     by_value
      - .offset:         228
        .size:           4
        .value_kind:     by_value
      - .offset:         232
        .size:           216
        .value_kind:     by_value
      - .offset:         448
        .size:           216
        .value_kind:     by_value
      - .offset:         664
        .size:           4
        .value_kind:     hidden_block_count_x
      - .offset:         668
        .size:           4
        .value_kind:     hidden_block_count_y
      - .offset:         672
        .size:           4
        .value_kind:     hidden_block_count_z
      - .offset:         676
        .size:           2
        .value_kind:     hidden_group_size_x
      - .offset:         678
        .size:           2
        .value_kind:     hidden_group_size_y
      - .offset:         680
        .size:           2
        .value_kind:     hidden_group_size_z
      - .offset:         682
        .size:           2
        .value_kind:     hidden_remainder_x
      - .offset:         684
        .size:           2
        .value_kind:     hidden_remainder_y
      - .offset:         686
        .size:           2
        .value_kind:     hidden_remainder_z
      - .offset:         704
        .size:           8
        .value_kind:     hidden_global_offset_x
      - .offset:         712
        .size:           8
        .value_kind:     hidden_global_offset_y
      - .offset:         720
        .size:           8
        .value_kind:     hidden_global_offset_z
      - .offset:         728
        .size:           2
        .value_kind:     hidden_grid_dims
    .group_segment_fixed_size: 4112
    .kernarg_segment_align: 8
    .kernarg_segment_size: 920
    .language:       OpenCL C
    .language_version:
      - 2
      - 0
    .max_flat_workgroup_size: 1024
    .name:           _ZN2at6native12_GLOBAL__N_114gatherKthValueIiiLi2EEEvNS_4cuda6detail10TensorInfoIKT_T0_EES8_S8_S8_S8_NS5_IS6_S8_EENS5_IlS8_EE
    .private_segment_fixed_size: 0
    .sgpr_count:     106
    .sgpr_spill_count: 41
    .symbol:         _ZN2at6native12_GLOBAL__N_114gatherKthValueIiiLi2EEEvNS_4cuda6detail10TensorInfoIKT_T0_EES8_S8_S8_S8_NS5_IS6_S8_EENS5_IlS8_EE.kd
    .uniform_work_group_size: 1
    .uses_dynamic_stack: false
    .vgpr_count:     57
    .vgpr_spill_count: 0
    .wavefront_size: 64
  - .agpr_count:     0
    .args:
      - .offset:         0
        .size:           216
        .value_kind:     by_value
      - .offset:         216
        .size:           4
        .value_kind:     by_value
      - .offset:         220
        .size:           4
        .value_kind:     by_value
      - .offset:         224
        .size:           4
        .value_kind:     by_value
      - .offset:         228
        .size:           4
        .value_kind:     by_value
      - .offset:         232
        .size:           216
        .value_kind:     by_value
      - .offset:         448
        .size:           216
        .value_kind:     by_value
      - .offset:         664
        .size:           4
        .value_kind:     hidden_block_count_x
      - .offset:         668
        .size:           4
        .value_kind:     hidden_block_count_y
      - .offset:         672
        .size:           4
        .value_kind:     hidden_block_count_z
      - .offset:         676
        .size:           2
        .value_kind:     hidden_group_size_x
      - .offset:         678
        .size:           2
        .value_kind:     hidden_group_size_y
      - .offset:         680
        .size:           2
        .value_kind:     hidden_group_size_z
      - .offset:         682
        .size:           2
        .value_kind:     hidden_remainder_x
      - .offset:         684
        .size:           2
        .value_kind:     hidden_remainder_y
      - .offset:         686
        .size:           2
        .value_kind:     hidden_remainder_z
      - .offset:         704
        .size:           8
        .value_kind:     hidden_global_offset_x
      - .offset:         712
        .size:           8
        .value_kind:     hidden_global_offset_y
      - .offset:         720
        .size:           8
        .value_kind:     hidden_global_offset_z
      - .offset:         728
        .size:           2
        .value_kind:     hidden_grid_dims
    .group_segment_fixed_size: 4112
    .kernarg_segment_align: 8
    .kernarg_segment_size: 920
    .language:       OpenCL C
    .language_version:
      - 2
      - 0
    .max_flat_workgroup_size: 1024
    .name:           _ZN2at6native12_GLOBAL__N_114gatherKthValueIiiLi3EEEvNS_4cuda6detail10TensorInfoIKT_T0_EES8_S8_S8_S8_NS5_IS6_S8_EENS5_IlS8_EE
    .private_segment_fixed_size: 0
    .sgpr_count:     106
    .sgpr_spill_count: 47
    .symbol:         _ZN2at6native12_GLOBAL__N_114gatherKthValueIiiLi3EEEvNS_4cuda6detail10TensorInfoIKT_T0_EES8_S8_S8_S8_NS5_IS6_S8_EENS5_IlS8_EE.kd
    .uniform_work_group_size: 1
    .uses_dynamic_stack: false
    .vgpr_count:     57
    .vgpr_spill_count: 0
    .wavefront_size: 64
  - .agpr_count:     0
    .args:
      - .offset:         0
        .size:           216
        .value_kind:     by_value
      - .offset:         216
        .size:           4
        .value_kind:     by_value
      - .offset:         220
        .size:           4
        .value_kind:     by_value
      - .offset:         224
        .size:           4
        .value_kind:     by_value
      - .offset:         228
        .size:           4
        .value_kind:     by_value
      - .offset:         232
        .size:           216
        .value_kind:     by_value
      - .offset:         448
        .size:           216
        .value_kind:     by_value
      - .offset:         664
        .size:           4
        .value_kind:     hidden_block_count_x
      - .offset:         668
        .size:           4
        .value_kind:     hidden_block_count_y
      - .offset:         672
        .size:           4
        .value_kind:     hidden_block_count_z
      - .offset:         676
        .size:           2
        .value_kind:     hidden_group_size_x
      - .offset:         678
        .size:           2
        .value_kind:     hidden_group_size_y
      - .offset:         680
        .size:           2
        .value_kind:     hidden_group_size_z
      - .offset:         682
        .size:           2
        .value_kind:     hidden_remainder_x
      - .offset:         684
        .size:           2
        .value_kind:     hidden_remainder_y
      - .offset:         686
        .size:           2
        .value_kind:     hidden_remainder_z
      - .offset:         704
        .size:           8
        .value_kind:     hidden_global_offset_x
      - .offset:         712
        .size:           8
        .value_kind:     hidden_global_offset_y
      - .offset:         720
        .size:           8
        .value_kind:     hidden_global_offset_z
      - .offset:         728
        .size:           2
        .value_kind:     hidden_grid_dims
    .group_segment_fixed_size: 4112
    .kernarg_segment_align: 8
    .kernarg_segment_size: 920
    .language:       OpenCL C
    .language_version:
      - 2
      - 0
    .max_flat_workgroup_size: 1024
    .name:           _ZN2at6native12_GLOBAL__N_114gatherKthValueIiiLin1EEEvNS_4cuda6detail10TensorInfoIKT_T0_EES8_S8_S8_S8_NS5_IS6_S8_EENS5_IlS8_EE
    .private_segment_fixed_size: 0
    .sgpr_count:     106
    .sgpr_spill_count: 32
    .symbol:         _ZN2at6native12_GLOBAL__N_114gatherKthValueIiiLin1EEEvNS_4cuda6detail10TensorInfoIKT_T0_EES8_S8_S8_S8_NS5_IS6_S8_EENS5_IlS8_EE.kd
    .uniform_work_group_size: 1
    .uses_dynamic_stack: false
    .vgpr_count:     57
    .vgpr_spill_count: 0
    .wavefront_size: 64
  - .agpr_count:     0
    .args:
      - .offset:         0
        .size:           416
        .value_kind:     by_value
      - .offset:         416
        .size:           8
        .value_kind:     by_value
      - .offset:         424
        .size:           8
        .value_kind:     by_value
      - .offset:         432
        .size:           8
        .value_kind:     by_value
      - .offset:         440
        .size:           8
        .value_kind:     by_value
      - .offset:         448
        .size:           416
        .value_kind:     by_value
      - .offset:         864
        .size:           416
        .value_kind:     by_value
      - .offset:         1280
        .size:           4
        .value_kind:     hidden_block_count_x
      - .offset:         1284
        .size:           4
        .value_kind:     hidden_block_count_y
      - .offset:         1288
        .size:           4
        .value_kind:     hidden_block_count_z
      - .offset:         1292
        .size:           2
        .value_kind:     hidden_group_size_x
      - .offset:         1294
        .size:           2
        .value_kind:     hidden_group_size_y
      - .offset:         1296
        .size:           2
        .value_kind:     hidden_group_size_z
      - .offset:         1298
        .size:           2
        .value_kind:     hidden_remainder_x
      - .offset:         1300
        .size:           2
        .value_kind:     hidden_remainder_y
      - .offset:         1302
        .size:           2
        .value_kind:     hidden_remainder_z
      - .offset:         1320
        .size:           8
        .value_kind:     hidden_global_offset_x
      - .offset:         1328
        .size:           8
        .value_kind:     hidden_global_offset_y
      - .offset:         1336
        .size:           8
        .value_kind:     hidden_global_offset_z
      - .offset:         1344
        .size:           2
        .value_kind:     hidden_grid_dims
    .group_segment_fixed_size: 5144
    .kernarg_segment_align: 8
    .kernarg_segment_size: 1536
    .language:       OpenCL C
    .language_version:
      - 2
      - 0
    .max_flat_workgroup_size: 1024
    .name:           _ZN2at6native12_GLOBAL__N_114gatherKthValueIilLi1EEEvNS_4cuda6detail10TensorInfoIKT_T0_EES8_S8_S8_S8_NS5_IS6_S8_EENS5_IlS8_EE
    .private_segment_fixed_size: 0
    .sgpr_count:     106
    .sgpr_spill_count: 43
    .symbol:         _ZN2at6native12_GLOBAL__N_114gatherKthValueIilLi1EEEvNS_4cuda6detail10TensorInfoIKT_T0_EES8_S8_S8_S8_NS5_IS6_S8_EENS5_IlS8_EE.kd
    .uniform_work_group_size: 1
    .uses_dynamic_stack: false
    .vgpr_count:     63
    .vgpr_spill_count: 0
    .wavefront_size: 64
  - .agpr_count:     0
    .args:
      - .offset:         0
        .size:           416
        .value_kind:     by_value
      - .offset:         416
        .size:           8
        .value_kind:     by_value
      - .offset:         424
        .size:           8
        .value_kind:     by_value
      - .offset:         432
        .size:           8
        .value_kind:     by_value
      - .offset:         440
        .size:           8
        .value_kind:     by_value
      - .offset:         448
        .size:           416
        .value_kind:     by_value
      - .offset:         864
        .size:           416
        .value_kind:     by_value
      - .offset:         1280
        .size:           4
        .value_kind:     hidden_block_count_x
      - .offset:         1284
        .size:           4
        .value_kind:     hidden_block_count_y
      - .offset:         1288
        .size:           4
        .value_kind:     hidden_block_count_z
      - .offset:         1292
        .size:           2
        .value_kind:     hidden_group_size_x
      - .offset:         1294
        .size:           2
        .value_kind:     hidden_group_size_y
      - .offset:         1296
        .size:           2
        .value_kind:     hidden_group_size_z
      - .offset:         1298
        .size:           2
        .value_kind:     hidden_remainder_x
      - .offset:         1300
        .size:           2
        .value_kind:     hidden_remainder_y
      - .offset:         1302
        .size:           2
        .value_kind:     hidden_remainder_z
      - .offset:         1320
        .size:           8
        .value_kind:     hidden_global_offset_x
      - .offset:         1328
        .size:           8
        .value_kind:     hidden_global_offset_y
      - .offset:         1336
        .size:           8
        .value_kind:     hidden_global_offset_z
      - .offset:         1344
        .size:           2
        .value_kind:     hidden_grid_dims
    .group_segment_fixed_size: 5144
    .kernarg_segment_align: 8
    .kernarg_segment_size: 1536
    .language:       OpenCL C
    .language_version:
      - 2
      - 0
    .max_flat_workgroup_size: 1024
    .name:           _ZN2at6native12_GLOBAL__N_114gatherKthValueIilLi2EEEvNS_4cuda6detail10TensorInfoIKT_T0_EES8_S8_S8_S8_NS5_IS6_S8_EENS5_IlS8_EE
    .private_segment_fixed_size: 0
    .sgpr_count:     106
    .sgpr_spill_count: 59
    .symbol:         _ZN2at6native12_GLOBAL__N_114gatherKthValueIilLi2EEEvNS_4cuda6detail10TensorInfoIKT_T0_EES8_S8_S8_S8_NS5_IS6_S8_EENS5_IlS8_EE.kd
    .uniform_work_group_size: 1
    .uses_dynamic_stack: false
    .vgpr_count:     65
    .vgpr_spill_count: 0
    .wavefront_size: 64
  - .agpr_count:     0
    .args:
      - .offset:         0
        .size:           416
        .value_kind:     by_value
      - .offset:         416
        .size:           8
        .value_kind:     by_value
      - .offset:         424
        .size:           8
        .value_kind:     by_value
      - .offset:         432
        .size:           8
        .value_kind:     by_value
      - .offset:         440
        .size:           8
        .value_kind:     by_value
      - .offset:         448
        .size:           416
        .value_kind:     by_value
      - .offset:         864
        .size:           416
        .value_kind:     by_value
      - .offset:         1280
        .size:           4
        .value_kind:     hidden_block_count_x
      - .offset:         1284
        .size:           4
        .value_kind:     hidden_block_count_y
      - .offset:         1288
        .size:           4
        .value_kind:     hidden_block_count_z
      - .offset:         1292
        .size:           2
        .value_kind:     hidden_group_size_x
      - .offset:         1294
        .size:           2
        .value_kind:     hidden_group_size_y
      - .offset:         1296
        .size:           2
        .value_kind:     hidden_group_size_z
      - .offset:         1298
        .size:           2
        .value_kind:     hidden_remainder_x
      - .offset:         1300
        .size:           2
        .value_kind:     hidden_remainder_y
      - .offset:         1302
        .size:           2
        .value_kind:     hidden_remainder_z
      - .offset:         1320
        .size:           8
        .value_kind:     hidden_global_offset_x
      - .offset:         1328
        .size:           8
        .value_kind:     hidden_global_offset_y
      - .offset:         1336
        .size:           8
        .value_kind:     hidden_global_offset_z
      - .offset:         1344
        .size:           2
        .value_kind:     hidden_grid_dims
    .group_segment_fixed_size: 5144
    .kernarg_segment_align: 8
    .kernarg_segment_size: 1536
    .language:       OpenCL C
    .language_version:
      - 2
      - 0
    .max_flat_workgroup_size: 1024
    .name:           _ZN2at6native12_GLOBAL__N_114gatherKthValueIilLi3EEEvNS_4cuda6detail10TensorInfoIKT_T0_EES8_S8_S8_S8_NS5_IS6_S8_EENS5_IlS8_EE
    .private_segment_fixed_size: 0
    .sgpr_count:     106
    .sgpr_spill_count: 71
    .symbol:         _ZN2at6native12_GLOBAL__N_114gatherKthValueIilLi3EEEvNS_4cuda6detail10TensorInfoIKT_T0_EES8_S8_S8_S8_NS5_IS6_S8_EENS5_IlS8_EE.kd
    .uniform_work_group_size: 1
    .uses_dynamic_stack: false
    .vgpr_count:     66
    .vgpr_spill_count: 0
    .wavefront_size: 64
  - .agpr_count:     0
    .args:
      - .offset:         0
        .size:           416
        .value_kind:     by_value
      - .offset:         416
        .size:           8
        .value_kind:     by_value
      - .offset:         424
        .size:           8
        .value_kind:     by_value
      - .offset:         432
        .size:           8
        .value_kind:     by_value
      - .offset:         440
        .size:           8
        .value_kind:     by_value
      - .offset:         448
        .size:           416
        .value_kind:     by_value
      - .offset:         864
        .size:           416
        .value_kind:     by_value
      - .offset:         1280
        .size:           4
        .value_kind:     hidden_block_count_x
      - .offset:         1284
        .size:           4
        .value_kind:     hidden_block_count_y
      - .offset:         1288
        .size:           4
        .value_kind:     hidden_block_count_z
      - .offset:         1292
        .size:           2
        .value_kind:     hidden_group_size_x
      - .offset:         1294
        .size:           2
        .value_kind:     hidden_group_size_y
      - .offset:         1296
        .size:           2
        .value_kind:     hidden_group_size_z
      - .offset:         1298
        .size:           2
        .value_kind:     hidden_remainder_x
      - .offset:         1300
        .size:           2
        .value_kind:     hidden_remainder_y
      - .offset:         1302
        .size:           2
        .value_kind:     hidden_remainder_z
      - .offset:         1320
        .size:           8
        .value_kind:     hidden_global_offset_x
      - .offset:         1328
        .size:           8
        .value_kind:     hidden_global_offset_y
      - .offset:         1336
        .size:           8
        .value_kind:     hidden_global_offset_z
      - .offset:         1344
        .size:           2
        .value_kind:     hidden_grid_dims
    .group_segment_fixed_size: 5144
    .kernarg_segment_align: 8
    .kernarg_segment_size: 1536
    .language:       OpenCL C
    .language_version:
      - 2
      - 0
    .max_flat_workgroup_size: 1024
    .name:           _ZN2at6native12_GLOBAL__N_114gatherKthValueIilLin1EEEvNS_4cuda6detail10TensorInfoIKT_T0_EES8_S8_S8_S8_NS5_IS6_S8_EENS5_IlS8_EE
    .private_segment_fixed_size: 0
    .sgpr_count:     106
    .sgpr_spill_count: 49
    .symbol:         _ZN2at6native12_GLOBAL__N_114gatherKthValueIilLin1EEEvNS_4cuda6detail10TensorInfoIKT_T0_EES8_S8_S8_S8_NS5_IS6_S8_EENS5_IlS8_EE.kd
    .uniform_work_group_size: 1
    .uses_dynamic_stack: false
    .vgpr_count:     66
    .vgpr_spill_count: 0
    .wavefront_size: 64
  - .agpr_count:     0
    .args:
      - .offset:         0
        .size:           216
        .value_kind:     by_value
      - .offset:         216
        .size:           4
        .value_kind:     by_value
      - .offset:         220
        .size:           4
        .value_kind:     by_value
      - .offset:         224
        .size:           4
        .value_kind:     by_value
      - .offset:         228
        .size:           4
        .value_kind:     by_value
      - .offset:         232
        .size:           216
        .value_kind:     by_value
      - .offset:         448
        .size:           216
        .value_kind:     by_value
      - .offset:         664
        .size:           4
        .value_kind:     hidden_block_count_x
      - .offset:         668
        .size:           4
        .value_kind:     hidden_block_count_y
      - .offset:         672
        .size:           4
        .value_kind:     hidden_block_count_z
      - .offset:         676
        .size:           2
        .value_kind:     hidden_group_size_x
      - .offset:         678
        .size:           2
        .value_kind:     hidden_group_size_y
      - .offset:         680
        .size:           2
        .value_kind:     hidden_group_size_z
      - .offset:         682
        .size:           2
        .value_kind:     hidden_remainder_x
      - .offset:         684
        .size:           2
        .value_kind:     hidden_remainder_y
      - .offset:         686
        .size:           2
        .value_kind:     hidden_remainder_z
      - .offset:         704
        .size:           8
        .value_kind:     hidden_global_offset_x
      - .offset:         712
        .size:           8
        .value_kind:     hidden_global_offset_y
      - .offset:         720
        .size:           8
        .value_kind:     hidden_global_offset_z
      - .offset:         728
        .size:           2
        .value_kind:     hidden_grid_dims
    .group_segment_fixed_size: 4112
    .kernarg_segment_align: 8
    .kernarg_segment_size: 920
    .language:       OpenCL C
    .language_version:
      - 2
      - 0
    .max_flat_workgroup_size: 1024
    .name:           _ZN2at6native12_GLOBAL__N_114gatherKthValueIliLi1EEEvNS_4cuda6detail10TensorInfoIKT_T0_EES8_S8_S8_S8_NS5_IS6_S8_EENS5_IlS8_EE
    .private_segment_fixed_size: 0
    .sgpr_count:     106
    .sgpr_spill_count: 29
    .symbol:         _ZN2at6native12_GLOBAL__N_114gatherKthValueIliLi1EEEvNS_4cuda6detail10TensorInfoIKT_T0_EES8_S8_S8_S8_NS5_IS6_S8_EENS5_IlS8_EE.kd
    .uniform_work_group_size: 1
    .uses_dynamic_stack: false
    .vgpr_count:     61
    .vgpr_spill_count: 0
    .wavefront_size: 64
  - .agpr_count:     0
    .args:
      - .offset:         0
        .size:           216
        .value_kind:     by_value
      - .offset:         216
        .size:           4
        .value_kind:     by_value
      - .offset:         220
        .size:           4
        .value_kind:     by_value
      - .offset:         224
        .size:           4
        .value_kind:     by_value
      - .offset:         228
        .size:           4
        .value_kind:     by_value
      - .offset:         232
        .size:           216
        .value_kind:     by_value
      - .offset:         448
        .size:           216
        .value_kind:     by_value
      - .offset:         664
        .size:           4
        .value_kind:     hidden_block_count_x
      - .offset:         668
        .size:           4
        .value_kind:     hidden_block_count_y
      - .offset:         672
        .size:           4
        .value_kind:     hidden_block_count_z
      - .offset:         676
        .size:           2
        .value_kind:     hidden_group_size_x
      - .offset:         678
        .size:           2
        .value_kind:     hidden_group_size_y
      - .offset:         680
        .size:           2
        .value_kind:     hidden_group_size_z
      - .offset:         682
        .size:           2
        .value_kind:     hidden_remainder_x
      - .offset:         684
        .size:           2
        .value_kind:     hidden_remainder_y
      - .offset:         686
        .size:           2
        .value_kind:     hidden_remainder_z
      - .offset:         704
        .size:           8
        .value_kind:     hidden_global_offset_x
      - .offset:         712
        .size:           8
        .value_kind:     hidden_global_offset_y
      - .offset:         720
        .size:           8
        .value_kind:     hidden_global_offset_z
      - .offset:         728
        .size:           2
        .value_kind:     hidden_grid_dims
    .group_segment_fixed_size: 4112
    .kernarg_segment_align: 8
    .kernarg_segment_size: 920
    .language:       OpenCL C
    .language_version:
      - 2
      - 0
    .max_flat_workgroup_size: 1024
    .name:           _ZN2at6native12_GLOBAL__N_114gatherKthValueIliLi2EEEvNS_4cuda6detail10TensorInfoIKT_T0_EES8_S8_S8_S8_NS5_IS6_S8_EENS5_IlS8_EE
    .private_segment_fixed_size: 0
    .sgpr_count:     106
    .sgpr_spill_count: 41
    .symbol:         _ZN2at6native12_GLOBAL__N_114gatherKthValueIliLi2EEEvNS_4cuda6detail10TensorInfoIKT_T0_EES8_S8_S8_S8_NS5_IS6_S8_EENS5_IlS8_EE.kd
    .uniform_work_group_size: 1
    .uses_dynamic_stack: false
    .vgpr_count:     61
    .vgpr_spill_count: 0
    .wavefront_size: 64
  - .agpr_count:     0
    .args:
      - .offset:         0
        .size:           216
        .value_kind:     by_value
      - .offset:         216
        .size:           4
        .value_kind:     by_value
      - .offset:         220
        .size:           4
        .value_kind:     by_value
      - .offset:         224
        .size:           4
        .value_kind:     by_value
      - .offset:         228
        .size:           4
        .value_kind:     by_value
      - .offset:         232
        .size:           216
        .value_kind:     by_value
      - .offset:         448
        .size:           216
        .value_kind:     by_value
      - .offset:         664
        .size:           4
        .value_kind:     hidden_block_count_x
      - .offset:         668
        .size:           4
        .value_kind:     hidden_block_count_y
      - .offset:         672
        .size:           4
        .value_kind:     hidden_block_count_z
      - .offset:         676
        .size:           2
        .value_kind:     hidden_group_size_x
      - .offset:         678
        .size:           2
        .value_kind:     hidden_group_size_y
      - .offset:         680
        .size:           2
        .value_kind:     hidden_group_size_z
      - .offset:         682
        .size:           2
        .value_kind:     hidden_remainder_x
      - .offset:         684
        .size:           2
        .value_kind:     hidden_remainder_y
      - .offset:         686
        .size:           2
        .value_kind:     hidden_remainder_z
      - .offset:         704
        .size:           8
        .value_kind:     hidden_global_offset_x
      - .offset:         712
        .size:           8
        .value_kind:     hidden_global_offset_y
      - .offset:         720
        .size:           8
        .value_kind:     hidden_global_offset_z
      - .offset:         728
        .size:           2
        .value_kind:     hidden_grid_dims
    .group_segment_fixed_size: 4112
    .kernarg_segment_align: 8
    .kernarg_segment_size: 920
    .language:       OpenCL C
    .language_version:
      - 2
      - 0
    .max_flat_workgroup_size: 1024
    .name:           _ZN2at6native12_GLOBAL__N_114gatherKthValueIliLi3EEEvNS_4cuda6detail10TensorInfoIKT_T0_EES8_S8_S8_S8_NS5_IS6_S8_EENS5_IlS8_EE
    .private_segment_fixed_size: 0
    .sgpr_count:     106
    .sgpr_spill_count: 49
    .symbol:         _ZN2at6native12_GLOBAL__N_114gatherKthValueIliLi3EEEvNS_4cuda6detail10TensorInfoIKT_T0_EES8_S8_S8_S8_NS5_IS6_S8_EENS5_IlS8_EE.kd
    .uniform_work_group_size: 1
    .uses_dynamic_stack: false
    .vgpr_count:     61
    .vgpr_spill_count: 0
    .wavefront_size: 64
  - .agpr_count:     0
    .args:
      - .offset:         0
        .size:           216
        .value_kind:     by_value
      - .offset:         216
        .size:           4
        .value_kind:     by_value
      - .offset:         220
        .size:           4
        .value_kind:     by_value
      - .offset:         224
        .size:           4
        .value_kind:     by_value
      - .offset:         228
        .size:           4
        .value_kind:     by_value
      - .offset:         232
        .size:           216
        .value_kind:     by_value
      - .offset:         448
        .size:           216
        .value_kind:     by_value
      - .offset:         664
        .size:           4
        .value_kind:     hidden_block_count_x
      - .offset:         668
        .size:           4
        .value_kind:     hidden_block_count_y
      - .offset:         672
        .size:           4
        .value_kind:     hidden_block_count_z
      - .offset:         676
        .size:           2
        .value_kind:     hidden_group_size_x
      - .offset:         678
        .size:           2
        .value_kind:     hidden_group_size_y
      - .offset:         680
        .size:           2
        .value_kind:     hidden_group_size_z
      - .offset:         682
        .size:           2
        .value_kind:     hidden_remainder_x
      - .offset:         684
        .size:           2
        .value_kind:     hidden_remainder_y
      - .offset:         686
        .size:           2
        .value_kind:     hidden_remainder_z
      - .offset:         704
        .size:           8
        .value_kind:     hidden_global_offset_x
      - .offset:         712
        .size:           8
        .value_kind:     hidden_global_offset_y
      - .offset:         720
        .size:           8
        .value_kind:     hidden_global_offset_z
      - .offset:         728
        .size:           2
        .value_kind:     hidden_grid_dims
    .group_segment_fixed_size: 4112
    .kernarg_segment_align: 8
    .kernarg_segment_size: 920
    .language:       OpenCL C
    .language_version:
      - 2
      - 0
    .max_flat_workgroup_size: 1024
    .name:           _ZN2at6native12_GLOBAL__N_114gatherKthValueIliLin1EEEvNS_4cuda6detail10TensorInfoIKT_T0_EES8_S8_S8_S8_NS5_IS6_S8_EENS5_IlS8_EE
    .private_segment_fixed_size: 0
    .sgpr_count:     106
    .sgpr_spill_count: 32
    .symbol:         _ZN2at6native12_GLOBAL__N_114gatherKthValueIliLin1EEEvNS_4cuda6detail10TensorInfoIKT_T0_EES8_S8_S8_S8_NS5_IS6_S8_EENS5_IlS8_EE.kd
    .uniform_work_group_size: 1
    .uses_dynamic_stack: false
    .vgpr_count:     61
    .vgpr_spill_count: 0
    .wavefront_size: 64
  - .agpr_count:     0
    .args:
      - .offset:         0
        .size:           416
        .value_kind:     by_value
      - .offset:         416
        .size:           8
        .value_kind:     by_value
      - .offset:         424
        .size:           8
        .value_kind:     by_value
      - .offset:         432
        .size:           8
        .value_kind:     by_value
      - .offset:         440
        .size:           8
        .value_kind:     by_value
      - .offset:         448
        .size:           416
        .value_kind:     by_value
      - .offset:         864
        .size:           416
        .value_kind:     by_value
      - .offset:         1280
        .size:           4
        .value_kind:     hidden_block_count_x
      - .offset:         1284
        .size:           4
        .value_kind:     hidden_block_count_y
      - .offset:         1288
        .size:           4
        .value_kind:     hidden_block_count_z
      - .offset:         1292
        .size:           2
        .value_kind:     hidden_group_size_x
      - .offset:         1294
        .size:           2
        .value_kind:     hidden_group_size_y
      - .offset:         1296
        .size:           2
        .value_kind:     hidden_group_size_z
      - .offset:         1298
        .size:           2
        .value_kind:     hidden_remainder_x
      - .offset:         1300
        .size:           2
        .value_kind:     hidden_remainder_y
      - .offset:         1302
        .size:           2
        .value_kind:     hidden_remainder_z
      - .offset:         1320
        .size:           8
        .value_kind:     hidden_global_offset_x
      - .offset:         1328
        .size:           8
        .value_kind:     hidden_global_offset_y
      - .offset:         1336
        .size:           8
        .value_kind:     hidden_global_offset_z
      - .offset:         1344
        .size:           2
        .value_kind:     hidden_grid_dims
    .group_segment_fixed_size: 5144
    .kernarg_segment_align: 8
    .kernarg_segment_size: 1536
    .language:       OpenCL C
    .language_version:
      - 2
      - 0
    .max_flat_workgroup_size: 1024
    .name:           _ZN2at6native12_GLOBAL__N_114gatherKthValueIllLi1EEEvNS_4cuda6detail10TensorInfoIKT_T0_EES8_S8_S8_S8_NS5_IS6_S8_EENS5_IlS8_EE
    .private_segment_fixed_size: 0
    .sgpr_count:     106
    .sgpr_spill_count: 35
    .symbol:         _ZN2at6native12_GLOBAL__N_114gatherKthValueIllLi1EEEvNS_4cuda6detail10TensorInfoIKT_T0_EES8_S8_S8_S8_NS5_IS6_S8_EENS5_IlS8_EE.kd
    .uniform_work_group_size: 1
    .uses_dynamic_stack: false
    .vgpr_count:     67
    .vgpr_spill_count: 0
    .wavefront_size: 64
  - .agpr_count:     0
    .args:
      - .offset:         0
        .size:           416
        .value_kind:     by_value
      - .offset:         416
        .size:           8
        .value_kind:     by_value
      - .offset:         424
        .size:           8
        .value_kind:     by_value
      - .offset:         432
        .size:           8
        .value_kind:     by_value
      - .offset:         440
        .size:           8
        .value_kind:     by_value
      - .offset:         448
        .size:           416
        .value_kind:     by_value
      - .offset:         864
        .size:           416
        .value_kind:     by_value
      - .offset:         1280
        .size:           4
        .value_kind:     hidden_block_count_x
      - .offset:         1284
        .size:           4
        .value_kind:     hidden_block_count_y
      - .offset:         1288
        .size:           4
        .value_kind:     hidden_block_count_z
      - .offset:         1292
        .size:           2
        .value_kind:     hidden_group_size_x
      - .offset:         1294
        .size:           2
        .value_kind:     hidden_group_size_y
      - .offset:         1296
        .size:           2
        .value_kind:     hidden_group_size_z
      - .offset:         1298
        .size:           2
        .value_kind:     hidden_remainder_x
      - .offset:         1300
        .size:           2
        .value_kind:     hidden_remainder_y
      - .offset:         1302
        .size:           2
        .value_kind:     hidden_remainder_z
      - .offset:         1320
        .size:           8
        .value_kind:     hidden_global_offset_x
      - .offset:         1328
        .size:           8
        .value_kind:     hidden_global_offset_y
      - .offset:         1336
        .size:           8
        .value_kind:     hidden_global_offset_z
      - .offset:         1344
        .size:           2
        .value_kind:     hidden_grid_dims
    .group_segment_fixed_size: 5144
    .kernarg_segment_align: 8
    .kernarg_segment_size: 1536
    .language:       OpenCL C
    .language_version:
      - 2
      - 0
    .max_flat_workgroup_size: 1024
    .name:           _ZN2at6native12_GLOBAL__N_114gatherKthValueIllLi2EEEvNS_4cuda6detail10TensorInfoIKT_T0_EES8_S8_S8_S8_NS5_IS6_S8_EENS5_IlS8_EE
    .private_segment_fixed_size: 0
    .sgpr_count:     106
    .sgpr_spill_count: 52
    .symbol:         _ZN2at6native12_GLOBAL__N_114gatherKthValueIllLi2EEEvNS_4cuda6detail10TensorInfoIKT_T0_EES8_S8_S8_S8_NS5_IS6_S8_EENS5_IlS8_EE.kd
    .uniform_work_group_size: 1
    .uses_dynamic_stack: false
    .vgpr_count:     69
    .vgpr_spill_count: 0
    .wavefront_size: 64
  - .agpr_count:     0
    .args:
      - .offset:         0
        .size:           416
        .value_kind:     by_value
      - .offset:         416
        .size:           8
        .value_kind:     by_value
      - .offset:         424
        .size:           8
        .value_kind:     by_value
      - .offset:         432
        .size:           8
        .value_kind:     by_value
      - .offset:         440
        .size:           8
        .value_kind:     by_value
      - .offset:         448
        .size:           416
        .value_kind:     by_value
      - .offset:         864
        .size:           416
        .value_kind:     by_value
      - .offset:         1280
        .size:           4
        .value_kind:     hidden_block_count_x
      - .offset:         1284
        .size:           4
        .value_kind:     hidden_block_count_y
      - .offset:         1288
        .size:           4
        .value_kind:     hidden_block_count_z
      - .offset:         1292
        .size:           2
        .value_kind:     hidden_group_size_x
      - .offset:         1294
        .size:           2
        .value_kind:     hidden_group_size_y
      - .offset:         1296
        .size:           2
        .value_kind:     hidden_group_size_z
      - .offset:         1298
        .size:           2
        .value_kind:     hidden_remainder_x
      - .offset:         1300
        .size:           2
        .value_kind:     hidden_remainder_y
      - .offset:         1302
        .size:           2
        .value_kind:     hidden_remainder_z
      - .offset:         1320
        .size:           8
        .value_kind:     hidden_global_offset_x
      - .offset:         1328
        .size:           8
        .value_kind:     hidden_global_offset_y
      - .offset:         1336
        .size:           8
        .value_kind:     hidden_global_offset_z
      - .offset:         1344
        .size:           2
        .value_kind:     hidden_grid_dims
    .group_segment_fixed_size: 5144
    .kernarg_segment_align: 8
    .kernarg_segment_size: 1536
    .language:       OpenCL C
    .language_version:
      - 2
      - 0
    .max_flat_workgroup_size: 1024
    .name:           _ZN2at6native12_GLOBAL__N_114gatherKthValueIllLi3EEEvNS_4cuda6detail10TensorInfoIKT_T0_EES8_S8_S8_S8_NS5_IS6_S8_EENS5_IlS8_EE
    .private_segment_fixed_size: 0
    .sgpr_count:     106
    .sgpr_spill_count: 63
    .symbol:         _ZN2at6native12_GLOBAL__N_114gatherKthValueIllLi3EEEvNS_4cuda6detail10TensorInfoIKT_T0_EES8_S8_S8_S8_NS5_IS6_S8_EENS5_IlS8_EE.kd
    .uniform_work_group_size: 1
    .uses_dynamic_stack: false
    .vgpr_count:     69
    .vgpr_spill_count: 0
    .wavefront_size: 64
  - .agpr_count:     0
    .args:
      - .offset:         0
        .size:           416
        .value_kind:     by_value
      - .offset:         416
        .size:           8
        .value_kind:     by_value
      - .offset:         424
        .size:           8
        .value_kind:     by_value
      - .offset:         432
        .size:           8
        .value_kind:     by_value
      - .offset:         440
        .size:           8
        .value_kind:     by_value
      - .offset:         448
        .size:           416
        .value_kind:     by_value
      - .offset:         864
        .size:           416
        .value_kind:     by_value
      - .offset:         1280
        .size:           4
        .value_kind:     hidden_block_count_x
      - .offset:         1284
        .size:           4
        .value_kind:     hidden_block_count_y
      - .offset:         1288
        .size:           4
        .value_kind:     hidden_block_count_z
      - .offset:         1292
        .size:           2
        .value_kind:     hidden_group_size_x
      - .offset:         1294
        .size:           2
        .value_kind:     hidden_group_size_y
      - .offset:         1296
        .size:           2
        .value_kind:     hidden_group_size_z
      - .offset:         1298
        .size:           2
        .value_kind:     hidden_remainder_x
      - .offset:         1300
        .size:           2
        .value_kind:     hidden_remainder_y
      - .offset:         1302
        .size:           2
        .value_kind:     hidden_remainder_z
      - .offset:         1320
        .size:           8
        .value_kind:     hidden_global_offset_x
      - .offset:         1328
        .size:           8
        .value_kind:     hidden_global_offset_y
      - .offset:         1336
        .size:           8
        .value_kind:     hidden_global_offset_z
      - .offset:         1344
        .size:           2
        .value_kind:     hidden_grid_dims
    .group_segment_fixed_size: 5144
    .kernarg_segment_align: 8
    .kernarg_segment_size: 1536
    .language:       OpenCL C
    .language_version:
      - 2
      - 0
    .max_flat_workgroup_size: 1024
    .name:           _ZN2at6native12_GLOBAL__N_114gatherKthValueIllLin1EEEvNS_4cuda6detail10TensorInfoIKT_T0_EES8_S8_S8_S8_NS5_IS6_S8_EENS5_IlS8_EE
    .private_segment_fixed_size: 0
    .sgpr_count:     106
    .sgpr_spill_count: 43
    .symbol:         _ZN2at6native12_GLOBAL__N_114gatherKthValueIllLin1EEEvNS_4cuda6detail10TensorInfoIKT_T0_EES8_S8_S8_S8_NS5_IS6_S8_EENS5_IlS8_EE.kd
    .uniform_work_group_size: 1
    .uses_dynamic_stack: false
    .vgpr_count:     76
    .vgpr_spill_count: 0
    .wavefront_size: 64
  - .agpr_count:     0
    .args:
      - .offset:         0
        .size:           216
        .value_kind:     by_value
      - .offset:         216
        .size:           4
        .value_kind:     by_value
      - .offset:         220
        .size:           4
        .value_kind:     by_value
      - .offset:         224
        .size:           4
        .value_kind:     by_value
      - .offset:         228
        .size:           4
        .value_kind:     by_value
      - .offset:         232
        .size:           216
        .value_kind:     by_value
      - .offset:         448
        .size:           216
        .value_kind:     by_value
      - .offset:         664
        .size:           4
        .value_kind:     hidden_block_count_x
      - .offset:         668
        .size:           4
        .value_kind:     hidden_block_count_y
      - .offset:         672
        .size:           4
        .value_kind:     hidden_block_count_z
      - .offset:         676
        .size:           2
        .value_kind:     hidden_group_size_x
      - .offset:         678
        .size:           2
        .value_kind:     hidden_group_size_y
      - .offset:         680
        .size:           2
        .value_kind:     hidden_group_size_z
      - .offset:         682
        .size:           2
        .value_kind:     hidden_remainder_x
      - .offset:         684
        .size:           2
        .value_kind:     hidden_remainder_y
      - .offset:         686
        .size:           2
        .value_kind:     hidden_remainder_z
      - .offset:         704
        .size:           8
        .value_kind:     hidden_global_offset_x
      - .offset:         712
        .size:           8
        .value_kind:     hidden_global_offset_y
      - .offset:         720
        .size:           8
        .value_kind:     hidden_global_offset_z
      - .offset:         728
        .size:           2
        .value_kind:     hidden_grid_dims
    .group_segment_fixed_size: 4112
    .kernarg_segment_align: 8
    .kernarg_segment_size: 920
    .language:       OpenCL C
    .language_version:
      - 2
      - 0
    .max_flat_workgroup_size: 1024
    .name:           _ZN2at6native12_GLOBAL__N_114gatherKthValueIsiLi1EEEvNS_4cuda6detail10TensorInfoIKT_T0_EES8_S8_S8_S8_NS5_IS6_S8_EENS5_IlS8_EE
    .private_segment_fixed_size: 0
    .sgpr_count:     106
    .sgpr_spill_count: 29
    .symbol:         _ZN2at6native12_GLOBAL__N_114gatherKthValueIsiLi1EEEvNS_4cuda6detail10TensorInfoIKT_T0_EES8_S8_S8_S8_NS5_IS6_S8_EENS5_IlS8_EE.kd
    .uniform_work_group_size: 1
    .uses_dynamic_stack: false
    .vgpr_count:     53
    .vgpr_spill_count: 0
    .wavefront_size: 64
  - .agpr_count:     0
    .args:
      - .offset:         0
        .size:           216
        .value_kind:     by_value
      - .offset:         216
        .size:           4
        .value_kind:     by_value
      - .offset:         220
        .size:           4
        .value_kind:     by_value
      - .offset:         224
        .size:           4
        .value_kind:     by_value
      - .offset:         228
        .size:           4
        .value_kind:     by_value
      - .offset:         232
        .size:           216
        .value_kind:     by_value
      - .offset:         448
        .size:           216
        .value_kind:     by_value
      - .offset:         664
        .size:           4
        .value_kind:     hidden_block_count_x
      - .offset:         668
        .size:           4
        .value_kind:     hidden_block_count_y
      - .offset:         672
        .size:           4
        .value_kind:     hidden_block_count_z
      - .offset:         676
        .size:           2
        .value_kind:     hidden_group_size_x
      - .offset:         678
        .size:           2
        .value_kind:     hidden_group_size_y
      - .offset:         680
        .size:           2
        .value_kind:     hidden_group_size_z
      - .offset:         682
        .size:           2
        .value_kind:     hidden_remainder_x
      - .offset:         684
        .size:           2
        .value_kind:     hidden_remainder_y
      - .offset:         686
        .size:           2
        .value_kind:     hidden_remainder_z
      - .offset:         704
        .size:           8
        .value_kind:     hidden_global_offset_x
      - .offset:         712
        .size:           8
        .value_kind:     hidden_global_offset_y
      - .offset:         720
        .size:           8
        .value_kind:     hidden_global_offset_z
      - .offset:         728
        .size:           2
        .value_kind:     hidden_grid_dims
    .group_segment_fixed_size: 4112
    .kernarg_segment_align: 8
    .kernarg_segment_size: 920
    .language:       OpenCL C
    .language_version:
      - 2
      - 0
    .max_flat_workgroup_size: 1024
    .name:           _ZN2at6native12_GLOBAL__N_114gatherKthValueIsiLi2EEEvNS_4cuda6detail10TensorInfoIKT_T0_EES8_S8_S8_S8_NS5_IS6_S8_EENS5_IlS8_EE
    .private_segment_fixed_size: 0
    .sgpr_count:     106
    .sgpr_spill_count: 41
    .symbol:         _ZN2at6native12_GLOBAL__N_114gatherKthValueIsiLi2EEEvNS_4cuda6detail10TensorInfoIKT_T0_EES8_S8_S8_S8_NS5_IS6_S8_EENS5_IlS8_EE.kd
    .uniform_work_group_size: 1
    .uses_dynamic_stack: false
    .vgpr_count:     53
    .vgpr_spill_count: 0
    .wavefront_size: 64
  - .agpr_count:     0
    .args:
      - .offset:         0
        .size:           216
        .value_kind:     by_value
      - .offset:         216
        .size:           4
        .value_kind:     by_value
      - .offset:         220
        .size:           4
        .value_kind:     by_value
      - .offset:         224
        .size:           4
        .value_kind:     by_value
      - .offset:         228
        .size:           4
        .value_kind:     by_value
      - .offset:         232
        .size:           216
        .value_kind:     by_value
      - .offset:         448
        .size:           216
        .value_kind:     by_value
      - .offset:         664
        .size:           4
        .value_kind:     hidden_block_count_x
      - .offset:         668
        .size:           4
        .value_kind:     hidden_block_count_y
      - .offset:         672
        .size:           4
        .value_kind:     hidden_block_count_z
      - .offset:         676
        .size:           2
        .value_kind:     hidden_group_size_x
      - .offset:         678
        .size:           2
        .value_kind:     hidden_group_size_y
      - .offset:         680
        .size:           2
        .value_kind:     hidden_group_size_z
      - .offset:         682
        .size:           2
        .value_kind:     hidden_remainder_x
      - .offset:         684
        .size:           2
        .value_kind:     hidden_remainder_y
      - .offset:         686
        .size:           2
        .value_kind:     hidden_remainder_z
      - .offset:         704
        .size:           8
        .value_kind:     hidden_global_offset_x
      - .offset:         712
        .size:           8
        .value_kind:     hidden_global_offset_y
      - .offset:         720
        .size:           8
        .value_kind:     hidden_global_offset_z
      - .offset:         728
        .size:           2
        .value_kind:     hidden_grid_dims
    .group_segment_fixed_size: 4112
    .kernarg_segment_align: 8
    .kernarg_segment_size: 920
    .language:       OpenCL C
    .language_version:
      - 2
      - 0
    .max_flat_workgroup_size: 1024
    .name:           _ZN2at6native12_GLOBAL__N_114gatherKthValueIsiLi3EEEvNS_4cuda6detail10TensorInfoIKT_T0_EES8_S8_S8_S8_NS5_IS6_S8_EENS5_IlS8_EE
    .private_segment_fixed_size: 0
    .sgpr_count:     106
    .sgpr_spill_count: 49
    .symbol:         _ZN2at6native12_GLOBAL__N_114gatherKthValueIsiLi3EEEvNS_4cuda6detail10TensorInfoIKT_T0_EES8_S8_S8_S8_NS5_IS6_S8_EENS5_IlS8_EE.kd
    .uniform_work_group_size: 1
    .uses_dynamic_stack: false
    .vgpr_count:     53
    .vgpr_spill_count: 0
    .wavefront_size: 64
  - .agpr_count:     0
    .args:
      - .offset:         0
        .size:           216
        .value_kind:     by_value
      - .offset:         216
        .size:           4
        .value_kind:     by_value
      - .offset:         220
        .size:           4
        .value_kind:     by_value
      - .offset:         224
        .size:           4
        .value_kind:     by_value
      - .offset:         228
        .size:           4
        .value_kind:     by_value
      - .offset:         232
        .size:           216
        .value_kind:     by_value
      - .offset:         448
        .size:           216
        .value_kind:     by_value
      - .offset:         664
        .size:           4
        .value_kind:     hidden_block_count_x
      - .offset:         668
        .size:           4
        .value_kind:     hidden_block_count_y
      - .offset:         672
        .size:           4
        .value_kind:     hidden_block_count_z
      - .offset:         676
        .size:           2
        .value_kind:     hidden_group_size_x
      - .offset:         678
        .size:           2
        .value_kind:     hidden_group_size_y
      - .offset:         680
        .size:           2
        .value_kind:     hidden_group_size_z
      - .offset:         682
        .size:           2
        .value_kind:     hidden_remainder_x
      - .offset:         684
        .size:           2
        .value_kind:     hidden_remainder_y
      - .offset:         686
        .size:           2
        .value_kind:     hidden_remainder_z
      - .offset:         704
        .size:           8
        .value_kind:     hidden_global_offset_x
      - .offset:         712
        .size:           8
        .value_kind:     hidden_global_offset_y
      - .offset:         720
        .size:           8
        .value_kind:     hidden_global_offset_z
      - .offset:         728
        .size:           2
        .value_kind:     hidden_grid_dims
    .group_segment_fixed_size: 4112
    .kernarg_segment_align: 8
    .kernarg_segment_size: 920
    .language:       OpenCL C
    .language_version:
      - 2
      - 0
    .max_flat_workgroup_size: 1024
    .name:           _ZN2at6native12_GLOBAL__N_114gatherKthValueIsiLin1EEEvNS_4cuda6detail10TensorInfoIKT_T0_EES8_S8_S8_S8_NS5_IS6_S8_EENS5_IlS8_EE
    .private_segment_fixed_size: 0
    .sgpr_count:     106
    .sgpr_spill_count: 32
    .symbol:         _ZN2at6native12_GLOBAL__N_114gatherKthValueIsiLin1EEEvNS_4cuda6detail10TensorInfoIKT_T0_EES8_S8_S8_S8_NS5_IS6_S8_EENS5_IlS8_EE.kd
    .uniform_work_group_size: 1
    .uses_dynamic_stack: false
    .vgpr_count:     53
    .vgpr_spill_count: 0
    .wavefront_size: 64
  - .agpr_count:     0
    .args:
      - .offset:         0
        .size:           416
        .value_kind:     by_value
      - .offset:         416
        .size:           8
        .value_kind:     by_value
      - .offset:         424
        .size:           8
        .value_kind:     by_value
      - .offset:         432
        .size:           8
        .value_kind:     by_value
      - .offset:         440
        .size:           8
        .value_kind:     by_value
      - .offset:         448
        .size:           416
        .value_kind:     by_value
      - .offset:         864
        .size:           416
        .value_kind:     by_value
      - .offset:         1280
        .size:           4
        .value_kind:     hidden_block_count_x
      - .offset:         1284
        .size:           4
        .value_kind:     hidden_block_count_y
      - .offset:         1288
        .size:           4
        .value_kind:     hidden_block_count_z
      - .offset:         1292
        .size:           2
        .value_kind:     hidden_group_size_x
      - .offset:         1294
        .size:           2
        .value_kind:     hidden_group_size_y
      - .offset:         1296
        .size:           2
        .value_kind:     hidden_group_size_z
      - .offset:         1298
        .size:           2
        .value_kind:     hidden_remainder_x
      - .offset:         1300
        .size:           2
        .value_kind:     hidden_remainder_y
      - .offset:         1302
        .size:           2
        .value_kind:     hidden_remainder_z
      - .offset:         1320
        .size:           8
        .value_kind:     hidden_global_offset_x
      - .offset:         1328
        .size:           8
        .value_kind:     hidden_global_offset_y
      - .offset:         1336
        .size:           8
        .value_kind:     hidden_global_offset_z
      - .offset:         1344
        .size:           2
        .value_kind:     hidden_grid_dims
    .group_segment_fixed_size: 5144
    .kernarg_segment_align: 8
    .kernarg_segment_size: 1536
    .language:       OpenCL C
    .language_version:
      - 2
      - 0
    .max_flat_workgroup_size: 1024
    .name:           _ZN2at6native12_GLOBAL__N_114gatherKthValueIslLi1EEEvNS_4cuda6detail10TensorInfoIKT_T0_EES8_S8_S8_S8_NS5_IS6_S8_EENS5_IlS8_EE
    .private_segment_fixed_size: 0
    .sgpr_count:     106
    .sgpr_spill_count: 46
    .symbol:         _ZN2at6native12_GLOBAL__N_114gatherKthValueIslLi1EEEvNS_4cuda6detail10TensorInfoIKT_T0_EES8_S8_S8_S8_NS5_IS6_S8_EENS5_IlS8_EE.kd
    .uniform_work_group_size: 1
    .uses_dynamic_stack: false
    .vgpr_count:     68
    .vgpr_spill_count: 0
    .wavefront_size: 64
  - .agpr_count:     0
    .args:
      - .offset:         0
        .size:           416
        .value_kind:     by_value
      - .offset:         416
        .size:           8
        .value_kind:     by_value
      - .offset:         424
        .size:           8
        .value_kind:     by_value
      - .offset:         432
        .size:           8
        .value_kind:     by_value
      - .offset:         440
        .size:           8
        .value_kind:     by_value
      - .offset:         448
        .size:           416
        .value_kind:     by_value
      - .offset:         864
        .size:           416
        .value_kind:     by_value
      - .offset:         1280
        .size:           4
        .value_kind:     hidden_block_count_x
      - .offset:         1284
        .size:           4
        .value_kind:     hidden_block_count_y
      - .offset:         1288
        .size:           4
        .value_kind:     hidden_block_count_z
      - .offset:         1292
        .size:           2
        .value_kind:     hidden_group_size_x
      - .offset:         1294
        .size:           2
        .value_kind:     hidden_group_size_y
      - .offset:         1296
        .size:           2
        .value_kind:     hidden_group_size_z
      - .offset:         1298
        .size:           2
        .value_kind:     hidden_remainder_x
      - .offset:         1300
        .size:           2
        .value_kind:     hidden_remainder_y
      - .offset:         1302
        .size:           2
        .value_kind:     hidden_remainder_z
      - .offset:         1320
        .size:           8
        .value_kind:     hidden_global_offset_x
      - .offset:         1328
        .size:           8
        .value_kind:     hidden_global_offset_y
      - .offset:         1336
        .size:           8
        .value_kind:     hidden_global_offset_z
      - .offset:         1344
        .size:           2
        .value_kind:     hidden_grid_dims
    .group_segment_fixed_size: 5144
    .kernarg_segment_align: 8
    .kernarg_segment_size: 1536
    .language:       OpenCL C
    .language_version:
      - 2
      - 0
    .max_flat_workgroup_size: 1024
    .name:           _ZN2at6native12_GLOBAL__N_114gatherKthValueIslLi2EEEvNS_4cuda6detail10TensorInfoIKT_T0_EES8_S8_S8_S8_NS5_IS6_S8_EENS5_IlS8_EE
    .private_segment_fixed_size: 0
    .sgpr_count:     106
    .sgpr_spill_count: 67
    .symbol:         _ZN2at6native12_GLOBAL__N_114gatherKthValueIslLi2EEEvNS_4cuda6detail10TensorInfoIKT_T0_EES8_S8_S8_S8_NS5_IS6_S8_EENS5_IlS8_EE.kd
    .uniform_work_group_size: 1
    .uses_dynamic_stack: false
    .vgpr_count:     71
    .vgpr_spill_count: 0
    .wavefront_size: 64
  - .agpr_count:     0
    .args:
      - .offset:         0
        .size:           416
        .value_kind:     by_value
      - .offset:         416
        .size:           8
        .value_kind:     by_value
      - .offset:         424
        .size:           8
        .value_kind:     by_value
      - .offset:         432
        .size:           8
        .value_kind:     by_value
      - .offset:         440
        .size:           8
        .value_kind:     by_value
      - .offset:         448
        .size:           416
        .value_kind:     by_value
      - .offset:         864
        .size:           416
        .value_kind:     by_value
      - .offset:         1280
        .size:           4
        .value_kind:     hidden_block_count_x
      - .offset:         1284
        .size:           4
        .value_kind:     hidden_block_count_y
      - .offset:         1288
        .size:           4
        .value_kind:     hidden_block_count_z
      - .offset:         1292
        .size:           2
        .value_kind:     hidden_group_size_x
      - .offset:         1294
        .size:           2
        .value_kind:     hidden_group_size_y
      - .offset:         1296
        .size:           2
        .value_kind:     hidden_group_size_z
      - .offset:         1298
        .size:           2
        .value_kind:     hidden_remainder_x
      - .offset:         1300
        .size:           2
        .value_kind:     hidden_remainder_y
      - .offset:         1302
        .size:           2
        .value_kind:     hidden_remainder_z
      - .offset:         1320
        .size:           8
        .value_kind:     hidden_global_offset_x
      - .offset:         1328
        .size:           8
        .value_kind:     hidden_global_offset_y
      - .offset:         1336
        .size:           8
        .value_kind:     hidden_global_offset_z
      - .offset:         1344
        .size:           2
        .value_kind:     hidden_grid_dims
    .group_segment_fixed_size: 5144
    .kernarg_segment_align: 8
    .kernarg_segment_size: 1536
    .language:       OpenCL C
    .language_version:
      - 2
      - 0
    .max_flat_workgroup_size: 1024
    .name:           _ZN2at6native12_GLOBAL__N_114gatherKthValueIslLi3EEEvNS_4cuda6detail10TensorInfoIKT_T0_EES8_S8_S8_S8_NS5_IS6_S8_EENS5_IlS8_EE
    .private_segment_fixed_size: 0
    .sgpr_count:     106
    .sgpr_spill_count: 75
    .symbol:         _ZN2at6native12_GLOBAL__N_114gatherKthValueIslLi3EEEvNS_4cuda6detail10TensorInfoIKT_T0_EES8_S8_S8_S8_NS5_IS6_S8_EENS5_IlS8_EE.kd
    .uniform_work_group_size: 1
    .uses_dynamic_stack: false
    .vgpr_count:     71
    .vgpr_spill_count: 0
    .wavefront_size: 64
  - .agpr_count:     0
    .args:
      - .offset:         0
        .size:           416
        .value_kind:     by_value
      - .offset:         416
        .size:           8
        .value_kind:     by_value
      - .offset:         424
        .size:           8
        .value_kind:     by_value
      - .offset:         432
        .size:           8
        .value_kind:     by_value
      - .offset:         440
        .size:           8
        .value_kind:     by_value
      - .offset:         448
        .size:           416
        .value_kind:     by_value
      - .offset:         864
        .size:           416
        .value_kind:     by_value
      - .offset:         1280
        .size:           4
        .value_kind:     hidden_block_count_x
      - .offset:         1284
        .size:           4
        .value_kind:     hidden_block_count_y
      - .offset:         1288
        .size:           4
        .value_kind:     hidden_block_count_z
      - .offset:         1292
        .size:           2
        .value_kind:     hidden_group_size_x
      - .offset:         1294
        .size:           2
        .value_kind:     hidden_group_size_y
      - .offset:         1296
        .size:           2
        .value_kind:     hidden_group_size_z
      - .offset:         1298
        .size:           2
        .value_kind:     hidden_remainder_x
      - .offset:         1300
        .size:           2
        .value_kind:     hidden_remainder_y
      - .offset:         1302
        .size:           2
        .value_kind:     hidden_remainder_z
      - .offset:         1320
        .size:           8
        .value_kind:     hidden_global_offset_x
      - .offset:         1328
        .size:           8
        .value_kind:     hidden_global_offset_y
      - .offset:         1336
        .size:           8
        .value_kind:     hidden_global_offset_z
      - .offset:         1344
        .size:           2
        .value_kind:     hidden_grid_dims
    .group_segment_fixed_size: 5144
    .kernarg_segment_align: 8
    .kernarg_segment_size: 1536
    .language:       OpenCL C
    .language_version:
      - 2
      - 0
    .max_flat_workgroup_size: 1024
    .name:           _ZN2at6native12_GLOBAL__N_114gatherKthValueIslLin1EEEvNS_4cuda6detail10TensorInfoIKT_T0_EES8_S8_S8_S8_NS5_IS6_S8_EENS5_IlS8_EE
    .private_segment_fixed_size: 0
    .sgpr_count:     106
    .sgpr_spill_count: 64
    .symbol:         _ZN2at6native12_GLOBAL__N_114gatherKthValueIslLin1EEEvNS_4cuda6detail10TensorInfoIKT_T0_EES8_S8_S8_S8_NS5_IS6_S8_EENS5_IlS8_EE.kd
    .uniform_work_group_size: 1
    .uses_dynamic_stack: false
    .vgpr_count:     70
    .vgpr_spill_count: 0
    .wavefront_size: 64
  - .agpr_count:     0
    .args:
      - .offset:         0
        .size:           216
        .value_kind:     by_value
      - .offset:         216
        .size:           4
        .value_kind:     by_value
      - .offset:         220
        .size:           4
        .value_kind:     by_value
      - .offset:         224
        .size:           4
        .value_kind:     by_value
      - .offset:         228
        .size:           4
        .value_kind:     by_value
      - .offset:         232
        .size:           216
        .value_kind:     by_value
      - .offset:         448
        .size:           216
        .value_kind:     by_value
      - .offset:         664
        .size:           4
        .value_kind:     hidden_block_count_x
      - .offset:         668
        .size:           4
        .value_kind:     hidden_block_count_y
      - .offset:         672
        .size:           4
        .value_kind:     hidden_block_count_z
      - .offset:         676
        .size:           2
        .value_kind:     hidden_group_size_x
      - .offset:         678
        .size:           2
        .value_kind:     hidden_group_size_y
      - .offset:         680
        .size:           2
        .value_kind:     hidden_group_size_z
      - .offset:         682
        .size:           2
        .value_kind:     hidden_remainder_x
      - .offset:         684
        .size:           2
        .value_kind:     hidden_remainder_y
      - .offset:         686
        .size:           2
        .value_kind:     hidden_remainder_z
      - .offset:         704
        .size:           8
        .value_kind:     hidden_global_offset_x
      - .offset:         712
        .size:           8
        .value_kind:     hidden_global_offset_y
      - .offset:         720
        .size:           8
        .value_kind:     hidden_global_offset_z
      - .offset:         728
        .size:           2
        .value_kind:     hidden_grid_dims
    .group_segment_fixed_size: 4112
    .kernarg_segment_align: 8
    .kernarg_segment_size: 920
    .language:       OpenCL C
    .language_version:
      - 2
      - 0
    .max_flat_workgroup_size: 1024
    .name:           _ZN2at6native12_GLOBAL__N_114gatherKthValueIdiLi1EEEvNS_4cuda6detail10TensorInfoIKT_T0_EES8_S8_S8_S8_NS5_IS6_S8_EENS5_IlS8_EE
    .private_segment_fixed_size: 0
    .sgpr_count:     106
    .sgpr_spill_count: 29
    .symbol:         _ZN2at6native12_GLOBAL__N_114gatherKthValueIdiLi1EEEvNS_4cuda6detail10TensorInfoIKT_T0_EES8_S8_S8_S8_NS5_IS6_S8_EENS5_IlS8_EE.kd
    .uniform_work_group_size: 1
    .uses_dynamic_stack: false
    .vgpr_count:     61
    .vgpr_spill_count: 0
    .wavefront_size: 64
  - .agpr_count:     0
    .args:
      - .offset:         0
        .size:           216
        .value_kind:     by_value
      - .offset:         216
        .size:           4
        .value_kind:     by_value
      - .offset:         220
        .size:           4
        .value_kind:     by_value
      - .offset:         224
        .size:           4
        .value_kind:     by_value
      - .offset:         228
        .size:           4
        .value_kind:     by_value
      - .offset:         232
        .size:           216
        .value_kind:     by_value
      - .offset:         448
        .size:           216
        .value_kind:     by_value
      - .offset:         664
        .size:           4
        .value_kind:     hidden_block_count_x
      - .offset:         668
        .size:           4
        .value_kind:     hidden_block_count_y
      - .offset:         672
        .size:           4
        .value_kind:     hidden_block_count_z
      - .offset:         676
        .size:           2
        .value_kind:     hidden_group_size_x
      - .offset:         678
        .size:           2
        .value_kind:     hidden_group_size_y
      - .offset:         680
        .size:           2
        .value_kind:     hidden_group_size_z
      - .offset:         682
        .size:           2
        .value_kind:     hidden_remainder_x
      - .offset:         684
        .size:           2
        .value_kind:     hidden_remainder_y
      - .offset:         686
        .size:           2
        .value_kind:     hidden_remainder_z
      - .offset:         704
        .size:           8
        .value_kind:     hidden_global_offset_x
      - .offset:         712
        .size:           8
        .value_kind:     hidden_global_offset_y
      - .offset:         720
        .size:           8
        .value_kind:     hidden_global_offset_z
      - .offset:         728
        .size:           2
        .value_kind:     hidden_grid_dims
    .group_segment_fixed_size: 4112
    .kernarg_segment_align: 8
    .kernarg_segment_size: 920
    .language:       OpenCL C
    .language_version:
      - 2
      - 0
    .max_flat_workgroup_size: 1024
    .name:           _ZN2at6native12_GLOBAL__N_114gatherKthValueIdiLi2EEEvNS_4cuda6detail10TensorInfoIKT_T0_EES8_S8_S8_S8_NS5_IS6_S8_EENS5_IlS8_EE
    .private_segment_fixed_size: 0
    .sgpr_count:     106
    .sgpr_spill_count: 41
    .symbol:         _ZN2at6native12_GLOBAL__N_114gatherKthValueIdiLi2EEEvNS_4cuda6detail10TensorInfoIKT_T0_EES8_S8_S8_S8_NS5_IS6_S8_EENS5_IlS8_EE.kd
    .uniform_work_group_size: 1
    .uses_dynamic_stack: false
    .vgpr_count:     61
    .vgpr_spill_count: 0
    .wavefront_size: 64
  - .agpr_count:     0
    .args:
      - .offset:         0
        .size:           216
        .value_kind:     by_value
      - .offset:         216
        .size:           4
        .value_kind:     by_value
      - .offset:         220
        .size:           4
        .value_kind:     by_value
      - .offset:         224
        .size:           4
        .value_kind:     by_value
      - .offset:         228
        .size:           4
        .value_kind:     by_value
      - .offset:         232
        .size:           216
        .value_kind:     by_value
      - .offset:         448
        .size:           216
        .value_kind:     by_value
      - .offset:         664
        .size:           4
        .value_kind:     hidden_block_count_x
      - .offset:         668
        .size:           4
        .value_kind:     hidden_block_count_y
      - .offset:         672
        .size:           4
        .value_kind:     hidden_block_count_z
      - .offset:         676
        .size:           2
        .value_kind:     hidden_group_size_x
      - .offset:         678
        .size:           2
        .value_kind:     hidden_group_size_y
      - .offset:         680
        .size:           2
        .value_kind:     hidden_group_size_z
      - .offset:         682
        .size:           2
        .value_kind:     hidden_remainder_x
      - .offset:         684
        .size:           2
        .value_kind:     hidden_remainder_y
      - .offset:         686
        .size:           2
        .value_kind:     hidden_remainder_z
      - .offset:         704
        .size:           8
        .value_kind:     hidden_global_offset_x
      - .offset:         712
        .size:           8
        .value_kind:     hidden_global_offset_y
      - .offset:         720
        .size:           8
        .value_kind:     hidden_global_offset_z
      - .offset:         728
        .size:           2
        .value_kind:     hidden_grid_dims
    .group_segment_fixed_size: 4112
    .kernarg_segment_align: 8
    .kernarg_segment_size: 920
    .language:       OpenCL C
    .language_version:
      - 2
      - 0
    .max_flat_workgroup_size: 1024
    .name:           _ZN2at6native12_GLOBAL__N_114gatherKthValueIdiLi3EEEvNS_4cuda6detail10TensorInfoIKT_T0_EES8_S8_S8_S8_NS5_IS6_S8_EENS5_IlS8_EE
    .private_segment_fixed_size: 0
    .sgpr_count:     106
    .sgpr_spill_count: 49
    .symbol:         _ZN2at6native12_GLOBAL__N_114gatherKthValueIdiLi3EEEvNS_4cuda6detail10TensorInfoIKT_T0_EES8_S8_S8_S8_NS5_IS6_S8_EENS5_IlS8_EE.kd
    .uniform_work_group_size: 1
    .uses_dynamic_stack: false
    .vgpr_count:     61
    .vgpr_spill_count: 0
    .wavefront_size: 64
  - .agpr_count:     0
    .args:
      - .offset:         0
        .size:           216
        .value_kind:     by_value
      - .offset:         216
        .size:           4
        .value_kind:     by_value
      - .offset:         220
        .size:           4
        .value_kind:     by_value
      - .offset:         224
        .size:           4
        .value_kind:     by_value
      - .offset:         228
        .size:           4
        .value_kind:     by_value
      - .offset:         232
        .size:           216
        .value_kind:     by_value
      - .offset:         448
        .size:           216
        .value_kind:     by_value
      - .offset:         664
        .size:           4
        .value_kind:     hidden_block_count_x
      - .offset:         668
        .size:           4
        .value_kind:     hidden_block_count_y
      - .offset:         672
        .size:           4
        .value_kind:     hidden_block_count_z
      - .offset:         676
        .size:           2
        .value_kind:     hidden_group_size_x
      - .offset:         678
        .size:           2
        .value_kind:     hidden_group_size_y
      - .offset:         680
        .size:           2
        .value_kind:     hidden_group_size_z
      - .offset:         682
        .size:           2
        .value_kind:     hidden_remainder_x
      - .offset:         684
        .size:           2
        .value_kind:     hidden_remainder_y
      - .offset:         686
        .size:           2
        .value_kind:     hidden_remainder_z
      - .offset:         704
        .size:           8
        .value_kind:     hidden_global_offset_x
      - .offset:         712
        .size:           8
        .value_kind:     hidden_global_offset_y
      - .offset:         720
        .size:           8
        .value_kind:     hidden_global_offset_z
      - .offset:         728
        .size:           2
        .value_kind:     hidden_grid_dims
    .group_segment_fixed_size: 4112
    .kernarg_segment_align: 8
    .kernarg_segment_size: 920
    .language:       OpenCL C
    .language_version:
      - 2
      - 0
    .max_flat_workgroup_size: 1024
    .name:           _ZN2at6native12_GLOBAL__N_114gatherKthValueIdiLin1EEEvNS_4cuda6detail10TensorInfoIKT_T0_EES8_S8_S8_S8_NS5_IS6_S8_EENS5_IlS8_EE
    .private_segment_fixed_size: 0
    .sgpr_count:     106
    .sgpr_spill_count: 32
    .symbol:         _ZN2at6native12_GLOBAL__N_114gatherKthValueIdiLin1EEEvNS_4cuda6detail10TensorInfoIKT_T0_EES8_S8_S8_S8_NS5_IS6_S8_EENS5_IlS8_EE.kd
    .uniform_work_group_size: 1
    .uses_dynamic_stack: false
    .vgpr_count:     61
    .vgpr_spill_count: 0
    .wavefront_size: 64
  - .agpr_count:     0
    .args:
      - .offset:         0
        .size:           416
        .value_kind:     by_value
      - .offset:         416
        .size:           8
        .value_kind:     by_value
      - .offset:         424
        .size:           8
        .value_kind:     by_value
      - .offset:         432
        .size:           8
        .value_kind:     by_value
      - .offset:         440
        .size:           8
        .value_kind:     by_value
      - .offset:         448
        .size:           416
        .value_kind:     by_value
      - .offset:         864
        .size:           416
        .value_kind:     by_value
      - .offset:         1280
        .size:           4
        .value_kind:     hidden_block_count_x
      - .offset:         1284
        .size:           4
        .value_kind:     hidden_block_count_y
      - .offset:         1288
        .size:           4
        .value_kind:     hidden_block_count_z
      - .offset:         1292
        .size:           2
        .value_kind:     hidden_group_size_x
      - .offset:         1294
        .size:           2
        .value_kind:     hidden_group_size_y
      - .offset:         1296
        .size:           2
        .value_kind:     hidden_group_size_z
      - .offset:         1298
        .size:           2
        .value_kind:     hidden_remainder_x
      - .offset:         1300
        .size:           2
        .value_kind:     hidden_remainder_y
      - .offset:         1302
        .size:           2
        .value_kind:     hidden_remainder_z
      - .offset:         1320
        .size:           8
        .value_kind:     hidden_global_offset_x
      - .offset:         1328
        .size:           8
        .value_kind:     hidden_global_offset_y
      - .offset:         1336
        .size:           8
        .value_kind:     hidden_global_offset_z
      - .offset:         1344
        .size:           2
        .value_kind:     hidden_grid_dims
    .group_segment_fixed_size: 5144
    .kernarg_segment_align: 8
    .kernarg_segment_size: 1536
    .language:       OpenCL C
    .language_version:
      - 2
      - 0
    .max_flat_workgroup_size: 1024
    .name:           _ZN2at6native12_GLOBAL__N_114gatherKthValueIdlLi1EEEvNS_4cuda6detail10TensorInfoIKT_T0_EES8_S8_S8_S8_NS5_IS6_S8_EENS5_IlS8_EE
    .private_segment_fixed_size: 0
    .sgpr_count:     106
    .sgpr_spill_count: 35
    .symbol:         _ZN2at6native12_GLOBAL__N_114gatherKthValueIdlLi1EEEvNS_4cuda6detail10TensorInfoIKT_T0_EES8_S8_S8_S8_NS5_IS6_S8_EENS5_IlS8_EE.kd
    .uniform_work_group_size: 1
    .uses_dynamic_stack: false
    .vgpr_count:     67
    .vgpr_spill_count: 0
    .wavefront_size: 64
  - .agpr_count:     0
    .args:
      - .offset:         0
        .size:           416
        .value_kind:     by_value
      - .offset:         416
        .size:           8
        .value_kind:     by_value
      - .offset:         424
        .size:           8
        .value_kind:     by_value
      - .offset:         432
        .size:           8
        .value_kind:     by_value
      - .offset:         440
        .size:           8
        .value_kind:     by_value
      - .offset:         448
        .size:           416
        .value_kind:     by_value
      - .offset:         864
        .size:           416
        .value_kind:     by_value
      - .offset:         1280
        .size:           4
        .value_kind:     hidden_block_count_x
      - .offset:         1284
        .size:           4
        .value_kind:     hidden_block_count_y
      - .offset:         1288
        .size:           4
        .value_kind:     hidden_block_count_z
      - .offset:         1292
        .size:           2
        .value_kind:     hidden_group_size_x
      - .offset:         1294
        .size:           2
        .value_kind:     hidden_group_size_y
      - .offset:         1296
        .size:           2
        .value_kind:     hidden_group_size_z
      - .offset:         1298
        .size:           2
        .value_kind:     hidden_remainder_x
      - .offset:         1300
        .size:           2
        .value_kind:     hidden_remainder_y
      - .offset:         1302
        .size:           2
        .value_kind:     hidden_remainder_z
      - .offset:         1320
        .size:           8
        .value_kind:     hidden_global_offset_x
      - .offset:         1328
        .size:           8
        .value_kind:     hidden_global_offset_y
      - .offset:         1336
        .size:           8
        .value_kind:     hidden_global_offset_z
      - .offset:         1344
        .size:           2
        .value_kind:     hidden_grid_dims
    .group_segment_fixed_size: 5144
    .kernarg_segment_align: 8
    .kernarg_segment_size: 1536
    .language:       OpenCL C
    .language_version:
      - 2
      - 0
    .max_flat_workgroup_size: 1024
    .name:           _ZN2at6native12_GLOBAL__N_114gatherKthValueIdlLi2EEEvNS_4cuda6detail10TensorInfoIKT_T0_EES8_S8_S8_S8_NS5_IS6_S8_EENS5_IlS8_EE
    .private_segment_fixed_size: 0
    .sgpr_count:     106
    .sgpr_spill_count: 54
    .symbol:         _ZN2at6native12_GLOBAL__N_114gatherKthValueIdlLi2EEEvNS_4cuda6detail10TensorInfoIKT_T0_EES8_S8_S8_S8_NS5_IS6_S8_EENS5_IlS8_EE.kd
    .uniform_work_group_size: 1
    .uses_dynamic_stack: false
    .vgpr_count:     69
    .vgpr_spill_count: 0
    .wavefront_size: 64
  - .agpr_count:     0
    .args:
      - .offset:         0
        .size:           416
        .value_kind:     by_value
      - .offset:         416
        .size:           8
        .value_kind:     by_value
      - .offset:         424
        .size:           8
        .value_kind:     by_value
      - .offset:         432
        .size:           8
        .value_kind:     by_value
      - .offset:         440
        .size:           8
        .value_kind:     by_value
      - .offset:         448
        .size:           416
        .value_kind:     by_value
      - .offset:         864
        .size:           416
        .value_kind:     by_value
      - .offset:         1280
        .size:           4
        .value_kind:     hidden_block_count_x
      - .offset:         1284
        .size:           4
        .value_kind:     hidden_block_count_y
      - .offset:         1288
        .size:           4
        .value_kind:     hidden_block_count_z
      - .offset:         1292
        .size:           2
        .value_kind:     hidden_group_size_x
      - .offset:         1294
        .size:           2
        .value_kind:     hidden_group_size_y
      - .offset:         1296
        .size:           2
        .value_kind:     hidden_group_size_z
      - .offset:         1298
        .size:           2
        .value_kind:     hidden_remainder_x
      - .offset:         1300
        .size:           2
        .value_kind:     hidden_remainder_y
      - .offset:         1302
        .size:           2
        .value_kind:     hidden_remainder_z
      - .offset:         1320
        .size:           8
        .value_kind:     hidden_global_offset_x
      - .offset:         1328
        .size:           8
        .value_kind:     hidden_global_offset_y
      - .offset:         1336
        .size:           8
        .value_kind:     hidden_global_offset_z
      - .offset:         1344
        .size:           2
        .value_kind:     hidden_grid_dims
    .group_segment_fixed_size: 5144
    .kernarg_segment_align: 8
    .kernarg_segment_size: 1536
    .language:       OpenCL C
    .language_version:
      - 2
      - 0
    .max_flat_workgroup_size: 1024
    .name:           _ZN2at6native12_GLOBAL__N_114gatherKthValueIdlLi3EEEvNS_4cuda6detail10TensorInfoIKT_T0_EES8_S8_S8_S8_NS5_IS6_S8_EENS5_IlS8_EE
    .private_segment_fixed_size: 0
    .sgpr_count:     105
    .sgpr_spill_count: 65
    .symbol:         _ZN2at6native12_GLOBAL__N_114gatherKthValueIdlLi3EEEvNS_4cuda6detail10TensorInfoIKT_T0_EES8_S8_S8_S8_NS5_IS6_S8_EENS5_IlS8_EE.kd
    .uniform_work_group_size: 1
    .uses_dynamic_stack: false
    .vgpr_count:     69
    .vgpr_spill_count: 0
    .wavefront_size: 64
  - .agpr_count:     0
    .args:
      - .offset:         0
        .size:           416
        .value_kind:     by_value
      - .offset:         416
        .size:           8
        .value_kind:     by_value
      - .offset:         424
        .size:           8
        .value_kind:     by_value
      - .offset:         432
        .size:           8
        .value_kind:     by_value
      - .offset:         440
        .size:           8
        .value_kind:     by_value
      - .offset:         448
        .size:           416
        .value_kind:     by_value
      - .offset:         864
        .size:           416
        .value_kind:     by_value
      - .offset:         1280
        .size:           4
        .value_kind:     hidden_block_count_x
      - .offset:         1284
        .size:           4
        .value_kind:     hidden_block_count_y
      - .offset:         1288
        .size:           4
        .value_kind:     hidden_block_count_z
      - .offset:         1292
        .size:           2
        .value_kind:     hidden_group_size_x
      - .offset:         1294
        .size:           2
        .value_kind:     hidden_group_size_y
      - .offset:         1296
        .size:           2
        .value_kind:     hidden_group_size_z
      - .offset:         1298
        .size:           2
        .value_kind:     hidden_remainder_x
      - .offset:         1300
        .size:           2
        .value_kind:     hidden_remainder_y
      - .offset:         1302
        .size:           2
        .value_kind:     hidden_remainder_z
      - .offset:         1320
        .size:           8
        .value_kind:     hidden_global_offset_x
      - .offset:         1328
        .size:           8
        .value_kind:     hidden_global_offset_y
      - .offset:         1336
        .size:           8
        .value_kind:     hidden_global_offset_z
      - .offset:         1344
        .size:           2
        .value_kind:     hidden_grid_dims
    .group_segment_fixed_size: 5144
    .kernarg_segment_align: 8
    .kernarg_segment_size: 1536
    .language:       OpenCL C
    .language_version:
      - 2
      - 0
    .max_flat_workgroup_size: 1024
    .name:           _ZN2at6native12_GLOBAL__N_114gatherKthValueIdlLin1EEEvNS_4cuda6detail10TensorInfoIKT_T0_EES8_S8_S8_S8_NS5_IS6_S8_EENS5_IlS8_EE
    .private_segment_fixed_size: 0
    .sgpr_count:     106
    .sgpr_spill_count: 43
    .symbol:         _ZN2at6native12_GLOBAL__N_114gatherKthValueIdlLin1EEEvNS_4cuda6detail10TensorInfoIKT_T0_EES8_S8_S8_S8_NS5_IS6_S8_EENS5_IlS8_EE.kd
    .uniform_work_group_size: 1
    .uses_dynamic_stack: false
    .vgpr_count:     77
    .vgpr_spill_count: 0
    .wavefront_size: 64
  - .agpr_count:     0
    .args:
      - .offset:         0
        .size:           216
        .value_kind:     by_value
      - .offset:         216
        .size:           4
        .value_kind:     by_value
      - .offset:         220
        .size:           4
        .value_kind:     by_value
      - .offset:         224
        .size:           4
        .value_kind:     by_value
      - .offset:         228
        .size:           4
        .value_kind:     by_value
      - .offset:         232
        .size:           216
        .value_kind:     by_value
      - .offset:         448
        .size:           216
        .value_kind:     by_value
      - .offset:         664
        .size:           4
        .value_kind:     hidden_block_count_x
      - .offset:         668
        .size:           4
        .value_kind:     hidden_block_count_y
      - .offset:         672
        .size:           4
        .value_kind:     hidden_block_count_z
      - .offset:         676
        .size:           2
        .value_kind:     hidden_group_size_x
      - .offset:         678
        .size:           2
        .value_kind:     hidden_group_size_y
      - .offset:         680
        .size:           2
        .value_kind:     hidden_group_size_z
      - .offset:         682
        .size:           2
        .value_kind:     hidden_remainder_x
      - .offset:         684
        .size:           2
        .value_kind:     hidden_remainder_y
      - .offset:         686
        .size:           2
        .value_kind:     hidden_remainder_z
      - .offset:         704
        .size:           8
        .value_kind:     hidden_global_offset_x
      - .offset:         712
        .size:           8
        .value_kind:     hidden_global_offset_y
      - .offset:         720
        .size:           8
        .value_kind:     hidden_global_offset_z
      - .offset:         728
        .size:           2
        .value_kind:     hidden_grid_dims
    .group_segment_fixed_size: 4112
    .kernarg_segment_align: 8
    .kernarg_segment_size: 920
    .language:       OpenCL C
    .language_version:
      - 2
      - 0
    .max_flat_workgroup_size: 1024
    .name:           _ZN2at6native12_GLOBAL__N_114gatherKthValueIfiLi1EEEvNS_4cuda6detail10TensorInfoIKT_T0_EES8_S8_S8_S8_NS5_IS6_S8_EENS5_IlS8_EE
    .private_segment_fixed_size: 0
    .sgpr_count:     106
    .sgpr_spill_count: 27
    .symbol:         _ZN2at6native12_GLOBAL__N_114gatherKthValueIfiLi1EEEvNS_4cuda6detail10TensorInfoIKT_T0_EES8_S8_S8_S8_NS5_IS6_S8_EENS5_IlS8_EE.kd
    .uniform_work_group_size: 1
    .uses_dynamic_stack: false
    .vgpr_count:     55
    .vgpr_spill_count: 0
    .wavefront_size: 64
  - .agpr_count:     0
    .args:
      - .offset:         0
        .size:           216
        .value_kind:     by_value
      - .offset:         216
        .size:           4
        .value_kind:     by_value
      - .offset:         220
        .size:           4
        .value_kind:     by_value
      - .offset:         224
        .size:           4
        .value_kind:     by_value
      - .offset:         228
        .size:           4
        .value_kind:     by_value
      - .offset:         232
        .size:           216
        .value_kind:     by_value
      - .offset:         448
        .size:           216
        .value_kind:     by_value
      - .offset:         664
        .size:           4
        .value_kind:     hidden_block_count_x
      - .offset:         668
        .size:           4
        .value_kind:     hidden_block_count_y
      - .offset:         672
        .size:           4
        .value_kind:     hidden_block_count_z
      - .offset:         676
        .size:           2
        .value_kind:     hidden_group_size_x
      - .offset:         678
        .size:           2
        .value_kind:     hidden_group_size_y
      - .offset:         680
        .size:           2
        .value_kind:     hidden_group_size_z
      - .offset:         682
        .size:           2
        .value_kind:     hidden_remainder_x
      - .offset:         684
        .size:           2
        .value_kind:     hidden_remainder_y
      - .offset:         686
        .size:           2
        .value_kind:     hidden_remainder_z
      - .offset:         704
        .size:           8
        .value_kind:     hidden_global_offset_x
      - .offset:         712
        .size:           8
        .value_kind:     hidden_global_offset_y
      - .offset:         720
        .size:           8
        .value_kind:     hidden_global_offset_z
      - .offset:         728
        .size:           2
        .value_kind:     hidden_grid_dims
    .group_segment_fixed_size: 4112
    .kernarg_segment_align: 8
    .kernarg_segment_size: 920
    .language:       OpenCL C
    .language_version:
      - 2
      - 0
    .max_flat_workgroup_size: 1024
    .name:           _ZN2at6native12_GLOBAL__N_114gatherKthValueIfiLi2EEEvNS_4cuda6detail10TensorInfoIKT_T0_EES8_S8_S8_S8_NS5_IS6_S8_EENS5_IlS8_EE
    .private_segment_fixed_size: 0
    .sgpr_count:     106
    .sgpr_spill_count: 39
    .symbol:         _ZN2at6native12_GLOBAL__N_114gatherKthValueIfiLi2EEEvNS_4cuda6detail10TensorInfoIKT_T0_EES8_S8_S8_S8_NS5_IS6_S8_EENS5_IlS8_EE.kd
    .uniform_work_group_size: 1
    .uses_dynamic_stack: false
    .vgpr_count:     55
    .vgpr_spill_count: 0
    .wavefront_size: 64
  - .agpr_count:     0
    .args:
      - .offset:         0
        .size:           216
        .value_kind:     by_value
      - .offset:         216
        .size:           4
        .value_kind:     by_value
      - .offset:         220
        .size:           4
        .value_kind:     by_value
      - .offset:         224
        .size:           4
        .value_kind:     by_value
      - .offset:         228
        .size:           4
        .value_kind:     by_value
      - .offset:         232
        .size:           216
        .value_kind:     by_value
      - .offset:         448
        .size:           216
        .value_kind:     by_value
      - .offset:         664
        .size:           4
        .value_kind:     hidden_block_count_x
      - .offset:         668
        .size:           4
        .value_kind:     hidden_block_count_y
      - .offset:         672
        .size:           4
        .value_kind:     hidden_block_count_z
      - .offset:         676
        .size:           2
        .value_kind:     hidden_group_size_x
      - .offset:         678
        .size:           2
        .value_kind:     hidden_group_size_y
      - .offset:         680
        .size:           2
        .value_kind:     hidden_group_size_z
      - .offset:         682
        .size:           2
        .value_kind:     hidden_remainder_x
      - .offset:         684
        .size:           2
        .value_kind:     hidden_remainder_y
      - .offset:         686
        .size:           2
        .value_kind:     hidden_remainder_z
      - .offset:         704
        .size:           8
        .value_kind:     hidden_global_offset_x
      - .offset:         712
        .size:           8
        .value_kind:     hidden_global_offset_y
      - .offset:         720
        .size:           8
        .value_kind:     hidden_global_offset_z
      - .offset:         728
        .size:           2
        .value_kind:     hidden_grid_dims
    .group_segment_fixed_size: 4112
    .kernarg_segment_align: 8
    .kernarg_segment_size: 920
    .language:       OpenCL C
    .language_version:
      - 2
      - 0
    .max_flat_workgroup_size: 1024
    .name:           _ZN2at6native12_GLOBAL__N_114gatherKthValueIfiLi3EEEvNS_4cuda6detail10TensorInfoIKT_T0_EES8_S8_S8_S8_NS5_IS6_S8_EENS5_IlS8_EE
    .private_segment_fixed_size: 0
    .sgpr_count:     106
    .sgpr_spill_count: 47
    .symbol:         _ZN2at6native12_GLOBAL__N_114gatherKthValueIfiLi3EEEvNS_4cuda6detail10TensorInfoIKT_T0_EES8_S8_S8_S8_NS5_IS6_S8_EENS5_IlS8_EE.kd
    .uniform_work_group_size: 1
    .uses_dynamic_stack: false
    .vgpr_count:     55
    .vgpr_spill_count: 0
    .wavefront_size: 64
  - .agpr_count:     0
    .args:
      - .offset:         0
        .size:           216
        .value_kind:     by_value
      - .offset:         216
        .size:           4
        .value_kind:     by_value
      - .offset:         220
        .size:           4
        .value_kind:     by_value
      - .offset:         224
        .size:           4
        .value_kind:     by_value
      - .offset:         228
        .size:           4
        .value_kind:     by_value
      - .offset:         232
        .size:           216
        .value_kind:     by_value
      - .offset:         448
        .size:           216
        .value_kind:     by_value
      - .offset:         664
        .size:           4
        .value_kind:     hidden_block_count_x
      - .offset:         668
        .size:           4
        .value_kind:     hidden_block_count_y
      - .offset:         672
        .size:           4
        .value_kind:     hidden_block_count_z
      - .offset:         676
        .size:           2
        .value_kind:     hidden_group_size_x
      - .offset:         678
        .size:           2
        .value_kind:     hidden_group_size_y
      - .offset:         680
        .size:           2
        .value_kind:     hidden_group_size_z
      - .offset:         682
        .size:           2
        .value_kind:     hidden_remainder_x
      - .offset:         684
        .size:           2
        .value_kind:     hidden_remainder_y
      - .offset:         686
        .size:           2
        .value_kind:     hidden_remainder_z
      - .offset:         704
        .size:           8
        .value_kind:     hidden_global_offset_x
      - .offset:         712
        .size:           8
        .value_kind:     hidden_global_offset_y
      - .offset:         720
        .size:           8
        .value_kind:     hidden_global_offset_z
      - .offset:         728
        .size:           2
        .value_kind:     hidden_grid_dims
    .group_segment_fixed_size: 4112
    .kernarg_segment_align: 8
    .kernarg_segment_size: 920
    .language:       OpenCL C
    .language_version:
      - 2
      - 0
    .max_flat_workgroup_size: 1024
    .name:           _ZN2at6native12_GLOBAL__N_114gatherKthValueIfiLin1EEEvNS_4cuda6detail10TensorInfoIKT_T0_EES8_S8_S8_S8_NS5_IS6_S8_EENS5_IlS8_EE
    .private_segment_fixed_size: 0
    .sgpr_count:     106
    .sgpr_spill_count: 30
    .symbol:         _ZN2at6native12_GLOBAL__N_114gatherKthValueIfiLin1EEEvNS_4cuda6detail10TensorInfoIKT_T0_EES8_S8_S8_S8_NS5_IS6_S8_EENS5_IlS8_EE.kd
    .uniform_work_group_size: 1
    .uses_dynamic_stack: false
    .vgpr_count:     55
    .vgpr_spill_count: 0
    .wavefront_size: 64
  - .agpr_count:     0
    .args:
      - .offset:         0
        .size:           416
        .value_kind:     by_value
      - .offset:         416
        .size:           8
        .value_kind:     by_value
      - .offset:         424
        .size:           8
        .value_kind:     by_value
      - .offset:         432
        .size:           8
        .value_kind:     by_value
      - .offset:         440
        .size:           8
        .value_kind:     by_value
      - .offset:         448
        .size:           416
        .value_kind:     by_value
      - .offset:         864
        .size:           416
        .value_kind:     by_value
      - .offset:         1280
        .size:           4
        .value_kind:     hidden_block_count_x
      - .offset:         1284
        .size:           4
        .value_kind:     hidden_block_count_y
      - .offset:         1288
        .size:           4
        .value_kind:     hidden_block_count_z
      - .offset:         1292
        .size:           2
        .value_kind:     hidden_group_size_x
      - .offset:         1294
        .size:           2
        .value_kind:     hidden_group_size_y
      - .offset:         1296
        .size:           2
        .value_kind:     hidden_group_size_z
      - .offset:         1298
        .size:           2
        .value_kind:     hidden_remainder_x
      - .offset:         1300
        .size:           2
        .value_kind:     hidden_remainder_y
      - .offset:         1302
        .size:           2
        .value_kind:     hidden_remainder_z
      - .offset:         1320
        .size:           8
        .value_kind:     hidden_global_offset_x
      - .offset:         1328
        .size:           8
        .value_kind:     hidden_global_offset_y
      - .offset:         1336
        .size:           8
        .value_kind:     hidden_global_offset_z
      - .offset:         1344
        .size:           2
        .value_kind:     hidden_grid_dims
    .group_segment_fixed_size: 5144
    .kernarg_segment_align: 8
    .kernarg_segment_size: 1536
    .language:       OpenCL C
    .language_version:
      - 2
      - 0
    .max_flat_workgroup_size: 1024
    .name:           _ZN2at6native12_GLOBAL__N_114gatherKthValueIflLi1EEEvNS_4cuda6detail10TensorInfoIKT_T0_EES8_S8_S8_S8_NS5_IS6_S8_EENS5_IlS8_EE
    .private_segment_fixed_size: 0
    .sgpr_count:     106
    .sgpr_spill_count: 41
    .symbol:         _ZN2at6native12_GLOBAL__N_114gatherKthValueIflLi1EEEvNS_4cuda6detail10TensorInfoIKT_T0_EES8_S8_S8_S8_NS5_IS6_S8_EENS5_IlS8_EE.kd
    .uniform_work_group_size: 1
    .uses_dynamic_stack: false
    .vgpr_count:     63
    .vgpr_spill_count: 0
    .wavefront_size: 64
  - .agpr_count:     0
    .args:
      - .offset:         0
        .size:           416
        .value_kind:     by_value
      - .offset:         416
        .size:           8
        .value_kind:     by_value
      - .offset:         424
        .size:           8
        .value_kind:     by_value
      - .offset:         432
        .size:           8
        .value_kind:     by_value
      - .offset:         440
        .size:           8
        .value_kind:     by_value
      - .offset:         448
        .size:           416
        .value_kind:     by_value
      - .offset:         864
        .size:           416
        .value_kind:     by_value
      - .offset:         1280
        .size:           4
        .value_kind:     hidden_block_count_x
      - .offset:         1284
        .size:           4
        .value_kind:     hidden_block_count_y
      - .offset:         1288
        .size:           4
        .value_kind:     hidden_block_count_z
      - .offset:         1292
        .size:           2
        .value_kind:     hidden_group_size_x
      - .offset:         1294
        .size:           2
        .value_kind:     hidden_group_size_y
      - .offset:         1296
        .size:           2
        .value_kind:     hidden_group_size_z
      - .offset:         1298
        .size:           2
        .value_kind:     hidden_remainder_x
      - .offset:         1300
        .size:           2
        .value_kind:     hidden_remainder_y
      - .offset:         1302
        .size:           2
        .value_kind:     hidden_remainder_z
      - .offset:         1320
        .size:           8
        .value_kind:     hidden_global_offset_x
      - .offset:         1328
        .size:           8
        .value_kind:     hidden_global_offset_y
      - .offset:         1336
        .size:           8
        .value_kind:     hidden_global_offset_z
      - .offset:         1344
        .size:           2
        .value_kind:     hidden_grid_dims
    .group_segment_fixed_size: 5144
    .kernarg_segment_align: 8
    .kernarg_segment_size: 1536
    .language:       OpenCL C
    .language_version:
      - 2
      - 0
    .max_flat_workgroup_size: 1024
    .name:           _ZN2at6native12_GLOBAL__N_114gatherKthValueIflLi2EEEvNS_4cuda6detail10TensorInfoIKT_T0_EES8_S8_S8_S8_NS5_IS6_S8_EENS5_IlS8_EE
    .private_segment_fixed_size: 0
    .sgpr_count:     106
    .sgpr_spill_count: 61
    .symbol:         _ZN2at6native12_GLOBAL__N_114gatherKthValueIflLi2EEEvNS_4cuda6detail10TensorInfoIKT_T0_EES8_S8_S8_S8_NS5_IS6_S8_EENS5_IlS8_EE.kd
    .uniform_work_group_size: 1
    .uses_dynamic_stack: false
    .vgpr_count:     65
    .vgpr_spill_count: 0
    .wavefront_size: 64
  - .agpr_count:     0
    .args:
      - .offset:         0
        .size:           416
        .value_kind:     by_value
      - .offset:         416
        .size:           8
        .value_kind:     by_value
      - .offset:         424
        .size:           8
        .value_kind:     by_value
      - .offset:         432
        .size:           8
        .value_kind:     by_value
      - .offset:         440
        .size:           8
        .value_kind:     by_value
      - .offset:         448
        .size:           416
        .value_kind:     by_value
      - .offset:         864
        .size:           416
        .value_kind:     by_value
      - .offset:         1280
        .size:           4
        .value_kind:     hidden_block_count_x
      - .offset:         1284
        .size:           4
        .value_kind:     hidden_block_count_y
      - .offset:         1288
        .size:           4
        .value_kind:     hidden_block_count_z
      - .offset:         1292
        .size:           2
        .value_kind:     hidden_group_size_x
      - .offset:         1294
        .size:           2
        .value_kind:     hidden_group_size_y
      - .offset:         1296
        .size:           2
        .value_kind:     hidden_group_size_z
      - .offset:         1298
        .size:           2
        .value_kind:     hidden_remainder_x
      - .offset:         1300
        .size:           2
        .value_kind:     hidden_remainder_y
      - .offset:         1302
        .size:           2
        .value_kind:     hidden_remainder_z
      - .offset:         1320
        .size:           8
        .value_kind:     hidden_global_offset_x
      - .offset:         1328
        .size:           8
        .value_kind:     hidden_global_offset_y
      - .offset:         1336
        .size:           8
        .value_kind:     hidden_global_offset_z
      - .offset:         1344
        .size:           2
        .value_kind:     hidden_grid_dims
    .group_segment_fixed_size: 5144
    .kernarg_segment_align: 8
    .kernarg_segment_size: 1536
    .language:       OpenCL C
    .language_version:
      - 2
      - 0
    .max_flat_workgroup_size: 1024
    .name:           _ZN2at6native12_GLOBAL__N_114gatherKthValueIflLi3EEEvNS_4cuda6detail10TensorInfoIKT_T0_EES8_S8_S8_S8_NS5_IS6_S8_EENS5_IlS8_EE
    .private_segment_fixed_size: 0
    .sgpr_count:     106
    .sgpr_spill_count: 69
    .symbol:         _ZN2at6native12_GLOBAL__N_114gatherKthValueIflLi3EEEvNS_4cuda6detail10TensorInfoIKT_T0_EES8_S8_S8_S8_NS5_IS6_S8_EENS5_IlS8_EE.kd
    .uniform_work_group_size: 1
    .uses_dynamic_stack: false
    .vgpr_count:     66
    .vgpr_spill_count: 0
    .wavefront_size: 64
  - .agpr_count:     0
    .args:
      - .offset:         0
        .size:           416
        .value_kind:     by_value
      - .offset:         416
        .size:           8
        .value_kind:     by_value
      - .offset:         424
        .size:           8
        .value_kind:     by_value
      - .offset:         432
        .size:           8
        .value_kind:     by_value
      - .offset:         440
        .size:           8
        .value_kind:     by_value
      - .offset:         448
        .size:           416
        .value_kind:     by_value
      - .offset:         864
        .size:           416
        .value_kind:     by_value
      - .offset:         1280
        .size:           4
        .value_kind:     hidden_block_count_x
      - .offset:         1284
        .size:           4
        .value_kind:     hidden_block_count_y
      - .offset:         1288
        .size:           4
        .value_kind:     hidden_block_count_z
      - .offset:         1292
        .size:           2
        .value_kind:     hidden_group_size_x
      - .offset:         1294
        .size:           2
        .value_kind:     hidden_group_size_y
      - .offset:         1296
        .size:           2
        .value_kind:     hidden_group_size_z
      - .offset:         1298
        .size:           2
        .value_kind:     hidden_remainder_x
      - .offset:         1300
        .size:           2
        .value_kind:     hidden_remainder_y
      - .offset:         1302
        .size:           2
        .value_kind:     hidden_remainder_z
      - .offset:         1320
        .size:           8
        .value_kind:     hidden_global_offset_x
      - .offset:         1328
        .size:           8
        .value_kind:     hidden_global_offset_y
      - .offset:         1336
        .size:           8
        .value_kind:     hidden_global_offset_z
      - .offset:         1344
        .size:           2
        .value_kind:     hidden_grid_dims
    .group_segment_fixed_size: 5144
    .kernarg_segment_align: 8
    .kernarg_segment_size: 1536
    .language:       OpenCL C
    .language_version:
      - 2
      - 0
    .max_flat_workgroup_size: 1024
    .name:           _ZN2at6native12_GLOBAL__N_114gatherKthValueIflLin1EEEvNS_4cuda6detail10TensorInfoIKT_T0_EES8_S8_S8_S8_NS5_IS6_S8_EENS5_IlS8_EE
    .private_segment_fixed_size: 0
    .sgpr_count:     106
    .sgpr_spill_count: 52
    .symbol:         _ZN2at6native12_GLOBAL__N_114gatherKthValueIflLin1EEEvNS_4cuda6detail10TensorInfoIKT_T0_EES8_S8_S8_S8_NS5_IS6_S8_EENS5_IlS8_EE.kd
    .uniform_work_group_size: 1
    .uses_dynamic_stack: false
    .vgpr_count:     66
    .vgpr_spill_count: 0
    .wavefront_size: 64
  - .agpr_count:     0
    .args:
      - .offset:         0
        .size:           216
        .value_kind:     by_value
      - .offset:         216
        .size:           4
        .value_kind:     by_value
      - .offset:         220
        .size:           4
        .value_kind:     by_value
      - .offset:         224
        .size:           4
        .value_kind:     by_value
      - .offset:         228
        .size:           4
        .value_kind:     by_value
      - .offset:         232
        .size:           216
        .value_kind:     by_value
      - .offset:         448
        .size:           216
        .value_kind:     by_value
      - .offset:         664
        .size:           4
        .value_kind:     hidden_block_count_x
      - .offset:         668
        .size:           4
        .value_kind:     hidden_block_count_y
      - .offset:         672
        .size:           4
        .value_kind:     hidden_block_count_z
      - .offset:         676
        .size:           2
        .value_kind:     hidden_group_size_x
      - .offset:         678
        .size:           2
        .value_kind:     hidden_group_size_y
      - .offset:         680
        .size:           2
        .value_kind:     hidden_group_size_z
      - .offset:         682
        .size:           2
        .value_kind:     hidden_remainder_x
      - .offset:         684
        .size:           2
        .value_kind:     hidden_remainder_y
      - .offset:         686
        .size:           2
        .value_kind:     hidden_remainder_z
      - .offset:         704
        .size:           8
        .value_kind:     hidden_global_offset_x
      - .offset:         712
        .size:           8
        .value_kind:     hidden_global_offset_y
      - .offset:         720
        .size:           8
        .value_kind:     hidden_global_offset_z
      - .offset:         728
        .size:           2
        .value_kind:     hidden_grid_dims
    .group_segment_fixed_size: 4112
    .kernarg_segment_align: 8
    .kernarg_segment_size: 920
    .language:       OpenCL C
    .language_version:
      - 2
      - 0
    .max_flat_workgroup_size: 1024
    .name:           _ZN2at6native12_GLOBAL__N_114gatherKthValueIN3c104HalfEiLi1EEEvNS_4cuda6detail10TensorInfoIKT_T0_EESA_SA_SA_SA_NS7_IS8_SA_EENS7_IlSA_EE
    .private_segment_fixed_size: 0
    .sgpr_count:     106
    .sgpr_spill_count: 30
    .symbol:         _ZN2at6native12_GLOBAL__N_114gatherKthValueIN3c104HalfEiLi1EEEvNS_4cuda6detail10TensorInfoIKT_T0_EESA_SA_SA_SA_NS7_IS8_SA_EENS7_IlSA_EE.kd
    .uniform_work_group_size: 1
    .uses_dynamic_stack: false
    .vgpr_count:     57
    .vgpr_spill_count: 0
    .wavefront_size: 64
  - .agpr_count:     0
    .args:
      - .offset:         0
        .size:           216
        .value_kind:     by_value
      - .offset:         216
        .size:           4
        .value_kind:     by_value
      - .offset:         220
        .size:           4
        .value_kind:     by_value
      - .offset:         224
        .size:           4
        .value_kind:     by_value
      - .offset:         228
        .size:           4
        .value_kind:     by_value
      - .offset:         232
        .size:           216
        .value_kind:     by_value
      - .offset:         448
        .size:           216
        .value_kind:     by_value
      - .offset:         664
        .size:           4
        .value_kind:     hidden_block_count_x
      - .offset:         668
        .size:           4
        .value_kind:     hidden_block_count_y
      - .offset:         672
        .size:           4
        .value_kind:     hidden_block_count_z
      - .offset:         676
        .size:           2
        .value_kind:     hidden_group_size_x
      - .offset:         678
        .size:           2
        .value_kind:     hidden_group_size_y
      - .offset:         680
        .size:           2
        .value_kind:     hidden_group_size_z
      - .offset:         682
        .size:           2
        .value_kind:     hidden_remainder_x
      - .offset:         684
        .size:           2
        .value_kind:     hidden_remainder_y
      - .offset:         686
        .size:           2
        .value_kind:     hidden_remainder_z
      - .offset:         704
        .size:           8
        .value_kind:     hidden_global_offset_x
      - .offset:         712
        .size:           8
        .value_kind:     hidden_global_offset_y
      - .offset:         720
        .size:           8
        .value_kind:     hidden_global_offset_z
      - .offset:         728
        .size:           2
        .value_kind:     hidden_grid_dims
    .group_segment_fixed_size: 4112
    .kernarg_segment_align: 8
    .kernarg_segment_size: 920
    .language:       OpenCL C
    .language_version:
      - 2
      - 0
    .max_flat_workgroup_size: 1024
    .name:           _ZN2at6native12_GLOBAL__N_114gatherKthValueIN3c104HalfEiLi2EEEvNS_4cuda6detail10TensorInfoIKT_T0_EESA_SA_SA_SA_NS7_IS8_SA_EENS7_IlSA_EE
    .private_segment_fixed_size: 0
    .sgpr_count:     106
    .sgpr_spill_count: 42
    .symbol:         _ZN2at6native12_GLOBAL__N_114gatherKthValueIN3c104HalfEiLi2EEEvNS_4cuda6detail10TensorInfoIKT_T0_EESA_SA_SA_SA_NS7_IS8_SA_EENS7_IlSA_EE.kd
    .uniform_work_group_size: 1
    .uses_dynamic_stack: false
    .vgpr_count:     57
    .vgpr_spill_count: 0
    .wavefront_size: 64
  - .agpr_count:     0
    .args:
      - .offset:         0
        .size:           216
        .value_kind:     by_value
      - .offset:         216
        .size:           4
        .value_kind:     by_value
      - .offset:         220
        .size:           4
        .value_kind:     by_value
      - .offset:         224
        .size:           4
        .value_kind:     by_value
      - .offset:         228
        .size:           4
        .value_kind:     by_value
      - .offset:         232
        .size:           216
        .value_kind:     by_value
      - .offset:         448
        .size:           216
        .value_kind:     by_value
      - .offset:         664
        .size:           4
        .value_kind:     hidden_block_count_x
      - .offset:         668
        .size:           4
        .value_kind:     hidden_block_count_y
      - .offset:         672
        .size:           4
        .value_kind:     hidden_block_count_z
      - .offset:         676
        .size:           2
        .value_kind:     hidden_group_size_x
      - .offset:         678
        .size:           2
        .value_kind:     hidden_group_size_y
      - .offset:         680
        .size:           2
        .value_kind:     hidden_group_size_z
      - .offset:         682
        .size:           2
        .value_kind:     hidden_remainder_x
      - .offset:         684
        .size:           2
        .value_kind:     hidden_remainder_y
      - .offset:         686
        .size:           2
        .value_kind:     hidden_remainder_z
      - .offset:         704
        .size:           8
        .value_kind:     hidden_global_offset_x
      - .offset:         712
        .size:           8
        .value_kind:     hidden_global_offset_y
      - .offset:         720
        .size:           8
        .value_kind:     hidden_global_offset_z
      - .offset:         728
        .size:           2
        .value_kind:     hidden_grid_dims
    .group_segment_fixed_size: 4112
    .kernarg_segment_align: 8
    .kernarg_segment_size: 920
    .language:       OpenCL C
    .language_version:
      - 2
      - 0
    .max_flat_workgroup_size: 1024
    .name:           _ZN2at6native12_GLOBAL__N_114gatherKthValueIN3c104HalfEiLi3EEEvNS_4cuda6detail10TensorInfoIKT_T0_EESA_SA_SA_SA_NS7_IS8_SA_EENS7_IlSA_EE
    .private_segment_fixed_size: 0
    .sgpr_count:     106
    .sgpr_spill_count: 50
    .symbol:         _ZN2at6native12_GLOBAL__N_114gatherKthValueIN3c104HalfEiLi3EEEvNS_4cuda6detail10TensorInfoIKT_T0_EESA_SA_SA_SA_NS7_IS8_SA_EENS7_IlSA_EE.kd
    .uniform_work_group_size: 1
    .uses_dynamic_stack: false
    .vgpr_count:     57
    .vgpr_spill_count: 0
    .wavefront_size: 64
  - .agpr_count:     0
    .args:
      - .offset:         0
        .size:           216
        .value_kind:     by_value
      - .offset:         216
        .size:           4
        .value_kind:     by_value
      - .offset:         220
        .size:           4
        .value_kind:     by_value
      - .offset:         224
        .size:           4
        .value_kind:     by_value
      - .offset:         228
        .size:           4
        .value_kind:     by_value
      - .offset:         232
        .size:           216
        .value_kind:     by_value
      - .offset:         448
        .size:           216
        .value_kind:     by_value
      - .offset:         664
        .size:           4
        .value_kind:     hidden_block_count_x
      - .offset:         668
        .size:           4
        .value_kind:     hidden_block_count_y
      - .offset:         672
        .size:           4
        .value_kind:     hidden_block_count_z
      - .offset:         676
        .size:           2
        .value_kind:     hidden_group_size_x
      - .offset:         678
        .size:           2
        .value_kind:     hidden_group_size_y
      - .offset:         680
        .size:           2
        .value_kind:     hidden_group_size_z
      - .offset:         682
        .size:           2
        .value_kind:     hidden_remainder_x
      - .offset:         684
        .size:           2
        .value_kind:     hidden_remainder_y
      - .offset:         686
        .size:           2
        .value_kind:     hidden_remainder_z
      - .offset:         704
        .size:           8
        .value_kind:     hidden_global_offset_x
      - .offset:         712
        .size:           8
        .value_kind:     hidden_global_offset_y
      - .offset:         720
        .size:           8
        .value_kind:     hidden_global_offset_z
      - .offset:         728
        .size:           2
        .value_kind:     hidden_grid_dims
    .group_segment_fixed_size: 4112
    .kernarg_segment_align: 8
    .kernarg_segment_size: 920
    .language:       OpenCL C
    .language_version:
      - 2
      - 0
    .max_flat_workgroup_size: 1024
    .name:           _ZN2at6native12_GLOBAL__N_114gatherKthValueIN3c104HalfEiLin1EEEvNS_4cuda6detail10TensorInfoIKT_T0_EESA_SA_SA_SA_NS7_IS8_SA_EENS7_IlSA_EE
    .private_segment_fixed_size: 0
    .sgpr_count:     106
    .sgpr_spill_count: 33
    .symbol:         _ZN2at6native12_GLOBAL__N_114gatherKthValueIN3c104HalfEiLin1EEEvNS_4cuda6detail10TensorInfoIKT_T0_EESA_SA_SA_SA_NS7_IS8_SA_EENS7_IlSA_EE.kd
    .uniform_work_group_size: 1
    .uses_dynamic_stack: false
    .vgpr_count:     57
    .vgpr_spill_count: 0
    .wavefront_size: 64
  - .agpr_count:     0
    .args:
      - .offset:         0
        .size:           416
        .value_kind:     by_value
      - .offset:         416
        .size:           8
        .value_kind:     by_value
      - .offset:         424
        .size:           8
        .value_kind:     by_value
      - .offset:         432
        .size:           8
        .value_kind:     by_value
      - .offset:         440
        .size:           8
        .value_kind:     by_value
      - .offset:         448
        .size:           416
        .value_kind:     by_value
      - .offset:         864
        .size:           416
        .value_kind:     by_value
      - .offset:         1280
        .size:           4
        .value_kind:     hidden_block_count_x
      - .offset:         1284
        .size:           4
        .value_kind:     hidden_block_count_y
      - .offset:         1288
        .size:           4
        .value_kind:     hidden_block_count_z
      - .offset:         1292
        .size:           2
        .value_kind:     hidden_group_size_x
      - .offset:         1294
        .size:           2
        .value_kind:     hidden_group_size_y
      - .offset:         1296
        .size:           2
        .value_kind:     hidden_group_size_z
      - .offset:         1298
        .size:           2
        .value_kind:     hidden_remainder_x
      - .offset:         1300
        .size:           2
        .value_kind:     hidden_remainder_y
      - .offset:         1302
        .size:           2
        .value_kind:     hidden_remainder_z
      - .offset:         1320
        .size:           8
        .value_kind:     hidden_global_offset_x
      - .offset:         1328
        .size:           8
        .value_kind:     hidden_global_offset_y
      - .offset:         1336
        .size:           8
        .value_kind:     hidden_global_offset_z
      - .offset:         1344
        .size:           2
        .value_kind:     hidden_grid_dims
    .group_segment_fixed_size: 5144
    .kernarg_segment_align: 8
    .kernarg_segment_size: 1536
    .language:       OpenCL C
    .language_version:
      - 2
      - 0
    .max_flat_workgroup_size: 1024
    .name:           _ZN2at6native12_GLOBAL__N_114gatherKthValueIN3c104HalfElLi1EEEvNS_4cuda6detail10TensorInfoIKT_T0_EESA_SA_SA_SA_NS7_IS8_SA_EENS7_IlSA_EE
    .private_segment_fixed_size: 0
    .sgpr_count:     106
    .sgpr_spill_count: 46
    .symbol:         _ZN2at6native12_GLOBAL__N_114gatherKthValueIN3c104HalfElLi1EEEvNS_4cuda6detail10TensorInfoIKT_T0_EESA_SA_SA_SA_NS7_IS8_SA_EENS7_IlSA_EE.kd
    .uniform_work_group_size: 1
    .uses_dynamic_stack: false
    .vgpr_count:     71
    .vgpr_spill_count: 0
    .wavefront_size: 64
  - .agpr_count:     0
    .args:
      - .offset:         0
        .size:           416
        .value_kind:     by_value
      - .offset:         416
        .size:           8
        .value_kind:     by_value
      - .offset:         424
        .size:           8
        .value_kind:     by_value
      - .offset:         432
        .size:           8
        .value_kind:     by_value
      - .offset:         440
        .size:           8
        .value_kind:     by_value
      - .offset:         448
        .size:           416
        .value_kind:     by_value
      - .offset:         864
        .size:           416
        .value_kind:     by_value
      - .offset:         1280
        .size:           4
        .value_kind:     hidden_block_count_x
      - .offset:         1284
        .size:           4
        .value_kind:     hidden_block_count_y
      - .offset:         1288
        .size:           4
        .value_kind:     hidden_block_count_z
      - .offset:         1292
        .size:           2
        .value_kind:     hidden_group_size_x
      - .offset:         1294
        .size:           2
        .value_kind:     hidden_group_size_y
      - .offset:         1296
        .size:           2
        .value_kind:     hidden_group_size_z
      - .offset:         1298
        .size:           2
        .value_kind:     hidden_remainder_x
      - .offset:         1300
        .size:           2
        .value_kind:     hidden_remainder_y
      - .offset:         1302
        .size:           2
        .value_kind:     hidden_remainder_z
      - .offset:         1320
        .size:           8
        .value_kind:     hidden_global_offset_x
      - .offset:         1328
        .size:           8
        .value_kind:     hidden_global_offset_y
      - .offset:         1336
        .size:           8
        .value_kind:     hidden_global_offset_z
      - .offset:         1344
        .size:           2
        .value_kind:     hidden_grid_dims
    .group_segment_fixed_size: 5144
    .kernarg_segment_align: 8
    .kernarg_segment_size: 1536
    .language:       OpenCL C
    .language_version:
      - 2
      - 0
    .max_flat_workgroup_size: 1024
    .name:           _ZN2at6native12_GLOBAL__N_114gatherKthValueIN3c104HalfElLi2EEEvNS_4cuda6detail10TensorInfoIKT_T0_EESA_SA_SA_SA_NS7_IS8_SA_EENS7_IlSA_EE
    .private_segment_fixed_size: 0
    .sgpr_count:     106
    .sgpr_spill_count: 69
    .symbol:         _ZN2at6native12_GLOBAL__N_114gatherKthValueIN3c104HalfElLi2EEEvNS_4cuda6detail10TensorInfoIKT_T0_EESA_SA_SA_SA_NS7_IS8_SA_EENS7_IlSA_EE.kd
    .uniform_work_group_size: 1
    .uses_dynamic_stack: false
    .vgpr_count:     74
    .vgpr_spill_count: 0
    .wavefront_size: 64
  - .agpr_count:     0
    .args:
      - .offset:         0
        .size:           416
        .value_kind:     by_value
      - .offset:         416
        .size:           8
        .value_kind:     by_value
      - .offset:         424
        .size:           8
        .value_kind:     by_value
      - .offset:         432
        .size:           8
        .value_kind:     by_value
      - .offset:         440
        .size:           8
        .value_kind:     by_value
      - .offset:         448
        .size:           416
        .value_kind:     by_value
      - .offset:         864
        .size:           416
        .value_kind:     by_value
      - .offset:         1280
        .size:           4
        .value_kind:     hidden_block_count_x
      - .offset:         1284
        .size:           4
        .value_kind:     hidden_block_count_y
      - .offset:         1288
        .size:           4
        .value_kind:     hidden_block_count_z
      - .offset:         1292
        .size:           2
        .value_kind:     hidden_group_size_x
      - .offset:         1294
        .size:           2
        .value_kind:     hidden_group_size_y
      - .offset:         1296
        .size:           2
        .value_kind:     hidden_group_size_z
      - .offset:         1298
        .size:           2
        .value_kind:     hidden_remainder_x
      - .offset:         1300
        .size:           2
        .value_kind:     hidden_remainder_y
      - .offset:         1302
        .size:           2
        .value_kind:     hidden_remainder_z
      - .offset:         1320
        .size:           8
        .value_kind:     hidden_global_offset_x
      - .offset:         1328
        .size:           8
        .value_kind:     hidden_global_offset_y
      - .offset:         1336
        .size:           8
        .value_kind:     hidden_global_offset_z
      - .offset:         1344
        .size:           2
        .value_kind:     hidden_grid_dims
    .group_segment_fixed_size: 5144
    .kernarg_segment_align: 8
    .kernarg_segment_size: 1536
    .language:       OpenCL C
    .language_version:
      - 2
      - 0
    .max_flat_workgroup_size: 1024
    .name:           _ZN2at6native12_GLOBAL__N_114gatherKthValueIN3c104HalfElLi3EEEvNS_4cuda6detail10TensorInfoIKT_T0_EESA_SA_SA_SA_NS7_IS8_SA_EENS7_IlSA_EE
    .private_segment_fixed_size: 0
    .sgpr_count:     106
    .sgpr_spill_count: 75
    .symbol:         _ZN2at6native12_GLOBAL__N_114gatherKthValueIN3c104HalfElLi3EEEvNS_4cuda6detail10TensorInfoIKT_T0_EESA_SA_SA_SA_NS7_IS8_SA_EENS7_IlSA_EE.kd
    .uniform_work_group_size: 1
    .uses_dynamic_stack: false
    .vgpr_count:     74
    .vgpr_spill_count: 0
    .wavefront_size: 64
  - .agpr_count:     0
    .args:
      - .offset:         0
        .size:           416
        .value_kind:     by_value
      - .offset:         416
        .size:           8
        .value_kind:     by_value
      - .offset:         424
        .size:           8
        .value_kind:     by_value
      - .offset:         432
        .size:           8
        .value_kind:     by_value
      - .offset:         440
        .size:           8
        .value_kind:     by_value
      - .offset:         448
        .size:           416
        .value_kind:     by_value
      - .offset:         864
        .size:           416
        .value_kind:     by_value
      - .offset:         1280
        .size:           4
        .value_kind:     hidden_block_count_x
      - .offset:         1284
        .size:           4
        .value_kind:     hidden_block_count_y
      - .offset:         1288
        .size:           4
        .value_kind:     hidden_block_count_z
      - .offset:         1292
        .size:           2
        .value_kind:     hidden_group_size_x
      - .offset:         1294
        .size:           2
        .value_kind:     hidden_group_size_y
      - .offset:         1296
        .size:           2
        .value_kind:     hidden_group_size_z
      - .offset:         1298
        .size:           2
        .value_kind:     hidden_remainder_x
      - .offset:         1300
        .size:           2
        .value_kind:     hidden_remainder_y
      - .offset:         1302
        .size:           2
        .value_kind:     hidden_remainder_z
      - .offset:         1320
        .size:           8
        .value_kind:     hidden_global_offset_x
      - .offset:         1328
        .size:           8
        .value_kind:     hidden_global_offset_y
      - .offset:         1336
        .size:           8
        .value_kind:     hidden_global_offset_z
      - .offset:         1344
        .size:           2
        .value_kind:     hidden_grid_dims
    .group_segment_fixed_size: 5144
    .kernarg_segment_align: 8
    .kernarg_segment_size: 1536
    .language:       OpenCL C
    .language_version:
      - 2
      - 0
    .max_flat_workgroup_size: 1024
    .name:           _ZN2at6native12_GLOBAL__N_114gatherKthValueIN3c104HalfElLin1EEEvNS_4cuda6detail10TensorInfoIKT_T0_EESA_SA_SA_SA_NS7_IS8_SA_EENS7_IlSA_EE
    .private_segment_fixed_size: 0
    .sgpr_count:     106
    .sgpr_spill_count: 66
    .symbol:         _ZN2at6native12_GLOBAL__N_114gatherKthValueIN3c104HalfElLin1EEEvNS_4cuda6detail10TensorInfoIKT_T0_EESA_SA_SA_SA_NS7_IS8_SA_EENS7_IlSA_EE.kd
    .uniform_work_group_size: 1
    .uses_dynamic_stack: false
    .vgpr_count:     73
    .vgpr_spill_count: 0
    .wavefront_size: 64
  - .agpr_count:     0
    .args:
      - .offset:         0
        .size:           216
        .value_kind:     by_value
      - .offset:         216
        .size:           4
        .value_kind:     by_value
      - .offset:         220
        .size:           4
        .value_kind:     by_value
      - .offset:         224
        .size:           4
        .value_kind:     by_value
      - .offset:         228
        .size:           4
        .value_kind:     by_value
      - .offset:         232
        .size:           216
        .value_kind:     by_value
      - .offset:         448
        .size:           216
        .value_kind:     by_value
      - .offset:         664
        .size:           4
        .value_kind:     hidden_block_count_x
      - .offset:         668
        .size:           4
        .value_kind:     hidden_block_count_y
      - .offset:         672
        .size:           4
        .value_kind:     hidden_block_count_z
      - .offset:         676
        .size:           2
        .value_kind:     hidden_group_size_x
      - .offset:         678
        .size:           2
        .value_kind:     hidden_group_size_y
      - .offset:         680
        .size:           2
        .value_kind:     hidden_group_size_z
      - .offset:         682
        .size:           2
        .value_kind:     hidden_remainder_x
      - .offset:         684
        .size:           2
        .value_kind:     hidden_remainder_y
      - .offset:         686
        .size:           2
        .value_kind:     hidden_remainder_z
      - .offset:         704
        .size:           8
        .value_kind:     hidden_global_offset_x
      - .offset:         712
        .size:           8
        .value_kind:     hidden_global_offset_y
      - .offset:         720
        .size:           8
        .value_kind:     hidden_global_offset_z
      - .offset:         728
        .size:           2
        .value_kind:     hidden_grid_dims
    .group_segment_fixed_size: 4112
    .kernarg_segment_align: 8
    .kernarg_segment_size: 920
    .language:       OpenCL C
    .language_version:
      - 2
      - 0
    .max_flat_workgroup_size: 1024
    .name:           _ZN2at6native12_GLOBAL__N_114gatherKthValueIN3c108BFloat16EiLi1EEEvNS_4cuda6detail10TensorInfoIKT_T0_EESA_SA_SA_SA_NS7_IS8_SA_EENS7_IlSA_EE
    .private_segment_fixed_size: 0
    .sgpr_count:     106
    .sgpr_spill_count: 30
    .symbol:         _ZN2at6native12_GLOBAL__N_114gatherKthValueIN3c108BFloat16EiLi1EEEvNS_4cuda6detail10TensorInfoIKT_T0_EESA_SA_SA_SA_NS7_IS8_SA_EENS7_IlSA_EE.kd
    .uniform_work_group_size: 1
    .uses_dynamic_stack: false
    .vgpr_count:     57
    .vgpr_spill_count: 0
    .wavefront_size: 64
  - .agpr_count:     0
    .args:
      - .offset:         0
        .size:           216
        .value_kind:     by_value
      - .offset:         216
        .size:           4
        .value_kind:     by_value
      - .offset:         220
        .size:           4
        .value_kind:     by_value
      - .offset:         224
        .size:           4
        .value_kind:     by_value
      - .offset:         228
        .size:           4
        .value_kind:     by_value
      - .offset:         232
        .size:           216
        .value_kind:     by_value
      - .offset:         448
        .size:           216
        .value_kind:     by_value
      - .offset:         664
        .size:           4
        .value_kind:     hidden_block_count_x
      - .offset:         668
        .size:           4
        .value_kind:     hidden_block_count_y
      - .offset:         672
        .size:           4
        .value_kind:     hidden_block_count_z
      - .offset:         676
        .size:           2
        .value_kind:     hidden_group_size_x
      - .offset:         678
        .size:           2
        .value_kind:     hidden_group_size_y
      - .offset:         680
        .size:           2
        .value_kind:     hidden_group_size_z
      - .offset:         682
        .size:           2
        .value_kind:     hidden_remainder_x
      - .offset:         684
        .size:           2
        .value_kind:     hidden_remainder_y
      - .offset:         686
        .size:           2
        .value_kind:     hidden_remainder_z
      - .offset:         704
        .size:           8
        .value_kind:     hidden_global_offset_x
      - .offset:         712
        .size:           8
        .value_kind:     hidden_global_offset_y
      - .offset:         720
        .size:           8
        .value_kind:     hidden_global_offset_z
      - .offset:         728
        .size:           2
        .value_kind:     hidden_grid_dims
    .group_segment_fixed_size: 4112
    .kernarg_segment_align: 8
    .kernarg_segment_size: 920
    .language:       OpenCL C
    .language_version:
      - 2
      - 0
    .max_flat_workgroup_size: 1024
    .name:           _ZN2at6native12_GLOBAL__N_114gatherKthValueIN3c108BFloat16EiLi2EEEvNS_4cuda6detail10TensorInfoIKT_T0_EESA_SA_SA_SA_NS7_IS8_SA_EENS7_IlSA_EE
    .private_segment_fixed_size: 0
    .sgpr_count:     106
    .sgpr_spill_count: 42
    .symbol:         _ZN2at6native12_GLOBAL__N_114gatherKthValueIN3c108BFloat16EiLi2EEEvNS_4cuda6detail10TensorInfoIKT_T0_EESA_SA_SA_SA_NS7_IS8_SA_EENS7_IlSA_EE.kd
    .uniform_work_group_size: 1
    .uses_dynamic_stack: false
    .vgpr_count:     57
    .vgpr_spill_count: 0
    .wavefront_size: 64
  - .agpr_count:     0
    .args:
      - .offset:         0
        .size:           216
        .value_kind:     by_value
      - .offset:         216
        .size:           4
        .value_kind:     by_value
      - .offset:         220
        .size:           4
        .value_kind:     by_value
      - .offset:         224
        .size:           4
        .value_kind:     by_value
      - .offset:         228
        .size:           4
        .value_kind:     by_value
      - .offset:         232
        .size:           216
        .value_kind:     by_value
      - .offset:         448
        .size:           216
        .value_kind:     by_value
      - .offset:         664
        .size:           4
        .value_kind:     hidden_block_count_x
      - .offset:         668
        .size:           4
        .value_kind:     hidden_block_count_y
      - .offset:         672
        .size:           4
        .value_kind:     hidden_block_count_z
      - .offset:         676
        .size:           2
        .value_kind:     hidden_group_size_x
      - .offset:         678
        .size:           2
        .value_kind:     hidden_group_size_y
      - .offset:         680
        .size:           2
        .value_kind:     hidden_group_size_z
      - .offset:         682
        .size:           2
        .value_kind:     hidden_remainder_x
      - .offset:         684
        .size:           2
        .value_kind:     hidden_remainder_y
      - .offset:         686
        .size:           2
        .value_kind:     hidden_remainder_z
      - .offset:         704
        .size:           8
        .value_kind:     hidden_global_offset_x
      - .offset:         712
        .size:           8
        .value_kind:     hidden_global_offset_y
      - .offset:         720
        .size:           8
        .value_kind:     hidden_global_offset_z
      - .offset:         728
        .size:           2
        .value_kind:     hidden_grid_dims
    .group_segment_fixed_size: 4112
    .kernarg_segment_align: 8
    .kernarg_segment_size: 920
    .language:       OpenCL C
    .language_version:
      - 2
      - 0
    .max_flat_workgroup_size: 1024
    .name:           _ZN2at6native12_GLOBAL__N_114gatherKthValueIN3c108BFloat16EiLi3EEEvNS_4cuda6detail10TensorInfoIKT_T0_EESA_SA_SA_SA_NS7_IS8_SA_EENS7_IlSA_EE
    .private_segment_fixed_size: 0
    .sgpr_count:     106
    .sgpr_spill_count: 50
    .symbol:         _ZN2at6native12_GLOBAL__N_114gatherKthValueIN3c108BFloat16EiLi3EEEvNS_4cuda6detail10TensorInfoIKT_T0_EESA_SA_SA_SA_NS7_IS8_SA_EENS7_IlSA_EE.kd
    .uniform_work_group_size: 1
    .uses_dynamic_stack: false
    .vgpr_count:     57
    .vgpr_spill_count: 0
    .wavefront_size: 64
  - .agpr_count:     0
    .args:
      - .offset:         0
        .size:           216
        .value_kind:     by_value
      - .offset:         216
        .size:           4
        .value_kind:     by_value
      - .offset:         220
        .size:           4
        .value_kind:     by_value
      - .offset:         224
        .size:           4
        .value_kind:     by_value
      - .offset:         228
        .size:           4
        .value_kind:     by_value
      - .offset:         232
        .size:           216
        .value_kind:     by_value
      - .offset:         448
        .size:           216
        .value_kind:     by_value
      - .offset:         664
        .size:           4
        .value_kind:     hidden_block_count_x
      - .offset:         668
        .size:           4
        .value_kind:     hidden_block_count_y
      - .offset:         672
        .size:           4
        .value_kind:     hidden_block_count_z
      - .offset:         676
        .size:           2
        .value_kind:     hidden_group_size_x
      - .offset:         678
        .size:           2
        .value_kind:     hidden_group_size_y
      - .offset:         680
        .size:           2
        .value_kind:     hidden_group_size_z
      - .offset:         682
        .size:           2
        .value_kind:     hidden_remainder_x
      - .offset:         684
        .size:           2
        .value_kind:     hidden_remainder_y
      - .offset:         686
        .size:           2
        .value_kind:     hidden_remainder_z
      - .offset:         704
        .size:           8
        .value_kind:     hidden_global_offset_x
      - .offset:         712
        .size:           8
        .value_kind:     hidden_global_offset_y
      - .offset:         720
        .size:           8
        .value_kind:     hidden_global_offset_z
      - .offset:         728
        .size:           2
        .value_kind:     hidden_grid_dims
    .group_segment_fixed_size: 4112
    .kernarg_segment_align: 8
    .kernarg_segment_size: 920
    .language:       OpenCL C
    .language_version:
      - 2
      - 0
    .max_flat_workgroup_size: 1024
    .name:           _ZN2at6native12_GLOBAL__N_114gatherKthValueIN3c108BFloat16EiLin1EEEvNS_4cuda6detail10TensorInfoIKT_T0_EESA_SA_SA_SA_NS7_IS8_SA_EENS7_IlSA_EE
    .private_segment_fixed_size: 0
    .sgpr_count:     106
    .sgpr_spill_count: 33
    .symbol:         _ZN2at6native12_GLOBAL__N_114gatherKthValueIN3c108BFloat16EiLin1EEEvNS_4cuda6detail10TensorInfoIKT_T0_EESA_SA_SA_SA_NS7_IS8_SA_EENS7_IlSA_EE.kd
    .uniform_work_group_size: 1
    .uses_dynamic_stack: false
    .vgpr_count:     57
    .vgpr_spill_count: 0
    .wavefront_size: 64
  - .agpr_count:     0
    .args:
      - .offset:         0
        .size:           416
        .value_kind:     by_value
      - .offset:         416
        .size:           8
        .value_kind:     by_value
      - .offset:         424
        .size:           8
        .value_kind:     by_value
      - .offset:         432
        .size:           8
        .value_kind:     by_value
      - .offset:         440
        .size:           8
        .value_kind:     by_value
      - .offset:         448
        .size:           416
        .value_kind:     by_value
      - .offset:         864
        .size:           416
        .value_kind:     by_value
      - .offset:         1280
        .size:           4
        .value_kind:     hidden_block_count_x
      - .offset:         1284
        .size:           4
        .value_kind:     hidden_block_count_y
      - .offset:         1288
        .size:           4
        .value_kind:     hidden_block_count_z
      - .offset:         1292
        .size:           2
        .value_kind:     hidden_group_size_x
      - .offset:         1294
        .size:           2
        .value_kind:     hidden_group_size_y
      - .offset:         1296
        .size:           2
        .value_kind:     hidden_group_size_z
      - .offset:         1298
        .size:           2
        .value_kind:     hidden_remainder_x
      - .offset:         1300
        .size:           2
        .value_kind:     hidden_remainder_y
      - .offset:         1302
        .size:           2
        .value_kind:     hidden_remainder_z
      - .offset:         1320
        .size:           8
        .value_kind:     hidden_global_offset_x
      - .offset:         1328
        .size:           8
        .value_kind:     hidden_global_offset_y
      - .offset:         1336
        .size:           8
        .value_kind:     hidden_global_offset_z
      - .offset:         1344
        .size:           2
        .value_kind:     hidden_grid_dims
    .group_segment_fixed_size: 5144
    .kernarg_segment_align: 8
    .kernarg_segment_size: 1536
    .language:       OpenCL C
    .language_version:
      - 2
      - 0
    .max_flat_workgroup_size: 1024
    .name:           _ZN2at6native12_GLOBAL__N_114gatherKthValueIN3c108BFloat16ElLi1EEEvNS_4cuda6detail10TensorInfoIKT_T0_EESA_SA_SA_SA_NS7_IS8_SA_EENS7_IlSA_EE
    .private_segment_fixed_size: 0
    .sgpr_count:     106
    .sgpr_spill_count: 46
    .symbol:         _ZN2at6native12_GLOBAL__N_114gatherKthValueIN3c108BFloat16ElLi1EEEvNS_4cuda6detail10TensorInfoIKT_T0_EESA_SA_SA_SA_NS7_IS8_SA_EENS7_IlSA_EE.kd
    .uniform_work_group_size: 1
    .uses_dynamic_stack: false
    .vgpr_count:     71
    .vgpr_spill_count: 0
    .wavefront_size: 64
  - .agpr_count:     0
    .args:
      - .offset:         0
        .size:           416
        .value_kind:     by_value
      - .offset:         416
        .size:           8
        .value_kind:     by_value
      - .offset:         424
        .size:           8
        .value_kind:     by_value
      - .offset:         432
        .size:           8
        .value_kind:     by_value
      - .offset:         440
        .size:           8
        .value_kind:     by_value
      - .offset:         448
        .size:           416
        .value_kind:     by_value
      - .offset:         864
        .size:           416
        .value_kind:     by_value
      - .offset:         1280
        .size:           4
        .value_kind:     hidden_block_count_x
      - .offset:         1284
        .size:           4
        .value_kind:     hidden_block_count_y
      - .offset:         1288
        .size:           4
        .value_kind:     hidden_block_count_z
      - .offset:         1292
        .size:           2
        .value_kind:     hidden_group_size_x
      - .offset:         1294
        .size:           2
        .value_kind:     hidden_group_size_y
      - .offset:         1296
        .size:           2
        .value_kind:     hidden_group_size_z
      - .offset:         1298
        .size:           2
        .value_kind:     hidden_remainder_x
      - .offset:         1300
        .size:           2
        .value_kind:     hidden_remainder_y
      - .offset:         1302
        .size:           2
        .value_kind:     hidden_remainder_z
      - .offset:         1320
        .size:           8
        .value_kind:     hidden_global_offset_x
      - .offset:         1328
        .size:           8
        .value_kind:     hidden_global_offset_y
      - .offset:         1336
        .size:           8
        .value_kind:     hidden_global_offset_z
      - .offset:         1344
        .size:           2
        .value_kind:     hidden_grid_dims
    .group_segment_fixed_size: 5144
    .kernarg_segment_align: 8
    .kernarg_segment_size: 1536
    .language:       OpenCL C
    .language_version:
      - 2
      - 0
    .max_flat_workgroup_size: 1024
    .name:           _ZN2at6native12_GLOBAL__N_114gatherKthValueIN3c108BFloat16ElLi2EEEvNS_4cuda6detail10TensorInfoIKT_T0_EESA_SA_SA_SA_NS7_IS8_SA_EENS7_IlSA_EE
    .private_segment_fixed_size: 0
    .sgpr_count:     106
    .sgpr_spill_count: 66
    .symbol:         _ZN2at6native12_GLOBAL__N_114gatherKthValueIN3c108BFloat16ElLi2EEEvNS_4cuda6detail10TensorInfoIKT_T0_EESA_SA_SA_SA_NS7_IS8_SA_EENS7_IlSA_EE.kd
    .uniform_work_group_size: 1
    .uses_dynamic_stack: false
    .vgpr_count:     73
    .vgpr_spill_count: 0
    .wavefront_size: 64
  - .agpr_count:     0
    .args:
      - .offset:         0
        .size:           416
        .value_kind:     by_value
      - .offset:         416
        .size:           8
        .value_kind:     by_value
      - .offset:         424
        .size:           8
        .value_kind:     by_value
      - .offset:         432
        .size:           8
        .value_kind:     by_value
      - .offset:         440
        .size:           8
        .value_kind:     by_value
      - .offset:         448
        .size:           416
        .value_kind:     by_value
      - .offset:         864
        .size:           416
        .value_kind:     by_value
      - .offset:         1280
        .size:           4
        .value_kind:     hidden_block_count_x
      - .offset:         1284
        .size:           4
        .value_kind:     hidden_block_count_y
      - .offset:         1288
        .size:           4
        .value_kind:     hidden_block_count_z
      - .offset:         1292
        .size:           2
        .value_kind:     hidden_group_size_x
      - .offset:         1294
        .size:           2
        .value_kind:     hidden_group_size_y
      - .offset:         1296
        .size:           2
        .value_kind:     hidden_group_size_z
      - .offset:         1298
        .size:           2
        .value_kind:     hidden_remainder_x
      - .offset:         1300
        .size:           2
        .value_kind:     hidden_remainder_y
      - .offset:         1302
        .size:           2
        .value_kind:     hidden_remainder_z
      - .offset:         1320
        .size:           8
        .value_kind:     hidden_global_offset_x
      - .offset:         1328
        .size:           8
        .value_kind:     hidden_global_offset_y
      - .offset:         1336
        .size:           8
        .value_kind:     hidden_global_offset_z
      - .offset:         1344
        .size:           2
        .value_kind:     hidden_grid_dims
    .group_segment_fixed_size: 5144
    .kernarg_segment_align: 8
    .kernarg_segment_size: 1536
    .language:       OpenCL C
    .language_version:
      - 2
      - 0
    .max_flat_workgroup_size: 1024
    .name:           _ZN2at6native12_GLOBAL__N_114gatherKthValueIN3c108BFloat16ElLi3EEEvNS_4cuda6detail10TensorInfoIKT_T0_EESA_SA_SA_SA_NS7_IS8_SA_EENS7_IlSA_EE
    .private_segment_fixed_size: 0
    .sgpr_count:     106
    .sgpr_spill_count: 76
    .symbol:         _ZN2at6native12_GLOBAL__N_114gatherKthValueIN3c108BFloat16ElLi3EEEvNS_4cuda6detail10TensorInfoIKT_T0_EESA_SA_SA_SA_NS7_IS8_SA_EENS7_IlSA_EE.kd
    .uniform_work_group_size: 1
    .uses_dynamic_stack: false
    .vgpr_count:     74
    .vgpr_spill_count: 0
    .wavefront_size: 64
  - .agpr_count:     0
    .args:
      - .offset:         0
        .size:           416
        .value_kind:     by_value
      - .offset:         416
        .size:           8
        .value_kind:     by_value
      - .offset:         424
        .size:           8
        .value_kind:     by_value
      - .offset:         432
        .size:           8
        .value_kind:     by_value
      - .offset:         440
        .size:           8
        .value_kind:     by_value
      - .offset:         448
        .size:           416
        .value_kind:     by_value
      - .offset:         864
        .size:           416
        .value_kind:     by_value
      - .offset:         1280
        .size:           4
        .value_kind:     hidden_block_count_x
      - .offset:         1284
        .size:           4
        .value_kind:     hidden_block_count_y
      - .offset:         1288
        .size:           4
        .value_kind:     hidden_block_count_z
      - .offset:         1292
        .size:           2
        .value_kind:     hidden_group_size_x
      - .offset:         1294
        .size:           2
        .value_kind:     hidden_group_size_y
      - .offset:         1296
        .size:           2
        .value_kind:     hidden_group_size_z
      - .offset:         1298
        .size:           2
        .value_kind:     hidden_remainder_x
      - .offset:         1300
        .size:           2
        .value_kind:     hidden_remainder_y
      - .offset:         1302
        .size:           2
        .value_kind:     hidden_remainder_z
      - .offset:         1320
        .size:           8
        .value_kind:     hidden_global_offset_x
      - .offset:         1328
        .size:           8
        .value_kind:     hidden_global_offset_y
      - .offset:         1336
        .size:           8
        .value_kind:     hidden_global_offset_z
      - .offset:         1344
        .size:           2
        .value_kind:     hidden_grid_dims
    .group_segment_fixed_size: 5144
    .kernarg_segment_align: 8
    .kernarg_segment_size: 1536
    .language:       OpenCL C
    .language_version:
      - 2
      - 0
    .max_flat_workgroup_size: 1024
    .name:           _ZN2at6native12_GLOBAL__N_114gatherKthValueIN3c108BFloat16ElLin1EEEvNS_4cuda6detail10TensorInfoIKT_T0_EESA_SA_SA_SA_NS7_IS8_SA_EENS7_IlSA_EE
    .private_segment_fixed_size: 0
    .sgpr_count:     106
    .sgpr_spill_count: 56
    .symbol:         _ZN2at6native12_GLOBAL__N_114gatherKthValueIN3c108BFloat16ElLin1EEEvNS_4cuda6detail10TensorInfoIKT_T0_EESA_SA_SA_SA_NS7_IS8_SA_EENS7_IlSA_EE.kd
    .uniform_work_group_size: 1
    .uses_dynamic_stack: false
    .vgpr_count:     73
    .vgpr_spill_count: 0
    .wavefront_size: 64
  - .agpr_count:     0
    .args:
      - .offset:         0
        .size:           216
        .value_kind:     by_value
      - .offset:         216
        .size:           216
        .value_kind:     by_value
      - .offset:         432
        .size:           216
        .value_kind:     by_value
      - .offset:         648
        .size:           4
        .value_kind:     by_value
      - .offset:         652
        .size:           4
        .value_kind:     by_value
      - .offset:         656
        .size:           4
        .value_kind:     by_value
      - .offset:         660
        .size:           1
        .value_kind:     by_value
      - .offset:         664
        .size:           4
        .value_kind:     hidden_block_count_x
      - .offset:         668
        .size:           4
        .value_kind:     hidden_block_count_y
      - .offset:         672
        .size:           4
        .value_kind:     hidden_block_count_z
      - .offset:         676
        .size:           2
        .value_kind:     hidden_group_size_x
      - .offset:         678
        .size:           2
        .value_kind:     hidden_group_size_y
      - .offset:         680
        .size:           2
        .value_kind:     hidden_group_size_z
      - .offset:         682
        .size:           2
        .value_kind:     hidden_remainder_x
      - .offset:         684
        .size:           2
        .value_kind:     hidden_remainder_y
      - .offset:         686
        .size:           2
        .value_kind:     hidden_remainder_z
      - .offset:         704
        .size:           8
        .value_kind:     hidden_global_offset_x
      - .offset:         712
        .size:           8
        .value_kind:     hidden_global_offset_y
      - .offset:         720
        .size:           8
        .value_kind:     hidden_global_offset_z
      - .offset:         728
        .size:           2
        .value_kind:     hidden_grid_dims
    .group_segment_fixed_size: 4120
    .kernarg_segment_align: 8
    .kernarg_segment_size: 920
    .language:       OpenCL C
    .language_version:
      - 2
      - 0
    .max_flat_workgroup_size: 1024
    .name:           _ZN2at6native12_GLOBAL__N_112gatherMedianIhjLi1EEEvNS_4cuda6detail10TensorInfoIT_T0_EENS5_IlS7_EENS5_IKS6_S7_EES7_S7_S7_b
    .private_segment_fixed_size: 0
    .sgpr_count:     106
    .sgpr_spill_count: 39
    .symbol:         _ZN2at6native12_GLOBAL__N_112gatherMedianIhjLi1EEEvNS_4cuda6detail10TensorInfoIT_T0_EENS5_IlS7_EENS5_IKS6_S7_EES7_S7_S7_b.kd
    .uniform_work_group_size: 1
    .uses_dynamic_stack: false
    .vgpr_count:     82
    .vgpr_spill_count: 0
    .wavefront_size: 64
  - .agpr_count:     0
    .args:
      - .offset:         0
        .size:           216
        .value_kind:     by_value
      - .offset:         216
        .size:           216
        .value_kind:     by_value
      - .offset:         432
        .size:           216
        .value_kind:     by_value
      - .offset:         648
        .size:           4
        .value_kind:     by_value
      - .offset:         652
        .size:           4
        .value_kind:     by_value
      - .offset:         656
        .size:           4
        .value_kind:     by_value
      - .offset:         660
        .size:           1
        .value_kind:     by_value
      - .offset:         664
        .size:           4
        .value_kind:     hidden_block_count_x
      - .offset:         668
        .size:           4
        .value_kind:     hidden_block_count_y
      - .offset:         672
        .size:           4
        .value_kind:     hidden_block_count_z
      - .offset:         676
        .size:           2
        .value_kind:     hidden_group_size_x
      - .offset:         678
        .size:           2
        .value_kind:     hidden_group_size_y
      - .offset:         680
        .size:           2
        .value_kind:     hidden_group_size_z
      - .offset:         682
        .size:           2
        .value_kind:     hidden_remainder_x
      - .offset:         684
        .size:           2
        .value_kind:     hidden_remainder_y
      - .offset:         686
        .size:           2
        .value_kind:     hidden_remainder_z
      - .offset:         704
        .size:           8
        .value_kind:     hidden_global_offset_x
      - .offset:         712
        .size:           8
        .value_kind:     hidden_global_offset_y
      - .offset:         720
        .size:           8
        .value_kind:     hidden_global_offset_z
      - .offset:         728
        .size:           2
        .value_kind:     hidden_grid_dims
    .group_segment_fixed_size: 4120
    .kernarg_segment_align: 8
    .kernarg_segment_size: 920
    .language:       OpenCL C
    .language_version:
      - 2
      - 0
    .max_flat_workgroup_size: 1024
    .name:           _ZN2at6native12_GLOBAL__N_112gatherMedianIhjLi2EEEvNS_4cuda6detail10TensorInfoIT_T0_EENS5_IlS7_EENS5_IKS6_S7_EES7_S7_S7_b
    .private_segment_fixed_size: 0
    .sgpr_count:     106
    .sgpr_spill_count: 45
    .symbol:         _ZN2at6native12_GLOBAL__N_112gatherMedianIhjLi2EEEvNS_4cuda6detail10TensorInfoIT_T0_EENS5_IlS7_EENS5_IKS6_S7_EES7_S7_S7_b.kd
    .uniform_work_group_size: 1
    .uses_dynamic_stack: false
    .vgpr_count:     82
    .vgpr_spill_count: 0
    .wavefront_size: 64
  - .agpr_count:     0
    .args:
      - .offset:         0
        .size:           216
        .value_kind:     by_value
      - .offset:         216
        .size:           216
        .value_kind:     by_value
      - .offset:         432
        .size:           216
        .value_kind:     by_value
      - .offset:         648
        .size:           4
        .value_kind:     by_value
      - .offset:         652
        .size:           4
        .value_kind:     by_value
      - .offset:         656
        .size:           4
        .value_kind:     by_value
      - .offset:         660
        .size:           1
        .value_kind:     by_value
      - .offset:         664
        .size:           4
        .value_kind:     hidden_block_count_x
      - .offset:         668
        .size:           4
        .value_kind:     hidden_block_count_y
      - .offset:         672
        .size:           4
        .value_kind:     hidden_block_count_z
      - .offset:         676
        .size:           2
        .value_kind:     hidden_group_size_x
      - .offset:         678
        .size:           2
        .value_kind:     hidden_group_size_y
      - .offset:         680
        .size:           2
        .value_kind:     hidden_group_size_z
      - .offset:         682
        .size:           2
        .value_kind:     hidden_remainder_x
      - .offset:         684
        .size:           2
        .value_kind:     hidden_remainder_y
      - .offset:         686
        .size:           2
        .value_kind:     hidden_remainder_z
      - .offset:         704
        .size:           8
        .value_kind:     hidden_global_offset_x
      - .offset:         712
        .size:           8
        .value_kind:     hidden_global_offset_y
      - .offset:         720
        .size:           8
        .value_kind:     hidden_global_offset_z
      - .offset:         728
        .size:           2
        .value_kind:     hidden_grid_dims
    .group_segment_fixed_size: 4120
    .kernarg_segment_align: 8
    .kernarg_segment_size: 920
    .language:       OpenCL C
    .language_version:
      - 2
      - 0
    .max_flat_workgroup_size: 1024
    .name:           _ZN2at6native12_GLOBAL__N_112gatherMedianIhjLi3EEEvNS_4cuda6detail10TensorInfoIT_T0_EENS5_IlS7_EENS5_IKS6_S7_EES7_S7_S7_b
    .private_segment_fixed_size: 0
    .sgpr_count:     106
    .sgpr_spill_count: 53
    .symbol:         _ZN2at6native12_GLOBAL__N_112gatherMedianIhjLi3EEEvNS_4cuda6detail10TensorInfoIT_T0_EENS5_IlS7_EENS5_IKS6_S7_EES7_S7_S7_b.kd
    .uniform_work_group_size: 1
    .uses_dynamic_stack: false
    .vgpr_count:     82
    .vgpr_spill_count: 0
    .wavefront_size: 64
  - .agpr_count:     0
    .args:
      - .offset:         0
        .size:           216
        .value_kind:     by_value
      - .offset:         216
        .size:           216
        .value_kind:     by_value
      - .offset:         432
        .size:           216
        .value_kind:     by_value
      - .offset:         648
        .size:           4
        .value_kind:     by_value
      - .offset:         652
        .size:           4
        .value_kind:     by_value
      - .offset:         656
        .size:           4
        .value_kind:     by_value
      - .offset:         660
        .size:           1
        .value_kind:     by_value
      - .offset:         664
        .size:           4
        .value_kind:     hidden_block_count_x
      - .offset:         668
        .size:           4
        .value_kind:     hidden_block_count_y
      - .offset:         672
        .size:           4
        .value_kind:     hidden_block_count_z
      - .offset:         676
        .size:           2
        .value_kind:     hidden_group_size_x
      - .offset:         678
        .size:           2
        .value_kind:     hidden_group_size_y
      - .offset:         680
        .size:           2
        .value_kind:     hidden_group_size_z
      - .offset:         682
        .size:           2
        .value_kind:     hidden_remainder_x
      - .offset:         684
        .size:           2
        .value_kind:     hidden_remainder_y
      - .offset:         686
        .size:           2
        .value_kind:     hidden_remainder_z
      - .offset:         704
        .size:           8
        .value_kind:     hidden_global_offset_x
      - .offset:         712
        .size:           8
        .value_kind:     hidden_global_offset_y
      - .offset:         720
        .size:           8
        .value_kind:     hidden_global_offset_z
      - .offset:         728
        .size:           2
        .value_kind:     hidden_grid_dims
    .group_segment_fixed_size: 4120
    .kernarg_segment_align: 8
    .kernarg_segment_size: 920
    .language:       OpenCL C
    .language_version:
      - 2
      - 0
    .max_flat_workgroup_size: 1024
    .name:           _ZN2at6native12_GLOBAL__N_112gatherMedianIhjLin1EEEvNS_4cuda6detail10TensorInfoIT_T0_EENS5_IlS7_EENS5_IKS6_S7_EES7_S7_S7_b
    .private_segment_fixed_size: 0
    .sgpr_count:     106
    .sgpr_spill_count: 44
    .symbol:         _ZN2at6native12_GLOBAL__N_112gatherMedianIhjLin1EEEvNS_4cuda6detail10TensorInfoIT_T0_EENS5_IlS7_EENS5_IKS6_S7_EES7_S7_S7_b.kd
    .uniform_work_group_size: 1
    .uses_dynamic_stack: false
    .vgpr_count:     82
    .vgpr_spill_count: 0
    .wavefront_size: 64
  - .agpr_count:     0
    .args:
      - .offset:         0
        .size:           416
        .value_kind:     by_value
      - .offset:         416
        .size:           416
        .value_kind:     by_value
      - .offset:         832
        .size:           416
        .value_kind:     by_value
      - .offset:         1248
        .size:           8
        .value_kind:     by_value
      - .offset:         1256
        .size:           8
        .value_kind:     by_value
      - .offset:         1264
        .size:           8
        .value_kind:     by_value
      - .offset:         1272
        .size:           1
        .value_kind:     by_value
      - .offset:         1280
        .size:           4
        .value_kind:     hidden_block_count_x
      - .offset:         1284
        .size:           4
        .value_kind:     hidden_block_count_y
      - .offset:         1288
        .size:           4
        .value_kind:     hidden_block_count_z
      - .offset:         1292
        .size:           2
        .value_kind:     hidden_group_size_x
      - .offset:         1294
        .size:           2
        .value_kind:     hidden_group_size_y
      - .offset:         1296
        .size:           2
        .value_kind:     hidden_group_size_z
      - .offset:         1298
        .size:           2
        .value_kind:     hidden_remainder_x
      - .offset:         1300
        .size:           2
        .value_kind:     hidden_remainder_y
      - .offset:         1302
        .size:           2
        .value_kind:     hidden_remainder_z
      - .offset:         1320
        .size:           8
        .value_kind:     hidden_global_offset_x
      - .offset:         1328
        .size:           8
        .value_kind:     hidden_global_offset_y
      - .offset:         1336
        .size:           8
        .value_kind:     hidden_global_offset_z
      - .offset:         1344
        .size:           2
        .value_kind:     hidden_grid_dims
    .group_segment_fixed_size: 5152
    .kernarg_segment_align: 8
    .kernarg_segment_size: 1536
    .language:       OpenCL C
    .language_version:
      - 2
      - 0
    .max_flat_workgroup_size: 1024
    .name:           _ZN2at6native12_GLOBAL__N_112gatherMedianIhmLi1EEEvNS_4cuda6detail10TensorInfoIT_T0_EENS5_IlS7_EENS5_IKS6_S7_EES7_S7_S7_b
    .private_segment_fixed_size: 0
    .sgpr_count:     106
    .sgpr_spill_count: 39
    .symbol:         _ZN2at6native12_GLOBAL__N_112gatherMedianIhmLi1EEEvNS_4cuda6detail10TensorInfoIT_T0_EENS5_IlS7_EENS5_IKS6_S7_EES7_S7_S7_b.kd
    .uniform_work_group_size: 1
    .uses_dynamic_stack: false
    .vgpr_count:     64
    .vgpr_spill_count: 0
    .wavefront_size: 64
  - .agpr_count:     0
    .args:
      - .offset:         0
        .size:           416
        .value_kind:     by_value
      - .offset:         416
        .size:           416
        .value_kind:     by_value
      - .offset:         832
        .size:           416
        .value_kind:     by_value
      - .offset:         1248
        .size:           8
        .value_kind:     by_value
      - .offset:         1256
        .size:           8
        .value_kind:     by_value
      - .offset:         1264
        .size:           8
        .value_kind:     by_value
      - .offset:         1272
        .size:           1
        .value_kind:     by_value
      - .offset:         1280
        .size:           4
        .value_kind:     hidden_block_count_x
      - .offset:         1284
        .size:           4
        .value_kind:     hidden_block_count_y
      - .offset:         1288
        .size:           4
        .value_kind:     hidden_block_count_z
      - .offset:         1292
        .size:           2
        .value_kind:     hidden_group_size_x
      - .offset:         1294
        .size:           2
        .value_kind:     hidden_group_size_y
      - .offset:         1296
        .size:           2
        .value_kind:     hidden_group_size_z
      - .offset:         1298
        .size:           2
        .value_kind:     hidden_remainder_x
      - .offset:         1300
        .size:           2
        .value_kind:     hidden_remainder_y
      - .offset:         1302
        .size:           2
        .value_kind:     hidden_remainder_z
      - .offset:         1320
        .size:           8
        .value_kind:     hidden_global_offset_x
      - .offset:         1328
        .size:           8
        .value_kind:     hidden_global_offset_y
      - .offset:         1336
        .size:           8
        .value_kind:     hidden_global_offset_z
      - .offset:         1344
        .size:           2
        .value_kind:     hidden_grid_dims
    .group_segment_fixed_size: 5152
    .kernarg_segment_align: 8
    .kernarg_segment_size: 1536
    .language:       OpenCL C
    .language_version:
      - 2
      - 0
    .max_flat_workgroup_size: 1024
    .name:           _ZN2at6native12_GLOBAL__N_112gatherMedianIhmLi2EEEvNS_4cuda6detail10TensorInfoIT_T0_EENS5_IlS7_EENS5_IKS6_S7_EES7_S7_S7_b
    .private_segment_fixed_size: 0
    .sgpr_count:     106
    .sgpr_spill_count: 48
    .symbol:         _ZN2at6native12_GLOBAL__N_112gatherMedianIhmLi2EEEvNS_4cuda6detail10TensorInfoIT_T0_EENS5_IlS7_EENS5_IKS6_S7_EES7_S7_S7_b.kd
    .uniform_work_group_size: 1
    .uses_dynamic_stack: false
    .vgpr_count:     58
    .vgpr_spill_count: 0
    .wavefront_size: 64
  - .agpr_count:     0
    .args:
      - .offset:         0
        .size:           416
        .value_kind:     by_value
      - .offset:         416
        .size:           416
        .value_kind:     by_value
      - .offset:         832
        .size:           416
        .value_kind:     by_value
      - .offset:         1248
        .size:           8
        .value_kind:     by_value
      - .offset:         1256
        .size:           8
        .value_kind:     by_value
      - .offset:         1264
        .size:           8
        .value_kind:     by_value
      - .offset:         1272
        .size:           1
        .value_kind:     by_value
      - .offset:         1280
        .size:           4
        .value_kind:     hidden_block_count_x
      - .offset:         1284
        .size:           4
        .value_kind:     hidden_block_count_y
      - .offset:         1288
        .size:           4
        .value_kind:     hidden_block_count_z
      - .offset:         1292
        .size:           2
        .value_kind:     hidden_group_size_x
      - .offset:         1294
        .size:           2
        .value_kind:     hidden_group_size_y
      - .offset:         1296
        .size:           2
        .value_kind:     hidden_group_size_z
      - .offset:         1298
        .size:           2
        .value_kind:     hidden_remainder_x
      - .offset:         1300
        .size:           2
        .value_kind:     hidden_remainder_y
      - .offset:         1302
        .size:           2
        .value_kind:     hidden_remainder_z
      - .offset:         1320
        .size:           8
        .value_kind:     hidden_global_offset_x
      - .offset:         1328
        .size:           8
        .value_kind:     hidden_global_offset_y
      - .offset:         1336
        .size:           8
        .value_kind:     hidden_global_offset_z
      - .offset:         1344
        .size:           2
        .value_kind:     hidden_grid_dims
    .group_segment_fixed_size: 5152
    .kernarg_segment_align: 8
    .kernarg_segment_size: 1536
    .language:       OpenCL C
    .language_version:
      - 2
      - 0
    .max_flat_workgroup_size: 1024
    .name:           _ZN2at6native12_GLOBAL__N_112gatherMedianIhmLi3EEEvNS_4cuda6detail10TensorInfoIT_T0_EENS5_IlS7_EENS5_IKS6_S7_EES7_S7_S7_b
    .private_segment_fixed_size: 0
    .sgpr_count:     106
    .sgpr_spill_count: 61
    .symbol:         _ZN2at6native12_GLOBAL__N_112gatherMedianIhmLi3EEEvNS_4cuda6detail10TensorInfoIT_T0_EENS5_IlS7_EENS5_IKS6_S7_EES7_S7_S7_b.kd
    .uniform_work_group_size: 1
    .uses_dynamic_stack: false
    .vgpr_count:     58
    .vgpr_spill_count: 0
    .wavefront_size: 64
  - .agpr_count:     0
    .args:
      - .offset:         0
        .size:           416
        .value_kind:     by_value
      - .offset:         416
        .size:           416
        .value_kind:     by_value
      - .offset:         832
        .size:           416
        .value_kind:     by_value
      - .offset:         1248
        .size:           8
        .value_kind:     by_value
      - .offset:         1256
        .size:           8
        .value_kind:     by_value
      - .offset:         1264
        .size:           8
        .value_kind:     by_value
      - .offset:         1272
        .size:           1
        .value_kind:     by_value
      - .offset:         1280
        .size:           4
        .value_kind:     hidden_block_count_x
      - .offset:         1284
        .size:           4
        .value_kind:     hidden_block_count_y
      - .offset:         1288
        .size:           4
        .value_kind:     hidden_block_count_z
      - .offset:         1292
        .size:           2
        .value_kind:     hidden_group_size_x
      - .offset:         1294
        .size:           2
        .value_kind:     hidden_group_size_y
      - .offset:         1296
        .size:           2
        .value_kind:     hidden_group_size_z
      - .offset:         1298
        .size:           2
        .value_kind:     hidden_remainder_x
      - .offset:         1300
        .size:           2
        .value_kind:     hidden_remainder_y
      - .offset:         1302
        .size:           2
        .value_kind:     hidden_remainder_z
      - .offset:         1320
        .size:           8
        .value_kind:     hidden_global_offset_x
      - .offset:         1328
        .size:           8
        .value_kind:     hidden_global_offset_y
      - .offset:         1336
        .size:           8
        .value_kind:     hidden_global_offset_z
      - .offset:         1344
        .size:           2
        .value_kind:     hidden_grid_dims
    .group_segment_fixed_size: 5152
    .kernarg_segment_align: 8
    .kernarg_segment_size: 1536
    .language:       OpenCL C
    .language_version:
      - 2
      - 0
    .max_flat_workgroup_size: 1024
    .name:           _ZN2at6native12_GLOBAL__N_112gatherMedianIhmLin1EEEvNS_4cuda6detail10TensorInfoIT_T0_EENS5_IlS7_EENS5_IKS6_S7_EES7_S7_S7_b
    .private_segment_fixed_size: 0
    .sgpr_count:     106
    .sgpr_spill_count: 46
    .symbol:         _ZN2at6native12_GLOBAL__N_112gatherMedianIhmLin1EEEvNS_4cuda6detail10TensorInfoIT_T0_EENS5_IlS7_EENS5_IKS6_S7_EES7_S7_S7_b.kd
    .uniform_work_group_size: 1
    .uses_dynamic_stack: false
    .vgpr_count:     66
    .vgpr_spill_count: 0
    .wavefront_size: 64
  - .agpr_count:     0
    .args:
      - .offset:         0
        .size:           216
        .value_kind:     by_value
      - .offset:         216
        .size:           216
        .value_kind:     by_value
      - .offset:         432
        .size:           216
        .value_kind:     by_value
      - .offset:         648
        .size:           4
        .value_kind:     by_value
      - .offset:         652
        .size:           4
        .value_kind:     by_value
      - .offset:         656
        .size:           4
        .value_kind:     by_value
      - .offset:         660
        .size:           1
        .value_kind:     by_value
      - .offset:         664
        .size:           4
        .value_kind:     hidden_block_count_x
      - .offset:         668
        .size:           4
        .value_kind:     hidden_block_count_y
      - .offset:         672
        .size:           4
        .value_kind:     hidden_block_count_z
      - .offset:         676
        .size:           2
        .value_kind:     hidden_group_size_x
      - .offset:         678
        .size:           2
        .value_kind:     hidden_group_size_y
      - .offset:         680
        .size:           2
        .value_kind:     hidden_group_size_z
      - .offset:         682
        .size:           2
        .value_kind:     hidden_remainder_x
      - .offset:         684
        .size:           2
        .value_kind:     hidden_remainder_y
      - .offset:         686
        .size:           2
        .value_kind:     hidden_remainder_z
      - .offset:         704
        .size:           8
        .value_kind:     hidden_global_offset_x
      - .offset:         712
        .size:           8
        .value_kind:     hidden_global_offset_y
      - .offset:         720
        .size:           8
        .value_kind:     hidden_global_offset_z
      - .offset:         728
        .size:           2
        .value_kind:     hidden_grid_dims
    .group_segment_fixed_size: 4120
    .kernarg_segment_align: 8
    .kernarg_segment_size: 920
    .language:       OpenCL C
    .language_version:
      - 2
      - 0
    .max_flat_workgroup_size: 1024
    .name:           _ZN2at6native12_GLOBAL__N_112gatherMedianIajLi1EEEvNS_4cuda6detail10TensorInfoIT_T0_EENS5_IlS7_EENS5_IKS6_S7_EES7_S7_S7_b
    .private_segment_fixed_size: 0
    .sgpr_count:     106
    .sgpr_spill_count: 39
    .symbol:         _ZN2at6native12_GLOBAL__N_112gatherMedianIajLi1EEEvNS_4cuda6detail10TensorInfoIT_T0_EENS5_IlS7_EENS5_IKS6_S7_EES7_S7_S7_b.kd
    .uniform_work_group_size: 1
    .uses_dynamic_stack: false
    .vgpr_count:     82
    .vgpr_spill_count: 0
    .wavefront_size: 64
  - .agpr_count:     0
    .args:
      - .offset:         0
        .size:           216
        .value_kind:     by_value
      - .offset:         216
        .size:           216
        .value_kind:     by_value
      - .offset:         432
        .size:           216
        .value_kind:     by_value
      - .offset:         648
        .size:           4
        .value_kind:     by_value
      - .offset:         652
        .size:           4
        .value_kind:     by_value
      - .offset:         656
        .size:           4
        .value_kind:     by_value
      - .offset:         660
        .size:           1
        .value_kind:     by_value
      - .offset:         664
        .size:           4
        .value_kind:     hidden_block_count_x
      - .offset:         668
        .size:           4
        .value_kind:     hidden_block_count_y
      - .offset:         672
        .size:           4
        .value_kind:     hidden_block_count_z
      - .offset:         676
        .size:           2
        .value_kind:     hidden_group_size_x
      - .offset:         678
        .size:           2
        .value_kind:     hidden_group_size_y
      - .offset:         680
        .size:           2
        .value_kind:     hidden_group_size_z
      - .offset:         682
        .size:           2
        .value_kind:     hidden_remainder_x
      - .offset:         684
        .size:           2
        .value_kind:     hidden_remainder_y
      - .offset:         686
        .size:           2
        .value_kind:     hidden_remainder_z
      - .offset:         704
        .size:           8
        .value_kind:     hidden_global_offset_x
      - .offset:         712
        .size:           8
        .value_kind:     hidden_global_offset_y
      - .offset:         720
        .size:           8
        .value_kind:     hidden_global_offset_z
      - .offset:         728
        .size:           2
        .value_kind:     hidden_grid_dims
    .group_segment_fixed_size: 4120
    .kernarg_segment_align: 8
    .kernarg_segment_size: 920
    .language:       OpenCL C
    .language_version:
      - 2
      - 0
    .max_flat_workgroup_size: 1024
    .name:           _ZN2at6native12_GLOBAL__N_112gatherMedianIajLi2EEEvNS_4cuda6detail10TensorInfoIT_T0_EENS5_IlS7_EENS5_IKS6_S7_EES7_S7_S7_b
    .private_segment_fixed_size: 0
    .sgpr_count:     106
    .sgpr_spill_count: 45
    .symbol:         _ZN2at6native12_GLOBAL__N_112gatherMedianIajLi2EEEvNS_4cuda6detail10TensorInfoIT_T0_EENS5_IlS7_EENS5_IKS6_S7_EES7_S7_S7_b.kd
    .uniform_work_group_size: 1
    .uses_dynamic_stack: false
    .vgpr_count:     82
    .vgpr_spill_count: 0
    .wavefront_size: 64
  - .agpr_count:     0
    .args:
      - .offset:         0
        .size:           216
        .value_kind:     by_value
      - .offset:         216
        .size:           216
        .value_kind:     by_value
      - .offset:         432
        .size:           216
        .value_kind:     by_value
      - .offset:         648
        .size:           4
        .value_kind:     by_value
      - .offset:         652
        .size:           4
        .value_kind:     by_value
      - .offset:         656
        .size:           4
        .value_kind:     by_value
      - .offset:         660
        .size:           1
        .value_kind:     by_value
      - .offset:         664
        .size:           4
        .value_kind:     hidden_block_count_x
      - .offset:         668
        .size:           4
        .value_kind:     hidden_block_count_y
      - .offset:         672
        .size:           4
        .value_kind:     hidden_block_count_z
      - .offset:         676
        .size:           2
        .value_kind:     hidden_group_size_x
      - .offset:         678
        .size:           2
        .value_kind:     hidden_group_size_y
      - .offset:         680
        .size:           2
        .value_kind:     hidden_group_size_z
      - .offset:         682
        .size:           2
        .value_kind:     hidden_remainder_x
      - .offset:         684
        .size:           2
        .value_kind:     hidden_remainder_y
      - .offset:         686
        .size:           2
        .value_kind:     hidden_remainder_z
      - .offset:         704
        .size:           8
        .value_kind:     hidden_global_offset_x
      - .offset:         712
        .size:           8
        .value_kind:     hidden_global_offset_y
      - .offset:         720
        .size:           8
        .value_kind:     hidden_global_offset_z
      - .offset:         728
        .size:           2
        .value_kind:     hidden_grid_dims
    .group_segment_fixed_size: 4120
    .kernarg_segment_align: 8
    .kernarg_segment_size: 920
    .language:       OpenCL C
    .language_version:
      - 2
      - 0
    .max_flat_workgroup_size: 1024
    .name:           _ZN2at6native12_GLOBAL__N_112gatherMedianIajLi3EEEvNS_4cuda6detail10TensorInfoIT_T0_EENS5_IlS7_EENS5_IKS6_S7_EES7_S7_S7_b
    .private_segment_fixed_size: 0
    .sgpr_count:     106
    .sgpr_spill_count: 53
    .symbol:         _ZN2at6native12_GLOBAL__N_112gatherMedianIajLi3EEEvNS_4cuda6detail10TensorInfoIT_T0_EENS5_IlS7_EENS5_IKS6_S7_EES7_S7_S7_b.kd
    .uniform_work_group_size: 1
    .uses_dynamic_stack: false
    .vgpr_count:     82
    .vgpr_spill_count: 0
    .wavefront_size: 64
  - .agpr_count:     0
    .args:
      - .offset:         0
        .size:           216
        .value_kind:     by_value
      - .offset:         216
        .size:           216
        .value_kind:     by_value
      - .offset:         432
        .size:           216
        .value_kind:     by_value
      - .offset:         648
        .size:           4
        .value_kind:     by_value
      - .offset:         652
        .size:           4
        .value_kind:     by_value
      - .offset:         656
        .size:           4
        .value_kind:     by_value
      - .offset:         660
        .size:           1
        .value_kind:     by_value
      - .offset:         664
        .size:           4
        .value_kind:     hidden_block_count_x
      - .offset:         668
        .size:           4
        .value_kind:     hidden_block_count_y
      - .offset:         672
        .size:           4
        .value_kind:     hidden_block_count_z
      - .offset:         676
        .size:           2
        .value_kind:     hidden_group_size_x
      - .offset:         678
        .size:           2
        .value_kind:     hidden_group_size_y
      - .offset:         680
        .size:           2
        .value_kind:     hidden_group_size_z
      - .offset:         682
        .size:           2
        .value_kind:     hidden_remainder_x
      - .offset:         684
        .size:           2
        .value_kind:     hidden_remainder_y
      - .offset:         686
        .size:           2
        .value_kind:     hidden_remainder_z
      - .offset:         704
        .size:           8
        .value_kind:     hidden_global_offset_x
      - .offset:         712
        .size:           8
        .value_kind:     hidden_global_offset_y
      - .offset:         720
        .size:           8
        .value_kind:     hidden_global_offset_z
      - .offset:         728
        .size:           2
        .value_kind:     hidden_grid_dims
    .group_segment_fixed_size: 4120
    .kernarg_segment_align: 8
    .kernarg_segment_size: 920
    .language:       OpenCL C
    .language_version:
      - 2
      - 0
    .max_flat_workgroup_size: 1024
    .name:           _ZN2at6native12_GLOBAL__N_112gatherMedianIajLin1EEEvNS_4cuda6detail10TensorInfoIT_T0_EENS5_IlS7_EENS5_IKS6_S7_EES7_S7_S7_b
    .private_segment_fixed_size: 0
    .sgpr_count:     106
    .sgpr_spill_count: 44
    .symbol:         _ZN2at6native12_GLOBAL__N_112gatherMedianIajLin1EEEvNS_4cuda6detail10TensorInfoIT_T0_EENS5_IlS7_EENS5_IKS6_S7_EES7_S7_S7_b.kd
    .uniform_work_group_size: 1
    .uses_dynamic_stack: false
    .vgpr_count:     82
    .vgpr_spill_count: 0
    .wavefront_size: 64
  - .agpr_count:     0
    .args:
      - .offset:         0
        .size:           416
        .value_kind:     by_value
      - .offset:         416
        .size:           416
        .value_kind:     by_value
      - .offset:         832
        .size:           416
        .value_kind:     by_value
      - .offset:         1248
        .size:           8
        .value_kind:     by_value
      - .offset:         1256
        .size:           8
        .value_kind:     by_value
      - .offset:         1264
        .size:           8
        .value_kind:     by_value
      - .offset:         1272
        .size:           1
        .value_kind:     by_value
      - .offset:         1280
        .size:           4
        .value_kind:     hidden_block_count_x
      - .offset:         1284
        .size:           4
        .value_kind:     hidden_block_count_y
      - .offset:         1288
        .size:           4
        .value_kind:     hidden_block_count_z
      - .offset:         1292
        .size:           2
        .value_kind:     hidden_group_size_x
      - .offset:         1294
        .size:           2
        .value_kind:     hidden_group_size_y
      - .offset:         1296
        .size:           2
        .value_kind:     hidden_group_size_z
      - .offset:         1298
        .size:           2
        .value_kind:     hidden_remainder_x
      - .offset:         1300
        .size:           2
        .value_kind:     hidden_remainder_y
      - .offset:         1302
        .size:           2
        .value_kind:     hidden_remainder_z
      - .offset:         1320
        .size:           8
        .value_kind:     hidden_global_offset_x
      - .offset:         1328
        .size:           8
        .value_kind:     hidden_global_offset_y
      - .offset:         1336
        .size:           8
        .value_kind:     hidden_global_offset_z
      - .offset:         1344
        .size:           2
        .value_kind:     hidden_grid_dims
    .group_segment_fixed_size: 5152
    .kernarg_segment_align: 8
    .kernarg_segment_size: 1536
    .language:       OpenCL C
    .language_version:
      - 2
      - 0
    .max_flat_workgroup_size: 1024
    .name:           _ZN2at6native12_GLOBAL__N_112gatherMedianIamLi1EEEvNS_4cuda6detail10TensorInfoIT_T0_EENS5_IlS7_EENS5_IKS6_S7_EES7_S7_S7_b
    .private_segment_fixed_size: 0
    .sgpr_count:     106
    .sgpr_spill_count: 39
    .symbol:         _ZN2at6native12_GLOBAL__N_112gatherMedianIamLi1EEEvNS_4cuda6detail10TensorInfoIT_T0_EENS5_IlS7_EENS5_IKS6_S7_EES7_S7_S7_b.kd
    .uniform_work_group_size: 1
    .uses_dynamic_stack: false
    .vgpr_count:     64
    .vgpr_spill_count: 0
    .wavefront_size: 64
  - .agpr_count:     0
    .args:
      - .offset:         0
        .size:           416
        .value_kind:     by_value
      - .offset:         416
        .size:           416
        .value_kind:     by_value
      - .offset:         832
        .size:           416
        .value_kind:     by_value
      - .offset:         1248
        .size:           8
        .value_kind:     by_value
      - .offset:         1256
        .size:           8
        .value_kind:     by_value
      - .offset:         1264
        .size:           8
        .value_kind:     by_value
      - .offset:         1272
        .size:           1
        .value_kind:     by_value
      - .offset:         1280
        .size:           4
        .value_kind:     hidden_block_count_x
      - .offset:         1284
        .size:           4
        .value_kind:     hidden_block_count_y
      - .offset:         1288
        .size:           4
        .value_kind:     hidden_block_count_z
      - .offset:         1292
        .size:           2
        .value_kind:     hidden_group_size_x
      - .offset:         1294
        .size:           2
        .value_kind:     hidden_group_size_y
      - .offset:         1296
        .size:           2
        .value_kind:     hidden_group_size_z
      - .offset:         1298
        .size:           2
        .value_kind:     hidden_remainder_x
      - .offset:         1300
        .size:           2
        .value_kind:     hidden_remainder_y
      - .offset:         1302
        .size:           2
        .value_kind:     hidden_remainder_z
      - .offset:         1320
        .size:           8
        .value_kind:     hidden_global_offset_x
      - .offset:         1328
        .size:           8
        .value_kind:     hidden_global_offset_y
      - .offset:         1336
        .size:           8
        .value_kind:     hidden_global_offset_z
      - .offset:         1344
        .size:           2
        .value_kind:     hidden_grid_dims
    .group_segment_fixed_size: 5152
    .kernarg_segment_align: 8
    .kernarg_segment_size: 1536
    .language:       OpenCL C
    .language_version:
      - 2
      - 0
    .max_flat_workgroup_size: 1024
    .name:           _ZN2at6native12_GLOBAL__N_112gatherMedianIamLi2EEEvNS_4cuda6detail10TensorInfoIT_T0_EENS5_IlS7_EENS5_IKS6_S7_EES7_S7_S7_b
    .private_segment_fixed_size: 0
    .sgpr_count:     106
    .sgpr_spill_count: 48
    .symbol:         _ZN2at6native12_GLOBAL__N_112gatherMedianIamLi2EEEvNS_4cuda6detail10TensorInfoIT_T0_EENS5_IlS7_EENS5_IKS6_S7_EES7_S7_S7_b.kd
    .uniform_work_group_size: 1
    .uses_dynamic_stack: false
    .vgpr_count:     58
    .vgpr_spill_count: 0
    .wavefront_size: 64
  - .agpr_count:     0
    .args:
      - .offset:         0
        .size:           416
        .value_kind:     by_value
      - .offset:         416
        .size:           416
        .value_kind:     by_value
      - .offset:         832
        .size:           416
        .value_kind:     by_value
      - .offset:         1248
        .size:           8
        .value_kind:     by_value
      - .offset:         1256
        .size:           8
        .value_kind:     by_value
      - .offset:         1264
        .size:           8
        .value_kind:     by_value
      - .offset:         1272
        .size:           1
        .value_kind:     by_value
      - .offset:         1280
        .size:           4
        .value_kind:     hidden_block_count_x
      - .offset:         1284
        .size:           4
        .value_kind:     hidden_block_count_y
      - .offset:         1288
        .size:           4
        .value_kind:     hidden_block_count_z
      - .offset:         1292
        .size:           2
        .value_kind:     hidden_group_size_x
      - .offset:         1294
        .size:           2
        .value_kind:     hidden_group_size_y
      - .offset:         1296
        .size:           2
        .value_kind:     hidden_group_size_z
      - .offset:         1298
        .size:           2
        .value_kind:     hidden_remainder_x
      - .offset:         1300
        .size:           2
        .value_kind:     hidden_remainder_y
      - .offset:         1302
        .size:           2
        .value_kind:     hidden_remainder_z
      - .offset:         1320
        .size:           8
        .value_kind:     hidden_global_offset_x
      - .offset:         1328
        .size:           8
        .value_kind:     hidden_global_offset_y
      - .offset:         1336
        .size:           8
        .value_kind:     hidden_global_offset_z
      - .offset:         1344
        .size:           2
        .value_kind:     hidden_grid_dims
    .group_segment_fixed_size: 5152
    .kernarg_segment_align: 8
    .kernarg_segment_size: 1536
    .language:       OpenCL C
    .language_version:
      - 2
      - 0
    .max_flat_workgroup_size: 1024
    .name:           _ZN2at6native12_GLOBAL__N_112gatherMedianIamLi3EEEvNS_4cuda6detail10TensorInfoIT_T0_EENS5_IlS7_EENS5_IKS6_S7_EES7_S7_S7_b
    .private_segment_fixed_size: 0
    .sgpr_count:     106
    .sgpr_spill_count: 61
    .symbol:         _ZN2at6native12_GLOBAL__N_112gatherMedianIamLi3EEEvNS_4cuda6detail10TensorInfoIT_T0_EENS5_IlS7_EENS5_IKS6_S7_EES7_S7_S7_b.kd
    .uniform_work_group_size: 1
    .uses_dynamic_stack: false
    .vgpr_count:     58
    .vgpr_spill_count: 0
    .wavefront_size: 64
  - .agpr_count:     0
    .args:
      - .offset:         0
        .size:           416
        .value_kind:     by_value
      - .offset:         416
        .size:           416
        .value_kind:     by_value
      - .offset:         832
        .size:           416
        .value_kind:     by_value
      - .offset:         1248
        .size:           8
        .value_kind:     by_value
      - .offset:         1256
        .size:           8
        .value_kind:     by_value
      - .offset:         1264
        .size:           8
        .value_kind:     by_value
      - .offset:         1272
        .size:           1
        .value_kind:     by_value
      - .offset:         1280
        .size:           4
        .value_kind:     hidden_block_count_x
      - .offset:         1284
        .size:           4
        .value_kind:     hidden_block_count_y
      - .offset:         1288
        .size:           4
        .value_kind:     hidden_block_count_z
      - .offset:         1292
        .size:           2
        .value_kind:     hidden_group_size_x
      - .offset:         1294
        .size:           2
        .value_kind:     hidden_group_size_y
      - .offset:         1296
        .size:           2
        .value_kind:     hidden_group_size_z
      - .offset:         1298
        .size:           2
        .value_kind:     hidden_remainder_x
      - .offset:         1300
        .size:           2
        .value_kind:     hidden_remainder_y
      - .offset:         1302
        .size:           2
        .value_kind:     hidden_remainder_z
      - .offset:         1320
        .size:           8
        .value_kind:     hidden_global_offset_x
      - .offset:         1328
        .size:           8
        .value_kind:     hidden_global_offset_y
      - .offset:         1336
        .size:           8
        .value_kind:     hidden_global_offset_z
      - .offset:         1344
        .size:           2
        .value_kind:     hidden_grid_dims
    .group_segment_fixed_size: 5152
    .kernarg_segment_align: 8
    .kernarg_segment_size: 1536
    .language:       OpenCL C
    .language_version:
      - 2
      - 0
    .max_flat_workgroup_size: 1024
    .name:           _ZN2at6native12_GLOBAL__N_112gatherMedianIamLin1EEEvNS_4cuda6detail10TensorInfoIT_T0_EENS5_IlS7_EENS5_IKS6_S7_EES7_S7_S7_b
    .private_segment_fixed_size: 0
    .sgpr_count:     106
    .sgpr_spill_count: 46
    .symbol:         _ZN2at6native12_GLOBAL__N_112gatherMedianIamLin1EEEvNS_4cuda6detail10TensorInfoIT_T0_EENS5_IlS7_EENS5_IKS6_S7_EES7_S7_S7_b.kd
    .uniform_work_group_size: 1
    .uses_dynamic_stack: false
    .vgpr_count:     66
    .vgpr_spill_count: 0
    .wavefront_size: 64
  - .agpr_count:     0
    .args:
      - .offset:         0
        .size:           216
        .value_kind:     by_value
      - .offset:         216
        .size:           216
        .value_kind:     by_value
      - .offset:         432
        .size:           216
        .value_kind:     by_value
      - .offset:         648
        .size:           4
        .value_kind:     by_value
      - .offset:         652
        .size:           4
        .value_kind:     by_value
      - .offset:         656
        .size:           4
        .value_kind:     by_value
      - .offset:         660
        .size:           1
        .value_kind:     by_value
      - .offset:         664
        .size:           4
        .value_kind:     hidden_block_count_x
      - .offset:         668
        .size:           4
        .value_kind:     hidden_block_count_y
      - .offset:         672
        .size:           4
        .value_kind:     hidden_block_count_z
      - .offset:         676
        .size:           2
        .value_kind:     hidden_group_size_x
      - .offset:         678
        .size:           2
        .value_kind:     hidden_group_size_y
      - .offset:         680
        .size:           2
        .value_kind:     hidden_group_size_z
      - .offset:         682
        .size:           2
        .value_kind:     hidden_remainder_x
      - .offset:         684
        .size:           2
        .value_kind:     hidden_remainder_y
      - .offset:         686
        .size:           2
        .value_kind:     hidden_remainder_z
      - .offset:         704
        .size:           8
        .value_kind:     hidden_global_offset_x
      - .offset:         712
        .size:           8
        .value_kind:     hidden_global_offset_y
      - .offset:         720
        .size:           8
        .value_kind:     hidden_global_offset_z
      - .offset:         728
        .size:           2
        .value_kind:     hidden_grid_dims
    .group_segment_fixed_size: 4120
    .kernarg_segment_align: 8
    .kernarg_segment_size: 920
    .language:       OpenCL C
    .language_version:
      - 2
      - 0
    .max_flat_workgroup_size: 1024
    .name:           _ZN2at6native12_GLOBAL__N_112gatherMedianIijLi1EEEvNS_4cuda6detail10TensorInfoIT_T0_EENS5_IlS7_EENS5_IKS6_S7_EES7_S7_S7_b
    .private_segment_fixed_size: 0
    .sgpr_count:     106
    .sgpr_spill_count: 31
    .symbol:         _ZN2at6native12_GLOBAL__N_112gatherMedianIijLi1EEEvNS_4cuda6detail10TensorInfoIT_T0_EENS5_IlS7_EENS5_IKS6_S7_EES7_S7_S7_b.kd
    .uniform_work_group_size: 1
    .uses_dynamic_stack: false
    .vgpr_count:     69
    .vgpr_spill_count: 0
    .wavefront_size: 64
  - .agpr_count:     0
    .args:
      - .offset:         0
        .size:           216
        .value_kind:     by_value
      - .offset:         216
        .size:           216
        .value_kind:     by_value
      - .offset:         432
        .size:           216
        .value_kind:     by_value
      - .offset:         648
        .size:           4
        .value_kind:     by_value
      - .offset:         652
        .size:           4
        .value_kind:     by_value
      - .offset:         656
        .size:           4
        .value_kind:     by_value
      - .offset:         660
        .size:           1
        .value_kind:     by_value
      - .offset:         664
        .size:           4
        .value_kind:     hidden_block_count_x
      - .offset:         668
        .size:           4
        .value_kind:     hidden_block_count_y
      - .offset:         672
        .size:           4
        .value_kind:     hidden_block_count_z
      - .offset:         676
        .size:           2
        .value_kind:     hidden_group_size_x
      - .offset:         678
        .size:           2
        .value_kind:     hidden_group_size_y
      - .offset:         680
        .size:           2
        .value_kind:     hidden_group_size_z
      - .offset:         682
        .size:           2
        .value_kind:     hidden_remainder_x
      - .offset:         684
        .size:           2
        .value_kind:     hidden_remainder_y
      - .offset:         686
        .size:           2
        .value_kind:     hidden_remainder_z
      - .offset:         704
        .size:           8
        .value_kind:     hidden_global_offset_x
      - .offset:         712
        .size:           8
        .value_kind:     hidden_global_offset_y
      - .offset:         720
        .size:           8
        .value_kind:     hidden_global_offset_z
      - .offset:         728
        .size:           2
        .value_kind:     hidden_grid_dims
    .group_segment_fixed_size: 4120
    .kernarg_segment_align: 8
    .kernarg_segment_size: 920
    .language:       OpenCL C
    .language_version:
      - 2
      - 0
    .max_flat_workgroup_size: 1024
    .name:           _ZN2at6native12_GLOBAL__N_112gatherMedianIijLi2EEEvNS_4cuda6detail10TensorInfoIT_T0_EENS5_IlS7_EENS5_IKS6_S7_EES7_S7_S7_b
    .private_segment_fixed_size: 0
    .sgpr_count:     106
    .sgpr_spill_count: 34
    .symbol:         _ZN2at6native12_GLOBAL__N_112gatherMedianIijLi2EEEvNS_4cuda6detail10TensorInfoIT_T0_EENS5_IlS7_EENS5_IKS6_S7_EES7_S7_S7_b.kd
    .uniform_work_group_size: 1
    .uses_dynamic_stack: false
    .vgpr_count:     71
    .vgpr_spill_count: 0
    .wavefront_size: 64
  - .agpr_count:     0
    .args:
      - .offset:         0
        .size:           216
        .value_kind:     by_value
      - .offset:         216
        .size:           216
        .value_kind:     by_value
      - .offset:         432
        .size:           216
        .value_kind:     by_value
      - .offset:         648
        .size:           4
        .value_kind:     by_value
      - .offset:         652
        .size:           4
        .value_kind:     by_value
      - .offset:         656
        .size:           4
        .value_kind:     by_value
      - .offset:         660
        .size:           1
        .value_kind:     by_value
      - .offset:         664
        .size:           4
        .value_kind:     hidden_block_count_x
      - .offset:         668
        .size:           4
        .value_kind:     hidden_block_count_y
      - .offset:         672
        .size:           4
        .value_kind:     hidden_block_count_z
      - .offset:         676
        .size:           2
        .value_kind:     hidden_group_size_x
      - .offset:         678
        .size:           2
        .value_kind:     hidden_group_size_y
      - .offset:         680
        .size:           2
        .value_kind:     hidden_group_size_z
      - .offset:         682
        .size:           2
        .value_kind:     hidden_remainder_x
      - .offset:         684
        .size:           2
        .value_kind:     hidden_remainder_y
      - .offset:         686
        .size:           2
        .value_kind:     hidden_remainder_z
      - .offset:         704
        .size:           8
        .value_kind:     hidden_global_offset_x
      - .offset:         712
        .size:           8
        .value_kind:     hidden_global_offset_y
      - .offset:         720
        .size:           8
        .value_kind:     hidden_global_offset_z
      - .offset:         728
        .size:           2
        .value_kind:     hidden_grid_dims
    .group_segment_fixed_size: 4120
    .kernarg_segment_align: 8
    .kernarg_segment_size: 920
    .language:       OpenCL C
    .language_version:
      - 2
      - 0
    .max_flat_workgroup_size: 1024
    .name:           _ZN2at6native12_GLOBAL__N_112gatherMedianIijLi3EEEvNS_4cuda6detail10TensorInfoIT_T0_EENS5_IlS7_EENS5_IKS6_S7_EES7_S7_S7_b
    .private_segment_fixed_size: 0
    .sgpr_count:     106
    .sgpr_spill_count: 42
    .symbol:         _ZN2at6native12_GLOBAL__N_112gatherMedianIijLi3EEEvNS_4cuda6detail10TensorInfoIT_T0_EENS5_IlS7_EENS5_IKS6_S7_EES7_S7_S7_b.kd
    .uniform_work_group_size: 1
    .uses_dynamic_stack: false
    .vgpr_count:     71
    .vgpr_spill_count: 0
    .wavefront_size: 64
  - .agpr_count:     0
    .args:
      - .offset:         0
        .size:           216
        .value_kind:     by_value
      - .offset:         216
        .size:           216
        .value_kind:     by_value
      - .offset:         432
        .size:           216
        .value_kind:     by_value
      - .offset:         648
        .size:           4
        .value_kind:     by_value
      - .offset:         652
        .size:           4
        .value_kind:     by_value
      - .offset:         656
        .size:           4
        .value_kind:     by_value
      - .offset:         660
        .size:           1
        .value_kind:     by_value
      - .offset:         664
        .size:           4
        .value_kind:     hidden_block_count_x
      - .offset:         668
        .size:           4
        .value_kind:     hidden_block_count_y
      - .offset:         672
        .size:           4
        .value_kind:     hidden_block_count_z
      - .offset:         676
        .size:           2
        .value_kind:     hidden_group_size_x
      - .offset:         678
        .size:           2
        .value_kind:     hidden_group_size_y
      - .offset:         680
        .size:           2
        .value_kind:     hidden_group_size_z
      - .offset:         682
        .size:           2
        .value_kind:     hidden_remainder_x
      - .offset:         684
        .size:           2
        .value_kind:     hidden_remainder_y
      - .offset:         686
        .size:           2
        .value_kind:     hidden_remainder_z
      - .offset:         704
        .size:           8
        .value_kind:     hidden_global_offset_x
      - .offset:         712
        .size:           8
        .value_kind:     hidden_global_offset_y
      - .offset:         720
        .size:           8
        .value_kind:     hidden_global_offset_z
      - .offset:         728
        .size:           2
        .value_kind:     hidden_grid_dims
    .group_segment_fixed_size: 4120
    .kernarg_segment_align: 8
    .kernarg_segment_size: 920
    .language:       OpenCL C
    .language_version:
      - 2
      - 0
    .max_flat_workgroup_size: 1024
    .name:           _ZN2at6native12_GLOBAL__N_112gatherMedianIijLin1EEEvNS_4cuda6detail10TensorInfoIT_T0_EENS5_IlS7_EENS5_IKS6_S7_EES7_S7_S7_b
    .private_segment_fixed_size: 0
    .sgpr_count:     106
    .sgpr_spill_count: 32
    .symbol:         _ZN2at6native12_GLOBAL__N_112gatherMedianIijLin1EEEvNS_4cuda6detail10TensorInfoIT_T0_EENS5_IlS7_EENS5_IKS6_S7_EES7_S7_S7_b.kd
    .uniform_work_group_size: 1
    .uses_dynamic_stack: false
    .vgpr_count:     71
    .vgpr_spill_count: 0
    .wavefront_size: 64
  - .agpr_count:     0
    .args:
      - .offset:         0
        .size:           416
        .value_kind:     by_value
      - .offset:         416
        .size:           416
        .value_kind:     by_value
      - .offset:         832
        .size:           416
        .value_kind:     by_value
      - .offset:         1248
        .size:           8
        .value_kind:     by_value
      - .offset:         1256
        .size:           8
        .value_kind:     by_value
      - .offset:         1264
        .size:           8
        .value_kind:     by_value
      - .offset:         1272
        .size:           1
        .value_kind:     by_value
      - .offset:         1280
        .size:           4
        .value_kind:     hidden_block_count_x
      - .offset:         1284
        .size:           4
        .value_kind:     hidden_block_count_y
      - .offset:         1288
        .size:           4
        .value_kind:     hidden_block_count_z
      - .offset:         1292
        .size:           2
        .value_kind:     hidden_group_size_x
      - .offset:         1294
        .size:           2
        .value_kind:     hidden_group_size_y
      - .offset:         1296
        .size:           2
        .value_kind:     hidden_group_size_z
      - .offset:         1298
        .size:           2
        .value_kind:     hidden_remainder_x
      - .offset:         1300
        .size:           2
        .value_kind:     hidden_remainder_y
      - .offset:         1302
        .size:           2
        .value_kind:     hidden_remainder_z
      - .offset:         1320
        .size:           8
        .value_kind:     hidden_global_offset_x
      - .offset:         1328
        .size:           8
        .value_kind:     hidden_global_offset_y
      - .offset:         1336
        .size:           8
        .value_kind:     hidden_global_offset_z
      - .offset:         1344
        .size:           2
        .value_kind:     hidden_grid_dims
    .group_segment_fixed_size: 5152
    .kernarg_segment_align: 8
    .kernarg_segment_size: 1536
    .language:       OpenCL C
    .language_version:
      - 2
      - 0
    .max_flat_workgroup_size: 1024
    .name:           _ZN2at6native12_GLOBAL__N_112gatherMedianIimLi1EEEvNS_4cuda6detail10TensorInfoIT_T0_EENS5_IlS7_EENS5_IKS6_S7_EES7_S7_S7_b
    .private_segment_fixed_size: 0
    .sgpr_count:     106
    .sgpr_spill_count: 37
    .symbol:         _ZN2at6native12_GLOBAL__N_112gatherMedianIimLi1EEEvNS_4cuda6detail10TensorInfoIT_T0_EENS5_IlS7_EENS5_IKS6_S7_EES7_S7_S7_b.kd
    .uniform_work_group_size: 1
    .uses_dynamic_stack: false
    .vgpr_count:     63
    .vgpr_spill_count: 0
    .wavefront_size: 64
  - .agpr_count:     0
    .args:
      - .offset:         0
        .size:           416
        .value_kind:     by_value
      - .offset:         416
        .size:           416
        .value_kind:     by_value
      - .offset:         832
        .size:           416
        .value_kind:     by_value
      - .offset:         1248
        .size:           8
        .value_kind:     by_value
      - .offset:         1256
        .size:           8
        .value_kind:     by_value
      - .offset:         1264
        .size:           8
        .value_kind:     by_value
      - .offset:         1272
        .size:           1
        .value_kind:     by_value
      - .offset:         1280
        .size:           4
        .value_kind:     hidden_block_count_x
      - .offset:         1284
        .size:           4
        .value_kind:     hidden_block_count_y
      - .offset:         1288
        .size:           4
        .value_kind:     hidden_block_count_z
      - .offset:         1292
        .size:           2
        .value_kind:     hidden_group_size_x
      - .offset:         1294
        .size:           2
        .value_kind:     hidden_group_size_y
      - .offset:         1296
        .size:           2
        .value_kind:     hidden_group_size_z
      - .offset:         1298
        .size:           2
        .value_kind:     hidden_remainder_x
      - .offset:         1300
        .size:           2
        .value_kind:     hidden_remainder_y
      - .offset:         1302
        .size:           2
        .value_kind:     hidden_remainder_z
      - .offset:         1320
        .size:           8
        .value_kind:     hidden_global_offset_x
      - .offset:         1328
        .size:           8
        .value_kind:     hidden_global_offset_y
      - .offset:         1336
        .size:           8
        .value_kind:     hidden_global_offset_z
      - .offset:         1344
        .size:           2
        .value_kind:     hidden_grid_dims
    .group_segment_fixed_size: 5152
    .kernarg_segment_align: 8
    .kernarg_segment_size: 1536
    .language:       OpenCL C
    .language_version:
      - 2
      - 0
    .max_flat_workgroup_size: 1024
    .name:           _ZN2at6native12_GLOBAL__N_112gatherMedianIimLi2EEEvNS_4cuda6detail10TensorInfoIT_T0_EENS5_IlS7_EENS5_IKS6_S7_EES7_S7_S7_b
    .private_segment_fixed_size: 0
    .sgpr_count:     106
    .sgpr_spill_count: 43
    .symbol:         _ZN2at6native12_GLOBAL__N_112gatherMedianIimLi2EEEvNS_4cuda6detail10TensorInfoIT_T0_EENS5_IlS7_EENS5_IKS6_S7_EES7_S7_S7_b.kd
    .uniform_work_group_size: 1
    .uses_dynamic_stack: false
    .vgpr_count:     55
    .vgpr_spill_count: 0
    .wavefront_size: 64
  - .agpr_count:     0
    .args:
      - .offset:         0
        .size:           416
        .value_kind:     by_value
      - .offset:         416
        .size:           416
        .value_kind:     by_value
      - .offset:         832
        .size:           416
        .value_kind:     by_value
      - .offset:         1248
        .size:           8
        .value_kind:     by_value
      - .offset:         1256
        .size:           8
        .value_kind:     by_value
      - .offset:         1264
        .size:           8
        .value_kind:     by_value
      - .offset:         1272
        .size:           1
        .value_kind:     by_value
      - .offset:         1280
        .size:           4
        .value_kind:     hidden_block_count_x
      - .offset:         1284
        .size:           4
        .value_kind:     hidden_block_count_y
      - .offset:         1288
        .size:           4
        .value_kind:     hidden_block_count_z
      - .offset:         1292
        .size:           2
        .value_kind:     hidden_group_size_x
      - .offset:         1294
        .size:           2
        .value_kind:     hidden_group_size_y
      - .offset:         1296
        .size:           2
        .value_kind:     hidden_group_size_z
      - .offset:         1298
        .size:           2
        .value_kind:     hidden_remainder_x
      - .offset:         1300
        .size:           2
        .value_kind:     hidden_remainder_y
      - .offset:         1302
        .size:           2
        .value_kind:     hidden_remainder_z
      - .offset:         1320
        .size:           8
        .value_kind:     hidden_global_offset_x
      - .offset:         1328
        .size:           8
        .value_kind:     hidden_global_offset_y
      - .offset:         1336
        .size:           8
        .value_kind:     hidden_global_offset_z
      - .offset:         1344
        .size:           2
        .value_kind:     hidden_grid_dims
    .group_segment_fixed_size: 5152
    .kernarg_segment_align: 8
    .kernarg_segment_size: 1536
    .language:       OpenCL C
    .language_version:
      - 2
      - 0
    .max_flat_workgroup_size: 1024
    .name:           _ZN2at6native12_GLOBAL__N_112gatherMedianIimLi3EEEvNS_4cuda6detail10TensorInfoIT_T0_EENS5_IlS7_EENS5_IKS6_S7_EES7_S7_S7_b
    .private_segment_fixed_size: 0
    .sgpr_count:     106
    .sgpr_spill_count: 59
    .symbol:         _ZN2at6native12_GLOBAL__N_112gatherMedianIimLi3EEEvNS_4cuda6detail10TensorInfoIT_T0_EENS5_IlS7_EENS5_IKS6_S7_EES7_S7_S7_b.kd
    .uniform_work_group_size: 1
    .uses_dynamic_stack: false
    .vgpr_count:     55
    .vgpr_spill_count: 0
    .wavefront_size: 64
  - .agpr_count:     0
    .args:
      - .offset:         0
        .size:           416
        .value_kind:     by_value
      - .offset:         416
        .size:           416
        .value_kind:     by_value
      - .offset:         832
        .size:           416
        .value_kind:     by_value
      - .offset:         1248
        .size:           8
        .value_kind:     by_value
      - .offset:         1256
        .size:           8
        .value_kind:     by_value
      - .offset:         1264
        .size:           8
        .value_kind:     by_value
      - .offset:         1272
        .size:           1
        .value_kind:     by_value
      - .offset:         1280
        .size:           4
        .value_kind:     hidden_block_count_x
      - .offset:         1284
        .size:           4
        .value_kind:     hidden_block_count_y
      - .offset:         1288
        .size:           4
        .value_kind:     hidden_block_count_z
      - .offset:         1292
        .size:           2
        .value_kind:     hidden_group_size_x
      - .offset:         1294
        .size:           2
        .value_kind:     hidden_group_size_y
      - .offset:         1296
        .size:           2
        .value_kind:     hidden_group_size_z
      - .offset:         1298
        .size:           2
        .value_kind:     hidden_remainder_x
      - .offset:         1300
        .size:           2
        .value_kind:     hidden_remainder_y
      - .offset:         1302
        .size:           2
        .value_kind:     hidden_remainder_z
      - .offset:         1320
        .size:           8
        .value_kind:     hidden_global_offset_x
      - .offset:         1328
        .size:           8
        .value_kind:     hidden_global_offset_y
      - .offset:         1336
        .size:           8
        .value_kind:     hidden_global_offset_z
      - .offset:         1344
        .size:           2
        .value_kind:     hidden_grid_dims
    .group_segment_fixed_size: 5152
    .kernarg_segment_align: 8
    .kernarg_segment_size: 1536
    .language:       OpenCL C
    .language_version:
      - 2
      - 0
    .max_flat_workgroup_size: 1024
    .name:           _ZN2at6native12_GLOBAL__N_112gatherMedianIimLin1EEEvNS_4cuda6detail10TensorInfoIT_T0_EENS5_IlS7_EENS5_IKS6_S7_EES7_S7_S7_b
    .private_segment_fixed_size: 0
    .sgpr_count:     106
    .sgpr_spill_count: 48
    .symbol:         _ZN2at6native12_GLOBAL__N_112gatherMedianIimLin1EEEvNS_4cuda6detail10TensorInfoIT_T0_EENS5_IlS7_EENS5_IKS6_S7_EES7_S7_S7_b.kd
    .uniform_work_group_size: 1
    .uses_dynamic_stack: false
    .vgpr_count:     65
    .vgpr_spill_count: 0
    .wavefront_size: 64
  - .agpr_count:     0
    .args:
      - .offset:         0
        .size:           216
        .value_kind:     by_value
      - .offset:         216
        .size:           216
        .value_kind:     by_value
      - .offset:         432
        .size:           216
        .value_kind:     by_value
      - .offset:         648
        .size:           4
        .value_kind:     by_value
      - .offset:         652
        .size:           4
        .value_kind:     by_value
      - .offset:         656
        .size:           4
        .value_kind:     by_value
      - .offset:         660
        .size:           1
        .value_kind:     by_value
      - .offset:         664
        .size:           4
        .value_kind:     hidden_block_count_x
      - .offset:         668
        .size:           4
        .value_kind:     hidden_block_count_y
      - .offset:         672
        .size:           4
        .value_kind:     hidden_block_count_z
      - .offset:         676
        .size:           2
        .value_kind:     hidden_group_size_x
      - .offset:         678
        .size:           2
        .value_kind:     hidden_group_size_y
      - .offset:         680
        .size:           2
        .value_kind:     hidden_group_size_z
      - .offset:         682
        .size:           2
        .value_kind:     hidden_remainder_x
      - .offset:         684
        .size:           2
        .value_kind:     hidden_remainder_y
      - .offset:         686
        .size:           2
        .value_kind:     hidden_remainder_z
      - .offset:         704
        .size:           8
        .value_kind:     hidden_global_offset_x
      - .offset:         712
        .size:           8
        .value_kind:     hidden_global_offset_y
      - .offset:         720
        .size:           8
        .value_kind:     hidden_global_offset_z
      - .offset:         728
        .size:           2
        .value_kind:     hidden_grid_dims
    .group_segment_fixed_size: 4120
    .kernarg_segment_align: 8
    .kernarg_segment_size: 920
    .language:       OpenCL C
    .language_version:
      - 2
      - 0
    .max_flat_workgroup_size: 1024
    .name:           _ZN2at6native12_GLOBAL__N_112gatherMedianIljLi1EEEvNS_4cuda6detail10TensorInfoIT_T0_EENS5_IlS7_EENS5_IKS6_S7_EES7_S7_S7_b
    .private_segment_fixed_size: 0
    .sgpr_count:     106
    .sgpr_spill_count: 23
    .symbol:         _ZN2at6native12_GLOBAL__N_112gatherMedianIljLi1EEEvNS_4cuda6detail10TensorInfoIT_T0_EENS5_IlS7_EENS5_IKS6_S7_EES7_S7_S7_b.kd
    .uniform_work_group_size: 1
    .uses_dynamic_stack: false
    .vgpr_count:     61
    .vgpr_spill_count: 0
    .wavefront_size: 64
  - .agpr_count:     0
    .args:
      - .offset:         0
        .size:           216
        .value_kind:     by_value
      - .offset:         216
        .size:           216
        .value_kind:     by_value
      - .offset:         432
        .size:           216
        .value_kind:     by_value
      - .offset:         648
        .size:           4
        .value_kind:     by_value
      - .offset:         652
        .size:           4
        .value_kind:     by_value
      - .offset:         656
        .size:           4
        .value_kind:     by_value
      - .offset:         660
        .size:           1
        .value_kind:     by_value
      - .offset:         664
        .size:           4
        .value_kind:     hidden_block_count_x
      - .offset:         668
        .size:           4
        .value_kind:     hidden_block_count_y
      - .offset:         672
        .size:           4
        .value_kind:     hidden_block_count_z
      - .offset:         676
        .size:           2
        .value_kind:     hidden_group_size_x
      - .offset:         678
        .size:           2
        .value_kind:     hidden_group_size_y
      - .offset:         680
        .size:           2
        .value_kind:     hidden_group_size_z
      - .offset:         682
        .size:           2
        .value_kind:     hidden_remainder_x
      - .offset:         684
        .size:           2
        .value_kind:     hidden_remainder_y
      - .offset:         686
        .size:           2
        .value_kind:     hidden_remainder_z
      - .offset:         704
        .size:           8
        .value_kind:     hidden_global_offset_x
      - .offset:         712
        .size:           8
        .value_kind:     hidden_global_offset_y
      - .offset:         720
        .size:           8
        .value_kind:     hidden_global_offset_z
      - .offset:         728
        .size:           2
        .value_kind:     hidden_grid_dims
    .group_segment_fixed_size: 4120
    .kernarg_segment_align: 8
    .kernarg_segment_size: 920
    .language:       OpenCL C
    .language_version:
      - 2
      - 0
    .max_flat_workgroup_size: 1024
    .name:           _ZN2at6native12_GLOBAL__N_112gatherMedianIljLi2EEEvNS_4cuda6detail10TensorInfoIT_T0_EENS5_IlS7_EENS5_IKS6_S7_EES7_S7_S7_b
    .private_segment_fixed_size: 0
    .sgpr_count:     106
    .sgpr_spill_count: 29
    .symbol:         _ZN2at6native12_GLOBAL__N_112gatherMedianIljLi2EEEvNS_4cuda6detail10TensorInfoIT_T0_EENS5_IlS7_EENS5_IKS6_S7_EES7_S7_S7_b.kd
    .uniform_work_group_size: 1
    .uses_dynamic_stack: false
    .vgpr_count:     61
    .vgpr_spill_count: 0
    .wavefront_size: 64
  - .agpr_count:     0
    .args:
      - .offset:         0
        .size:           216
        .value_kind:     by_value
      - .offset:         216
        .size:           216
        .value_kind:     by_value
      - .offset:         432
        .size:           216
        .value_kind:     by_value
      - .offset:         648
        .size:           4
        .value_kind:     by_value
      - .offset:         652
        .size:           4
        .value_kind:     by_value
      - .offset:         656
        .size:           4
        .value_kind:     by_value
      - .offset:         660
        .size:           1
        .value_kind:     by_value
      - .offset:         664
        .size:           4
        .value_kind:     hidden_block_count_x
      - .offset:         668
        .size:           4
        .value_kind:     hidden_block_count_y
      - .offset:         672
        .size:           4
        .value_kind:     hidden_block_count_z
      - .offset:         676
        .size:           2
        .value_kind:     hidden_group_size_x
      - .offset:         678
        .size:           2
        .value_kind:     hidden_group_size_y
      - .offset:         680
        .size:           2
        .value_kind:     hidden_group_size_z
      - .offset:         682
        .size:           2
        .value_kind:     hidden_remainder_x
      - .offset:         684
        .size:           2
        .value_kind:     hidden_remainder_y
      - .offset:         686
        .size:           2
        .value_kind:     hidden_remainder_z
      - .offset:         704
        .size:           8
        .value_kind:     hidden_global_offset_x
      - .offset:         712
        .size:           8
        .value_kind:     hidden_global_offset_y
      - .offset:         720
        .size:           8
        .value_kind:     hidden_global_offset_z
      - .offset:         728
        .size:           2
        .value_kind:     hidden_grid_dims
    .group_segment_fixed_size: 4120
    .kernarg_segment_align: 8
    .kernarg_segment_size: 920
    .language:       OpenCL C
    .language_version:
      - 2
      - 0
    .max_flat_workgroup_size: 1024
    .name:           _ZN2at6native12_GLOBAL__N_112gatherMedianIljLi3EEEvNS_4cuda6detail10TensorInfoIT_T0_EENS5_IlS7_EENS5_IKS6_S7_EES7_S7_S7_b
    .private_segment_fixed_size: 0
    .sgpr_count:     106
    .sgpr_spill_count: 37
    .symbol:         _ZN2at6native12_GLOBAL__N_112gatherMedianIljLi3EEEvNS_4cuda6detail10TensorInfoIT_T0_EENS5_IlS7_EENS5_IKS6_S7_EES7_S7_S7_b.kd
    .uniform_work_group_size: 1
    .uses_dynamic_stack: false
    .vgpr_count:     61
    .vgpr_spill_count: 0
    .wavefront_size: 64
  - .agpr_count:     0
    .args:
      - .offset:         0
        .size:           216
        .value_kind:     by_value
      - .offset:         216
        .size:           216
        .value_kind:     by_value
      - .offset:         432
        .size:           216
        .value_kind:     by_value
      - .offset:         648
        .size:           4
        .value_kind:     by_value
      - .offset:         652
        .size:           4
        .value_kind:     by_value
      - .offset:         656
        .size:           4
        .value_kind:     by_value
      - .offset:         660
        .size:           1
        .value_kind:     by_value
      - .offset:         664
        .size:           4
        .value_kind:     hidden_block_count_x
      - .offset:         668
        .size:           4
        .value_kind:     hidden_block_count_y
      - .offset:         672
        .size:           4
        .value_kind:     hidden_block_count_z
      - .offset:         676
        .size:           2
        .value_kind:     hidden_group_size_x
      - .offset:         678
        .size:           2
        .value_kind:     hidden_group_size_y
      - .offset:         680
        .size:           2
        .value_kind:     hidden_group_size_z
      - .offset:         682
        .size:           2
        .value_kind:     hidden_remainder_x
      - .offset:         684
        .size:           2
        .value_kind:     hidden_remainder_y
      - .offset:         686
        .size:           2
        .value_kind:     hidden_remainder_z
      - .offset:         704
        .size:           8
        .value_kind:     hidden_global_offset_x
      - .offset:         712
        .size:           8
        .value_kind:     hidden_global_offset_y
      - .offset:         720
        .size:           8
        .value_kind:     hidden_global_offset_z
      - .offset:         728
        .size:           2
        .value_kind:     hidden_grid_dims
    .group_segment_fixed_size: 4120
    .kernarg_segment_align: 8
    .kernarg_segment_size: 920
    .language:       OpenCL C
    .language_version:
      - 2
      - 0
    .max_flat_workgroup_size: 1024
    .name:           _ZN2at6native12_GLOBAL__N_112gatherMedianIljLin1EEEvNS_4cuda6detail10TensorInfoIT_T0_EENS5_IlS7_EENS5_IKS6_S7_EES7_S7_S7_b
    .private_segment_fixed_size: 0
    .sgpr_count:     106
    .sgpr_spill_count: 26
    .symbol:         _ZN2at6native12_GLOBAL__N_112gatherMedianIljLin1EEEvNS_4cuda6detail10TensorInfoIT_T0_EENS5_IlS7_EENS5_IKS6_S7_EES7_S7_S7_b.kd
    .uniform_work_group_size: 1
    .uses_dynamic_stack: false
    .vgpr_count:     61
    .vgpr_spill_count: 0
    .wavefront_size: 64
  - .agpr_count:     0
    .args:
      - .offset:         0
        .size:           416
        .value_kind:     by_value
      - .offset:         416
        .size:           416
        .value_kind:     by_value
      - .offset:         832
        .size:           416
        .value_kind:     by_value
      - .offset:         1248
        .size:           8
        .value_kind:     by_value
      - .offset:         1256
        .size:           8
        .value_kind:     by_value
      - .offset:         1264
        .size:           8
        .value_kind:     by_value
      - .offset:         1272
        .size:           1
        .value_kind:     by_value
      - .offset:         1280
        .size:           4
        .value_kind:     hidden_block_count_x
      - .offset:         1284
        .size:           4
        .value_kind:     hidden_block_count_y
      - .offset:         1288
        .size:           4
        .value_kind:     hidden_block_count_z
      - .offset:         1292
        .size:           2
        .value_kind:     hidden_group_size_x
      - .offset:         1294
        .size:           2
        .value_kind:     hidden_group_size_y
      - .offset:         1296
        .size:           2
        .value_kind:     hidden_group_size_z
      - .offset:         1298
        .size:           2
        .value_kind:     hidden_remainder_x
      - .offset:         1300
        .size:           2
        .value_kind:     hidden_remainder_y
      - .offset:         1302
        .size:           2
        .value_kind:     hidden_remainder_z
      - .offset:         1320
        .size:           8
        .value_kind:     hidden_global_offset_x
      - .offset:         1328
        .size:           8
        .value_kind:     hidden_global_offset_y
      - .offset:         1336
        .size:           8
        .value_kind:     hidden_global_offset_z
      - .offset:         1344
        .size:           2
        .value_kind:     hidden_grid_dims
    .group_segment_fixed_size: 5152
    .kernarg_segment_align: 8
    .kernarg_segment_size: 1536
    .language:       OpenCL C
    .language_version:
      - 2
      - 0
    .max_flat_workgroup_size: 1024
    .name:           _ZN2at6native12_GLOBAL__N_112gatherMedianIlmLi1EEEvNS_4cuda6detail10TensorInfoIT_T0_EENS5_IlS7_EENS5_IKS6_S7_EES7_S7_S7_b
    .private_segment_fixed_size: 0
    .sgpr_count:     106
    .sgpr_spill_count: 31
    .symbol:         _ZN2at6native12_GLOBAL__N_112gatherMedianIlmLi1EEEvNS_4cuda6detail10TensorInfoIT_T0_EENS5_IlS7_EENS5_IKS6_S7_EES7_S7_S7_b.kd
    .uniform_work_group_size: 1
    .uses_dynamic_stack: false
    .vgpr_count:     67
    .vgpr_spill_count: 0
    .wavefront_size: 64
  - .agpr_count:     0
    .args:
      - .offset:         0
        .size:           416
        .value_kind:     by_value
      - .offset:         416
        .size:           416
        .value_kind:     by_value
      - .offset:         832
        .size:           416
        .value_kind:     by_value
      - .offset:         1248
        .size:           8
        .value_kind:     by_value
      - .offset:         1256
        .size:           8
        .value_kind:     by_value
      - .offset:         1264
        .size:           8
        .value_kind:     by_value
      - .offset:         1272
        .size:           1
        .value_kind:     by_value
      - .offset:         1280
        .size:           4
        .value_kind:     hidden_block_count_x
      - .offset:         1284
        .size:           4
        .value_kind:     hidden_block_count_y
      - .offset:         1288
        .size:           4
        .value_kind:     hidden_block_count_z
      - .offset:         1292
        .size:           2
        .value_kind:     hidden_group_size_x
      - .offset:         1294
        .size:           2
        .value_kind:     hidden_group_size_y
      - .offset:         1296
        .size:           2
        .value_kind:     hidden_group_size_z
      - .offset:         1298
        .size:           2
        .value_kind:     hidden_remainder_x
      - .offset:         1300
        .size:           2
        .value_kind:     hidden_remainder_y
      - .offset:         1302
        .size:           2
        .value_kind:     hidden_remainder_z
      - .offset:         1320
        .size:           8
        .value_kind:     hidden_global_offset_x
      - .offset:         1328
        .size:           8
        .value_kind:     hidden_global_offset_y
      - .offset:         1336
        .size:           8
        .value_kind:     hidden_global_offset_z
      - .offset:         1344
        .size:           2
        .value_kind:     hidden_grid_dims
    .group_segment_fixed_size: 5152
    .kernarg_segment_align: 8
    .kernarg_segment_size: 1536
    .language:       OpenCL C
    .language_version:
      - 2
      - 0
    .max_flat_workgroup_size: 1024
    .name:           _ZN2at6native12_GLOBAL__N_112gatherMedianIlmLi2EEEvNS_4cuda6detail10TensorInfoIT_T0_EENS5_IlS7_EENS5_IKS6_S7_EES7_S7_S7_b
    .private_segment_fixed_size: 0
    .sgpr_count:     106
    .sgpr_spill_count: 37
    .symbol:         _ZN2at6native12_GLOBAL__N_112gatherMedianIlmLi2EEEvNS_4cuda6detail10TensorInfoIT_T0_EENS5_IlS7_EENS5_IKS6_S7_EES7_S7_S7_b.kd
    .uniform_work_group_size: 1
    .uses_dynamic_stack: false
    .vgpr_count:     59
    .vgpr_spill_count: 0
    .wavefront_size: 64
  - .agpr_count:     0
    .args:
      - .offset:         0
        .size:           416
        .value_kind:     by_value
      - .offset:         416
        .size:           416
        .value_kind:     by_value
      - .offset:         832
        .size:           416
        .value_kind:     by_value
      - .offset:         1248
        .size:           8
        .value_kind:     by_value
      - .offset:         1256
        .size:           8
        .value_kind:     by_value
      - .offset:         1264
        .size:           8
        .value_kind:     by_value
      - .offset:         1272
        .size:           1
        .value_kind:     by_value
      - .offset:         1280
        .size:           4
        .value_kind:     hidden_block_count_x
      - .offset:         1284
        .size:           4
        .value_kind:     hidden_block_count_y
      - .offset:         1288
        .size:           4
        .value_kind:     hidden_block_count_z
      - .offset:         1292
        .size:           2
        .value_kind:     hidden_group_size_x
      - .offset:         1294
        .size:           2
        .value_kind:     hidden_group_size_y
      - .offset:         1296
        .size:           2
        .value_kind:     hidden_group_size_z
      - .offset:         1298
        .size:           2
        .value_kind:     hidden_remainder_x
      - .offset:         1300
        .size:           2
        .value_kind:     hidden_remainder_y
      - .offset:         1302
        .size:           2
        .value_kind:     hidden_remainder_z
      - .offset:         1320
        .size:           8
        .value_kind:     hidden_global_offset_x
      - .offset:         1328
        .size:           8
        .value_kind:     hidden_global_offset_y
      - .offset:         1336
        .size:           8
        .value_kind:     hidden_global_offset_z
      - .offset:         1344
        .size:           2
        .value_kind:     hidden_grid_dims
    .group_segment_fixed_size: 5152
    .kernarg_segment_align: 8
    .kernarg_segment_size: 1536
    .language:       OpenCL C
    .language_version:
      - 2
      - 0
    .max_flat_workgroup_size: 1024
    .name:           _ZN2at6native12_GLOBAL__N_112gatherMedianIlmLi3EEEvNS_4cuda6detail10TensorInfoIT_T0_EENS5_IlS7_EENS5_IKS6_S7_EES7_S7_S7_b
    .private_segment_fixed_size: 0
    .sgpr_count:     106
    .sgpr_spill_count: 49
    .symbol:         _ZN2at6native12_GLOBAL__N_112gatherMedianIlmLi3EEEvNS_4cuda6detail10TensorInfoIT_T0_EENS5_IlS7_EENS5_IKS6_S7_EES7_S7_S7_b.kd
    .uniform_work_group_size: 1
    .uses_dynamic_stack: false
    .vgpr_count:     59
    .vgpr_spill_count: 0
    .wavefront_size: 64
  - .agpr_count:     0
    .args:
      - .offset:         0
        .size:           416
        .value_kind:     by_value
      - .offset:         416
        .size:           416
        .value_kind:     by_value
      - .offset:         832
        .size:           416
        .value_kind:     by_value
      - .offset:         1248
        .size:           8
        .value_kind:     by_value
      - .offset:         1256
        .size:           8
        .value_kind:     by_value
      - .offset:         1264
        .size:           8
        .value_kind:     by_value
      - .offset:         1272
        .size:           1
        .value_kind:     by_value
      - .offset:         1280
        .size:           4
        .value_kind:     hidden_block_count_x
      - .offset:         1284
        .size:           4
        .value_kind:     hidden_block_count_y
      - .offset:         1288
        .size:           4
        .value_kind:     hidden_block_count_z
      - .offset:         1292
        .size:           2
        .value_kind:     hidden_group_size_x
      - .offset:         1294
        .size:           2
        .value_kind:     hidden_group_size_y
      - .offset:         1296
        .size:           2
        .value_kind:     hidden_group_size_z
      - .offset:         1298
        .size:           2
        .value_kind:     hidden_remainder_x
      - .offset:         1300
        .size:           2
        .value_kind:     hidden_remainder_y
      - .offset:         1302
        .size:           2
        .value_kind:     hidden_remainder_z
      - .offset:         1320
        .size:           8
        .value_kind:     hidden_global_offset_x
      - .offset:         1328
        .size:           8
        .value_kind:     hidden_global_offset_y
      - .offset:         1336
        .size:           8
        .value_kind:     hidden_global_offset_z
      - .offset:         1344
        .size:           2
        .value_kind:     hidden_grid_dims
    .group_segment_fixed_size: 5152
    .kernarg_segment_align: 8
    .kernarg_segment_size: 1536
    .language:       OpenCL C
    .language_version:
      - 2
      - 0
    .max_flat_workgroup_size: 1024
    .name:           _ZN2at6native12_GLOBAL__N_112gatherMedianIlmLin1EEEvNS_4cuda6detail10TensorInfoIT_T0_EENS5_IlS7_EENS5_IKS6_S7_EES7_S7_S7_b
    .private_segment_fixed_size: 0
    .sgpr_count:     106
    .sgpr_spill_count: 40
    .symbol:         _ZN2at6native12_GLOBAL__N_112gatherMedianIlmLin1EEEvNS_4cuda6detail10TensorInfoIT_T0_EENS5_IlS7_EENS5_IKS6_S7_EES7_S7_S7_b.kd
    .uniform_work_group_size: 1
    .uses_dynamic_stack: false
    .vgpr_count:     75
    .vgpr_spill_count: 0
    .wavefront_size: 64
  - .agpr_count:     0
    .args:
      - .offset:         0
        .size:           216
        .value_kind:     by_value
      - .offset:         216
        .size:           216
        .value_kind:     by_value
      - .offset:         432
        .size:           216
        .value_kind:     by_value
      - .offset:         648
        .size:           4
        .value_kind:     by_value
      - .offset:         652
        .size:           4
        .value_kind:     by_value
      - .offset:         656
        .size:           4
        .value_kind:     by_value
      - .offset:         660
        .size:           1
        .value_kind:     by_value
      - .offset:         664
        .size:           4
        .value_kind:     hidden_block_count_x
      - .offset:         668
        .size:           4
        .value_kind:     hidden_block_count_y
      - .offset:         672
        .size:           4
        .value_kind:     hidden_block_count_z
      - .offset:         676
        .size:           2
        .value_kind:     hidden_group_size_x
      - .offset:         678
        .size:           2
        .value_kind:     hidden_group_size_y
      - .offset:         680
        .size:           2
        .value_kind:     hidden_group_size_z
      - .offset:         682
        .size:           2
        .value_kind:     hidden_remainder_x
      - .offset:         684
        .size:           2
        .value_kind:     hidden_remainder_y
      - .offset:         686
        .size:           2
        .value_kind:     hidden_remainder_z
      - .offset:         704
        .size:           8
        .value_kind:     hidden_global_offset_x
      - .offset:         712
        .size:           8
        .value_kind:     hidden_global_offset_y
      - .offset:         720
        .size:           8
        .value_kind:     hidden_global_offset_z
      - .offset:         728
        .size:           2
        .value_kind:     hidden_grid_dims
    .group_segment_fixed_size: 4120
    .kernarg_segment_align: 8
    .kernarg_segment_size: 920
    .language:       OpenCL C
    .language_version:
      - 2
      - 0
    .max_flat_workgroup_size: 1024
    .name:           _ZN2at6native12_GLOBAL__N_112gatherMedianIsjLi1EEEvNS_4cuda6detail10TensorInfoIT_T0_EENS5_IlS7_EENS5_IKS6_S7_EES7_S7_S7_b
    .private_segment_fixed_size: 0
    .sgpr_count:     106
    .sgpr_spill_count: 37
    .symbol:         _ZN2at6native12_GLOBAL__N_112gatherMedianIsjLi1EEEvNS_4cuda6detail10TensorInfoIT_T0_EENS5_IlS7_EENS5_IKS6_S7_EES7_S7_S7_b.kd
    .uniform_work_group_size: 1
    .uses_dynamic_stack: false
    .vgpr_count:     77
    .vgpr_spill_count: 0
    .wavefront_size: 64
  - .agpr_count:     0
    .args:
      - .offset:         0
        .size:           216
        .value_kind:     by_value
      - .offset:         216
        .size:           216
        .value_kind:     by_value
      - .offset:         432
        .size:           216
        .value_kind:     by_value
      - .offset:         648
        .size:           4
        .value_kind:     by_value
      - .offset:         652
        .size:           4
        .value_kind:     by_value
      - .offset:         656
        .size:           4
        .value_kind:     by_value
      - .offset:         660
        .size:           1
        .value_kind:     by_value
      - .offset:         664
        .size:           4
        .value_kind:     hidden_block_count_x
      - .offset:         668
        .size:           4
        .value_kind:     hidden_block_count_y
      - .offset:         672
        .size:           4
        .value_kind:     hidden_block_count_z
      - .offset:         676
        .size:           2
        .value_kind:     hidden_group_size_x
      - .offset:         678
        .size:           2
        .value_kind:     hidden_group_size_y
      - .offset:         680
        .size:           2
        .value_kind:     hidden_group_size_z
      - .offset:         682
        .size:           2
        .value_kind:     hidden_remainder_x
      - .offset:         684
        .size:           2
        .value_kind:     hidden_remainder_y
      - .offset:         686
        .size:           2
        .value_kind:     hidden_remainder_z
      - .offset:         704
        .size:           8
        .value_kind:     hidden_global_offset_x
      - .offset:         712
        .size:           8
        .value_kind:     hidden_global_offset_y
      - .offset:         720
        .size:           8
        .value_kind:     hidden_global_offset_z
      - .offset:         728
        .size:           2
        .value_kind:     hidden_grid_dims
    .group_segment_fixed_size: 4120
    .kernarg_segment_align: 8
    .kernarg_segment_size: 920
    .language:       OpenCL C
    .language_version:
      - 2
      - 0
    .max_flat_workgroup_size: 1024
    .name:           _ZN2at6native12_GLOBAL__N_112gatherMedianIsjLi2EEEvNS_4cuda6detail10TensorInfoIT_T0_EENS5_IlS7_EENS5_IKS6_S7_EES7_S7_S7_b
    .private_segment_fixed_size: 0
    .sgpr_count:     106
    .sgpr_spill_count: 40
    .symbol:         _ZN2at6native12_GLOBAL__N_112gatherMedianIsjLi2EEEvNS_4cuda6detail10TensorInfoIT_T0_EENS5_IlS7_EENS5_IKS6_S7_EES7_S7_S7_b.kd
    .uniform_work_group_size: 1
    .uses_dynamic_stack: false
    .vgpr_count:     79
    .vgpr_spill_count: 0
    .wavefront_size: 64
  - .agpr_count:     0
    .args:
      - .offset:         0
        .size:           216
        .value_kind:     by_value
      - .offset:         216
        .size:           216
        .value_kind:     by_value
      - .offset:         432
        .size:           216
        .value_kind:     by_value
      - .offset:         648
        .size:           4
        .value_kind:     by_value
      - .offset:         652
        .size:           4
        .value_kind:     by_value
      - .offset:         656
        .size:           4
        .value_kind:     by_value
      - .offset:         660
        .size:           1
        .value_kind:     by_value
      - .offset:         664
        .size:           4
        .value_kind:     hidden_block_count_x
      - .offset:         668
        .size:           4
        .value_kind:     hidden_block_count_y
      - .offset:         672
        .size:           4
        .value_kind:     hidden_block_count_z
      - .offset:         676
        .size:           2
        .value_kind:     hidden_group_size_x
      - .offset:         678
        .size:           2
        .value_kind:     hidden_group_size_y
      - .offset:         680
        .size:           2
        .value_kind:     hidden_group_size_z
      - .offset:         682
        .size:           2
        .value_kind:     hidden_remainder_x
      - .offset:         684
        .size:           2
        .value_kind:     hidden_remainder_y
      - .offset:         686
        .size:           2
        .value_kind:     hidden_remainder_z
      - .offset:         704
        .size:           8
        .value_kind:     hidden_global_offset_x
      - .offset:         712
        .size:           8
        .value_kind:     hidden_global_offset_y
      - .offset:         720
        .size:           8
        .value_kind:     hidden_global_offset_z
      - .offset:         728
        .size:           2
        .value_kind:     hidden_grid_dims
    .group_segment_fixed_size: 4120
    .kernarg_segment_align: 8
    .kernarg_segment_size: 920
    .language:       OpenCL C
    .language_version:
      - 2
      - 0
    .max_flat_workgroup_size: 1024
    .name:           _ZN2at6native12_GLOBAL__N_112gatherMedianIsjLi3EEEvNS_4cuda6detail10TensorInfoIT_T0_EENS5_IlS7_EENS5_IKS6_S7_EES7_S7_S7_b
    .private_segment_fixed_size: 0
    .sgpr_count:     106
    .sgpr_spill_count: 48
    .symbol:         _ZN2at6native12_GLOBAL__N_112gatherMedianIsjLi3EEEvNS_4cuda6detail10TensorInfoIT_T0_EENS5_IlS7_EENS5_IKS6_S7_EES7_S7_S7_b.kd
    .uniform_work_group_size: 1
    .uses_dynamic_stack: false
    .vgpr_count:     79
    .vgpr_spill_count: 0
    .wavefront_size: 64
  - .agpr_count:     0
    .args:
      - .offset:         0
        .size:           216
        .value_kind:     by_value
      - .offset:         216
        .size:           216
        .value_kind:     by_value
      - .offset:         432
        .size:           216
        .value_kind:     by_value
      - .offset:         648
        .size:           4
        .value_kind:     by_value
      - .offset:         652
        .size:           4
        .value_kind:     by_value
      - .offset:         656
        .size:           4
        .value_kind:     by_value
      - .offset:         660
        .size:           1
        .value_kind:     by_value
      - .offset:         664
        .size:           4
        .value_kind:     hidden_block_count_x
      - .offset:         668
        .size:           4
        .value_kind:     hidden_block_count_y
      - .offset:         672
        .size:           4
        .value_kind:     hidden_block_count_z
      - .offset:         676
        .size:           2
        .value_kind:     hidden_group_size_x
      - .offset:         678
        .size:           2
        .value_kind:     hidden_group_size_y
      - .offset:         680
        .size:           2
        .value_kind:     hidden_group_size_z
      - .offset:         682
        .size:           2
        .value_kind:     hidden_remainder_x
      - .offset:         684
        .size:           2
        .value_kind:     hidden_remainder_y
      - .offset:         686
        .size:           2
        .value_kind:     hidden_remainder_z
      - .offset:         704
        .size:           8
        .value_kind:     hidden_global_offset_x
      - .offset:         712
        .size:           8
        .value_kind:     hidden_global_offset_y
      - .offset:         720
        .size:           8
        .value_kind:     hidden_global_offset_z
      - .offset:         728
        .size:           2
        .value_kind:     hidden_grid_dims
    .group_segment_fixed_size: 4120
    .kernarg_segment_align: 8
    .kernarg_segment_size: 920
    .language:       OpenCL C
    .language_version:
      - 2
      - 0
    .max_flat_workgroup_size: 1024
    .name:           _ZN2at6native12_GLOBAL__N_112gatherMedianIsjLin1EEEvNS_4cuda6detail10TensorInfoIT_T0_EENS5_IlS7_EENS5_IKS6_S7_EES7_S7_S7_b
    .private_segment_fixed_size: 0
    .sgpr_count:     106
    .sgpr_spill_count: 37
    .symbol:         _ZN2at6native12_GLOBAL__N_112gatherMedianIsjLin1EEEvNS_4cuda6detail10TensorInfoIT_T0_EENS5_IlS7_EENS5_IKS6_S7_EES7_S7_S7_b.kd
    .uniform_work_group_size: 1
    .uses_dynamic_stack: false
    .vgpr_count:     79
    .vgpr_spill_count: 0
    .wavefront_size: 64
  - .agpr_count:     0
    .args:
      - .offset:         0
        .size:           416
        .value_kind:     by_value
      - .offset:         416
        .size:           416
        .value_kind:     by_value
      - .offset:         832
        .size:           416
        .value_kind:     by_value
      - .offset:         1248
        .size:           8
        .value_kind:     by_value
      - .offset:         1256
        .size:           8
        .value_kind:     by_value
      - .offset:         1264
        .size:           8
        .value_kind:     by_value
      - .offset:         1272
        .size:           1
        .value_kind:     by_value
      - .offset:         1280
        .size:           4
        .value_kind:     hidden_block_count_x
      - .offset:         1284
        .size:           4
        .value_kind:     hidden_block_count_y
      - .offset:         1288
        .size:           4
        .value_kind:     hidden_block_count_z
      - .offset:         1292
        .size:           2
        .value_kind:     hidden_group_size_x
      - .offset:         1294
        .size:           2
        .value_kind:     hidden_group_size_y
      - .offset:         1296
        .size:           2
        .value_kind:     hidden_group_size_z
      - .offset:         1298
        .size:           2
        .value_kind:     hidden_remainder_x
      - .offset:         1300
        .size:           2
        .value_kind:     hidden_remainder_y
      - .offset:         1302
        .size:           2
        .value_kind:     hidden_remainder_z
      - .offset:         1320
        .size:           8
        .value_kind:     hidden_global_offset_x
      - .offset:         1328
        .size:           8
        .value_kind:     hidden_global_offset_y
      - .offset:         1336
        .size:           8
        .value_kind:     hidden_global_offset_z
      - .offset:         1344
        .size:           2
        .value_kind:     hidden_grid_dims
    .group_segment_fixed_size: 5152
    .kernarg_segment_align: 8
    .kernarg_segment_size: 1536
    .language:       OpenCL C
    .language_version:
      - 2
      - 0
    .max_flat_workgroup_size: 1024
    .name:           _ZN2at6native12_GLOBAL__N_112gatherMedianIsmLi1EEEvNS_4cuda6detail10TensorInfoIT_T0_EENS5_IlS7_EENS5_IKS6_S7_EES7_S7_S7_b
    .private_segment_fixed_size: 0
    .sgpr_count:     106
    .sgpr_spill_count: 42
    .symbol:         _ZN2at6native12_GLOBAL__N_112gatherMedianIsmLi1EEEvNS_4cuda6detail10TensorInfoIT_T0_EENS5_IlS7_EENS5_IKS6_S7_EES7_S7_S7_b.kd
    .uniform_work_group_size: 1
    .uses_dynamic_stack: false
    .vgpr_count:     67
    .vgpr_spill_count: 0
    .wavefront_size: 64
  - .agpr_count:     0
    .args:
      - .offset:         0
        .size:           416
        .value_kind:     by_value
      - .offset:         416
        .size:           416
        .value_kind:     by_value
      - .offset:         832
        .size:           416
        .value_kind:     by_value
      - .offset:         1248
        .size:           8
        .value_kind:     by_value
      - .offset:         1256
        .size:           8
        .value_kind:     by_value
      - .offset:         1264
        .size:           8
        .value_kind:     by_value
      - .offset:         1272
        .size:           1
        .value_kind:     by_value
      - .offset:         1280
        .size:           4
        .value_kind:     hidden_block_count_x
      - .offset:         1284
        .size:           4
        .value_kind:     hidden_block_count_y
      - .offset:         1288
        .size:           4
        .value_kind:     hidden_block_count_z
      - .offset:         1292
        .size:           2
        .value_kind:     hidden_group_size_x
      - .offset:         1294
        .size:           2
        .value_kind:     hidden_group_size_y
      - .offset:         1296
        .size:           2
        .value_kind:     hidden_group_size_z
      - .offset:         1298
        .size:           2
        .value_kind:     hidden_remainder_x
      - .offset:         1300
        .size:           2
        .value_kind:     hidden_remainder_y
      - .offset:         1302
        .size:           2
        .value_kind:     hidden_remainder_z
      - .offset:         1320
        .size:           8
        .value_kind:     hidden_global_offset_x
      - .offset:         1328
        .size:           8
        .value_kind:     hidden_global_offset_y
      - .offset:         1336
        .size:           8
        .value_kind:     hidden_global_offset_z
      - .offset:         1344
        .size:           2
        .value_kind:     hidden_grid_dims
    .group_segment_fixed_size: 5152
    .kernarg_segment_align: 8
    .kernarg_segment_size: 1536
    .language:       OpenCL C
    .language_version:
      - 2
      - 0
    .max_flat_workgroup_size: 1024
    .name:           _ZN2at6native12_GLOBAL__N_112gatherMedianIsmLi2EEEvNS_4cuda6detail10TensorInfoIT_T0_EENS5_IlS7_EENS5_IKS6_S7_EES7_S7_S7_b
    .private_segment_fixed_size: 0
    .sgpr_count:     106
    .sgpr_spill_count: 48
    .symbol:         _ZN2at6native12_GLOBAL__N_112gatherMedianIsmLi2EEEvNS_4cuda6detail10TensorInfoIT_T0_EENS5_IlS7_EENS5_IKS6_S7_EES7_S7_S7_b.kd
    .uniform_work_group_size: 1
    .uses_dynamic_stack: false
    .vgpr_count:     59
    .vgpr_spill_count: 0
    .wavefront_size: 64
  - .agpr_count:     0
    .args:
      - .offset:         0
        .size:           416
        .value_kind:     by_value
      - .offset:         416
        .size:           416
        .value_kind:     by_value
      - .offset:         832
        .size:           416
        .value_kind:     by_value
      - .offset:         1248
        .size:           8
        .value_kind:     by_value
      - .offset:         1256
        .size:           8
        .value_kind:     by_value
      - .offset:         1264
        .size:           8
        .value_kind:     by_value
      - .offset:         1272
        .size:           1
        .value_kind:     by_value
      - .offset:         1280
        .size:           4
        .value_kind:     hidden_block_count_x
      - .offset:         1284
        .size:           4
        .value_kind:     hidden_block_count_y
      - .offset:         1288
        .size:           4
        .value_kind:     hidden_block_count_z
      - .offset:         1292
        .size:           2
        .value_kind:     hidden_group_size_x
      - .offset:         1294
        .size:           2
        .value_kind:     hidden_group_size_y
      - .offset:         1296
        .size:           2
        .value_kind:     hidden_group_size_z
      - .offset:         1298
        .size:           2
        .value_kind:     hidden_remainder_x
      - .offset:         1300
        .size:           2
        .value_kind:     hidden_remainder_y
      - .offset:         1302
        .size:           2
        .value_kind:     hidden_remainder_z
      - .offset:         1320
        .size:           8
        .value_kind:     hidden_global_offset_x
      - .offset:         1328
        .size:           8
        .value_kind:     hidden_global_offset_y
      - .offset:         1336
        .size:           8
        .value_kind:     hidden_global_offset_z
      - .offset:         1344
        .size:           2
        .value_kind:     hidden_grid_dims
    .group_segment_fixed_size: 5152
    .kernarg_segment_align: 8
    .kernarg_segment_size: 1536
    .language:       OpenCL C
    .language_version:
      - 2
      - 0
    .max_flat_workgroup_size: 1024
    .name:           _ZN2at6native12_GLOBAL__N_112gatherMedianIsmLi3EEEvNS_4cuda6detail10TensorInfoIT_T0_EENS5_IlS7_EENS5_IKS6_S7_EES7_S7_S7_b
    .private_segment_fixed_size: 0
    .sgpr_count:     106
    .sgpr_spill_count: 61
    .symbol:         _ZN2at6native12_GLOBAL__N_112gatherMedianIsmLi3EEEvNS_4cuda6detail10TensorInfoIT_T0_EENS5_IlS7_EENS5_IKS6_S7_EES7_S7_S7_b.kd
    .uniform_work_group_size: 1
    .uses_dynamic_stack: false
    .vgpr_count:     59
    .vgpr_spill_count: 0
    .wavefront_size: 64
  - .agpr_count:     0
    .args:
      - .offset:         0
        .size:           416
        .value_kind:     by_value
      - .offset:         416
        .size:           416
        .value_kind:     by_value
      - .offset:         832
        .size:           416
        .value_kind:     by_value
      - .offset:         1248
        .size:           8
        .value_kind:     by_value
      - .offset:         1256
        .size:           8
        .value_kind:     by_value
      - .offset:         1264
        .size:           8
        .value_kind:     by_value
      - .offset:         1272
        .size:           1
        .value_kind:     by_value
      - .offset:         1280
        .size:           4
        .value_kind:     hidden_block_count_x
      - .offset:         1284
        .size:           4
        .value_kind:     hidden_block_count_y
      - .offset:         1288
        .size:           4
        .value_kind:     hidden_block_count_z
      - .offset:         1292
        .size:           2
        .value_kind:     hidden_group_size_x
      - .offset:         1294
        .size:           2
        .value_kind:     hidden_group_size_y
      - .offset:         1296
        .size:           2
        .value_kind:     hidden_group_size_z
      - .offset:         1298
        .size:           2
        .value_kind:     hidden_remainder_x
      - .offset:         1300
        .size:           2
        .value_kind:     hidden_remainder_y
      - .offset:         1302
        .size:           2
        .value_kind:     hidden_remainder_z
      - .offset:         1320
        .size:           8
        .value_kind:     hidden_global_offset_x
      - .offset:         1328
        .size:           8
        .value_kind:     hidden_global_offset_y
      - .offset:         1336
        .size:           8
        .value_kind:     hidden_global_offset_z
      - .offset:         1344
        .size:           2
        .value_kind:     hidden_grid_dims
    .group_segment_fixed_size: 5152
    .kernarg_segment_align: 8
    .kernarg_segment_size: 1536
    .language:       OpenCL C
    .language_version:
      - 2
      - 0
    .max_flat_workgroup_size: 1024
    .name:           _ZN2at6native12_GLOBAL__N_112gatherMedianIsmLin1EEEvNS_4cuda6detail10TensorInfoIT_T0_EENS5_IlS7_EENS5_IKS6_S7_EES7_S7_S7_b
    .private_segment_fixed_size: 0
    .sgpr_count:     106
    .sgpr_spill_count: 53
    .symbol:         _ZN2at6native12_GLOBAL__N_112gatherMedianIsmLin1EEEvNS_4cuda6detail10TensorInfoIT_T0_EENS5_IlS7_EENS5_IKS6_S7_EES7_S7_S7_b.kd
    .uniform_work_group_size: 1
    .uses_dynamic_stack: false
    .vgpr_count:     69
    .vgpr_spill_count: 0
    .wavefront_size: 64
  - .agpr_count:     0
    .args:
      - .offset:         0
        .size:           216
        .value_kind:     by_value
      - .offset:         216
        .size:           216
        .value_kind:     by_value
      - .offset:         432
        .size:           216
        .value_kind:     by_value
      - .offset:         648
        .size:           4
        .value_kind:     by_value
      - .offset:         652
        .size:           4
        .value_kind:     by_value
      - .offset:         656
        .size:           4
        .value_kind:     by_value
      - .offset:         660
        .size:           1
        .value_kind:     by_value
      - .offset:         664
        .size:           4
        .value_kind:     hidden_block_count_x
      - .offset:         668
        .size:           4
        .value_kind:     hidden_block_count_y
      - .offset:         672
        .size:           4
        .value_kind:     hidden_block_count_z
      - .offset:         676
        .size:           2
        .value_kind:     hidden_group_size_x
      - .offset:         678
        .size:           2
        .value_kind:     hidden_group_size_y
      - .offset:         680
        .size:           2
        .value_kind:     hidden_group_size_z
      - .offset:         682
        .size:           2
        .value_kind:     hidden_remainder_x
      - .offset:         684
        .size:           2
        .value_kind:     hidden_remainder_y
      - .offset:         686
        .size:           2
        .value_kind:     hidden_remainder_z
      - .offset:         704
        .size:           8
        .value_kind:     hidden_global_offset_x
      - .offset:         712
        .size:           8
        .value_kind:     hidden_global_offset_y
      - .offset:         720
        .size:           8
        .value_kind:     hidden_global_offset_z
      - .offset:         728
        .size:           2
        .value_kind:     hidden_grid_dims
    .group_segment_fixed_size: 4120
    .kernarg_segment_align: 8
    .kernarg_segment_size: 920
    .language:       OpenCL C
    .language_version:
      - 2
      - 0
    .max_flat_workgroup_size: 1024
    .name:           _ZN2at6native12_GLOBAL__N_112gatherMedianIdjLi1EEEvNS_4cuda6detail10TensorInfoIT_T0_EENS5_IlS7_EENS5_IKS6_S7_EES7_S7_S7_b
    .private_segment_fixed_size: 0
    .sgpr_count:     106
    .sgpr_spill_count: 23
    .symbol:         _ZN2at6native12_GLOBAL__N_112gatherMedianIdjLi1EEEvNS_4cuda6detail10TensorInfoIT_T0_EENS5_IlS7_EENS5_IKS6_S7_EES7_S7_S7_b.kd
    .uniform_work_group_size: 1
    .uses_dynamic_stack: false
    .vgpr_count:     61
    .vgpr_spill_count: 0
    .wavefront_size: 64
  - .agpr_count:     0
    .args:
      - .offset:         0
        .size:           216
        .value_kind:     by_value
      - .offset:         216
        .size:           216
        .value_kind:     by_value
      - .offset:         432
        .size:           216
        .value_kind:     by_value
      - .offset:         648
        .size:           4
        .value_kind:     by_value
      - .offset:         652
        .size:           4
        .value_kind:     by_value
      - .offset:         656
        .size:           4
        .value_kind:     by_value
      - .offset:         660
        .size:           1
        .value_kind:     by_value
      - .offset:         664
        .size:           4
        .value_kind:     hidden_block_count_x
      - .offset:         668
        .size:           4
        .value_kind:     hidden_block_count_y
      - .offset:         672
        .size:           4
        .value_kind:     hidden_block_count_z
      - .offset:         676
        .size:           2
        .value_kind:     hidden_group_size_x
      - .offset:         678
        .size:           2
        .value_kind:     hidden_group_size_y
      - .offset:         680
        .size:           2
        .value_kind:     hidden_group_size_z
      - .offset:         682
        .size:           2
        .value_kind:     hidden_remainder_x
      - .offset:         684
        .size:           2
        .value_kind:     hidden_remainder_y
      - .offset:         686
        .size:           2
        .value_kind:     hidden_remainder_z
      - .offset:         704
        .size:           8
        .value_kind:     hidden_global_offset_x
      - .offset:         712
        .size:           8
        .value_kind:     hidden_global_offset_y
      - .offset:         720
        .size:           8
        .value_kind:     hidden_global_offset_z
      - .offset:         728
        .size:           2
        .value_kind:     hidden_grid_dims
    .group_segment_fixed_size: 4120
    .kernarg_segment_align: 8
    .kernarg_segment_size: 920
    .language:       OpenCL C
    .language_version:
      - 2
      - 0
    .max_flat_workgroup_size: 1024
    .name:           _ZN2at6native12_GLOBAL__N_112gatherMedianIdjLi2EEEvNS_4cuda6detail10TensorInfoIT_T0_EENS5_IlS7_EENS5_IKS6_S7_EES7_S7_S7_b
    .private_segment_fixed_size: 0
    .sgpr_count:     106
    .sgpr_spill_count: 27
    .symbol:         _ZN2at6native12_GLOBAL__N_112gatherMedianIdjLi2EEEvNS_4cuda6detail10TensorInfoIT_T0_EENS5_IlS7_EENS5_IKS6_S7_EES7_S7_S7_b.kd
    .uniform_work_group_size: 1
    .uses_dynamic_stack: false
    .vgpr_count:     63
    .vgpr_spill_count: 0
    .wavefront_size: 64
  - .agpr_count:     0
    .args:
      - .offset:         0
        .size:           216
        .value_kind:     by_value
      - .offset:         216
        .size:           216
        .value_kind:     by_value
      - .offset:         432
        .size:           216
        .value_kind:     by_value
      - .offset:         648
        .size:           4
        .value_kind:     by_value
      - .offset:         652
        .size:           4
        .value_kind:     by_value
      - .offset:         656
        .size:           4
        .value_kind:     by_value
      - .offset:         660
        .size:           1
        .value_kind:     by_value
      - .offset:         664
        .size:           4
        .value_kind:     hidden_block_count_x
      - .offset:         668
        .size:           4
        .value_kind:     hidden_block_count_y
      - .offset:         672
        .size:           4
        .value_kind:     hidden_block_count_z
      - .offset:         676
        .size:           2
        .value_kind:     hidden_group_size_x
      - .offset:         678
        .size:           2
        .value_kind:     hidden_group_size_y
      - .offset:         680
        .size:           2
        .value_kind:     hidden_group_size_z
      - .offset:         682
        .size:           2
        .value_kind:     hidden_remainder_x
      - .offset:         684
        .size:           2
        .value_kind:     hidden_remainder_y
      - .offset:         686
        .size:           2
        .value_kind:     hidden_remainder_z
      - .offset:         704
        .size:           8
        .value_kind:     hidden_global_offset_x
      - .offset:         712
        .size:           8
        .value_kind:     hidden_global_offset_y
      - .offset:         720
        .size:           8
        .value_kind:     hidden_global_offset_z
      - .offset:         728
        .size:           2
        .value_kind:     hidden_grid_dims
    .group_segment_fixed_size: 4120
    .kernarg_segment_align: 8
    .kernarg_segment_size: 920
    .language:       OpenCL C
    .language_version:
      - 2
      - 0
    .max_flat_workgroup_size: 1024
    .name:           _ZN2at6native12_GLOBAL__N_112gatherMedianIdjLi3EEEvNS_4cuda6detail10TensorInfoIT_T0_EENS5_IlS7_EENS5_IKS6_S7_EES7_S7_S7_b
    .private_segment_fixed_size: 0
    .sgpr_count:     106
    .sgpr_spill_count: 35
    .symbol:         _ZN2at6native12_GLOBAL__N_112gatherMedianIdjLi3EEEvNS_4cuda6detail10TensorInfoIT_T0_EENS5_IlS7_EENS5_IKS6_S7_EES7_S7_S7_b.kd
    .uniform_work_group_size: 1
    .uses_dynamic_stack: false
    .vgpr_count:     63
    .vgpr_spill_count: 0
    .wavefront_size: 64
  - .agpr_count:     0
    .args:
      - .offset:         0
        .size:           216
        .value_kind:     by_value
      - .offset:         216
        .size:           216
        .value_kind:     by_value
      - .offset:         432
        .size:           216
        .value_kind:     by_value
      - .offset:         648
        .size:           4
        .value_kind:     by_value
      - .offset:         652
        .size:           4
        .value_kind:     by_value
      - .offset:         656
        .size:           4
        .value_kind:     by_value
      - .offset:         660
        .size:           1
        .value_kind:     by_value
      - .offset:         664
        .size:           4
        .value_kind:     hidden_block_count_x
      - .offset:         668
        .size:           4
        .value_kind:     hidden_block_count_y
      - .offset:         672
        .size:           4
        .value_kind:     hidden_block_count_z
      - .offset:         676
        .size:           2
        .value_kind:     hidden_group_size_x
      - .offset:         678
        .size:           2
        .value_kind:     hidden_group_size_y
      - .offset:         680
        .size:           2
        .value_kind:     hidden_group_size_z
      - .offset:         682
        .size:           2
        .value_kind:     hidden_remainder_x
      - .offset:         684
        .size:           2
        .value_kind:     hidden_remainder_y
      - .offset:         686
        .size:           2
        .value_kind:     hidden_remainder_z
      - .offset:         704
        .size:           8
        .value_kind:     hidden_global_offset_x
      - .offset:         712
        .size:           8
        .value_kind:     hidden_global_offset_y
      - .offset:         720
        .size:           8
        .value_kind:     hidden_global_offset_z
      - .offset:         728
        .size:           2
        .value_kind:     hidden_grid_dims
    .group_segment_fixed_size: 4120
    .kernarg_segment_align: 8
    .kernarg_segment_size: 920
    .language:       OpenCL C
    .language_version:
      - 2
      - 0
    .max_flat_workgroup_size: 1024
    .name:           _ZN2at6native12_GLOBAL__N_112gatherMedianIdjLin1EEEvNS_4cuda6detail10TensorInfoIT_T0_EENS5_IlS7_EENS5_IKS6_S7_EES7_S7_S7_b
    .private_segment_fixed_size: 0
    .sgpr_count:     106
    .sgpr_spill_count: 26
    .symbol:         _ZN2at6native12_GLOBAL__N_112gatherMedianIdjLin1EEEvNS_4cuda6detail10TensorInfoIT_T0_EENS5_IlS7_EENS5_IKS6_S7_EES7_S7_S7_b.kd
    .uniform_work_group_size: 1
    .uses_dynamic_stack: false
    .vgpr_count:     61
    .vgpr_spill_count: 0
    .wavefront_size: 64
  - .agpr_count:     0
    .args:
      - .offset:         0
        .size:           416
        .value_kind:     by_value
      - .offset:         416
        .size:           416
        .value_kind:     by_value
      - .offset:         832
        .size:           416
        .value_kind:     by_value
      - .offset:         1248
        .size:           8
        .value_kind:     by_value
      - .offset:         1256
        .size:           8
        .value_kind:     by_value
      - .offset:         1264
        .size:           8
        .value_kind:     by_value
      - .offset:         1272
        .size:           1
        .value_kind:     by_value
      - .offset:         1280
        .size:           4
        .value_kind:     hidden_block_count_x
      - .offset:         1284
        .size:           4
        .value_kind:     hidden_block_count_y
      - .offset:         1288
        .size:           4
        .value_kind:     hidden_block_count_z
      - .offset:         1292
        .size:           2
        .value_kind:     hidden_group_size_x
      - .offset:         1294
        .size:           2
        .value_kind:     hidden_group_size_y
      - .offset:         1296
        .size:           2
        .value_kind:     hidden_group_size_z
      - .offset:         1298
        .size:           2
        .value_kind:     hidden_remainder_x
      - .offset:         1300
        .size:           2
        .value_kind:     hidden_remainder_y
      - .offset:         1302
        .size:           2
        .value_kind:     hidden_remainder_z
      - .offset:         1320
        .size:           8
        .value_kind:     hidden_global_offset_x
      - .offset:         1328
        .size:           8
        .value_kind:     hidden_global_offset_y
      - .offset:         1336
        .size:           8
        .value_kind:     hidden_global_offset_z
      - .offset:         1344
        .size:           2
        .value_kind:     hidden_grid_dims
    .group_segment_fixed_size: 5152
    .kernarg_segment_align: 8
    .kernarg_segment_size: 1536
    .language:       OpenCL C
    .language_version:
      - 2
      - 0
    .max_flat_workgroup_size: 1024
    .name:           _ZN2at6native12_GLOBAL__N_112gatherMedianIdmLi1EEEvNS_4cuda6detail10TensorInfoIT_T0_EENS5_IlS7_EENS5_IKS6_S7_EES7_S7_S7_b
    .private_segment_fixed_size: 0
    .sgpr_count:     106
    .sgpr_spill_count: 31
    .symbol:         _ZN2at6native12_GLOBAL__N_112gatherMedianIdmLi1EEEvNS_4cuda6detail10TensorInfoIT_T0_EENS5_IlS7_EENS5_IKS6_S7_EES7_S7_S7_b.kd
    .uniform_work_group_size: 1
    .uses_dynamic_stack: false
    .vgpr_count:     67
    .vgpr_spill_count: 0
    .wavefront_size: 64
  - .agpr_count:     0
    .args:
      - .offset:         0
        .size:           416
        .value_kind:     by_value
      - .offset:         416
        .size:           416
        .value_kind:     by_value
      - .offset:         832
        .size:           416
        .value_kind:     by_value
      - .offset:         1248
        .size:           8
        .value_kind:     by_value
      - .offset:         1256
        .size:           8
        .value_kind:     by_value
      - .offset:         1264
        .size:           8
        .value_kind:     by_value
      - .offset:         1272
        .size:           1
        .value_kind:     by_value
      - .offset:         1280
        .size:           4
        .value_kind:     hidden_block_count_x
      - .offset:         1284
        .size:           4
        .value_kind:     hidden_block_count_y
      - .offset:         1288
        .size:           4
        .value_kind:     hidden_block_count_z
      - .offset:         1292
        .size:           2
        .value_kind:     hidden_group_size_x
      - .offset:         1294
        .size:           2
        .value_kind:     hidden_group_size_y
      - .offset:         1296
        .size:           2
        .value_kind:     hidden_group_size_z
      - .offset:         1298
        .size:           2
        .value_kind:     hidden_remainder_x
      - .offset:         1300
        .size:           2
        .value_kind:     hidden_remainder_y
      - .offset:         1302
        .size:           2
        .value_kind:     hidden_remainder_z
      - .offset:         1320
        .size:           8
        .value_kind:     hidden_global_offset_x
      - .offset:         1328
        .size:           8
        .value_kind:     hidden_global_offset_y
      - .offset:         1336
        .size:           8
        .value_kind:     hidden_global_offset_z
      - .offset:         1344
        .size:           2
        .value_kind:     hidden_grid_dims
    .group_segment_fixed_size: 5152
    .kernarg_segment_align: 8
    .kernarg_segment_size: 1536
    .language:       OpenCL C
    .language_version:
      - 2
      - 0
    .max_flat_workgroup_size: 1024
    .name:           _ZN2at6native12_GLOBAL__N_112gatherMedianIdmLi2EEEvNS_4cuda6detail10TensorInfoIT_T0_EENS5_IlS7_EENS5_IKS6_S7_EES7_S7_S7_b
    .private_segment_fixed_size: 0
    .sgpr_count:     106
    .sgpr_spill_count: 37
    .symbol:         _ZN2at6native12_GLOBAL__N_112gatherMedianIdmLi2EEEvNS_4cuda6detail10TensorInfoIT_T0_EENS5_IlS7_EENS5_IKS6_S7_EES7_S7_S7_b.kd
    .uniform_work_group_size: 1
    .uses_dynamic_stack: false
    .vgpr_count:     59
    .vgpr_spill_count: 0
    .wavefront_size: 64
  - .agpr_count:     0
    .args:
      - .offset:         0
        .size:           416
        .value_kind:     by_value
      - .offset:         416
        .size:           416
        .value_kind:     by_value
      - .offset:         832
        .size:           416
        .value_kind:     by_value
      - .offset:         1248
        .size:           8
        .value_kind:     by_value
      - .offset:         1256
        .size:           8
        .value_kind:     by_value
      - .offset:         1264
        .size:           8
        .value_kind:     by_value
      - .offset:         1272
        .size:           1
        .value_kind:     by_value
      - .offset:         1280
        .size:           4
        .value_kind:     hidden_block_count_x
      - .offset:         1284
        .size:           4
        .value_kind:     hidden_block_count_y
      - .offset:         1288
        .size:           4
        .value_kind:     hidden_block_count_z
      - .offset:         1292
        .size:           2
        .value_kind:     hidden_group_size_x
      - .offset:         1294
        .size:           2
        .value_kind:     hidden_group_size_y
      - .offset:         1296
        .size:           2
        .value_kind:     hidden_group_size_z
      - .offset:         1298
        .size:           2
        .value_kind:     hidden_remainder_x
      - .offset:         1300
        .size:           2
        .value_kind:     hidden_remainder_y
      - .offset:         1302
        .size:           2
        .value_kind:     hidden_remainder_z
      - .offset:         1320
        .size:           8
        .value_kind:     hidden_global_offset_x
      - .offset:         1328
        .size:           8
        .value_kind:     hidden_global_offset_y
      - .offset:         1336
        .size:           8
        .value_kind:     hidden_global_offset_z
      - .offset:         1344
        .size:           2
        .value_kind:     hidden_grid_dims
    .group_segment_fixed_size: 5152
    .kernarg_segment_align: 8
    .kernarg_segment_size: 1536
    .language:       OpenCL C
    .language_version:
      - 2
      - 0
    .max_flat_workgroup_size: 1024
    .name:           _ZN2at6native12_GLOBAL__N_112gatherMedianIdmLi3EEEvNS_4cuda6detail10TensorInfoIT_T0_EENS5_IlS7_EENS5_IKS6_S7_EES7_S7_S7_b
    .private_segment_fixed_size: 0
    .sgpr_count:     106
    .sgpr_spill_count: 49
    .symbol:         _ZN2at6native12_GLOBAL__N_112gatherMedianIdmLi3EEEvNS_4cuda6detail10TensorInfoIT_T0_EENS5_IlS7_EENS5_IKS6_S7_EES7_S7_S7_b.kd
    .uniform_work_group_size: 1
    .uses_dynamic_stack: false
    .vgpr_count:     59
    .vgpr_spill_count: 0
    .wavefront_size: 64
  - .agpr_count:     0
    .args:
      - .offset:         0
        .size:           416
        .value_kind:     by_value
      - .offset:         416
        .size:           416
        .value_kind:     by_value
      - .offset:         832
        .size:           416
        .value_kind:     by_value
      - .offset:         1248
        .size:           8
        .value_kind:     by_value
      - .offset:         1256
        .size:           8
        .value_kind:     by_value
      - .offset:         1264
        .size:           8
        .value_kind:     by_value
      - .offset:         1272
        .size:           1
        .value_kind:     by_value
      - .offset:         1280
        .size:           4
        .value_kind:     hidden_block_count_x
      - .offset:         1284
        .size:           4
        .value_kind:     hidden_block_count_y
      - .offset:         1288
        .size:           4
        .value_kind:     hidden_block_count_z
      - .offset:         1292
        .size:           2
        .value_kind:     hidden_group_size_x
      - .offset:         1294
        .size:           2
        .value_kind:     hidden_group_size_y
      - .offset:         1296
        .size:           2
        .value_kind:     hidden_group_size_z
      - .offset:         1298
        .size:           2
        .value_kind:     hidden_remainder_x
      - .offset:         1300
        .size:           2
        .value_kind:     hidden_remainder_y
      - .offset:         1302
        .size:           2
        .value_kind:     hidden_remainder_z
      - .offset:         1320
        .size:           8
        .value_kind:     hidden_global_offset_x
      - .offset:         1328
        .size:           8
        .value_kind:     hidden_global_offset_y
      - .offset:         1336
        .size:           8
        .value_kind:     hidden_global_offset_z
      - .offset:         1344
        .size:           2
        .value_kind:     hidden_grid_dims
    .group_segment_fixed_size: 5152
    .kernarg_segment_align: 8
    .kernarg_segment_size: 1536
    .language:       OpenCL C
    .language_version:
      - 2
      - 0
    .max_flat_workgroup_size: 1024
    .name:           _ZN2at6native12_GLOBAL__N_112gatherMedianIdmLin1EEEvNS_4cuda6detail10TensorInfoIT_T0_EENS5_IlS7_EENS5_IKS6_S7_EES7_S7_S7_b
    .private_segment_fixed_size: 0
    .sgpr_count:     106
    .sgpr_spill_count: 41
    .symbol:         _ZN2at6native12_GLOBAL__N_112gatherMedianIdmLin1EEEvNS_4cuda6detail10TensorInfoIT_T0_EENS5_IlS7_EENS5_IKS6_S7_EES7_S7_S7_b.kd
    .uniform_work_group_size: 1
    .uses_dynamic_stack: false
    .vgpr_count:     75
    .vgpr_spill_count: 0
    .wavefront_size: 64
  - .agpr_count:     0
    .args:
      - .offset:         0
        .size:           216
        .value_kind:     by_value
      - .offset:         216
        .size:           216
        .value_kind:     by_value
      - .offset:         432
        .size:           216
        .value_kind:     by_value
      - .offset:         648
        .size:           4
        .value_kind:     by_value
      - .offset:         652
        .size:           4
        .value_kind:     by_value
      - .offset:         656
        .size:           4
        .value_kind:     by_value
      - .offset:         660
        .size:           1
        .value_kind:     by_value
      - .offset:         664
        .size:           4
        .value_kind:     hidden_block_count_x
      - .offset:         668
        .size:           4
        .value_kind:     hidden_block_count_y
      - .offset:         672
        .size:           4
        .value_kind:     hidden_block_count_z
      - .offset:         676
        .size:           2
        .value_kind:     hidden_group_size_x
      - .offset:         678
        .size:           2
        .value_kind:     hidden_group_size_y
      - .offset:         680
        .size:           2
        .value_kind:     hidden_group_size_z
      - .offset:         682
        .size:           2
        .value_kind:     hidden_remainder_x
      - .offset:         684
        .size:           2
        .value_kind:     hidden_remainder_y
      - .offset:         686
        .size:           2
        .value_kind:     hidden_remainder_z
      - .offset:         704
        .size:           8
        .value_kind:     hidden_global_offset_x
      - .offset:         712
        .size:           8
        .value_kind:     hidden_global_offset_y
      - .offset:         720
        .size:           8
        .value_kind:     hidden_global_offset_z
      - .offset:         728
        .size:           2
        .value_kind:     hidden_grid_dims
    .group_segment_fixed_size: 4120
    .kernarg_segment_align: 8
    .kernarg_segment_size: 920
    .language:       OpenCL C
    .language_version:
      - 2
      - 0
    .max_flat_workgroup_size: 1024
    .name:           _ZN2at6native12_GLOBAL__N_112gatherMedianIfjLi1EEEvNS_4cuda6detail10TensorInfoIT_T0_EENS5_IlS7_EENS5_IKS6_S7_EES7_S7_S7_b
    .private_segment_fixed_size: 0
    .sgpr_count:     106
    .sgpr_spill_count: 31
    .symbol:         _ZN2at6native12_GLOBAL__N_112gatherMedianIfjLi1EEEvNS_4cuda6detail10TensorInfoIT_T0_EENS5_IlS7_EENS5_IKS6_S7_EES7_S7_S7_b.kd
    .uniform_work_group_size: 1
    .uses_dynamic_stack: false
    .vgpr_count:     69
    .vgpr_spill_count: 0
    .wavefront_size: 64
  - .agpr_count:     0
    .args:
      - .offset:         0
        .size:           216
        .value_kind:     by_value
      - .offset:         216
        .size:           216
        .value_kind:     by_value
      - .offset:         432
        .size:           216
        .value_kind:     by_value
      - .offset:         648
        .size:           4
        .value_kind:     by_value
      - .offset:         652
        .size:           4
        .value_kind:     by_value
      - .offset:         656
        .size:           4
        .value_kind:     by_value
      - .offset:         660
        .size:           1
        .value_kind:     by_value
      - .offset:         664
        .size:           4
        .value_kind:     hidden_block_count_x
      - .offset:         668
        .size:           4
        .value_kind:     hidden_block_count_y
      - .offset:         672
        .size:           4
        .value_kind:     hidden_block_count_z
      - .offset:         676
        .size:           2
        .value_kind:     hidden_group_size_x
      - .offset:         678
        .size:           2
        .value_kind:     hidden_group_size_y
      - .offset:         680
        .size:           2
        .value_kind:     hidden_group_size_z
      - .offset:         682
        .size:           2
        .value_kind:     hidden_remainder_x
      - .offset:         684
        .size:           2
        .value_kind:     hidden_remainder_y
      - .offset:         686
        .size:           2
        .value_kind:     hidden_remainder_z
      - .offset:         704
        .size:           8
        .value_kind:     hidden_global_offset_x
      - .offset:         712
        .size:           8
        .value_kind:     hidden_global_offset_y
      - .offset:         720
        .size:           8
        .value_kind:     hidden_global_offset_z
      - .offset:         728
        .size:           2
        .value_kind:     hidden_grid_dims
    .group_segment_fixed_size: 4120
    .kernarg_segment_align: 8
    .kernarg_segment_size: 920
    .language:       OpenCL C
    .language_version:
      - 2
      - 0
    .max_flat_workgroup_size: 1024
    .name:           _ZN2at6native12_GLOBAL__N_112gatherMedianIfjLi2EEEvNS_4cuda6detail10TensorInfoIT_T0_EENS5_IlS7_EENS5_IKS6_S7_EES7_S7_S7_b
    .private_segment_fixed_size: 0
    .sgpr_count:     106
    .sgpr_spill_count: 34
    .symbol:         _ZN2at6native12_GLOBAL__N_112gatherMedianIfjLi2EEEvNS_4cuda6detail10TensorInfoIT_T0_EENS5_IlS7_EENS5_IKS6_S7_EES7_S7_S7_b.kd
    .uniform_work_group_size: 1
    .uses_dynamic_stack: false
    .vgpr_count:     71
    .vgpr_spill_count: 0
    .wavefront_size: 64
  - .agpr_count:     0
    .args:
      - .offset:         0
        .size:           216
        .value_kind:     by_value
      - .offset:         216
        .size:           216
        .value_kind:     by_value
      - .offset:         432
        .size:           216
        .value_kind:     by_value
      - .offset:         648
        .size:           4
        .value_kind:     by_value
      - .offset:         652
        .size:           4
        .value_kind:     by_value
      - .offset:         656
        .size:           4
        .value_kind:     by_value
      - .offset:         660
        .size:           1
        .value_kind:     by_value
      - .offset:         664
        .size:           4
        .value_kind:     hidden_block_count_x
      - .offset:         668
        .size:           4
        .value_kind:     hidden_block_count_y
      - .offset:         672
        .size:           4
        .value_kind:     hidden_block_count_z
      - .offset:         676
        .size:           2
        .value_kind:     hidden_group_size_x
      - .offset:         678
        .size:           2
        .value_kind:     hidden_group_size_y
      - .offset:         680
        .size:           2
        .value_kind:     hidden_group_size_z
      - .offset:         682
        .size:           2
        .value_kind:     hidden_remainder_x
      - .offset:         684
        .size:           2
        .value_kind:     hidden_remainder_y
      - .offset:         686
        .size:           2
        .value_kind:     hidden_remainder_z
      - .offset:         704
        .size:           8
        .value_kind:     hidden_global_offset_x
      - .offset:         712
        .size:           8
        .value_kind:     hidden_global_offset_y
      - .offset:         720
        .size:           8
        .value_kind:     hidden_global_offset_z
      - .offset:         728
        .size:           2
        .value_kind:     hidden_grid_dims
    .group_segment_fixed_size: 4120
    .kernarg_segment_align: 8
    .kernarg_segment_size: 920
    .language:       OpenCL C
    .language_version:
      - 2
      - 0
    .max_flat_workgroup_size: 1024
    .name:           _ZN2at6native12_GLOBAL__N_112gatherMedianIfjLi3EEEvNS_4cuda6detail10TensorInfoIT_T0_EENS5_IlS7_EENS5_IKS6_S7_EES7_S7_S7_b
    .private_segment_fixed_size: 0
    .sgpr_count:     106
    .sgpr_spill_count: 42
    .symbol:         _ZN2at6native12_GLOBAL__N_112gatherMedianIfjLi3EEEvNS_4cuda6detail10TensorInfoIT_T0_EENS5_IlS7_EENS5_IKS6_S7_EES7_S7_S7_b.kd
    .uniform_work_group_size: 1
    .uses_dynamic_stack: false
    .vgpr_count:     71
    .vgpr_spill_count: 0
    .wavefront_size: 64
  - .agpr_count:     0
    .args:
      - .offset:         0
        .size:           216
        .value_kind:     by_value
      - .offset:         216
        .size:           216
        .value_kind:     by_value
      - .offset:         432
        .size:           216
        .value_kind:     by_value
      - .offset:         648
        .size:           4
        .value_kind:     by_value
      - .offset:         652
        .size:           4
        .value_kind:     by_value
      - .offset:         656
        .size:           4
        .value_kind:     by_value
      - .offset:         660
        .size:           1
        .value_kind:     by_value
      - .offset:         664
        .size:           4
        .value_kind:     hidden_block_count_x
      - .offset:         668
        .size:           4
        .value_kind:     hidden_block_count_y
      - .offset:         672
        .size:           4
        .value_kind:     hidden_block_count_z
      - .offset:         676
        .size:           2
        .value_kind:     hidden_group_size_x
      - .offset:         678
        .size:           2
        .value_kind:     hidden_group_size_y
      - .offset:         680
        .size:           2
        .value_kind:     hidden_group_size_z
      - .offset:         682
        .size:           2
        .value_kind:     hidden_remainder_x
      - .offset:         684
        .size:           2
        .value_kind:     hidden_remainder_y
      - .offset:         686
        .size:           2
        .value_kind:     hidden_remainder_z
      - .offset:         704
        .size:           8
        .value_kind:     hidden_global_offset_x
      - .offset:         712
        .size:           8
        .value_kind:     hidden_global_offset_y
      - .offset:         720
        .size:           8
        .value_kind:     hidden_global_offset_z
      - .offset:         728
        .size:           2
        .value_kind:     hidden_grid_dims
    .group_segment_fixed_size: 4120
    .kernarg_segment_align: 8
    .kernarg_segment_size: 920
    .language:       OpenCL C
    .language_version:
      - 2
      - 0
    .max_flat_workgroup_size: 1024
    .name:           _ZN2at6native12_GLOBAL__N_112gatherMedianIfjLin1EEEvNS_4cuda6detail10TensorInfoIT_T0_EENS5_IlS7_EENS5_IKS6_S7_EES7_S7_S7_b
    .private_segment_fixed_size: 0
    .sgpr_count:     106
    .sgpr_spill_count: 32
    .symbol:         _ZN2at6native12_GLOBAL__N_112gatherMedianIfjLin1EEEvNS_4cuda6detail10TensorInfoIT_T0_EENS5_IlS7_EENS5_IKS6_S7_EES7_S7_S7_b.kd
    .uniform_work_group_size: 1
    .uses_dynamic_stack: false
    .vgpr_count:     71
    .vgpr_spill_count: 0
    .wavefront_size: 64
  - .agpr_count:     0
    .args:
      - .offset:         0
        .size:           416
        .value_kind:     by_value
      - .offset:         416
        .size:           416
        .value_kind:     by_value
      - .offset:         832
        .size:           416
        .value_kind:     by_value
      - .offset:         1248
        .size:           8
        .value_kind:     by_value
      - .offset:         1256
        .size:           8
        .value_kind:     by_value
      - .offset:         1264
        .size:           8
        .value_kind:     by_value
      - .offset:         1272
        .size:           1
        .value_kind:     by_value
      - .offset:         1280
        .size:           4
        .value_kind:     hidden_block_count_x
      - .offset:         1284
        .size:           4
        .value_kind:     hidden_block_count_y
      - .offset:         1288
        .size:           4
        .value_kind:     hidden_block_count_z
      - .offset:         1292
        .size:           2
        .value_kind:     hidden_group_size_x
      - .offset:         1294
        .size:           2
        .value_kind:     hidden_group_size_y
      - .offset:         1296
        .size:           2
        .value_kind:     hidden_group_size_z
      - .offset:         1298
        .size:           2
        .value_kind:     hidden_remainder_x
      - .offset:         1300
        .size:           2
        .value_kind:     hidden_remainder_y
      - .offset:         1302
        .size:           2
        .value_kind:     hidden_remainder_z
      - .offset:         1320
        .size:           8
        .value_kind:     hidden_global_offset_x
      - .offset:         1328
        .size:           8
        .value_kind:     hidden_global_offset_y
      - .offset:         1336
        .size:           8
        .value_kind:     hidden_global_offset_z
      - .offset:         1344
        .size:           2
        .value_kind:     hidden_grid_dims
    .group_segment_fixed_size: 5152
    .kernarg_segment_align: 8
    .kernarg_segment_size: 1536
    .language:       OpenCL C
    .language_version:
      - 2
      - 0
    .max_flat_workgroup_size: 1024
    .name:           _ZN2at6native12_GLOBAL__N_112gatherMedianIfmLi1EEEvNS_4cuda6detail10TensorInfoIT_T0_EENS5_IlS7_EENS5_IKS6_S7_EES7_S7_S7_b
    .private_segment_fixed_size: 0
    .sgpr_count:     106
    .sgpr_spill_count: 37
    .symbol:         _ZN2at6native12_GLOBAL__N_112gatherMedianIfmLi1EEEvNS_4cuda6detail10TensorInfoIT_T0_EENS5_IlS7_EENS5_IKS6_S7_EES7_S7_S7_b.kd
    .uniform_work_group_size: 1
    .uses_dynamic_stack: false
    .vgpr_count:     63
    .vgpr_spill_count: 0
    .wavefront_size: 64
  - .agpr_count:     0
    .args:
      - .offset:         0
        .size:           416
        .value_kind:     by_value
      - .offset:         416
        .size:           416
        .value_kind:     by_value
      - .offset:         832
        .size:           416
        .value_kind:     by_value
      - .offset:         1248
        .size:           8
        .value_kind:     by_value
      - .offset:         1256
        .size:           8
        .value_kind:     by_value
      - .offset:         1264
        .size:           8
        .value_kind:     by_value
      - .offset:         1272
        .size:           1
        .value_kind:     by_value
      - .offset:         1280
        .size:           4
        .value_kind:     hidden_block_count_x
      - .offset:         1284
        .size:           4
        .value_kind:     hidden_block_count_y
      - .offset:         1288
        .size:           4
        .value_kind:     hidden_block_count_z
      - .offset:         1292
        .size:           2
        .value_kind:     hidden_group_size_x
      - .offset:         1294
        .size:           2
        .value_kind:     hidden_group_size_y
      - .offset:         1296
        .size:           2
        .value_kind:     hidden_group_size_z
      - .offset:         1298
        .size:           2
        .value_kind:     hidden_remainder_x
      - .offset:         1300
        .size:           2
        .value_kind:     hidden_remainder_y
      - .offset:         1302
        .size:           2
        .value_kind:     hidden_remainder_z
      - .offset:         1320
        .size:           8
        .value_kind:     hidden_global_offset_x
      - .offset:         1328
        .size:           8
        .value_kind:     hidden_global_offset_y
      - .offset:         1336
        .size:           8
        .value_kind:     hidden_global_offset_z
      - .offset:         1344
        .size:           2
        .value_kind:     hidden_grid_dims
    .group_segment_fixed_size: 5152
    .kernarg_segment_align: 8
    .kernarg_segment_size: 1536
    .language:       OpenCL C
    .language_version:
      - 2
      - 0
    .max_flat_workgroup_size: 1024
    .name:           _ZN2at6native12_GLOBAL__N_112gatherMedianIfmLi2EEEvNS_4cuda6detail10TensorInfoIT_T0_EENS5_IlS7_EENS5_IKS6_S7_EES7_S7_S7_b
    .private_segment_fixed_size: 0
    .sgpr_count:     106
    .sgpr_spill_count: 45
    .symbol:         _ZN2at6native12_GLOBAL__N_112gatherMedianIfmLi2EEEvNS_4cuda6detail10TensorInfoIT_T0_EENS5_IlS7_EENS5_IKS6_S7_EES7_S7_S7_b.kd
    .uniform_work_group_size: 1
    .uses_dynamic_stack: false
    .vgpr_count:     55
    .vgpr_spill_count: 0
    .wavefront_size: 64
  - .agpr_count:     0
    .args:
      - .offset:         0
        .size:           416
        .value_kind:     by_value
      - .offset:         416
        .size:           416
        .value_kind:     by_value
      - .offset:         832
        .size:           416
        .value_kind:     by_value
      - .offset:         1248
        .size:           8
        .value_kind:     by_value
      - .offset:         1256
        .size:           8
        .value_kind:     by_value
      - .offset:         1264
        .size:           8
        .value_kind:     by_value
      - .offset:         1272
        .size:           1
        .value_kind:     by_value
      - .offset:         1280
        .size:           4
        .value_kind:     hidden_block_count_x
      - .offset:         1284
        .size:           4
        .value_kind:     hidden_block_count_y
      - .offset:         1288
        .size:           4
        .value_kind:     hidden_block_count_z
      - .offset:         1292
        .size:           2
        .value_kind:     hidden_group_size_x
      - .offset:         1294
        .size:           2
        .value_kind:     hidden_group_size_y
      - .offset:         1296
        .size:           2
        .value_kind:     hidden_group_size_z
      - .offset:         1298
        .size:           2
        .value_kind:     hidden_remainder_x
      - .offset:         1300
        .size:           2
        .value_kind:     hidden_remainder_y
      - .offset:         1302
        .size:           2
        .value_kind:     hidden_remainder_z
      - .offset:         1320
        .size:           8
        .value_kind:     hidden_global_offset_x
      - .offset:         1328
        .size:           8
        .value_kind:     hidden_global_offset_y
      - .offset:         1336
        .size:           8
        .value_kind:     hidden_global_offset_z
      - .offset:         1344
        .size:           2
        .value_kind:     hidden_grid_dims
    .group_segment_fixed_size: 5152
    .kernarg_segment_align: 8
    .kernarg_segment_size: 1536
    .language:       OpenCL C
    .language_version:
      - 2
      - 0
    .max_flat_workgroup_size: 1024
    .name:           _ZN2at6native12_GLOBAL__N_112gatherMedianIfmLi3EEEvNS_4cuda6detail10TensorInfoIT_T0_EENS5_IlS7_EENS5_IKS6_S7_EES7_S7_S7_b
    .private_segment_fixed_size: 0
    .sgpr_count:     106
    .sgpr_spill_count: 57
    .symbol:         _ZN2at6native12_GLOBAL__N_112gatherMedianIfmLi3EEEvNS_4cuda6detail10TensorInfoIT_T0_EENS5_IlS7_EENS5_IKS6_S7_EES7_S7_S7_b.kd
    .uniform_work_group_size: 1
    .uses_dynamic_stack: false
    .vgpr_count:     55
    .vgpr_spill_count: 0
    .wavefront_size: 64
  - .agpr_count:     0
    .args:
      - .offset:         0
        .size:           416
        .value_kind:     by_value
      - .offset:         416
        .size:           416
        .value_kind:     by_value
      - .offset:         832
        .size:           416
        .value_kind:     by_value
      - .offset:         1248
        .size:           8
        .value_kind:     by_value
      - .offset:         1256
        .size:           8
        .value_kind:     by_value
      - .offset:         1264
        .size:           8
        .value_kind:     by_value
      - .offset:         1272
        .size:           1
        .value_kind:     by_value
      - .offset:         1280
        .size:           4
        .value_kind:     hidden_block_count_x
      - .offset:         1284
        .size:           4
        .value_kind:     hidden_block_count_y
      - .offset:         1288
        .size:           4
        .value_kind:     hidden_block_count_z
      - .offset:         1292
        .size:           2
        .value_kind:     hidden_group_size_x
      - .offset:         1294
        .size:           2
        .value_kind:     hidden_group_size_y
      - .offset:         1296
        .size:           2
        .value_kind:     hidden_group_size_z
      - .offset:         1298
        .size:           2
        .value_kind:     hidden_remainder_x
      - .offset:         1300
        .size:           2
        .value_kind:     hidden_remainder_y
      - .offset:         1302
        .size:           2
        .value_kind:     hidden_remainder_z
      - .offset:         1320
        .size:           8
        .value_kind:     hidden_global_offset_x
      - .offset:         1328
        .size:           8
        .value_kind:     hidden_global_offset_y
      - .offset:         1336
        .size:           8
        .value_kind:     hidden_global_offset_z
      - .offset:         1344
        .size:           2
        .value_kind:     hidden_grid_dims
    .group_segment_fixed_size: 5152
    .kernarg_segment_align: 8
    .kernarg_segment_size: 1536
    .language:       OpenCL C
    .language_version:
      - 2
      - 0
    .max_flat_workgroup_size: 1024
    .name:           _ZN2at6native12_GLOBAL__N_112gatherMedianIfmLin1EEEvNS_4cuda6detail10TensorInfoIT_T0_EENS5_IlS7_EENS5_IKS6_S7_EES7_S7_S7_b
    .private_segment_fixed_size: 0
    .sgpr_count:     106
    .sgpr_spill_count: 48
    .symbol:         _ZN2at6native12_GLOBAL__N_112gatherMedianIfmLin1EEEvNS_4cuda6detail10TensorInfoIT_T0_EENS5_IlS7_EENS5_IKS6_S7_EES7_S7_S7_b.kd
    .uniform_work_group_size: 1
    .uses_dynamic_stack: false
    .vgpr_count:     65
    .vgpr_spill_count: 0
    .wavefront_size: 64
  - .agpr_count:     0
    .args:
      - .offset:         0
        .size:           216
        .value_kind:     by_value
      - .offset:         216
        .size:           216
        .value_kind:     by_value
      - .offset:         432
        .size:           216
        .value_kind:     by_value
      - .offset:         648
        .size:           4
        .value_kind:     by_value
      - .offset:         652
        .size:           4
        .value_kind:     by_value
      - .offset:         656
        .size:           4
        .value_kind:     by_value
      - .offset:         660
        .size:           1
        .value_kind:     by_value
      - .offset:         664
        .size:           4
        .value_kind:     hidden_block_count_x
      - .offset:         668
        .size:           4
        .value_kind:     hidden_block_count_y
      - .offset:         672
        .size:           4
        .value_kind:     hidden_block_count_z
      - .offset:         676
        .size:           2
        .value_kind:     hidden_group_size_x
      - .offset:         678
        .size:           2
        .value_kind:     hidden_group_size_y
      - .offset:         680
        .size:           2
        .value_kind:     hidden_group_size_z
      - .offset:         682
        .size:           2
        .value_kind:     hidden_remainder_x
      - .offset:         684
        .size:           2
        .value_kind:     hidden_remainder_y
      - .offset:         686
        .size:           2
        .value_kind:     hidden_remainder_z
      - .offset:         704
        .size:           8
        .value_kind:     hidden_global_offset_x
      - .offset:         712
        .size:           8
        .value_kind:     hidden_global_offset_y
      - .offset:         720
        .size:           8
        .value_kind:     hidden_global_offset_z
      - .offset:         728
        .size:           2
        .value_kind:     hidden_grid_dims
    .group_segment_fixed_size: 4120
    .kernarg_segment_align: 8
    .kernarg_segment_size: 920
    .language:       OpenCL C
    .language_version:
      - 2
      - 0
    .max_flat_workgroup_size: 1024
    .name:           _ZN2at6native12_GLOBAL__N_112gatherMedianIN3c104HalfEjLi1EEEvNS_4cuda6detail10TensorInfoIT_T0_EENS7_IlS9_EENS7_IKS8_S9_EES9_S9_S9_b
    .private_segment_fixed_size: 0
    .sgpr_count:     106
    .sgpr_spill_count: 37
    .symbol:         _ZN2at6native12_GLOBAL__N_112gatherMedianIN3c104HalfEjLi1EEEvNS_4cuda6detail10TensorInfoIT_T0_EENS7_IlS9_EENS7_IKS8_S9_EES9_S9_S9_b.kd
    .uniform_work_group_size: 1
    .uses_dynamic_stack: false
    .vgpr_count:     81
    .vgpr_spill_count: 0
    .wavefront_size: 64
  - .agpr_count:     0
    .args:
      - .offset:         0
        .size:           216
        .value_kind:     by_value
      - .offset:         216
        .size:           216
        .value_kind:     by_value
      - .offset:         432
        .size:           216
        .value_kind:     by_value
      - .offset:         648
        .size:           4
        .value_kind:     by_value
      - .offset:         652
        .size:           4
        .value_kind:     by_value
      - .offset:         656
        .size:           4
        .value_kind:     by_value
      - .offset:         660
        .size:           1
        .value_kind:     by_value
      - .offset:         664
        .size:           4
        .value_kind:     hidden_block_count_x
      - .offset:         668
        .size:           4
        .value_kind:     hidden_block_count_y
      - .offset:         672
        .size:           4
        .value_kind:     hidden_block_count_z
      - .offset:         676
        .size:           2
        .value_kind:     hidden_group_size_x
      - .offset:         678
        .size:           2
        .value_kind:     hidden_group_size_y
      - .offset:         680
        .size:           2
        .value_kind:     hidden_group_size_z
      - .offset:         682
        .size:           2
        .value_kind:     hidden_remainder_x
      - .offset:         684
        .size:           2
        .value_kind:     hidden_remainder_y
      - .offset:         686
        .size:           2
        .value_kind:     hidden_remainder_z
      - .offset:         704
        .size:           8
        .value_kind:     hidden_global_offset_x
      - .offset:         712
        .size:           8
        .value_kind:     hidden_global_offset_y
      - .offset:         720
        .size:           8
        .value_kind:     hidden_global_offset_z
      - .offset:         728
        .size:           2
        .value_kind:     hidden_grid_dims
    .group_segment_fixed_size: 4120
    .kernarg_segment_align: 8
    .kernarg_segment_size: 920
    .language:       OpenCL C
    .language_version:
      - 2
      - 0
    .max_flat_workgroup_size: 1024
    .name:           _ZN2at6native12_GLOBAL__N_112gatherMedianIN3c104HalfEjLi2EEEvNS_4cuda6detail10TensorInfoIT_T0_EENS7_IlS9_EENS7_IKS8_S9_EES9_S9_S9_b
    .private_segment_fixed_size: 0
    .sgpr_count:     106
    .sgpr_spill_count: 41
    .symbol:         _ZN2at6native12_GLOBAL__N_112gatherMedianIN3c104HalfEjLi2EEEvNS_4cuda6detail10TensorInfoIT_T0_EENS7_IlS9_EENS7_IKS8_S9_EES9_S9_S9_b.kd
    .uniform_work_group_size: 1
    .uses_dynamic_stack: false
    .vgpr_count:     83
    .vgpr_spill_count: 0
    .wavefront_size: 64
  - .agpr_count:     0
    .args:
      - .offset:         0
        .size:           216
        .value_kind:     by_value
      - .offset:         216
        .size:           216
        .value_kind:     by_value
      - .offset:         432
        .size:           216
        .value_kind:     by_value
      - .offset:         648
        .size:           4
        .value_kind:     by_value
      - .offset:         652
        .size:           4
        .value_kind:     by_value
      - .offset:         656
        .size:           4
        .value_kind:     by_value
      - .offset:         660
        .size:           1
        .value_kind:     by_value
      - .offset:         664
        .size:           4
        .value_kind:     hidden_block_count_x
      - .offset:         668
        .size:           4
        .value_kind:     hidden_block_count_y
      - .offset:         672
        .size:           4
        .value_kind:     hidden_block_count_z
      - .offset:         676
        .size:           2
        .value_kind:     hidden_group_size_x
      - .offset:         678
        .size:           2
        .value_kind:     hidden_group_size_y
      - .offset:         680
        .size:           2
        .value_kind:     hidden_group_size_z
      - .offset:         682
        .size:           2
        .value_kind:     hidden_remainder_x
      - .offset:         684
        .size:           2
        .value_kind:     hidden_remainder_y
      - .offset:         686
        .size:           2
        .value_kind:     hidden_remainder_z
      - .offset:         704
        .size:           8
        .value_kind:     hidden_global_offset_x
      - .offset:         712
        .size:           8
        .value_kind:     hidden_global_offset_y
      - .offset:         720
        .size:           8
        .value_kind:     hidden_global_offset_z
      - .offset:         728
        .size:           2
        .value_kind:     hidden_grid_dims
    .group_segment_fixed_size: 4120
    .kernarg_segment_align: 8
    .kernarg_segment_size: 920
    .language:       OpenCL C
    .language_version:
      - 2
      - 0
    .max_flat_workgroup_size: 1024
    .name:           _ZN2at6native12_GLOBAL__N_112gatherMedianIN3c104HalfEjLi3EEEvNS_4cuda6detail10TensorInfoIT_T0_EENS7_IlS9_EENS7_IKS8_S9_EES9_S9_S9_b
    .private_segment_fixed_size: 0
    .sgpr_count:     106
    .sgpr_spill_count: 49
    .symbol:         _ZN2at6native12_GLOBAL__N_112gatherMedianIN3c104HalfEjLi3EEEvNS_4cuda6detail10TensorInfoIT_T0_EENS7_IlS9_EENS7_IKS8_S9_EES9_S9_S9_b.kd
    .uniform_work_group_size: 1
    .uses_dynamic_stack: false
    .vgpr_count:     83
    .vgpr_spill_count: 0
    .wavefront_size: 64
  - .agpr_count:     0
    .args:
      - .offset:         0
        .size:           216
        .value_kind:     by_value
      - .offset:         216
        .size:           216
        .value_kind:     by_value
      - .offset:         432
        .size:           216
        .value_kind:     by_value
      - .offset:         648
        .size:           4
        .value_kind:     by_value
      - .offset:         652
        .size:           4
        .value_kind:     by_value
      - .offset:         656
        .size:           4
        .value_kind:     by_value
      - .offset:         660
        .size:           1
        .value_kind:     by_value
      - .offset:         664
        .size:           4
        .value_kind:     hidden_block_count_x
      - .offset:         668
        .size:           4
        .value_kind:     hidden_block_count_y
      - .offset:         672
        .size:           4
        .value_kind:     hidden_block_count_z
      - .offset:         676
        .size:           2
        .value_kind:     hidden_group_size_x
      - .offset:         678
        .size:           2
        .value_kind:     hidden_group_size_y
      - .offset:         680
        .size:           2
        .value_kind:     hidden_group_size_z
      - .offset:         682
        .size:           2
        .value_kind:     hidden_remainder_x
      - .offset:         684
        .size:           2
        .value_kind:     hidden_remainder_y
      - .offset:         686
        .size:           2
        .value_kind:     hidden_remainder_z
      - .offset:         704
        .size:           8
        .value_kind:     hidden_global_offset_x
      - .offset:         712
        .size:           8
        .value_kind:     hidden_global_offset_y
      - .offset:         720
        .size:           8
        .value_kind:     hidden_global_offset_z
      - .offset:         728
        .size:           2
        .value_kind:     hidden_grid_dims
    .group_segment_fixed_size: 4120
    .kernarg_segment_align: 8
    .kernarg_segment_size: 920
    .language:       OpenCL C
    .language_version:
      - 2
      - 0
    .max_flat_workgroup_size: 1024
    .name:           _ZN2at6native12_GLOBAL__N_112gatherMedianIN3c104HalfEjLin1EEEvNS_4cuda6detail10TensorInfoIT_T0_EENS7_IlS9_EENS7_IKS8_S9_EES9_S9_S9_b
    .private_segment_fixed_size: 0
    .sgpr_count:     106
    .sgpr_spill_count: 38
    .symbol:         _ZN2at6native12_GLOBAL__N_112gatherMedianIN3c104HalfEjLin1EEEvNS_4cuda6detail10TensorInfoIT_T0_EENS7_IlS9_EENS7_IKS8_S9_EES9_S9_S9_b.kd
    .uniform_work_group_size: 1
    .uses_dynamic_stack: false
    .vgpr_count:     83
    .vgpr_spill_count: 0
    .wavefront_size: 64
  - .agpr_count:     0
    .args:
      - .offset:         0
        .size:           416
        .value_kind:     by_value
      - .offset:         416
        .size:           416
        .value_kind:     by_value
      - .offset:         832
        .size:           416
        .value_kind:     by_value
      - .offset:         1248
        .size:           8
        .value_kind:     by_value
      - .offset:         1256
        .size:           8
        .value_kind:     by_value
      - .offset:         1264
        .size:           8
        .value_kind:     by_value
      - .offset:         1272
        .size:           1
        .value_kind:     by_value
      - .offset:         1280
        .size:           4
        .value_kind:     hidden_block_count_x
      - .offset:         1284
        .size:           4
        .value_kind:     hidden_block_count_y
      - .offset:         1288
        .size:           4
        .value_kind:     hidden_block_count_z
      - .offset:         1292
        .size:           2
        .value_kind:     hidden_group_size_x
      - .offset:         1294
        .size:           2
        .value_kind:     hidden_group_size_y
      - .offset:         1296
        .size:           2
        .value_kind:     hidden_group_size_z
      - .offset:         1298
        .size:           2
        .value_kind:     hidden_remainder_x
      - .offset:         1300
        .size:           2
        .value_kind:     hidden_remainder_y
      - .offset:         1302
        .size:           2
        .value_kind:     hidden_remainder_z
      - .offset:         1320
        .size:           8
        .value_kind:     hidden_global_offset_x
      - .offset:         1328
        .size:           8
        .value_kind:     hidden_global_offset_y
      - .offset:         1336
        .size:           8
        .value_kind:     hidden_global_offset_z
      - .offset:         1344
        .size:           2
        .value_kind:     hidden_grid_dims
    .group_segment_fixed_size: 5152
    .kernarg_segment_align: 8
    .kernarg_segment_size: 1536
    .language:       OpenCL C
    .language_version:
      - 2
      - 0
    .max_flat_workgroup_size: 1024
    .name:           _ZN2at6native12_GLOBAL__N_112gatherMedianIN3c104HalfEmLi1EEEvNS_4cuda6detail10TensorInfoIT_T0_EENS7_IlS9_EENS7_IKS8_S9_EES9_S9_S9_b
    .private_segment_fixed_size: 0
    .sgpr_count:     106
    .sgpr_spill_count: 42
    .symbol:         _ZN2at6native12_GLOBAL__N_112gatherMedianIN3c104HalfEmLi1EEEvNS_4cuda6detail10TensorInfoIT_T0_EENS7_IlS9_EENS7_IKS8_S9_EES9_S9_S9_b.kd
    .uniform_work_group_size: 1
    .uses_dynamic_stack: false
    .vgpr_count:     70
    .vgpr_spill_count: 0
    .wavefront_size: 64
  - .agpr_count:     0
    .args:
      - .offset:         0
        .size:           416
        .value_kind:     by_value
      - .offset:         416
        .size:           416
        .value_kind:     by_value
      - .offset:         832
        .size:           416
        .value_kind:     by_value
      - .offset:         1248
        .size:           8
        .value_kind:     by_value
      - .offset:         1256
        .size:           8
        .value_kind:     by_value
      - .offset:         1264
        .size:           8
        .value_kind:     by_value
      - .offset:         1272
        .size:           1
        .value_kind:     by_value
      - .offset:         1280
        .size:           4
        .value_kind:     hidden_block_count_x
      - .offset:         1284
        .size:           4
        .value_kind:     hidden_block_count_y
      - .offset:         1288
        .size:           4
        .value_kind:     hidden_block_count_z
      - .offset:         1292
        .size:           2
        .value_kind:     hidden_group_size_x
      - .offset:         1294
        .size:           2
        .value_kind:     hidden_group_size_y
      - .offset:         1296
        .size:           2
        .value_kind:     hidden_group_size_z
      - .offset:         1298
        .size:           2
        .value_kind:     hidden_remainder_x
      - .offset:         1300
        .size:           2
        .value_kind:     hidden_remainder_y
      - .offset:         1302
        .size:           2
        .value_kind:     hidden_remainder_z
      - .offset:         1320
        .size:           8
        .value_kind:     hidden_global_offset_x
      - .offset:         1328
        .size:           8
        .value_kind:     hidden_global_offset_y
      - .offset:         1336
        .size:           8
        .value_kind:     hidden_global_offset_z
      - .offset:         1344
        .size:           2
        .value_kind:     hidden_grid_dims
    .group_segment_fixed_size: 5152
    .kernarg_segment_align: 8
    .kernarg_segment_size: 1536
    .language:       OpenCL C
    .language_version:
      - 2
      - 0
    .max_flat_workgroup_size: 1024
    .name:           _ZN2at6native12_GLOBAL__N_112gatherMedianIN3c104HalfEmLi2EEEvNS_4cuda6detail10TensorInfoIT_T0_EENS7_IlS9_EENS7_IKS8_S9_EES9_S9_S9_b
    .private_segment_fixed_size: 0
    .sgpr_count:     106
    .sgpr_spill_count: 49
    .symbol:         _ZN2at6native12_GLOBAL__N_112gatherMedianIN3c104HalfEmLi2EEEvNS_4cuda6detail10TensorInfoIT_T0_EENS7_IlS9_EENS7_IKS8_S9_EES9_S9_S9_b.kd
    .uniform_work_group_size: 1
    .uses_dynamic_stack: false
    .vgpr_count:     62
    .vgpr_spill_count: 0
    .wavefront_size: 64
  - .agpr_count:     0
    .args:
      - .offset:         0
        .size:           416
        .value_kind:     by_value
      - .offset:         416
        .size:           416
        .value_kind:     by_value
      - .offset:         832
        .size:           416
        .value_kind:     by_value
      - .offset:         1248
        .size:           8
        .value_kind:     by_value
      - .offset:         1256
        .size:           8
        .value_kind:     by_value
      - .offset:         1264
        .size:           8
        .value_kind:     by_value
      - .offset:         1272
        .size:           1
        .value_kind:     by_value
      - .offset:         1280
        .size:           4
        .value_kind:     hidden_block_count_x
      - .offset:         1284
        .size:           4
        .value_kind:     hidden_block_count_y
      - .offset:         1288
        .size:           4
        .value_kind:     hidden_block_count_z
      - .offset:         1292
        .size:           2
        .value_kind:     hidden_group_size_x
      - .offset:         1294
        .size:           2
        .value_kind:     hidden_group_size_y
      - .offset:         1296
        .size:           2
        .value_kind:     hidden_group_size_z
      - .offset:         1298
        .size:           2
        .value_kind:     hidden_remainder_x
      - .offset:         1300
        .size:           2
        .value_kind:     hidden_remainder_y
      - .offset:         1302
        .size:           2
        .value_kind:     hidden_remainder_z
      - .offset:         1320
        .size:           8
        .value_kind:     hidden_global_offset_x
      - .offset:         1328
        .size:           8
        .value_kind:     hidden_global_offset_y
      - .offset:         1336
        .size:           8
        .value_kind:     hidden_global_offset_z
      - .offset:         1344
        .size:           2
        .value_kind:     hidden_grid_dims
    .group_segment_fixed_size: 5152
    .kernarg_segment_align: 8
    .kernarg_segment_size: 1536
    .language:       OpenCL C
    .language_version:
      - 2
      - 0
    .max_flat_workgroup_size: 1024
    .name:           _ZN2at6native12_GLOBAL__N_112gatherMedianIN3c104HalfEmLi3EEEvNS_4cuda6detail10TensorInfoIT_T0_EENS7_IlS9_EENS7_IKS8_S9_EES9_S9_S9_b
    .private_segment_fixed_size: 0
    .sgpr_count:     106
    .sgpr_spill_count: 61
    .symbol:         _ZN2at6native12_GLOBAL__N_112gatherMedianIN3c104HalfEmLi3EEEvNS_4cuda6detail10TensorInfoIT_T0_EENS7_IlS9_EENS7_IKS8_S9_EES9_S9_S9_b.kd
    .uniform_work_group_size: 1
    .uses_dynamic_stack: false
    .vgpr_count:     62
    .vgpr_spill_count: 0
    .wavefront_size: 64
  - .agpr_count:     0
    .args:
      - .offset:         0
        .size:           416
        .value_kind:     by_value
      - .offset:         416
        .size:           416
        .value_kind:     by_value
      - .offset:         832
        .size:           416
        .value_kind:     by_value
      - .offset:         1248
        .size:           8
        .value_kind:     by_value
      - .offset:         1256
        .size:           8
        .value_kind:     by_value
      - .offset:         1264
        .size:           8
        .value_kind:     by_value
      - .offset:         1272
        .size:           1
        .value_kind:     by_value
      - .offset:         1280
        .size:           4
        .value_kind:     hidden_block_count_x
      - .offset:         1284
        .size:           4
        .value_kind:     hidden_block_count_y
      - .offset:         1288
        .size:           4
        .value_kind:     hidden_block_count_z
      - .offset:         1292
        .size:           2
        .value_kind:     hidden_group_size_x
      - .offset:         1294
        .size:           2
        .value_kind:     hidden_group_size_y
      - .offset:         1296
        .size:           2
        .value_kind:     hidden_group_size_z
      - .offset:         1298
        .size:           2
        .value_kind:     hidden_remainder_x
      - .offset:         1300
        .size:           2
        .value_kind:     hidden_remainder_y
      - .offset:         1302
        .size:           2
        .value_kind:     hidden_remainder_z
      - .offset:         1320
        .size:           8
        .value_kind:     hidden_global_offset_x
      - .offset:         1328
        .size:           8
        .value_kind:     hidden_global_offset_y
      - .offset:         1336
        .size:           8
        .value_kind:     hidden_global_offset_z
      - .offset:         1344
        .size:           2
        .value_kind:     hidden_grid_dims
    .group_segment_fixed_size: 5152
    .kernarg_segment_align: 8
    .kernarg_segment_size: 1536
    .language:       OpenCL C
    .language_version:
      - 2
      - 0
    .max_flat_workgroup_size: 1024
    .name:           _ZN2at6native12_GLOBAL__N_112gatherMedianIN3c104HalfEmLin1EEEvNS_4cuda6detail10TensorInfoIT_T0_EENS7_IlS9_EENS7_IKS8_S9_EES9_S9_S9_b
    .private_segment_fixed_size: 0
    .sgpr_count:     106
    .sgpr_spill_count: 50
    .symbol:         _ZN2at6native12_GLOBAL__N_112gatherMedianIN3c104HalfEmLin1EEEvNS_4cuda6detail10TensorInfoIT_T0_EENS7_IlS9_EENS7_IKS8_S9_EES9_S9_S9_b.kd
    .uniform_work_group_size: 1
    .uses_dynamic_stack: false
    .vgpr_count:     72
    .vgpr_spill_count: 0
    .wavefront_size: 64
  - .agpr_count:     0
    .args:
      - .offset:         0
        .size:           216
        .value_kind:     by_value
      - .offset:         216
        .size:           216
        .value_kind:     by_value
      - .offset:         432
        .size:           216
        .value_kind:     by_value
      - .offset:         648
        .size:           4
        .value_kind:     by_value
      - .offset:         652
        .size:           4
        .value_kind:     by_value
      - .offset:         656
        .size:           4
        .value_kind:     by_value
      - .offset:         660
        .size:           1
        .value_kind:     by_value
      - .offset:         664
        .size:           4
        .value_kind:     hidden_block_count_x
      - .offset:         668
        .size:           4
        .value_kind:     hidden_block_count_y
      - .offset:         672
        .size:           4
        .value_kind:     hidden_block_count_z
      - .offset:         676
        .size:           2
        .value_kind:     hidden_group_size_x
      - .offset:         678
        .size:           2
        .value_kind:     hidden_group_size_y
      - .offset:         680
        .size:           2
        .value_kind:     hidden_group_size_z
      - .offset:         682
        .size:           2
        .value_kind:     hidden_remainder_x
      - .offset:         684
        .size:           2
        .value_kind:     hidden_remainder_y
      - .offset:         686
        .size:           2
        .value_kind:     hidden_remainder_z
      - .offset:         704
        .size:           8
        .value_kind:     hidden_global_offset_x
      - .offset:         712
        .size:           8
        .value_kind:     hidden_global_offset_y
      - .offset:         720
        .size:           8
        .value_kind:     hidden_global_offset_z
      - .offset:         728
        .size:           2
        .value_kind:     hidden_grid_dims
    .group_segment_fixed_size: 4120
    .kernarg_segment_align: 8
    .kernarg_segment_size: 920
    .language:       OpenCL C
    .language_version:
      - 2
      - 0
    .max_flat_workgroup_size: 1024
    .name:           _ZN2at6native12_GLOBAL__N_112gatherMedianIN3c108BFloat16EjLi1EEEvNS_4cuda6detail10TensorInfoIT_T0_EENS7_IlS9_EENS7_IKS8_S9_EES9_S9_S9_b
    .private_segment_fixed_size: 0
    .sgpr_count:     106
    .sgpr_spill_count: 37
    .symbol:         _ZN2at6native12_GLOBAL__N_112gatherMedianIN3c108BFloat16EjLi1EEEvNS_4cuda6detail10TensorInfoIT_T0_EENS7_IlS9_EENS7_IKS8_S9_EES9_S9_S9_b.kd
    .uniform_work_group_size: 1
    .uses_dynamic_stack: false
    .vgpr_count:     81
    .vgpr_spill_count: 0
    .wavefront_size: 64
  - .agpr_count:     0
    .args:
      - .offset:         0
        .size:           216
        .value_kind:     by_value
      - .offset:         216
        .size:           216
        .value_kind:     by_value
      - .offset:         432
        .size:           216
        .value_kind:     by_value
      - .offset:         648
        .size:           4
        .value_kind:     by_value
      - .offset:         652
        .size:           4
        .value_kind:     by_value
      - .offset:         656
        .size:           4
        .value_kind:     by_value
      - .offset:         660
        .size:           1
        .value_kind:     by_value
      - .offset:         664
        .size:           4
        .value_kind:     hidden_block_count_x
      - .offset:         668
        .size:           4
        .value_kind:     hidden_block_count_y
      - .offset:         672
        .size:           4
        .value_kind:     hidden_block_count_z
      - .offset:         676
        .size:           2
        .value_kind:     hidden_group_size_x
      - .offset:         678
        .size:           2
        .value_kind:     hidden_group_size_y
      - .offset:         680
        .size:           2
        .value_kind:     hidden_group_size_z
      - .offset:         682
        .size:           2
        .value_kind:     hidden_remainder_x
      - .offset:         684
        .size:           2
        .value_kind:     hidden_remainder_y
      - .offset:         686
        .size:           2
        .value_kind:     hidden_remainder_z
      - .offset:         704
        .size:           8
        .value_kind:     hidden_global_offset_x
      - .offset:         712
        .size:           8
        .value_kind:     hidden_global_offset_y
      - .offset:         720
        .size:           8
        .value_kind:     hidden_global_offset_z
      - .offset:         728
        .size:           2
        .value_kind:     hidden_grid_dims
    .group_segment_fixed_size: 4120
    .kernarg_segment_align: 8
    .kernarg_segment_size: 920
    .language:       OpenCL C
    .language_version:
      - 2
      - 0
    .max_flat_workgroup_size: 1024
    .name:           _ZN2at6native12_GLOBAL__N_112gatherMedianIN3c108BFloat16EjLi2EEEvNS_4cuda6detail10TensorInfoIT_T0_EENS7_IlS9_EENS7_IKS8_S9_EES9_S9_S9_b
    .private_segment_fixed_size: 0
    .sgpr_count:     106
    .sgpr_spill_count: 41
    .symbol:         _ZN2at6native12_GLOBAL__N_112gatherMedianIN3c108BFloat16EjLi2EEEvNS_4cuda6detail10TensorInfoIT_T0_EENS7_IlS9_EENS7_IKS8_S9_EES9_S9_S9_b.kd
    .uniform_work_group_size: 1
    .uses_dynamic_stack: false
    .vgpr_count:     83
    .vgpr_spill_count: 0
    .wavefront_size: 64
  - .agpr_count:     0
    .args:
      - .offset:         0
        .size:           216
        .value_kind:     by_value
      - .offset:         216
        .size:           216
        .value_kind:     by_value
      - .offset:         432
        .size:           216
        .value_kind:     by_value
      - .offset:         648
        .size:           4
        .value_kind:     by_value
      - .offset:         652
        .size:           4
        .value_kind:     by_value
      - .offset:         656
        .size:           4
        .value_kind:     by_value
      - .offset:         660
        .size:           1
        .value_kind:     by_value
      - .offset:         664
        .size:           4
        .value_kind:     hidden_block_count_x
      - .offset:         668
        .size:           4
        .value_kind:     hidden_block_count_y
      - .offset:         672
        .size:           4
        .value_kind:     hidden_block_count_z
      - .offset:         676
        .size:           2
        .value_kind:     hidden_group_size_x
      - .offset:         678
        .size:           2
        .value_kind:     hidden_group_size_y
      - .offset:         680
        .size:           2
        .value_kind:     hidden_group_size_z
      - .offset:         682
        .size:           2
        .value_kind:     hidden_remainder_x
      - .offset:         684
        .size:           2
        .value_kind:     hidden_remainder_y
      - .offset:         686
        .size:           2
        .value_kind:     hidden_remainder_z
      - .offset:         704
        .size:           8
        .value_kind:     hidden_global_offset_x
      - .offset:         712
        .size:           8
        .value_kind:     hidden_global_offset_y
      - .offset:         720
        .size:           8
        .value_kind:     hidden_global_offset_z
      - .offset:         728
        .size:           2
        .value_kind:     hidden_grid_dims
    .group_segment_fixed_size: 4120
    .kernarg_segment_align: 8
    .kernarg_segment_size: 920
    .language:       OpenCL C
    .language_version:
      - 2
      - 0
    .max_flat_workgroup_size: 1024
    .name:           _ZN2at6native12_GLOBAL__N_112gatherMedianIN3c108BFloat16EjLi3EEEvNS_4cuda6detail10TensorInfoIT_T0_EENS7_IlS9_EENS7_IKS8_S9_EES9_S9_S9_b
    .private_segment_fixed_size: 0
    .sgpr_count:     106
    .sgpr_spill_count: 49
    .symbol:         _ZN2at6native12_GLOBAL__N_112gatherMedianIN3c108BFloat16EjLi3EEEvNS_4cuda6detail10TensorInfoIT_T0_EENS7_IlS9_EENS7_IKS8_S9_EES9_S9_S9_b.kd
    .uniform_work_group_size: 1
    .uses_dynamic_stack: false
    .vgpr_count:     83
    .vgpr_spill_count: 0
    .wavefront_size: 64
  - .agpr_count:     0
    .args:
      - .offset:         0
        .size:           216
        .value_kind:     by_value
      - .offset:         216
        .size:           216
        .value_kind:     by_value
      - .offset:         432
        .size:           216
        .value_kind:     by_value
      - .offset:         648
        .size:           4
        .value_kind:     by_value
      - .offset:         652
        .size:           4
        .value_kind:     by_value
      - .offset:         656
        .size:           4
        .value_kind:     by_value
      - .offset:         660
        .size:           1
        .value_kind:     by_value
      - .offset:         664
        .size:           4
        .value_kind:     hidden_block_count_x
      - .offset:         668
        .size:           4
        .value_kind:     hidden_block_count_y
      - .offset:         672
        .size:           4
        .value_kind:     hidden_block_count_z
      - .offset:         676
        .size:           2
        .value_kind:     hidden_group_size_x
      - .offset:         678
        .size:           2
        .value_kind:     hidden_group_size_y
      - .offset:         680
        .size:           2
        .value_kind:     hidden_group_size_z
      - .offset:         682
        .size:           2
        .value_kind:     hidden_remainder_x
      - .offset:         684
        .size:           2
        .value_kind:     hidden_remainder_y
      - .offset:         686
        .size:           2
        .value_kind:     hidden_remainder_z
      - .offset:         704
        .size:           8
        .value_kind:     hidden_global_offset_x
      - .offset:         712
        .size:           8
        .value_kind:     hidden_global_offset_y
      - .offset:         720
        .size:           8
        .value_kind:     hidden_global_offset_z
      - .offset:         728
        .size:           2
        .value_kind:     hidden_grid_dims
    .group_segment_fixed_size: 4120
    .kernarg_segment_align: 8
    .kernarg_segment_size: 920
    .language:       OpenCL C
    .language_version:
      - 2
      - 0
    .max_flat_workgroup_size: 1024
    .name:           _ZN2at6native12_GLOBAL__N_112gatherMedianIN3c108BFloat16EjLin1EEEvNS_4cuda6detail10TensorInfoIT_T0_EENS7_IlS9_EENS7_IKS8_S9_EES9_S9_S9_b
    .private_segment_fixed_size: 0
    .sgpr_count:     106
    .sgpr_spill_count: 38
    .symbol:         _ZN2at6native12_GLOBAL__N_112gatherMedianIN3c108BFloat16EjLin1EEEvNS_4cuda6detail10TensorInfoIT_T0_EENS7_IlS9_EENS7_IKS8_S9_EES9_S9_S9_b.kd
    .uniform_work_group_size: 1
    .uses_dynamic_stack: false
    .vgpr_count:     83
    .vgpr_spill_count: 0
    .wavefront_size: 64
  - .agpr_count:     0
    .args:
      - .offset:         0
        .size:           416
        .value_kind:     by_value
      - .offset:         416
        .size:           416
        .value_kind:     by_value
      - .offset:         832
        .size:           416
        .value_kind:     by_value
      - .offset:         1248
        .size:           8
        .value_kind:     by_value
      - .offset:         1256
        .size:           8
        .value_kind:     by_value
      - .offset:         1264
        .size:           8
        .value_kind:     by_value
      - .offset:         1272
        .size:           1
        .value_kind:     by_value
      - .offset:         1280
        .size:           4
        .value_kind:     hidden_block_count_x
      - .offset:         1284
        .size:           4
        .value_kind:     hidden_block_count_y
      - .offset:         1288
        .size:           4
        .value_kind:     hidden_block_count_z
      - .offset:         1292
        .size:           2
        .value_kind:     hidden_group_size_x
      - .offset:         1294
        .size:           2
        .value_kind:     hidden_group_size_y
      - .offset:         1296
        .size:           2
        .value_kind:     hidden_group_size_z
      - .offset:         1298
        .size:           2
        .value_kind:     hidden_remainder_x
      - .offset:         1300
        .size:           2
        .value_kind:     hidden_remainder_y
      - .offset:         1302
        .size:           2
        .value_kind:     hidden_remainder_z
      - .offset:         1320
        .size:           8
        .value_kind:     hidden_global_offset_x
      - .offset:         1328
        .size:           8
        .value_kind:     hidden_global_offset_y
      - .offset:         1336
        .size:           8
        .value_kind:     hidden_global_offset_z
      - .offset:         1344
        .size:           2
        .value_kind:     hidden_grid_dims
    .group_segment_fixed_size: 5152
    .kernarg_segment_align: 8
    .kernarg_segment_size: 1536
    .language:       OpenCL C
    .language_version:
      - 2
      - 0
    .max_flat_workgroup_size: 1024
    .name:           _ZN2at6native12_GLOBAL__N_112gatherMedianIN3c108BFloat16EmLi1EEEvNS_4cuda6detail10TensorInfoIT_T0_EENS7_IlS9_EENS7_IKS8_S9_EES9_S9_S9_b
    .private_segment_fixed_size: 0
    .sgpr_count:     106
    .sgpr_spill_count: 42
    .symbol:         _ZN2at6native12_GLOBAL__N_112gatherMedianIN3c108BFloat16EmLi1EEEvNS_4cuda6detail10TensorInfoIT_T0_EENS7_IlS9_EENS7_IKS8_S9_EES9_S9_S9_b.kd
    .uniform_work_group_size: 1
    .uses_dynamic_stack: false
    .vgpr_count:     70
    .vgpr_spill_count: 0
    .wavefront_size: 64
  - .agpr_count:     0
    .args:
      - .offset:         0
        .size:           416
        .value_kind:     by_value
      - .offset:         416
        .size:           416
        .value_kind:     by_value
      - .offset:         832
        .size:           416
        .value_kind:     by_value
      - .offset:         1248
        .size:           8
        .value_kind:     by_value
      - .offset:         1256
        .size:           8
        .value_kind:     by_value
      - .offset:         1264
        .size:           8
        .value_kind:     by_value
      - .offset:         1272
        .size:           1
        .value_kind:     by_value
      - .offset:         1280
        .size:           4
        .value_kind:     hidden_block_count_x
      - .offset:         1284
        .size:           4
        .value_kind:     hidden_block_count_y
      - .offset:         1288
        .size:           4
        .value_kind:     hidden_block_count_z
      - .offset:         1292
        .size:           2
        .value_kind:     hidden_group_size_x
      - .offset:         1294
        .size:           2
        .value_kind:     hidden_group_size_y
      - .offset:         1296
        .size:           2
        .value_kind:     hidden_group_size_z
      - .offset:         1298
        .size:           2
        .value_kind:     hidden_remainder_x
      - .offset:         1300
        .size:           2
        .value_kind:     hidden_remainder_y
      - .offset:         1302
        .size:           2
        .value_kind:     hidden_remainder_z
      - .offset:         1320
        .size:           8
        .value_kind:     hidden_global_offset_x
      - .offset:         1328
        .size:           8
        .value_kind:     hidden_global_offset_y
      - .offset:         1336
        .size:           8
        .value_kind:     hidden_global_offset_z
      - .offset:         1344
        .size:           2
        .value_kind:     hidden_grid_dims
    .group_segment_fixed_size: 5152
    .kernarg_segment_align: 8
    .kernarg_segment_size: 1536
    .language:       OpenCL C
    .language_version:
      - 2
      - 0
    .max_flat_workgroup_size: 1024
    .name:           _ZN2at6native12_GLOBAL__N_112gatherMedianIN3c108BFloat16EmLi2EEEvNS_4cuda6detail10TensorInfoIT_T0_EENS7_IlS9_EENS7_IKS8_S9_EES9_S9_S9_b
    .private_segment_fixed_size: 0
    .sgpr_count:     106
    .sgpr_spill_count: 49
    .symbol:         _ZN2at6native12_GLOBAL__N_112gatherMedianIN3c108BFloat16EmLi2EEEvNS_4cuda6detail10TensorInfoIT_T0_EENS7_IlS9_EENS7_IKS8_S9_EES9_S9_S9_b.kd
    .uniform_work_group_size: 1
    .uses_dynamic_stack: false
    .vgpr_count:     62
    .vgpr_spill_count: 0
    .wavefront_size: 64
  - .agpr_count:     0
    .args:
      - .offset:         0
        .size:           416
        .value_kind:     by_value
      - .offset:         416
        .size:           416
        .value_kind:     by_value
      - .offset:         832
        .size:           416
        .value_kind:     by_value
      - .offset:         1248
        .size:           8
        .value_kind:     by_value
      - .offset:         1256
        .size:           8
        .value_kind:     by_value
      - .offset:         1264
        .size:           8
        .value_kind:     by_value
      - .offset:         1272
        .size:           1
        .value_kind:     by_value
      - .offset:         1280
        .size:           4
        .value_kind:     hidden_block_count_x
      - .offset:         1284
        .size:           4
        .value_kind:     hidden_block_count_y
      - .offset:         1288
        .size:           4
        .value_kind:     hidden_block_count_z
      - .offset:         1292
        .size:           2
        .value_kind:     hidden_group_size_x
      - .offset:         1294
        .size:           2
        .value_kind:     hidden_group_size_y
      - .offset:         1296
        .size:           2
        .value_kind:     hidden_group_size_z
      - .offset:         1298
        .size:           2
        .value_kind:     hidden_remainder_x
      - .offset:         1300
        .size:           2
        .value_kind:     hidden_remainder_y
      - .offset:         1302
        .size:           2
        .value_kind:     hidden_remainder_z
      - .offset:         1320
        .size:           8
        .value_kind:     hidden_global_offset_x
      - .offset:         1328
        .size:           8
        .value_kind:     hidden_global_offset_y
      - .offset:         1336
        .size:           8
        .value_kind:     hidden_global_offset_z
      - .offset:         1344
        .size:           2
        .value_kind:     hidden_grid_dims
    .group_segment_fixed_size: 5152
    .kernarg_segment_align: 8
    .kernarg_segment_size: 1536
    .language:       OpenCL C
    .language_version:
      - 2
      - 0
    .max_flat_workgroup_size: 1024
    .name:           _ZN2at6native12_GLOBAL__N_112gatherMedianIN3c108BFloat16EmLi3EEEvNS_4cuda6detail10TensorInfoIT_T0_EENS7_IlS9_EENS7_IKS8_S9_EES9_S9_S9_b
    .private_segment_fixed_size: 0
    .sgpr_count:     106
    .sgpr_spill_count: 61
    .symbol:         _ZN2at6native12_GLOBAL__N_112gatherMedianIN3c108BFloat16EmLi3EEEvNS_4cuda6detail10TensorInfoIT_T0_EENS7_IlS9_EENS7_IKS8_S9_EES9_S9_S9_b.kd
    .uniform_work_group_size: 1
    .uses_dynamic_stack: false
    .vgpr_count:     62
    .vgpr_spill_count: 0
    .wavefront_size: 64
  - .agpr_count:     0
    .args:
      - .offset:         0
        .size:           416
        .value_kind:     by_value
      - .offset:         416
        .size:           416
        .value_kind:     by_value
      - .offset:         832
        .size:           416
        .value_kind:     by_value
      - .offset:         1248
        .size:           8
        .value_kind:     by_value
      - .offset:         1256
        .size:           8
        .value_kind:     by_value
      - .offset:         1264
        .size:           8
        .value_kind:     by_value
      - .offset:         1272
        .size:           1
        .value_kind:     by_value
      - .offset:         1280
        .size:           4
        .value_kind:     hidden_block_count_x
      - .offset:         1284
        .size:           4
        .value_kind:     hidden_block_count_y
      - .offset:         1288
        .size:           4
        .value_kind:     hidden_block_count_z
      - .offset:         1292
        .size:           2
        .value_kind:     hidden_group_size_x
      - .offset:         1294
        .size:           2
        .value_kind:     hidden_group_size_y
      - .offset:         1296
        .size:           2
        .value_kind:     hidden_group_size_z
      - .offset:         1298
        .size:           2
        .value_kind:     hidden_remainder_x
      - .offset:         1300
        .size:           2
        .value_kind:     hidden_remainder_y
      - .offset:         1302
        .size:           2
        .value_kind:     hidden_remainder_z
      - .offset:         1320
        .size:           8
        .value_kind:     hidden_global_offset_x
      - .offset:         1328
        .size:           8
        .value_kind:     hidden_global_offset_y
      - .offset:         1336
        .size:           8
        .value_kind:     hidden_global_offset_z
      - .offset:         1344
        .size:           2
        .value_kind:     hidden_grid_dims
    .group_segment_fixed_size: 5152
    .kernarg_segment_align: 8
    .kernarg_segment_size: 1536
    .language:       OpenCL C
    .language_version:
      - 2
      - 0
    .max_flat_workgroup_size: 1024
    .name:           _ZN2at6native12_GLOBAL__N_112gatherMedianIN3c108BFloat16EmLin1EEEvNS_4cuda6detail10TensorInfoIT_T0_EENS7_IlS9_EENS7_IKS8_S9_EES9_S9_S9_b
    .private_segment_fixed_size: 0
    .sgpr_count:     106
    .sgpr_spill_count: 53
    .symbol:         _ZN2at6native12_GLOBAL__N_112gatherMedianIN3c108BFloat16EmLin1EEEvNS_4cuda6detail10TensorInfoIT_T0_EENS7_IlS9_EENS7_IKS8_S9_EES9_S9_S9_b.kd
    .uniform_work_group_size: 1
    .uses_dynamic_stack: false
    .vgpr_count:     72
    .vgpr_spill_count: 0
    .wavefront_size: 64
amdhsa.target:   amdgcn-amd-amdhsa--gfx950
amdhsa.version:
  - 1
  - 2
...

	.end_amdgpu_metadata
